;; amdgpu-corpus repo=ROCm/rocSOLVER kind=compiled arch=gfx950 opt=O3
	.amdgcn_target "amdgcn-amd-amdhsa--gfx950"
	.amdhsa_code_object_version 6
	.section	.text._ZN9rocsolver6v33100L18getf2_small_kernelILi1EfiiPfEEvT1_T3_lS3_lPS3_llPT2_S3_S3_S5_l,"axG",@progbits,_ZN9rocsolver6v33100L18getf2_small_kernelILi1EfiiPfEEvT1_T3_lS3_lPS3_llPT2_S3_S3_S5_l,comdat
	.globl	_ZN9rocsolver6v33100L18getf2_small_kernelILi1EfiiPfEEvT1_T3_lS3_lPS3_llPT2_S3_S3_S5_l ; -- Begin function _ZN9rocsolver6v33100L18getf2_small_kernelILi1EfiiPfEEvT1_T3_lS3_lPS3_llPT2_S3_S3_S5_l
	.p2align	8
	.type	_ZN9rocsolver6v33100L18getf2_small_kernelILi1EfiiPfEEvT1_T3_lS3_lPS3_llPT2_S3_S3_S5_l,@function
_ZN9rocsolver6v33100L18getf2_small_kernelILi1EfiiPfEEvT1_T3_lS3_lPS3_llPT2_S3_S3_S5_l: ; @_ZN9rocsolver6v33100L18getf2_small_kernelILi1EfiiPfEEvT1_T3_lS3_lPS3_llPT2_S3_S3_S5_l
; %bb.0:
	s_load_dword s2, s[0:1], 0x6c
	s_load_dwordx2 s[12:13], s[0:1], 0x48
	v_bfe_u32 v9, v0, 10, 10
	s_waitcnt lgkmcnt(0)
	s_lshr_b32 s2, s2, 16
	s_mul_i32 s3, s3, s2
	v_add_u32_e32 v2, s3, v9
	v_cmp_gt_i32_e32 vcc, s12, v2
	s_and_saveexec_b64 s[2:3], vcc
	s_cbranch_execz .LBB0_21
; %bb.1:
	s_load_dwordx4 s[4:7], s[0:1], 0x50
	v_ashrrev_i32_e32 v3, 31, v2
	s_waitcnt lgkmcnt(0)
	s_cmp_lg_u64 s[4:5], 0
	s_cselect_b64 s[14:15], -1, 0
	s_cmp_eq_u64 s[4:5], 0
	s_cbranch_scc1 .LBB0_3
; %bb.2:
	v_mul_lo_u32 v1, s7, v2
	v_mul_lo_u32 v6, s6, v3
	v_mad_u64_u32 v[4:5], s[2:3], s6, v2, 0
	v_add3_u32 v5, v5, v6, v1
	v_lshl_add_u64 v[6:7], v[4:5], 2, s[4:5]
	s_branch .LBB0_4
.LBB0_3:
	v_mov_b64_e32 v[6:7], 0
.LBB0_4:
	s_load_dwordx4 s[16:19], s[0:1], 0x8
	s_load_dwordx8 s[4:11], s[0:1], 0x20
	s_waitcnt lgkmcnt(0)
	v_mov_b32_e32 v4, s16
	v_mul_lo_u32 v1, s5, v2
	v_mul_lo_u32 v8, s4, v3
	v_mad_u64_u32 v[10:11], s[2:3], s4, v2, 0
	v_mov_b32_e32 v5, s17
	v_add3_u32 v11, v11, v8, v1
	v_lshl_add_u64 v[4:5], v[10:11], 2, v[4:5]
	v_and_b32_e32 v10, 0x3ff, v0
	v_lshl_add_u64 v[4:5], s[18:19], 2, v[4:5]
	v_lshlrev_b32_e32 v0, 2, v10
	v_mov_b32_e32 v1, 0
	v_lshl_add_u64 v[12:13], v[4:5], 0, v[0:1]
	global_load_dword v8, v[12:13], off
	s_load_dword s4, s[0:1], 0x0
	s_load_dwordx2 s[2:3], s[0:1], 0x40
	s_waitcnt lgkmcnt(0)
	s_max_i32 s0, s4, 1
	v_mul_lo_u32 v11, s0, v9
	v_lshl_add_u32 v9, v11, 2, 0
	v_add_u32_e32 v0, v9, v0
	s_cmp_lt_i32 s4, 2
	s_mov_b32 s0, 1
	s_waitcnt vmcnt(0)
	ds_write_b32 v0, v8
	s_waitcnt lgkmcnt(0)
	s_barrier
	ds_read_b32 v9, v9
	s_cbranch_scc1 .LBB0_7
; %bb.5:
	v_lshlrev_b32_e32 v0, 2, v11
	v_add3_u32 v0, v0, 0, 4
	v_mov_b32_e32 v1, 0
.LBB0_6:                                ; =>This Inner Loop Header: Depth=1
	ds_read_b32 v11, v0
	v_mov_b32_e32 v12, s0
	s_add_i32 s0, s0, 1
	v_add_u32_e32 v0, 4, v0
	s_cmp_eq_u32 s4, s0
	s_waitcnt lgkmcnt(0)
	v_cmp_lt_f32_e64 vcc, |v9|, |v11|
	s_nop 1
	v_cndmask_b32_e32 v9, v9, v11, vcc
	v_cndmask_b32_e32 v1, v1, v12, vcc
	s_cbranch_scc0 .LBB0_6
.LBB0_7:
	v_add_u32_e32 v11, 1, v10
	v_cmp_ne_u32_e32 vcc, v10, v1
	v_mov_b32_e32 v0, 0
	s_and_saveexec_b64 s[0:1], vcc
	s_cbranch_execz .LBB0_15
; %bb.8:
	v_cmp_eq_u32_e32 vcc, 0, v10
	s_and_saveexec_b64 s[4:5], vcc
	s_cbranch_execz .LBB0_14
; %bb.9:
	s_andn2_b64 vcc, exec, s[14:15]
	v_add_u32_e32 v11, 1, v1
	s_cbranch_vccnz .LBB0_13
; %bb.10:
	v_mov_b32_e32 v10, 0
	v_cmp_ne_u32_e32 vcc, 0, v1
	v_mov_b32_e32 v0, 1
	s_and_saveexec_b64 s[14:15], vcc
	s_cbranch_execz .LBB0_12
; %bb.11:
	v_mov_b32_e32 v13, 0
	v_mov_b32_e32 v12, v1
	v_lshl_add_u64 v[12:13], v[12:13], 2, v[6:7]
	global_load_dword v10, v[12:13], off
	global_load_dword v14, v[6:7], off
	v_mov_b32_e32 v0, v11
	s_waitcnt vmcnt(1)
	global_store_dword v[6:7], v10, off
	s_waitcnt vmcnt(1)
	global_store_dword v[12:13], v14, off
	v_mov_b32_e32 v10, v1
.LBB0_12:
	s_or_b64 exec, exec, s[14:15]
	v_mov_b32_e32 v11, v0
	v_mov_b32_e32 v1, v10
.LBB0_13:
	v_mov_b32_e32 v10, v1
.LBB0_14:
	s_or_b64 exec, exec, s[4:5]
	v_mov_b32_e32 v0, v10
.LBB0_15:
	s_or_b64 exec, exec, s[0:1]
	v_cmp_gt_i32_e32 vcc, 1, v0
	v_ashrrev_i32_e32 v1, 31, v0
	s_waitcnt lgkmcnt(0)
	s_barrier
	s_barrier
	s_and_saveexec_b64 s[0:1], vcc
	s_cbranch_execz .LBB0_17
; %bb.16:
	v_mul_lo_u32 v10, s11, v2
	v_mul_lo_u32 v14, s10, v3
	v_mad_u64_u32 v[12:13], s[4:5], s10, v2, 0
	v_mov_b32_e32 v6, s6
	v_mov_b32_e32 v7, s7
	v_add3_u32 v13, v13, v14, v10
	v_lshl_add_u64 v[6:7], v[12:13], 2, v[6:7]
	v_lshl_add_u64 v[6:7], s[8:9], 2, v[6:7]
	;; [unrolled: 1-line block ×3, first 2 shown]
	v_add_u32_e32 v10, s13, v11
	global_store_dword v[6:7], v10, off
.LBB0_17:
	s_or_b64 exec, exec, s[0:1]
	v_cmp_eq_f32_e64 s[0:1], 0, v9
	v_cmp_eq_u32_e32 vcc, 0, v0
	s_and_saveexec_b64 s[4:5], vcc
	s_cbranch_execz .LBB0_20
; %bb.18:
	v_mov_b32_e32 v6, s2
	v_mov_b32_e32 v7, s3
	v_lshl_add_u64 v[2:3], v[2:3], 2, v[6:7]
	global_load_dword v6, v[2:3], off
	s_waitcnt vmcnt(0)
	v_cmp_eq_u32_e32 vcc, 0, v6
	s_and_b64 s[2:3], vcc, s[0:1]
	s_and_b64 exec, exec, s[2:3]
	s_cbranch_execz .LBB0_20
; %bb.19:
	s_add_i32 s2, s13, 1
	v_mov_b32_e32 v6, s2
	global_store_dword v[2:3], v6, off
.LBB0_20:
	s_or_b64 exec, exec, s[4:5]
	v_div_scale_f32 v2, s[2:3], v9, v9, 1.0
	v_rcp_f32_e32 v3, v2
	v_div_scale_f32 v6, vcc, 1.0, v9, 1.0
	v_fma_f32 v7, -v2, v3, 1.0
	v_fmac_f32_e32 v3, v7, v3
	v_mul_f32_e32 v7, v6, v3
	v_fma_f32 v10, -v2, v7, v6
	v_fmac_f32_e32 v7, v10, v3
	v_fma_f32 v2, -v2, v7, v6
	v_div_fmas_f32 v2, v2, v3, v7
	v_div_fixup_f32 v2, v2, v9, 1.0
	v_cndmask_b32_e64 v2, v2, v9, s[0:1]
	v_mul_f32_e32 v2, v8, v2
	v_cmp_lt_i32_e32 vcc, 0, v0
	v_lshl_add_u64 v[0:1], v[0:1], 2, v[4:5]
	s_nop 0
	v_cndmask_b32_e32 v2, v8, v2, vcc
	global_store_dword v[0:1], v2, off
.LBB0_21:
	s_endpgm
	.section	.rodata,"a",@progbits
	.p2align	6, 0x0
	.amdhsa_kernel _ZN9rocsolver6v33100L18getf2_small_kernelILi1EfiiPfEEvT1_T3_lS3_lPS3_llPT2_S3_S3_S5_l
		.amdhsa_group_segment_fixed_size 0
		.amdhsa_private_segment_fixed_size 0
		.amdhsa_kernarg_size 352
		.amdhsa_user_sgpr_count 2
		.amdhsa_user_sgpr_dispatch_ptr 0
		.amdhsa_user_sgpr_queue_ptr 0
		.amdhsa_user_sgpr_kernarg_segment_ptr 1
		.amdhsa_user_sgpr_dispatch_id 0
		.amdhsa_user_sgpr_kernarg_preload_length 0
		.amdhsa_user_sgpr_kernarg_preload_offset 0
		.amdhsa_user_sgpr_private_segment_size 0
		.amdhsa_uses_dynamic_stack 0
		.amdhsa_enable_private_segment 0
		.amdhsa_system_sgpr_workgroup_id_x 1
		.amdhsa_system_sgpr_workgroup_id_y 1
		.amdhsa_system_sgpr_workgroup_id_z 0
		.amdhsa_system_sgpr_workgroup_info 0
		.amdhsa_system_vgpr_workitem_id 1
		.amdhsa_next_free_vgpr 15
		.amdhsa_next_free_sgpr 20
		.amdhsa_accum_offset 16
		.amdhsa_reserve_vcc 1
		.amdhsa_float_round_mode_32 0
		.amdhsa_float_round_mode_16_64 0
		.amdhsa_float_denorm_mode_32 3
		.amdhsa_float_denorm_mode_16_64 3
		.amdhsa_dx10_clamp 1
		.amdhsa_ieee_mode 1
		.amdhsa_fp16_overflow 0
		.amdhsa_tg_split 0
		.amdhsa_exception_fp_ieee_invalid_op 0
		.amdhsa_exception_fp_denorm_src 0
		.amdhsa_exception_fp_ieee_div_zero 0
		.amdhsa_exception_fp_ieee_overflow 0
		.amdhsa_exception_fp_ieee_underflow 0
		.amdhsa_exception_fp_ieee_inexact 0
		.amdhsa_exception_int_div_zero 0
	.end_amdhsa_kernel
	.section	.text._ZN9rocsolver6v33100L18getf2_small_kernelILi1EfiiPfEEvT1_T3_lS3_lPS3_llPT2_S3_S3_S5_l,"axG",@progbits,_ZN9rocsolver6v33100L18getf2_small_kernelILi1EfiiPfEEvT1_T3_lS3_lPS3_llPT2_S3_S3_S5_l,comdat
.Lfunc_end0:
	.size	_ZN9rocsolver6v33100L18getf2_small_kernelILi1EfiiPfEEvT1_T3_lS3_lPS3_llPT2_S3_S3_S5_l, .Lfunc_end0-_ZN9rocsolver6v33100L18getf2_small_kernelILi1EfiiPfEEvT1_T3_lS3_lPS3_llPT2_S3_S3_S5_l
                                        ; -- End function
	.set _ZN9rocsolver6v33100L18getf2_small_kernelILi1EfiiPfEEvT1_T3_lS3_lPS3_llPT2_S3_S3_S5_l.num_vgpr, 15
	.set _ZN9rocsolver6v33100L18getf2_small_kernelILi1EfiiPfEEvT1_T3_lS3_lPS3_llPT2_S3_S3_S5_l.num_agpr, 0
	.set _ZN9rocsolver6v33100L18getf2_small_kernelILi1EfiiPfEEvT1_T3_lS3_lPS3_llPT2_S3_S3_S5_l.numbered_sgpr, 20
	.set _ZN9rocsolver6v33100L18getf2_small_kernelILi1EfiiPfEEvT1_T3_lS3_lPS3_llPT2_S3_S3_S5_l.num_named_barrier, 0
	.set _ZN9rocsolver6v33100L18getf2_small_kernelILi1EfiiPfEEvT1_T3_lS3_lPS3_llPT2_S3_S3_S5_l.private_seg_size, 0
	.set _ZN9rocsolver6v33100L18getf2_small_kernelILi1EfiiPfEEvT1_T3_lS3_lPS3_llPT2_S3_S3_S5_l.uses_vcc, 1
	.set _ZN9rocsolver6v33100L18getf2_small_kernelILi1EfiiPfEEvT1_T3_lS3_lPS3_llPT2_S3_S3_S5_l.uses_flat_scratch, 0
	.set _ZN9rocsolver6v33100L18getf2_small_kernelILi1EfiiPfEEvT1_T3_lS3_lPS3_llPT2_S3_S3_S5_l.has_dyn_sized_stack, 0
	.set _ZN9rocsolver6v33100L18getf2_small_kernelILi1EfiiPfEEvT1_T3_lS3_lPS3_llPT2_S3_S3_S5_l.has_recursion, 0
	.set _ZN9rocsolver6v33100L18getf2_small_kernelILi1EfiiPfEEvT1_T3_lS3_lPS3_llPT2_S3_S3_S5_l.has_indirect_call, 0
	.section	.AMDGPU.csdata,"",@progbits
; Kernel info:
; codeLenInByte = 856
; TotalNumSgprs: 26
; NumVgprs: 15
; NumAgprs: 0
; TotalNumVgprs: 15
; ScratchSize: 0
; MemoryBound: 0
; FloatMode: 240
; IeeeMode: 1
; LDSByteSize: 0 bytes/workgroup (compile time only)
; SGPRBlocks: 3
; VGPRBlocks: 1
; NumSGPRsForWavesPerEU: 26
; NumVGPRsForWavesPerEU: 15
; AccumOffset: 16
; Occupancy: 8
; WaveLimiterHint : 0
; COMPUTE_PGM_RSRC2:SCRATCH_EN: 0
; COMPUTE_PGM_RSRC2:USER_SGPR: 2
; COMPUTE_PGM_RSRC2:TRAP_HANDLER: 0
; COMPUTE_PGM_RSRC2:TGID_X_EN: 1
; COMPUTE_PGM_RSRC2:TGID_Y_EN: 1
; COMPUTE_PGM_RSRC2:TGID_Z_EN: 0
; COMPUTE_PGM_RSRC2:TIDIG_COMP_CNT: 1
; COMPUTE_PGM_RSRC3_GFX90A:ACCUM_OFFSET: 3
; COMPUTE_PGM_RSRC3_GFX90A:TG_SPLIT: 0
	.section	.text._ZN9rocsolver6v33100L23getf2_npvt_small_kernelILi1EfiiPfEEvT1_T3_lS3_lPT2_S3_S3_,"axG",@progbits,_ZN9rocsolver6v33100L23getf2_npvt_small_kernelILi1EfiiPfEEvT1_T3_lS3_lPT2_S3_S3_,comdat
	.globl	_ZN9rocsolver6v33100L23getf2_npvt_small_kernelILi1EfiiPfEEvT1_T3_lS3_lPT2_S3_S3_ ; -- Begin function _ZN9rocsolver6v33100L23getf2_npvt_small_kernelILi1EfiiPfEEvT1_T3_lS3_lPT2_S3_S3_
	.p2align	8
	.type	_ZN9rocsolver6v33100L23getf2_npvt_small_kernelILi1EfiiPfEEvT1_T3_lS3_lPT2_S3_S3_,@function
_ZN9rocsolver6v33100L23getf2_npvt_small_kernelILi1EfiiPfEEvT1_T3_lS3_lPT2_S3_S3_: ; @_ZN9rocsolver6v33100L23getf2_npvt_small_kernelILi1EfiiPfEEvT1_T3_lS3_lPT2_S3_S3_
; %bb.0:
	s_load_dword s2, s[0:1], 0x44
	s_load_dwordx2 s[8:9], s[0:1], 0x30
	v_bfe_u32 v5, v0, 10, 10
	s_waitcnt lgkmcnt(0)
	s_lshr_b32 s2, s2, 16
	s_mul_i32 s3, s3, s2
	v_add_u32_e32 v2, s3, v5
	v_cmp_gt_i32_e32 vcc, s8, v2
	s_and_saveexec_b64 s[4:5], vcc
	s_cbranch_execz .LBB1_8
; %bb.1:
	s_load_dwordx4 s[12:15], s[0:1], 0x8
	s_load_dwordx4 s[4:7], s[0:1], 0x20
	v_ashrrev_i32_e32 v3, 31, v2
	s_waitcnt lgkmcnt(0)
	v_mov_b32_e32 v6, s12
	v_mul_lo_u32 v1, s5, v2
	v_mul_lo_u32 v4, s4, v3
	v_mad_u64_u32 v[8:9], s[0:1], s4, v2, 0
	v_mov_b32_e32 v7, s13
	v_add3_u32 v9, v9, v4, v1
	v_lshl_add_u64 v[6:7], v[8:9], 2, v[6:7]
	v_and_b32_e32 v8, 0x3ff, v0
	v_lshl_add_u64 v[6:7], s[14:15], 2, v[6:7]
	v_lshlrev_b32_e32 v0, 2, v8
	v_mov_b32_e32 v1, 0
	v_lshl_add_u64 v[0:1], v[6:7], 0, v[0:1]
	global_load_dword v4, v[0:1], off
	s_lshl_b32 s0, s2, 2
	s_add_i32 s2, s0, 0
	v_cmp_eq_u32_e64 s[0:1], 0, v8
	v_lshl_add_u32 v5, v5, 2, s2
	s_and_saveexec_b64 s[2:3], s[0:1]
	s_cbranch_execz .LBB1_4
; %bb.2:
	s_waitcnt vmcnt(0)
	v_cmp_neq_f32_e32 vcc, 0, v4
	ds_write_b32 v5, v4
	s_and_b64 exec, exec, vcc
	s_cbranch_execz .LBB1_4
; %bb.3:
	v_div_scale_f32 v6, s[4:5], v4, v4, 1.0
	v_rcp_f32_e32 v7, v6
	v_div_scale_f32 v8, vcc, 1.0, v4, 1.0
	v_fma_f32 v9, -v6, v7, 1.0
	v_fmac_f32_e32 v7, v9, v7
	v_mul_f32_e32 v9, v8, v7
	v_fma_f32 v10, -v6, v9, v8
	v_fmac_f32_e32 v9, v10, v7
	v_fma_f32 v6, -v6, v9, v8
	v_div_fmas_f32 v6, v6, v7, v9
	v_div_fixup_f32 v6, v6, v4, 1.0
	ds_write_b32 v5, v6
.LBB1_4:
	s_or_b64 exec, exec, s[2:3]
	s_waitcnt lgkmcnt(0)
	s_barrier
	ds_read_b32 v5, v5
	s_waitcnt lgkmcnt(0)
	s_barrier
	s_and_saveexec_b64 s[4:5], s[0:1]
	s_cbranch_execz .LBB1_7
; %bb.5:
	v_mov_b32_e32 v6, s6
	v_mov_b32_e32 v7, s7
	v_lshl_add_u64 v[2:3], v[2:3], 2, v[6:7]
	global_load_dword v6, v[2:3], off
	v_cmp_eq_f32_e32 vcc, 0, v5
	s_waitcnt vmcnt(0)
	v_cmp_eq_u32_e64 s[2:3], 0, v6
	s_and_b64 s[2:3], s[2:3], vcc
	s_and_b64 exec, exec, s[2:3]
	s_cbranch_execz .LBB1_7
; %bb.6:
	s_add_i32 s2, s9, 1
	v_mov_b32_e32 v6, s2
	global_store_dword v[2:3], v6, off
.LBB1_7:
	s_or_b64 exec, exec, s[4:5]
	s_waitcnt vmcnt(0)
	v_mul_f32_e32 v2, v4, v5
	v_cndmask_b32_e64 v2, v2, v4, s[0:1]
	global_store_dword v[0:1], v2, off
.LBB1_8:
	s_endpgm
	.section	.rodata,"a",@progbits
	.p2align	6, 0x0
	.amdhsa_kernel _ZN9rocsolver6v33100L23getf2_npvt_small_kernelILi1EfiiPfEEvT1_T3_lS3_lPT2_S3_S3_
		.amdhsa_group_segment_fixed_size 0
		.amdhsa_private_segment_fixed_size 0
		.amdhsa_kernarg_size 312
		.amdhsa_user_sgpr_count 2
		.amdhsa_user_sgpr_dispatch_ptr 0
		.amdhsa_user_sgpr_queue_ptr 0
		.amdhsa_user_sgpr_kernarg_segment_ptr 1
		.amdhsa_user_sgpr_dispatch_id 0
		.amdhsa_user_sgpr_kernarg_preload_length 0
		.amdhsa_user_sgpr_kernarg_preload_offset 0
		.amdhsa_user_sgpr_private_segment_size 0
		.amdhsa_uses_dynamic_stack 0
		.amdhsa_enable_private_segment 0
		.amdhsa_system_sgpr_workgroup_id_x 1
		.amdhsa_system_sgpr_workgroup_id_y 1
		.amdhsa_system_sgpr_workgroup_id_z 0
		.amdhsa_system_sgpr_workgroup_info 0
		.amdhsa_system_vgpr_workitem_id 1
		.amdhsa_next_free_vgpr 11
		.amdhsa_next_free_sgpr 16
		.amdhsa_accum_offset 12
		.amdhsa_reserve_vcc 1
		.amdhsa_float_round_mode_32 0
		.amdhsa_float_round_mode_16_64 0
		.amdhsa_float_denorm_mode_32 3
		.amdhsa_float_denorm_mode_16_64 3
		.amdhsa_dx10_clamp 1
		.amdhsa_ieee_mode 1
		.amdhsa_fp16_overflow 0
		.amdhsa_tg_split 0
		.amdhsa_exception_fp_ieee_invalid_op 0
		.amdhsa_exception_fp_denorm_src 0
		.amdhsa_exception_fp_ieee_div_zero 0
		.amdhsa_exception_fp_ieee_overflow 0
		.amdhsa_exception_fp_ieee_underflow 0
		.amdhsa_exception_fp_ieee_inexact 0
		.amdhsa_exception_int_div_zero 0
	.end_amdhsa_kernel
	.section	.text._ZN9rocsolver6v33100L23getf2_npvt_small_kernelILi1EfiiPfEEvT1_T3_lS3_lPT2_S3_S3_,"axG",@progbits,_ZN9rocsolver6v33100L23getf2_npvt_small_kernelILi1EfiiPfEEvT1_T3_lS3_lPT2_S3_S3_,comdat
.Lfunc_end1:
	.size	_ZN9rocsolver6v33100L23getf2_npvt_small_kernelILi1EfiiPfEEvT1_T3_lS3_lPT2_S3_S3_, .Lfunc_end1-_ZN9rocsolver6v33100L23getf2_npvt_small_kernelILi1EfiiPfEEvT1_T3_lS3_lPT2_S3_S3_
                                        ; -- End function
	.set _ZN9rocsolver6v33100L23getf2_npvt_small_kernelILi1EfiiPfEEvT1_T3_lS3_lPT2_S3_S3_.num_vgpr, 11
	.set _ZN9rocsolver6v33100L23getf2_npvt_small_kernelILi1EfiiPfEEvT1_T3_lS3_lPT2_S3_S3_.num_agpr, 0
	.set _ZN9rocsolver6v33100L23getf2_npvt_small_kernelILi1EfiiPfEEvT1_T3_lS3_lPT2_S3_S3_.numbered_sgpr, 16
	.set _ZN9rocsolver6v33100L23getf2_npvt_small_kernelILi1EfiiPfEEvT1_T3_lS3_lPT2_S3_S3_.num_named_barrier, 0
	.set _ZN9rocsolver6v33100L23getf2_npvt_small_kernelILi1EfiiPfEEvT1_T3_lS3_lPT2_S3_S3_.private_seg_size, 0
	.set _ZN9rocsolver6v33100L23getf2_npvt_small_kernelILi1EfiiPfEEvT1_T3_lS3_lPT2_S3_S3_.uses_vcc, 1
	.set _ZN9rocsolver6v33100L23getf2_npvt_small_kernelILi1EfiiPfEEvT1_T3_lS3_lPT2_S3_S3_.uses_flat_scratch, 0
	.set _ZN9rocsolver6v33100L23getf2_npvt_small_kernelILi1EfiiPfEEvT1_T3_lS3_lPT2_S3_S3_.has_dyn_sized_stack, 0
	.set _ZN9rocsolver6v33100L23getf2_npvt_small_kernelILi1EfiiPfEEvT1_T3_lS3_lPT2_S3_S3_.has_recursion, 0
	.set _ZN9rocsolver6v33100L23getf2_npvt_small_kernelILi1EfiiPfEEvT1_T3_lS3_lPT2_S3_S3_.has_indirect_call, 0
	.section	.AMDGPU.csdata,"",@progbits
; Kernel info:
; codeLenInByte = 436
; TotalNumSgprs: 22
; NumVgprs: 11
; NumAgprs: 0
; TotalNumVgprs: 11
; ScratchSize: 0
; MemoryBound: 0
; FloatMode: 240
; IeeeMode: 1
; LDSByteSize: 0 bytes/workgroup (compile time only)
; SGPRBlocks: 2
; VGPRBlocks: 1
; NumSGPRsForWavesPerEU: 22
; NumVGPRsForWavesPerEU: 11
; AccumOffset: 12
; Occupancy: 8
; WaveLimiterHint : 0
; COMPUTE_PGM_RSRC2:SCRATCH_EN: 0
; COMPUTE_PGM_RSRC2:USER_SGPR: 2
; COMPUTE_PGM_RSRC2:TRAP_HANDLER: 0
; COMPUTE_PGM_RSRC2:TGID_X_EN: 1
; COMPUTE_PGM_RSRC2:TGID_Y_EN: 1
; COMPUTE_PGM_RSRC2:TGID_Z_EN: 0
; COMPUTE_PGM_RSRC2:TIDIG_COMP_CNT: 1
; COMPUTE_PGM_RSRC3_GFX90A:ACCUM_OFFSET: 2
; COMPUTE_PGM_RSRC3_GFX90A:TG_SPLIT: 0
	.section	.text._ZN9rocsolver6v33100L18getf2_small_kernelILi2EfiiPfEEvT1_T3_lS3_lPS3_llPT2_S3_S3_S5_l,"axG",@progbits,_ZN9rocsolver6v33100L18getf2_small_kernelILi2EfiiPfEEvT1_T3_lS3_lPS3_llPT2_S3_S3_S5_l,comdat
	.globl	_ZN9rocsolver6v33100L18getf2_small_kernelILi2EfiiPfEEvT1_T3_lS3_lPS3_llPT2_S3_S3_S5_l ; -- Begin function _ZN9rocsolver6v33100L18getf2_small_kernelILi2EfiiPfEEvT1_T3_lS3_lPS3_llPT2_S3_S3_S5_l
	.p2align	8
	.type	_ZN9rocsolver6v33100L18getf2_small_kernelILi2EfiiPfEEvT1_T3_lS3_lPS3_llPT2_S3_S3_S5_l,@function
_ZN9rocsolver6v33100L18getf2_small_kernelILi2EfiiPfEEvT1_T3_lS3_lPS3_llPT2_S3_S3_S5_l: ; @_ZN9rocsolver6v33100L18getf2_small_kernelILi2EfiiPfEEvT1_T3_lS3_lPS3_llPT2_S3_S3_S5_l
; %bb.0:
	s_load_dword s2, s[0:1], 0x6c
	s_load_dwordx2 s[12:13], s[0:1], 0x48
	v_bfe_u32 v10, v0, 10, 10
	s_waitcnt lgkmcnt(0)
	s_lshr_b32 s2, s2, 16
	s_mul_i32 s3, s3, s2
	v_add_u32_e32 v2, s3, v10
	v_cmp_gt_i32_e32 vcc, s12, v2
	s_and_saveexec_b64 s[2:3], vcc
	s_cbranch_execz .LBB2_31
; %bb.1:
	s_load_dwordx4 s[4:7], s[0:1], 0x50
	v_ashrrev_i32_e32 v3, 31, v2
	v_mov_b64_e32 v[6:7], 0
	s_waitcnt lgkmcnt(0)
	s_cmp_eq_u64 s[4:5], 0
	s_cselect_b64 s[2:3], -1, 0
	s_and_b64 vcc, exec, s[2:3]
	s_cbranch_vccnz .LBB2_3
; %bb.2:
	v_mul_lo_u32 v1, s7, v2
	v_mul_lo_u32 v6, s6, v3
	v_mad_u64_u32 v[4:5], s[6:7], s6, v2, 0
	v_add3_u32 v5, v5, v6, v1
	v_lshl_add_u64 v[6:7], v[4:5], 2, s[4:5]
.LBB2_3:
	s_load_dwordx4 s[16:19], s[0:1], 0x8
	s_load_dwordx8 s[4:11], s[0:1], 0x20
	s_load_dword s14, s[0:1], 0x18
	v_and_b32_e32 v14, 0x3ff, v0
	s_waitcnt lgkmcnt(0)
	v_mov_b32_e32 v4, s16
	v_mul_lo_u32 v1, s5, v2
	v_mul_lo_u32 v11, s4, v3
	v_mad_u64_u32 v[8:9], s[4:5], s4, v2, 0
	v_mov_b32_e32 v5, s17
	v_add3_u32 v9, v9, v11, v1
	v_lshl_add_u64 v[4:5], v[8:9], 2, v[4:5]
	v_lshl_add_u64 v[4:5], s[18:19], 2, v[4:5]
	v_lshlrev_b32_e32 v8, 2, v14
	v_mov_b32_e32 v9, 0
	v_lshl_add_u64 v[12:13], v[4:5], 0, v[8:9]
	global_load_dword v0, v[12:13], off
	s_ashr_i32 s15, s14, 31
	v_lshl_add_u64 v[12:13], s[14:15], 2, v[12:13]
	global_load_dword v1, v[12:13], off
	s_load_dword s12, s[0:1], 0x0
	s_load_dwordx2 s[4:5], s[0:1], 0x40
	s_waitcnt lgkmcnt(0)
	s_max_i32 s0, s12, 2
	v_mul_lo_u32 v11, s0, v10
	v_lshl_add_u32 v10, v11, 2, 0
	v_add_u32_e32 v8, v10, v8
	s_cmp_lt_i32 s12, 2
	s_waitcnt vmcnt(1)
	ds_write_b32 v8, v0
	s_waitcnt lgkmcnt(0)
	s_barrier
	ds_read_b32 v12, v10
	v_lshlrev_b32_e32 v8, 2, v11
	s_cbranch_scc1 .LBB2_6
; %bb.4:
	v_add3_u32 v11, v8, 0, 4
	v_mov_b32_e32 v9, 0
	s_mov_b32 s0, 1
.LBB2_5:                                ; =>This Inner Loop Header: Depth=1
	ds_read_b32 v13, v11
	v_mov_b32_e32 v15, s0
	s_add_i32 s0, s0, 1
	v_add_u32_e32 v11, 4, v11
	s_cmp_eq_u32 s12, s0
	s_waitcnt lgkmcnt(0)
	v_cmp_lt_f32_e64 vcc, |v12|, |v13|
	s_nop 1
	v_cndmask_b32_e32 v12, v12, v13, vcc
	v_cndmask_b32_e32 v9, v9, v15, vcc
	s_cbranch_scc0 .LBB2_5
.LBB2_6:
	v_cmp_ne_u32_e32 vcc, v14, v9
                                        ; implicit-def: $vgpr13
	s_and_saveexec_b64 s[0:1], vcc
	s_xor_b64 s[0:1], exec, s[0:1]
	s_cbranch_execz .LBB2_12
; %bb.7:
	v_cmp_eq_u32_e32 vcc, 0, v14
	s_and_saveexec_b64 s[16:17], vcc
	s_cbranch_execz .LBB2_11
; %bb.8:
	v_cmp_ne_u32_e32 vcc, 0, v9
	s_xor_b64 s[18:19], s[2:3], -1
	s_and_b64 s[20:21], s[18:19], vcc
	s_and_saveexec_b64 s[18:19], s[20:21]
	s_cbranch_execz .LBB2_10
; %bb.9:
	v_ashrrev_i32_e32 v15, 31, v9
	v_mov_b32_e32 v14, v9
	v_lshl_add_u64 v[14:15], v[14:15], 2, v[6:7]
	global_load_dword v11, v[14:15], off
	global_load_dword v13, v[6:7], off
	s_waitcnt vmcnt(1)
	global_store_dword v[6:7], v11, off
	s_waitcnt vmcnt(1)
	global_store_dword v[14:15], v13, off
.LBB2_10:
	s_or_b64 exec, exec, s[18:19]
	v_mov_b32_e32 v14, v9
.LBB2_11:
	s_or_b64 exec, exec, s[16:17]
	v_mov_b32_e32 v13, v14
                                        ; implicit-def: $vgpr14
.LBB2_12:
	s_or_saveexec_b64 s[0:1], s[0:1]
	v_mov_b32_e32 v11, v13
	s_xor_b64 exec, exec, s[0:1]
	s_cbranch_execz .LBB2_14
; %bb.13:
	v_mov_b32_e32 v13, 0
	v_mov_b32_e32 v11, v14
	s_waitcnt vmcnt(0)
	ds_write_b32 v10, v1 offset:4
.LBB2_14:
	s_or_b64 exec, exec, s[0:1]
	s_waitcnt lgkmcnt(0)
	v_cmp_eq_f32_e64 s[0:1], 0, v12
	v_cmp_lt_i32_e32 vcc, 0, v13
	s_barrier
	s_and_saveexec_b64 s[16:17], vcc
	s_cbranch_execz .LBB2_16
; %bb.15:
	v_div_scale_f32 v9, s[18:19], v12, v12, 1.0
	v_rcp_f32_e32 v14, v9
	v_div_scale_f32 v15, vcc, 1.0, v12, 1.0
	v_fma_f32 v16, -v9, v14, 1.0
	v_fmac_f32_e32 v14, v16, v14
	v_mul_f32_e32 v16, v15, v14
	v_fma_f32 v17, -v9, v16, v15
	v_fmac_f32_e32 v16, v17, v14
	v_fma_f32 v9, -v9, v16, v15
	ds_read_b32 v15, v10 offset:4
	v_div_fmas_f32 v9, v9, v14, v16
	v_div_fixup_f32 v9, v9, v12, 1.0
	v_cndmask_b32_e64 v9, v9, v12, s[0:1]
	v_mul_f32_e32 v0, v0, v9
	s_waitcnt vmcnt(0) lgkmcnt(0)
	v_fma_f32 v1, -v0, v15, v1
.LBB2_16:
	s_or_b64 exec, exec, s[16:17]
	v_lshl_add_u32 v9, v13, 2, v10
	s_barrier
	s_waitcnt vmcnt(0)
	ds_write_b32 v9, v1
	s_waitcnt lgkmcnt(0)
	s_barrier
	ds_read_b32 v12, v10 offset:4
	s_mov_b32 s16, 2
	s_cmp_lt_i32 s12, 3
	v_mov_b32_e32 v10, 1
	s_cbranch_scc1 .LBB2_19
; %bb.17:
	v_add3_u32 v8, v8, 0, 8
	v_mov_b32_e32 v10, 1
.LBB2_18:                               ; =>This Inner Loop Header: Depth=1
	ds_read_b32 v9, v8
	v_mov_b32_e32 v14, s16
	s_add_i32 s16, s16, 1
	v_add_u32_e32 v8, 4, v8
	s_cmp_lg_u32 s12, s16
	s_waitcnt lgkmcnt(0)
	v_cmp_lt_f32_e64 vcc, |v12|, |v9|
	s_nop 1
	v_cndmask_b32_e32 v12, v12, v9, vcc
	v_cndmask_b32_e32 v10, v10, v14, vcc
	s_cbranch_scc1 .LBB2_18
.LBB2_19:
	v_cmp_ne_u32_e32 vcc, v13, v10
	v_mov_b32_e32 v8, 1
	s_and_saveexec_b64 s[16:17], vcc
	s_cbranch_execz .LBB2_25
; %bb.20:
	v_cmp_eq_u32_e32 vcc, 1, v13
	s_and_saveexec_b64 s[18:19], vcc
	s_cbranch_execz .LBB2_24
; %bb.21:
	v_cmp_ne_u32_e32 vcc, 1, v10
	s_xor_b64 s[2:3], s[2:3], -1
	s_and_b64 s[20:21], s[2:3], vcc
	s_and_saveexec_b64 s[2:3], s[20:21]
	s_cbranch_execz .LBB2_23
; %bb.22:
	v_ashrrev_i32_e32 v11, 31, v10
	v_lshl_add_u64 v[8:9], v[10:11], 2, v[6:7]
	global_load_dword v11, v[8:9], off
	global_load_dword v13, v[6:7], off offset:4
	s_waitcnt vmcnt(1)
	global_store_dword v[6:7], v11, off offset:4
	s_waitcnt vmcnt(1)
	global_store_dword v[8:9], v13, off
.LBB2_23:
	s_or_b64 exec, exec, s[2:3]
	v_mov_b32_e32 v11, v10
	v_mov_b32_e32 v13, v10
.LBB2_24:
	s_or_b64 exec, exec, s[18:19]
	v_mov_b32_e32 v8, v13
.LBB2_25:
	s_or_b64 exec, exec, s[16:17]
	v_cmp_gt_i32_e32 vcc, 2, v8
	v_ashrrev_i32_e32 v9, 31, v8
	s_waitcnt lgkmcnt(0)
	s_barrier
	s_barrier
	s_and_saveexec_b64 s[2:3], vcc
	s_cbranch_execz .LBB2_27
; %bb.26:
	v_mov_b32_e32 v6, s6
	v_mov_b32_e32 v7, s7
	v_mul_lo_u32 v10, s11, v2
	v_mul_lo_u32 v13, s10, v3
	v_mad_u64_u32 v[14:15], s[6:7], s10, v2, 0
	v_add3_u32 v15, v15, v13, v10
	v_lshl_add_u64 v[6:7], v[14:15], 2, v[6:7]
	v_lshl_add_u64 v[6:7], s[8:9], 2, v[6:7]
	;; [unrolled: 1-line block ×3, first 2 shown]
	v_add3_u32 v10, v11, s13, 1
	global_store_dword v[6:7], v10, off
.LBB2_27:
	s_or_b64 exec, exec, s[2:3]
	v_cmp_eq_f32_e64 s[2:3], 0, v12
	v_cmp_eq_u32_e32 vcc, 0, v8
	s_and_saveexec_b64 s[6:7], vcc
	s_cbranch_execz .LBB2_30
; %bb.28:
	v_mov_b32_e32 v6, s4
	v_mov_b32_e32 v7, s5
	v_lshl_add_u64 v[2:3], v[2:3], 2, v[6:7]
	global_load_dword v6, v[2:3], off
	s_or_b64 s[4:5], s[2:3], s[0:1]
	s_waitcnt vmcnt(0)
	v_cmp_eq_u32_e32 vcc, 0, v6
	s_and_b64 s[4:5], vcc, s[4:5]
	s_and_b64 exec, exec, s[4:5]
	s_cbranch_execz .LBB2_30
; %bb.29:
	v_cndmask_b32_e64 v6, 2, 1, s[0:1]
	v_cndmask_b32_e64 v7, 0, 1, s[0:1]
	;; [unrolled: 1-line block ×3, first 2 shown]
	v_add_u32_e32 v6, s13, v6
	global_store_dword v[2:3], v6, off
.LBB2_30:
	s_or_b64 exec, exec, s[6:7]
	v_div_scale_f32 v2, s[0:1], v12, v12, 1.0
	v_rcp_f32_e32 v3, v2
	v_div_scale_f32 v6, vcc, 1.0, v12, 1.0
	v_fma_f32 v7, -v2, v3, 1.0
	v_fmac_f32_e32 v3, v7, v3
	v_mul_f32_e32 v7, v6, v3
	v_fma_f32 v10, -v2, v7, v6
	v_fmac_f32_e32 v7, v10, v3
	v_fma_f32 v2, -v2, v7, v6
	v_div_fmas_f32 v2, v2, v3, v7
	v_div_fixup_f32 v2, v2, v12, 1.0
	v_cndmask_b32_e64 v2, v2, v12, s[2:3]
	v_mul_f32_e32 v2, v1, v2
	v_cmp_lt_i32_e32 vcc, 1, v8
	s_nop 1
	v_cndmask_b32_e32 v6, v1, v2, vcc
	v_lshl_add_u64 v[2:3], v[8:9], 2, v[4:5]
	global_store_dword v[2:3], v0, off
	v_lshl_add_u64 v[0:1], s[14:15], 2, v[2:3]
	global_store_dword v[0:1], v6, off
.LBB2_31:
	s_endpgm
	.section	.rodata,"a",@progbits
	.p2align	6, 0x0
	.amdhsa_kernel _ZN9rocsolver6v33100L18getf2_small_kernelILi2EfiiPfEEvT1_T3_lS3_lPS3_llPT2_S3_S3_S5_l
		.amdhsa_group_segment_fixed_size 0
		.amdhsa_private_segment_fixed_size 0
		.amdhsa_kernarg_size 352
		.amdhsa_user_sgpr_count 2
		.amdhsa_user_sgpr_dispatch_ptr 0
		.amdhsa_user_sgpr_queue_ptr 0
		.amdhsa_user_sgpr_kernarg_segment_ptr 1
		.amdhsa_user_sgpr_dispatch_id 0
		.amdhsa_user_sgpr_kernarg_preload_length 0
		.amdhsa_user_sgpr_kernarg_preload_offset 0
		.amdhsa_user_sgpr_private_segment_size 0
		.amdhsa_uses_dynamic_stack 0
		.amdhsa_enable_private_segment 0
		.amdhsa_system_sgpr_workgroup_id_x 1
		.amdhsa_system_sgpr_workgroup_id_y 1
		.amdhsa_system_sgpr_workgroup_id_z 0
		.amdhsa_system_sgpr_workgroup_info 0
		.amdhsa_system_vgpr_workitem_id 1
		.amdhsa_next_free_vgpr 18
		.amdhsa_next_free_sgpr 22
		.amdhsa_accum_offset 20
		.amdhsa_reserve_vcc 1
		.amdhsa_float_round_mode_32 0
		.amdhsa_float_round_mode_16_64 0
		.amdhsa_float_denorm_mode_32 3
		.amdhsa_float_denorm_mode_16_64 3
		.amdhsa_dx10_clamp 1
		.amdhsa_ieee_mode 1
		.amdhsa_fp16_overflow 0
		.amdhsa_tg_split 0
		.amdhsa_exception_fp_ieee_invalid_op 0
		.amdhsa_exception_fp_denorm_src 0
		.amdhsa_exception_fp_ieee_div_zero 0
		.amdhsa_exception_fp_ieee_overflow 0
		.amdhsa_exception_fp_ieee_underflow 0
		.amdhsa_exception_fp_ieee_inexact 0
		.amdhsa_exception_int_div_zero 0
	.end_amdhsa_kernel
	.section	.text._ZN9rocsolver6v33100L18getf2_small_kernelILi2EfiiPfEEvT1_T3_lS3_lPS3_llPT2_S3_S3_S5_l,"axG",@progbits,_ZN9rocsolver6v33100L18getf2_small_kernelILi2EfiiPfEEvT1_T3_lS3_lPS3_llPT2_S3_S3_S5_l,comdat
.Lfunc_end2:
	.size	_ZN9rocsolver6v33100L18getf2_small_kernelILi2EfiiPfEEvT1_T3_lS3_lPS3_llPT2_S3_S3_S5_l, .Lfunc_end2-_ZN9rocsolver6v33100L18getf2_small_kernelILi2EfiiPfEEvT1_T3_lS3_lPS3_llPT2_S3_S3_S5_l
                                        ; -- End function
	.set _ZN9rocsolver6v33100L18getf2_small_kernelILi2EfiiPfEEvT1_T3_lS3_lPS3_llPT2_S3_S3_S5_l.num_vgpr, 18
	.set _ZN9rocsolver6v33100L18getf2_small_kernelILi2EfiiPfEEvT1_T3_lS3_lPS3_llPT2_S3_S3_S5_l.num_agpr, 0
	.set _ZN9rocsolver6v33100L18getf2_small_kernelILi2EfiiPfEEvT1_T3_lS3_lPS3_llPT2_S3_S3_S5_l.numbered_sgpr, 22
	.set _ZN9rocsolver6v33100L18getf2_small_kernelILi2EfiiPfEEvT1_T3_lS3_lPS3_llPT2_S3_S3_S5_l.num_named_barrier, 0
	.set _ZN9rocsolver6v33100L18getf2_small_kernelILi2EfiiPfEEvT1_T3_lS3_lPS3_llPT2_S3_S3_S5_l.private_seg_size, 0
	.set _ZN9rocsolver6v33100L18getf2_small_kernelILi2EfiiPfEEvT1_T3_lS3_lPS3_llPT2_S3_S3_S5_l.uses_vcc, 1
	.set _ZN9rocsolver6v33100L18getf2_small_kernelILi2EfiiPfEEvT1_T3_lS3_lPS3_llPT2_S3_S3_S5_l.uses_flat_scratch, 0
	.set _ZN9rocsolver6v33100L18getf2_small_kernelILi2EfiiPfEEvT1_T3_lS3_lPS3_llPT2_S3_S3_S5_l.has_dyn_sized_stack, 0
	.set _ZN9rocsolver6v33100L18getf2_small_kernelILi2EfiiPfEEvT1_T3_lS3_lPS3_llPT2_S3_S3_S5_l.has_recursion, 0
	.set _ZN9rocsolver6v33100L18getf2_small_kernelILi2EfiiPfEEvT1_T3_lS3_lPS3_llPT2_S3_S3_S5_l.has_indirect_call, 0
	.section	.AMDGPU.csdata,"",@progbits
; Kernel info:
; codeLenInByte = 1308
; TotalNumSgprs: 28
; NumVgprs: 18
; NumAgprs: 0
; TotalNumVgprs: 18
; ScratchSize: 0
; MemoryBound: 0
; FloatMode: 240
; IeeeMode: 1
; LDSByteSize: 0 bytes/workgroup (compile time only)
; SGPRBlocks: 3
; VGPRBlocks: 2
; NumSGPRsForWavesPerEU: 28
; NumVGPRsForWavesPerEU: 18
; AccumOffset: 20
; Occupancy: 8
; WaveLimiterHint : 0
; COMPUTE_PGM_RSRC2:SCRATCH_EN: 0
; COMPUTE_PGM_RSRC2:USER_SGPR: 2
; COMPUTE_PGM_RSRC2:TRAP_HANDLER: 0
; COMPUTE_PGM_RSRC2:TGID_X_EN: 1
; COMPUTE_PGM_RSRC2:TGID_Y_EN: 1
; COMPUTE_PGM_RSRC2:TGID_Z_EN: 0
; COMPUTE_PGM_RSRC2:TIDIG_COMP_CNT: 1
; COMPUTE_PGM_RSRC3_GFX90A:ACCUM_OFFSET: 4
; COMPUTE_PGM_RSRC3_GFX90A:TG_SPLIT: 0
	.section	.text._ZN9rocsolver6v33100L23getf2_npvt_small_kernelILi2EfiiPfEEvT1_T3_lS3_lPT2_S3_S3_,"axG",@progbits,_ZN9rocsolver6v33100L23getf2_npvt_small_kernelILi2EfiiPfEEvT1_T3_lS3_lPT2_S3_S3_,comdat
	.globl	_ZN9rocsolver6v33100L23getf2_npvt_small_kernelILi2EfiiPfEEvT1_T3_lS3_lPT2_S3_S3_ ; -- Begin function _ZN9rocsolver6v33100L23getf2_npvt_small_kernelILi2EfiiPfEEvT1_T3_lS3_lPT2_S3_S3_
	.p2align	8
	.type	_ZN9rocsolver6v33100L23getf2_npvt_small_kernelILi2EfiiPfEEvT1_T3_lS3_lPT2_S3_S3_,@function
_ZN9rocsolver6v33100L23getf2_npvt_small_kernelILi2EfiiPfEEvT1_T3_lS3_lPT2_S3_S3_: ; @_ZN9rocsolver6v33100L23getf2_npvt_small_kernelILi2EfiiPfEEvT1_T3_lS3_lPT2_S3_S3_
; %bb.0:
	s_load_dword s2, s[0:1], 0x44
	s_load_dwordx2 s[8:9], s[0:1], 0x30
	v_bfe_u32 v9, v0, 10, 10
	s_waitcnt lgkmcnt(0)
	s_lshr_b32 s2, s2, 16
	s_mul_i32 s3, s3, s2
	v_add_u32_e32 v2, s3, v9
	v_cmp_gt_i32_e32 vcc, s8, v2
	s_and_saveexec_b64 s[4:5], vcc
	s_cbranch_execz .LBB3_13
; %bb.1:
	s_load_dwordx4 s[12:15], s[0:1], 0x8
	s_load_dword s10, s[0:1], 0x18
	s_load_dwordx4 s[4:7], s[0:1], 0x20
	v_ashrrev_i32_e32 v3, 31, v2
	v_and_b32_e32 v8, 0x3ff, v0
	s_waitcnt lgkmcnt(0)
	v_mov_b32_e32 v4, s12
	v_mov_b32_e32 v5, s13
	v_mul_lo_u32 v6, s5, v2
	v_mul_lo_u32 v7, s4, v3
	v_mad_u64_u32 v[0:1], s[0:1], s4, v2, 0
	v_add3_u32 v1, v1, v7, v6
	v_lshl_add_u64 v[0:1], v[0:1], 2, v[4:5]
	v_lshl_add_u64 v[0:1], s[14:15], 2, v[0:1]
	v_lshlrev_b32_e32 v4, 2, v8
	v_mov_b32_e32 v5, 0
	s_ashr_i32 s11, s10, 31
	v_lshl_add_u64 v[0:1], v[0:1], 0, v[4:5]
	v_lshl_add_u64 v[4:5], s[10:11], 2, v[0:1]
	global_load_dword v6, v[0:1], off
	global_load_dword v7, v[4:5], off
	s_lshl_b32 s0, s2, 3
	v_lshlrev_b32_e32 v10, 3, v9
	s_add_i32 s0, s0, 0
	v_lshl_add_u32 v9, v9, 2, s0
	v_cmp_ne_u32_e64 s[2:3], 0, v8
	v_cmp_eq_u32_e64 s[0:1], 0, v8
	v_add_u32_e32 v11, 0, v10
	s_and_saveexec_b64 s[4:5], s[0:1]
	s_cbranch_execz .LBB3_4
; %bb.2:
	s_waitcnt vmcnt(1)
	ds_write_b32 v9, v6
	s_waitcnt vmcnt(0)
	ds_write_b32 v11, v7 offset:4
	ds_read_b32 v10, v9
	s_waitcnt lgkmcnt(0)
	v_cmp_neq_f32_e32 vcc, 0, v10
	s_and_b64 exec, exec, vcc
	s_cbranch_execz .LBB3_4
; %bb.3:
	v_div_scale_f32 v12, s[10:11], v10, v10, 1.0
	v_rcp_f32_e32 v13, v12
	v_div_scale_f32 v14, vcc, 1.0, v10, 1.0
	v_fma_f32 v15, -v12, v13, 1.0
	v_fmac_f32_e32 v13, v15, v13
	v_mul_f32_e32 v15, v14, v13
	v_fma_f32 v16, -v12, v15, v14
	v_fmac_f32_e32 v15, v16, v13
	v_fma_f32 v12, -v12, v15, v14
	v_div_fmas_f32 v12, v12, v13, v15
	v_div_fixup_f32 v10, v12, v10, 1.0
	ds_write_b32 v9, v10
.LBB3_4:
	s_or_b64 exec, exec, s[4:5]
	s_waitcnt lgkmcnt(0)
	s_barrier
	ds_read_b32 v10, v9
	s_and_saveexec_b64 s[4:5], s[2:3]
	s_cbranch_execz .LBB3_6
; %bb.5:
	ds_read_b32 v11, v11 offset:4
	s_waitcnt vmcnt(1) lgkmcnt(1)
	v_mul_f32_e32 v6, v6, v10
	s_waitcnt vmcnt(0) lgkmcnt(0)
	v_fma_f32 v7, -v6, v11, v7
.LBB3_6:
	s_or_b64 exec, exec, s[4:5]
	v_cmp_eq_u32_e32 vcc, 1, v8
	s_waitcnt lgkmcnt(0)
	s_barrier
	s_and_saveexec_b64 s[2:3], vcc
	s_cbranch_execz .LBB3_9
; %bb.7:
	s_waitcnt vmcnt(0)
	v_cmp_neq_f32_e32 vcc, 0, v7
	ds_write_b32 v9, v7
	s_and_b64 exec, exec, vcc
	s_cbranch_execz .LBB3_9
; %bb.8:
	v_div_scale_f32 v11, s[4:5], v7, v7, 1.0
	v_rcp_f32_e32 v12, v11
	v_div_scale_f32 v13, vcc, 1.0, v7, 1.0
	v_fma_f32 v14, -v11, v12, 1.0
	v_fmac_f32_e32 v12, v14, v12
	v_mul_f32_e32 v14, v13, v12
	v_fma_f32 v15, -v11, v14, v13
	v_fmac_f32_e32 v14, v15, v12
	v_fma_f32 v11, -v11, v14, v13
	v_div_fmas_f32 v11, v11, v12, v14
	v_div_fixup_f32 v11, v11, v7, 1.0
	ds_write_b32 v9, v11
.LBB3_9:
	s_or_b64 exec, exec, s[2:3]
	s_waitcnt lgkmcnt(0)
	s_barrier
	ds_read_b32 v9, v9
	s_waitcnt lgkmcnt(0)
	s_barrier
	s_and_saveexec_b64 s[4:5], s[0:1]
	s_cbranch_execz .LBB3_12
; %bb.10:
	v_mov_b32_e32 v12, s6
	v_mov_b32_e32 v13, s7
	v_lshl_add_u64 v[2:3], v[2:3], 2, v[12:13]
	global_load_dword v11, v[2:3], off
	v_cmp_eq_f32_e32 vcc, 0, v10
	v_cmp_neq_f32_e64 s[0:1], 0, v9
	s_or_b64 s[0:1], s[0:1], vcc
	s_xor_b64 s[6:7], s[0:1], -1
	s_or_b64 s[6:7], s[6:7], vcc
	s_waitcnt vmcnt(0)
	v_cmp_eq_u32_e64 s[2:3], 0, v11
	s_and_b64 s[2:3], s[2:3], s[6:7]
	s_and_b64 exec, exec, s[2:3]
	s_cbranch_execz .LBB3_12
; %bb.11:
	v_cndmask_b32_e64 v10, 0, 1, vcc
	v_cndmask_b32_e64 v10, 2, v10, s[0:1]
	v_add_u32_e32 v10, s9, v10
	global_store_dword v[2:3], v10, off
.LBB3_12:
	s_or_b64 exec, exec, s[4:5]
	s_waitcnt vmcnt(0)
	v_mul_f32_e32 v2, v7, v9
	v_cmp_lt_u32_e32 vcc, 1, v8
	s_nop 1
	v_cndmask_b32_e32 v2, v7, v2, vcc
	global_store_dword v[0:1], v6, off
	global_store_dword v[4:5], v2, off
.LBB3_13:
	s_endpgm
	.section	.rodata,"a",@progbits
	.p2align	6, 0x0
	.amdhsa_kernel _ZN9rocsolver6v33100L23getf2_npvt_small_kernelILi2EfiiPfEEvT1_T3_lS3_lPT2_S3_S3_
		.amdhsa_group_segment_fixed_size 0
		.amdhsa_private_segment_fixed_size 0
		.amdhsa_kernarg_size 312
		.amdhsa_user_sgpr_count 2
		.amdhsa_user_sgpr_dispatch_ptr 0
		.amdhsa_user_sgpr_queue_ptr 0
		.amdhsa_user_sgpr_kernarg_segment_ptr 1
		.amdhsa_user_sgpr_dispatch_id 0
		.amdhsa_user_sgpr_kernarg_preload_length 0
		.amdhsa_user_sgpr_kernarg_preload_offset 0
		.amdhsa_user_sgpr_private_segment_size 0
		.amdhsa_uses_dynamic_stack 0
		.amdhsa_enable_private_segment 0
		.amdhsa_system_sgpr_workgroup_id_x 1
		.amdhsa_system_sgpr_workgroup_id_y 1
		.amdhsa_system_sgpr_workgroup_id_z 0
		.amdhsa_system_sgpr_workgroup_info 0
		.amdhsa_system_vgpr_workitem_id 1
		.amdhsa_next_free_vgpr 17
		.amdhsa_next_free_sgpr 16
		.amdhsa_accum_offset 20
		.amdhsa_reserve_vcc 1
		.amdhsa_float_round_mode_32 0
		.amdhsa_float_round_mode_16_64 0
		.amdhsa_float_denorm_mode_32 3
		.amdhsa_float_denorm_mode_16_64 3
		.amdhsa_dx10_clamp 1
		.amdhsa_ieee_mode 1
		.amdhsa_fp16_overflow 0
		.amdhsa_tg_split 0
		.amdhsa_exception_fp_ieee_invalid_op 0
		.amdhsa_exception_fp_denorm_src 0
		.amdhsa_exception_fp_ieee_div_zero 0
		.amdhsa_exception_fp_ieee_overflow 0
		.amdhsa_exception_fp_ieee_underflow 0
		.amdhsa_exception_fp_ieee_inexact 0
		.amdhsa_exception_int_div_zero 0
	.end_amdhsa_kernel
	.section	.text._ZN9rocsolver6v33100L23getf2_npvt_small_kernelILi2EfiiPfEEvT1_T3_lS3_lPT2_S3_S3_,"axG",@progbits,_ZN9rocsolver6v33100L23getf2_npvt_small_kernelILi2EfiiPfEEvT1_T3_lS3_lPT2_S3_S3_,comdat
.Lfunc_end3:
	.size	_ZN9rocsolver6v33100L23getf2_npvt_small_kernelILi2EfiiPfEEvT1_T3_lS3_lPT2_S3_S3_, .Lfunc_end3-_ZN9rocsolver6v33100L23getf2_npvt_small_kernelILi2EfiiPfEEvT1_T3_lS3_lPT2_S3_S3_
                                        ; -- End function
	.set _ZN9rocsolver6v33100L23getf2_npvt_small_kernelILi2EfiiPfEEvT1_T3_lS3_lPT2_S3_S3_.num_vgpr, 17
	.set _ZN9rocsolver6v33100L23getf2_npvt_small_kernelILi2EfiiPfEEvT1_T3_lS3_lPT2_S3_S3_.num_agpr, 0
	.set _ZN9rocsolver6v33100L23getf2_npvt_small_kernelILi2EfiiPfEEvT1_T3_lS3_lPT2_S3_S3_.numbered_sgpr, 16
	.set _ZN9rocsolver6v33100L23getf2_npvt_small_kernelILi2EfiiPfEEvT1_T3_lS3_lPT2_S3_S3_.num_named_barrier, 0
	.set _ZN9rocsolver6v33100L23getf2_npvt_small_kernelILi2EfiiPfEEvT1_T3_lS3_lPT2_S3_S3_.private_seg_size, 0
	.set _ZN9rocsolver6v33100L23getf2_npvt_small_kernelILi2EfiiPfEEvT1_T3_lS3_lPT2_S3_S3_.uses_vcc, 1
	.set _ZN9rocsolver6v33100L23getf2_npvt_small_kernelILi2EfiiPfEEvT1_T3_lS3_lPT2_S3_S3_.uses_flat_scratch, 0
	.set _ZN9rocsolver6v33100L23getf2_npvt_small_kernelILi2EfiiPfEEvT1_T3_lS3_lPT2_S3_S3_.has_dyn_sized_stack, 0
	.set _ZN9rocsolver6v33100L23getf2_npvt_small_kernelILi2EfiiPfEEvT1_T3_lS3_lPT2_S3_S3_.has_recursion, 0
	.set _ZN9rocsolver6v33100L23getf2_npvt_small_kernelILi2EfiiPfEEvT1_T3_lS3_lPT2_S3_S3_.has_indirect_call, 0
	.section	.AMDGPU.csdata,"",@progbits
; Kernel info:
; codeLenInByte = 732
; TotalNumSgprs: 22
; NumVgprs: 17
; NumAgprs: 0
; TotalNumVgprs: 17
; ScratchSize: 0
; MemoryBound: 0
; FloatMode: 240
; IeeeMode: 1
; LDSByteSize: 0 bytes/workgroup (compile time only)
; SGPRBlocks: 2
; VGPRBlocks: 2
; NumSGPRsForWavesPerEU: 22
; NumVGPRsForWavesPerEU: 17
; AccumOffset: 20
; Occupancy: 8
; WaveLimiterHint : 0
; COMPUTE_PGM_RSRC2:SCRATCH_EN: 0
; COMPUTE_PGM_RSRC2:USER_SGPR: 2
; COMPUTE_PGM_RSRC2:TRAP_HANDLER: 0
; COMPUTE_PGM_RSRC2:TGID_X_EN: 1
; COMPUTE_PGM_RSRC2:TGID_Y_EN: 1
; COMPUTE_PGM_RSRC2:TGID_Z_EN: 0
; COMPUTE_PGM_RSRC2:TIDIG_COMP_CNT: 1
; COMPUTE_PGM_RSRC3_GFX90A:ACCUM_OFFSET: 4
; COMPUTE_PGM_RSRC3_GFX90A:TG_SPLIT: 0
	.section	.text._ZN9rocsolver6v33100L18getf2_small_kernelILi3EfiiPfEEvT1_T3_lS3_lPS3_llPT2_S3_S3_S5_l,"axG",@progbits,_ZN9rocsolver6v33100L18getf2_small_kernelILi3EfiiPfEEvT1_T3_lS3_lPS3_llPT2_S3_S3_S5_l,comdat
	.globl	_ZN9rocsolver6v33100L18getf2_small_kernelILi3EfiiPfEEvT1_T3_lS3_lPS3_llPT2_S3_S3_S5_l ; -- Begin function _ZN9rocsolver6v33100L18getf2_small_kernelILi3EfiiPfEEvT1_T3_lS3_lPS3_llPT2_S3_S3_S5_l
	.p2align	8
	.type	_ZN9rocsolver6v33100L18getf2_small_kernelILi3EfiiPfEEvT1_T3_lS3_lPS3_llPT2_S3_S3_S5_l,@function
_ZN9rocsolver6v33100L18getf2_small_kernelILi3EfiiPfEEvT1_T3_lS3_lPS3_llPT2_S3_S3_S5_l: ; @_ZN9rocsolver6v33100L18getf2_small_kernelILi3EfiiPfEEvT1_T3_lS3_lPS3_llPT2_S3_S3_S5_l
; %bb.0:
	s_load_dword s2, s[0:1], 0x6c
	s_load_dwordx2 s[12:13], s[0:1], 0x48
	v_bfe_u32 v3, v0, 10, 10
	s_waitcnt lgkmcnt(0)
	s_lshr_b32 s2, s2, 16
	s_mul_i32 s3, s3, s2
	v_add_u32_e32 v4, s3, v3
	v_cmp_gt_i32_e32 vcc, s12, v4
	s_and_saveexec_b64 s[2:3], vcc
	s_cbranch_execz .LBB4_48
; %bb.1:
	s_load_dwordx4 s[4:7], s[0:1], 0x50
	v_ashrrev_i32_e32 v5, 31, v4
	v_mov_b64_e32 v[8:9], 0
	s_waitcnt lgkmcnt(0)
	s_cmp_eq_u64 s[4:5], 0
	s_cselect_b64 s[16:17], -1, 0
	s_and_b64 vcc, exec, s[16:17]
	s_cbranch_vccnz .LBB4_3
; %bb.2:
	v_mul_lo_u32 v1, s7, v4
	v_mul_lo_u32 v2, s6, v5
	v_mad_u64_u32 v[6:7], s[2:3], s6, v4, 0
	v_add3_u32 v7, v7, v2, v1
	v_lshl_add_u64 v[8:9], v[6:7], 2, s[4:5]
.LBB4_3:
	s_load_dwordx4 s[20:23], s[0:1], 0x8
	s_load_dwordx8 s[4:11], s[0:1], 0x20
	s_load_dword s14, s[0:1], 0x18
	v_and_b32_e32 v15, 0x3ff, v0
	s_waitcnt lgkmcnt(0)
	v_mov_b32_e32 v6, s20
	v_mul_lo_u32 v1, s5, v4
	v_mul_lo_u32 v2, s4, v5
	v_mad_u64_u32 v[10:11], s[2:3], s4, v4, 0
	v_mov_b32_e32 v7, s21
	v_add3_u32 v11, v11, v2, v1
	v_lshl_add_u64 v[6:7], v[10:11], 2, v[6:7]
	v_lshl_add_u64 v[6:7], s[22:23], 2, v[6:7]
	v_lshlrev_b32_e32 v10, 2, v15
	v_mov_b32_e32 v11, 0
	v_lshl_add_u64 v[12:13], v[6:7], 0, v[10:11]
	global_load_dword v0, v[12:13], off
	s_add_i32 s12, s14, s14
	s_ashr_i32 s15, s14, 31
	v_add_u32_e32 v16, s12, v15
	v_lshl_add_u64 v[12:13], s[14:15], 2, v[12:13]
	v_ashrrev_i32_e32 v17, 31, v16
	v_lshl_add_u64 v[16:17], v[16:17], 2, v[6:7]
	global_load_dword v1, v[12:13], off
	global_load_dword v2, v[16:17], off
	s_load_dword s22, s[0:1], 0x0
	s_load_dwordx2 s[4:5], s[0:1], 0x40
	s_waitcnt lgkmcnt(0)
	s_max_i32 s0, s22, 3
	v_mul_lo_u32 v3, s0, v3
	v_lshl_add_u32 v12, v3, 2, 0
	v_add_u32_e32 v10, v12, v10
	s_cmp_lt_i32 s22, 2
	v_lshlrev_b32_e32 v14, 2, v3
	s_waitcnt vmcnt(2)
	ds_write_b32 v10, v0
	s_waitcnt lgkmcnt(0)
	s_barrier
	ds_read_b32 v10, v12
	s_cbranch_scc1 .LBB4_6
; %bb.4:
	v_add3_u32 v3, v14, 0, 4
	v_mov_b32_e32 v11, 0
	s_mov_b32 s0, 1
.LBB4_5:                                ; =>This Inner Loop Header: Depth=1
	ds_read_b32 v13, v3
	v_mov_b32_e32 v16, s0
	s_add_i32 s0, s0, 1
	v_add_u32_e32 v3, 4, v3
	s_cmp_eq_u32 s22, s0
	s_waitcnt lgkmcnt(0)
	v_cmp_lt_f32_e64 vcc, |v10|, |v13|
	s_nop 1
	v_cndmask_b32_e32 v10, v10, v13, vcc
	v_cndmask_b32_e32 v11, v11, v16, vcc
	s_cbranch_scc0 .LBB4_5
.LBB4_6:
	v_cmp_ne_u32_e32 vcc, v15, v11
                                        ; implicit-def: $vgpr13
	s_and_saveexec_b64 s[0:1], vcc
	s_xor_b64 s[0:1], exec, s[0:1]
	s_cbranch_execz .LBB4_12
; %bb.7:
	v_cmp_eq_u32_e32 vcc, 0, v15
	s_and_saveexec_b64 s[2:3], vcc
	s_cbranch_execz .LBB4_11
; %bb.8:
	v_cmp_ne_u32_e32 vcc, 0, v11
	s_xor_b64 s[18:19], s[16:17], -1
	s_and_b64 s[20:21], s[18:19], vcc
	s_and_saveexec_b64 s[18:19], s[20:21]
	s_cbranch_execz .LBB4_10
; %bb.9:
	v_ashrrev_i32_e32 v17, 31, v11
	v_mov_b32_e32 v16, v11
	v_lshl_add_u64 v[16:17], v[16:17], 2, v[8:9]
	global_load_dword v3, v[16:17], off
	global_load_dword v13, v[8:9], off
	s_waitcnt vmcnt(1)
	global_store_dword v[8:9], v3, off
	s_waitcnt vmcnt(1)
	global_store_dword v[16:17], v13, off
.LBB4_10:
	s_or_b64 exec, exec, s[18:19]
	v_mov_b32_e32 v15, v11
.LBB4_11:
	s_or_b64 exec, exec, s[2:3]
	v_mov_b32_e32 v13, v15
                                        ; implicit-def: $vgpr15
.LBB4_12:
	s_or_saveexec_b64 s[0:1], s[0:1]
	v_mov_b32_e32 v3, v13
	s_xor_b64 exec, exec, s[0:1]
	s_cbranch_execz .LBB4_14
; %bb.13:
	v_mov_b32_e32 v13, 0
	v_mov_b32_e32 v3, v15
	s_waitcnt vmcnt(0)
	ds_write2_b32 v12, v1, v2 offset0:1 offset1:2
.LBB4_14:
	s_or_b64 exec, exec, s[0:1]
	s_waitcnt lgkmcnt(0)
	v_cmp_eq_f32_e64 s[0:1], 0, v10
	v_cmp_lt_i32_e32 vcc, 0, v13
	s_barrier
	s_and_saveexec_b64 s[2:3], vcc
	s_cbranch_execz .LBB4_16
; %bb.15:
	v_div_scale_f32 v11, s[18:19], v10, v10, 1.0
	v_rcp_f32_e32 v15, v11
	v_div_scale_f32 v16, vcc, 1.0, v10, 1.0
	v_fma_f32 v17, -v11, v15, 1.0
	v_fmac_f32_e32 v15, v17, v15
	v_mul_f32_e32 v17, v16, v15
	v_fma_f32 v18, -v11, v17, v16
	v_fmac_f32_e32 v17, v18, v15
	v_fma_f32 v11, -v11, v17, v16
	v_div_fmas_f32 v11, v11, v15, v17
	ds_read2_b32 v[16:17], v12 offset0:1 offset1:2
	v_div_fixup_f32 v11, v11, v10, 1.0
	v_cndmask_b32_e64 v10, v11, v10, s[0:1]
	v_mul_f32_e32 v0, v0, v10
	s_waitcnt vmcnt(1)
	v_mov_b32_e32 v10, v1
	s_waitcnt vmcnt(0)
	v_mov_b32_e32 v11, v2
	s_waitcnt lgkmcnt(0)
	v_pk_fma_f32 v[10:11], v[0:1], v[16:17], v[10:11] op_sel_hi:[0,1,1] neg_lo:[1,0,0] neg_hi:[1,0,0]
	v_mov_b32_e32 v1, v10
	v_mov_b32_e32 v2, v11
.LBB4_16:
	s_or_b64 exec, exec, s[2:3]
	v_lshl_add_u32 v10, v13, 2, v12
	s_barrier
	s_waitcnt vmcnt(1)
	ds_write_b32 v10, v1
	s_waitcnt lgkmcnt(0)
	s_barrier
	ds_read_b32 v15, v12 offset:4
	s_mov_b32 s2, 2
	s_cmp_lt_i32 s22, 3
	v_mov_b32_e32 v10, 1
	s_cbranch_scc1 .LBB4_19
; %bb.17:
	v_add3_u32 v11, v14, 0, 8
	v_mov_b32_e32 v10, 1
.LBB4_18:                               ; =>This Inner Loop Header: Depth=1
	ds_read_b32 v16, v11
	v_mov_b32_e32 v17, s2
	s_add_i32 s2, s2, 1
	v_add_u32_e32 v11, 4, v11
	s_cmp_lg_u32 s22, s2
	s_waitcnt lgkmcnt(0)
	v_cmp_lt_f32_e64 vcc, |v15|, |v16|
	s_nop 1
	v_cndmask_b32_e32 v15, v15, v16, vcc
	v_cndmask_b32_e32 v10, v10, v17, vcc
	s_cbranch_scc1 .LBB4_18
.LBB4_19:
	v_cmp_ne_u32_e32 vcc, v13, v10
	s_and_saveexec_b64 s[2:3], vcc
	s_xor_b64 s[2:3], exec, s[2:3]
	s_cbranch_execz .LBB4_25
; %bb.20:
	v_cmp_eq_u32_e32 vcc, 1, v13
	s_and_saveexec_b64 s[18:19], vcc
	s_cbranch_execz .LBB4_24
; %bb.21:
	v_cmp_ne_u32_e32 vcc, 1, v10
	s_xor_b64 s[20:21], s[16:17], -1
	s_and_b64 s[24:25], s[20:21], vcc
	s_and_saveexec_b64 s[20:21], s[24:25]
	s_cbranch_execz .LBB4_23
; %bb.22:
	v_ashrrev_i32_e32 v11, 31, v10
	v_lshl_add_u64 v[16:17], v[10:11], 2, v[8:9]
	global_load_dword v3, v[16:17], off
	global_load_dword v11, v[8:9], off offset:4
	s_waitcnt vmcnt(1)
	global_store_dword v[8:9], v3, off offset:4
	s_waitcnt vmcnt(1)
	global_store_dword v[16:17], v11, off
.LBB4_23:
	s_or_b64 exec, exec, s[20:21]
	v_mov_b32_e32 v3, v10
	v_mov_b32_e32 v13, v10
.LBB4_24:
	s_or_b64 exec, exec, s[18:19]
.LBB4_25:
	s_andn2_saveexec_b64 s[2:3], s[2:3]
	s_cbranch_execz .LBB4_27
; %bb.26:
	v_mov_b32_e32 v13, 1
	s_waitcnt vmcnt(0)
	ds_write_b32 v12, v2 offset:8
.LBB4_27:
	s_or_b64 exec, exec, s[2:3]
	s_waitcnt lgkmcnt(0)
	v_cmp_neq_f32_e64 s[2:3], 0, v15
	v_cmp_lt_i32_e32 vcc, 1, v13
	s_barrier
	s_and_saveexec_b64 s[18:19], vcc
	s_cbranch_execz .LBB4_29
; %bb.28:
	v_div_scale_f32 v10, s[20:21], v15, v15, 1.0
	v_rcp_f32_e32 v11, v10
	v_div_scale_f32 v16, vcc, 1.0, v15, 1.0
	v_fma_f32 v17, -v10, v11, 1.0
	v_fmac_f32_e32 v11, v17, v11
	v_mul_f32_e32 v17, v16, v11
	v_fma_f32 v18, -v10, v17, v16
	v_fmac_f32_e32 v17, v18, v11
	v_fma_f32 v10, -v10, v17, v16
	ds_read_b32 v16, v12 offset:8
	v_div_fmas_f32 v10, v10, v11, v17
	v_div_fixup_f32 v10, v10, v15, 1.0
	v_cndmask_b32_e64 v10, v15, v10, s[2:3]
	v_mul_f32_e32 v1, v1, v10
	s_waitcnt vmcnt(0) lgkmcnt(0)
	v_fma_f32 v2, -v1, v16, v2
.LBB4_29:
	s_or_b64 exec, exec, s[18:19]
	v_lshl_add_u32 v10, v13, 2, v12
	s_barrier
	s_waitcnt vmcnt(0)
	ds_write_b32 v10, v2
	s_waitcnt lgkmcnt(0)
	s_barrier
	ds_read_b32 v15, v12 offset:8
	s_cmp_lt_i32 s22, 4
	v_mov_b32_e32 v10, 2
	s_cbranch_scc1 .LBB4_32
; %bb.30:
	v_mov_b32_e32 v10, 2
	v_add3_u32 v11, v14, 0, 12
	s_mov_b32 s18, 3
.LBB4_31:                               ; =>This Inner Loop Header: Depth=1
	ds_read_b32 v12, v11
	v_mov_b32_e32 v14, s18
	s_add_i32 s18, s18, 1
	v_add_u32_e32 v11, 4, v11
	s_cmp_lg_u32 s22, s18
	s_waitcnt lgkmcnt(0)
	v_cmp_lt_f32_e64 vcc, |v15|, |v12|
	s_nop 1
	v_cndmask_b32_e32 v15, v15, v12, vcc
	v_cndmask_b32_e32 v10, v10, v14, vcc
	s_cbranch_scc1 .LBB4_31
.LBB4_32:
	v_cndmask_b32_e64 v11, 2, 1, s[0:1]
	v_cndmask_b32_e64 v12, 0, 1, s[0:1]
	;; [unrolled: 1-line block ×3, first 2 shown]
	s_waitcnt lgkmcnt(0)
	v_cmp_eq_f32_e32 vcc, 0, v15
	s_and_saveexec_b64 s[0:1], vcc
	s_xor_b64 s[0:1], exec, s[0:1]
; %bb.33:
	v_cmp_ne_u32_e32 vcc, 0, v14
	s_nop 1
	v_cndmask_b32_e32 v14, 3, v14, vcc
; %bb.34:
	s_andn2_saveexec_b64 s[0:1], s[0:1]
	s_cbranch_execz .LBB4_36
; %bb.35:
	v_div_scale_f32 v11, s[2:3], v15, v15, 1.0
	v_rcp_f32_e32 v12, v11
	v_div_scale_f32 v16, vcc, 1.0, v15, 1.0
	v_fma_f32 v17, -v11, v12, 1.0
	v_fmac_f32_e32 v12, v17, v12
	v_mul_f32_e32 v17, v16, v12
	v_fma_f32 v18, -v11, v17, v16
	v_fmac_f32_e32 v17, v18, v12
	v_fma_f32 v11, -v11, v17, v16
	v_div_fmas_f32 v11, v11, v12, v17
	v_div_fixup_f32 v15, v11, v15, 1.0
.LBB4_36:
	s_or_b64 exec, exec, s[0:1]
	v_cmp_ne_u32_e32 vcc, v13, v10
	v_mov_b32_e32 v12, 2
	s_and_saveexec_b64 s[0:1], vcc
	s_cbranch_execz .LBB4_42
; %bb.37:
	v_cmp_eq_u32_e32 vcc, 2, v13
	s_and_saveexec_b64 s[2:3], vcc
	s_cbranch_execz .LBB4_41
; %bb.38:
	v_cmp_ne_u32_e32 vcc, 2, v10
	s_xor_b64 s[16:17], s[16:17], -1
	s_and_b64 s[18:19], s[16:17], vcc
	s_and_saveexec_b64 s[16:17], s[18:19]
	s_cbranch_execz .LBB4_40
; %bb.39:
	v_ashrrev_i32_e32 v11, 31, v10
	v_lshl_add_u64 v[12:13], v[10:11], 2, v[8:9]
	global_load_dword v3, v[12:13], off
	global_load_dword v11, v[8:9], off offset:8
	s_waitcnt vmcnt(1)
	global_store_dword v[8:9], v3, off offset:8
	s_waitcnt vmcnt(1)
	global_store_dword v[12:13], v11, off
.LBB4_40:
	s_or_b64 exec, exec, s[16:17]
	v_mov_b32_e32 v3, v10
	v_mov_b32_e32 v13, v10
.LBB4_41:
	s_or_b64 exec, exec, s[2:3]
	v_mov_b32_e32 v12, v13
.LBB4_42:
	s_or_b64 exec, exec, s[0:1]
	v_cmp_gt_i32_e32 vcc, 3, v12
	v_ashrrev_i32_e32 v13, 31, v12
	s_barrier
	s_barrier
	s_and_saveexec_b64 s[0:1], vcc
	s_cbranch_execz .LBB4_44
; %bb.43:
	v_mul_lo_u32 v16, s11, v4
	v_mul_lo_u32 v17, s10, v5
	v_mad_u64_u32 v[10:11], s[2:3], s10, v4, 0
	v_mov_b32_e32 v8, s6
	v_mov_b32_e32 v9, s7
	v_add3_u32 v11, v11, v17, v16
	v_lshl_add_u64 v[8:9], v[10:11], 2, v[8:9]
	v_lshl_add_u64 v[8:9], s[8:9], 2, v[8:9]
	;; [unrolled: 1-line block ×3, first 2 shown]
	v_add3_u32 v3, v3, s13, 1
	global_store_dword v[8:9], v3, off
.LBB4_44:
	s_or_b64 exec, exec, s[0:1]
	v_cmp_eq_u32_e32 vcc, 0, v12
	s_and_saveexec_b64 s[2:3], vcc
	s_cbranch_execz .LBB4_47
; %bb.45:
	v_mov_b32_e32 v8, s4
	v_mov_b32_e32 v9, s5
	v_lshl_add_u64 v[4:5], v[4:5], 2, v[8:9]
	global_load_dword v3, v[4:5], off
	v_cmp_ne_u32_e64 s[0:1], 0, v14
	s_waitcnt vmcnt(0)
	v_cmp_eq_u32_e32 vcc, 0, v3
	s_and_b64 s[0:1], vcc, s[0:1]
	s_and_b64 exec, exec, s[0:1]
	s_cbranch_execz .LBB4_47
; %bb.46:
	v_add_u32_e32 v3, s13, v14
	global_store_dword v[4:5], v3, off
.LBB4_47:
	s_or_b64 exec, exec, s[2:3]
	v_mul_f32_e32 v3, v2, v15
	v_cmp_lt_i32_e32 vcc, 2, v12
	s_nop 1
	v_cndmask_b32_e32 v4, v2, v3, vcc
	v_lshl_add_u64 v[2:3], v[12:13], 2, v[6:7]
	global_store_dword v[2:3], v0, off
	v_lshl_add_u64 v[2:3], s[14:15], 2, v[2:3]
	v_add_u32_e32 v0, s12, v12
	global_store_dword v[2:3], v1, off
	v_ashrrev_i32_e32 v1, 31, v0
	v_lshl_add_u64 v[0:1], v[0:1], 2, v[6:7]
	global_store_dword v[0:1], v4, off
.LBB4_48:
	s_endpgm
	.section	.rodata,"a",@progbits
	.p2align	6, 0x0
	.amdhsa_kernel _ZN9rocsolver6v33100L18getf2_small_kernelILi3EfiiPfEEvT1_T3_lS3_lPS3_llPT2_S3_S3_S5_l
		.amdhsa_group_segment_fixed_size 0
		.amdhsa_private_segment_fixed_size 0
		.amdhsa_kernarg_size 352
		.amdhsa_user_sgpr_count 2
		.amdhsa_user_sgpr_dispatch_ptr 0
		.amdhsa_user_sgpr_queue_ptr 0
		.amdhsa_user_sgpr_kernarg_segment_ptr 1
		.amdhsa_user_sgpr_dispatch_id 0
		.amdhsa_user_sgpr_kernarg_preload_length 0
		.amdhsa_user_sgpr_kernarg_preload_offset 0
		.amdhsa_user_sgpr_private_segment_size 0
		.amdhsa_uses_dynamic_stack 0
		.amdhsa_enable_private_segment 0
		.amdhsa_system_sgpr_workgroup_id_x 1
		.amdhsa_system_sgpr_workgroup_id_y 1
		.amdhsa_system_sgpr_workgroup_id_z 0
		.amdhsa_system_sgpr_workgroup_info 0
		.amdhsa_system_vgpr_workitem_id 1
		.amdhsa_next_free_vgpr 19
		.amdhsa_next_free_sgpr 26
		.amdhsa_accum_offset 20
		.amdhsa_reserve_vcc 1
		.amdhsa_float_round_mode_32 0
		.amdhsa_float_round_mode_16_64 0
		.amdhsa_float_denorm_mode_32 3
		.amdhsa_float_denorm_mode_16_64 3
		.amdhsa_dx10_clamp 1
		.amdhsa_ieee_mode 1
		.amdhsa_fp16_overflow 0
		.amdhsa_tg_split 0
		.amdhsa_exception_fp_ieee_invalid_op 0
		.amdhsa_exception_fp_denorm_src 0
		.amdhsa_exception_fp_ieee_div_zero 0
		.amdhsa_exception_fp_ieee_overflow 0
		.amdhsa_exception_fp_ieee_underflow 0
		.amdhsa_exception_fp_ieee_inexact 0
		.amdhsa_exception_int_div_zero 0
	.end_amdhsa_kernel
	.section	.text._ZN9rocsolver6v33100L18getf2_small_kernelILi3EfiiPfEEvT1_T3_lS3_lPS3_llPT2_S3_S3_S5_l,"axG",@progbits,_ZN9rocsolver6v33100L18getf2_small_kernelILi3EfiiPfEEvT1_T3_lS3_lPS3_llPT2_S3_S3_S5_l,comdat
.Lfunc_end4:
	.size	_ZN9rocsolver6v33100L18getf2_small_kernelILi3EfiiPfEEvT1_T3_lS3_lPS3_llPT2_S3_S3_S5_l, .Lfunc_end4-_ZN9rocsolver6v33100L18getf2_small_kernelILi3EfiiPfEEvT1_T3_lS3_lPS3_llPT2_S3_S3_S5_l
                                        ; -- End function
	.set _ZN9rocsolver6v33100L18getf2_small_kernelILi3EfiiPfEEvT1_T3_lS3_lPS3_llPT2_S3_S3_S5_l.num_vgpr, 19
	.set _ZN9rocsolver6v33100L18getf2_small_kernelILi3EfiiPfEEvT1_T3_lS3_lPS3_llPT2_S3_S3_S5_l.num_agpr, 0
	.set _ZN9rocsolver6v33100L18getf2_small_kernelILi3EfiiPfEEvT1_T3_lS3_lPS3_llPT2_S3_S3_S5_l.numbered_sgpr, 26
	.set _ZN9rocsolver6v33100L18getf2_small_kernelILi3EfiiPfEEvT1_T3_lS3_lPS3_llPT2_S3_S3_S5_l.num_named_barrier, 0
	.set _ZN9rocsolver6v33100L18getf2_small_kernelILi3EfiiPfEEvT1_T3_lS3_lPS3_llPT2_S3_S3_S5_l.private_seg_size, 0
	.set _ZN9rocsolver6v33100L18getf2_small_kernelILi3EfiiPfEEvT1_T3_lS3_lPS3_llPT2_S3_S3_S5_l.uses_vcc, 1
	.set _ZN9rocsolver6v33100L18getf2_small_kernelILi3EfiiPfEEvT1_T3_lS3_lPS3_llPT2_S3_S3_S5_l.uses_flat_scratch, 0
	.set _ZN9rocsolver6v33100L18getf2_small_kernelILi3EfiiPfEEvT1_T3_lS3_lPS3_llPT2_S3_S3_S5_l.has_dyn_sized_stack, 0
	.set _ZN9rocsolver6v33100L18getf2_small_kernelILi3EfiiPfEEvT1_T3_lS3_lPS3_llPT2_S3_S3_S5_l.has_recursion, 0
	.set _ZN9rocsolver6v33100L18getf2_small_kernelILi3EfiiPfEEvT1_T3_lS3_lPS3_llPT2_S3_S3_S5_l.has_indirect_call, 0
	.section	.AMDGPU.csdata,"",@progbits
; Kernel info:
; codeLenInByte = 1808
; TotalNumSgprs: 32
; NumVgprs: 19
; NumAgprs: 0
; TotalNumVgprs: 19
; ScratchSize: 0
; MemoryBound: 0
; FloatMode: 240
; IeeeMode: 1
; LDSByteSize: 0 bytes/workgroup (compile time only)
; SGPRBlocks: 3
; VGPRBlocks: 2
; NumSGPRsForWavesPerEU: 32
; NumVGPRsForWavesPerEU: 19
; AccumOffset: 20
; Occupancy: 8
; WaveLimiterHint : 0
; COMPUTE_PGM_RSRC2:SCRATCH_EN: 0
; COMPUTE_PGM_RSRC2:USER_SGPR: 2
; COMPUTE_PGM_RSRC2:TRAP_HANDLER: 0
; COMPUTE_PGM_RSRC2:TGID_X_EN: 1
; COMPUTE_PGM_RSRC2:TGID_Y_EN: 1
; COMPUTE_PGM_RSRC2:TGID_Z_EN: 0
; COMPUTE_PGM_RSRC2:TIDIG_COMP_CNT: 1
; COMPUTE_PGM_RSRC3_GFX90A:ACCUM_OFFSET: 4
; COMPUTE_PGM_RSRC3_GFX90A:TG_SPLIT: 0
	.section	.text._ZN9rocsolver6v33100L23getf2_npvt_small_kernelILi3EfiiPfEEvT1_T3_lS3_lPT2_S3_S3_,"axG",@progbits,_ZN9rocsolver6v33100L23getf2_npvt_small_kernelILi3EfiiPfEEvT1_T3_lS3_lPT2_S3_S3_,comdat
	.globl	_ZN9rocsolver6v33100L23getf2_npvt_small_kernelILi3EfiiPfEEvT1_T3_lS3_lPT2_S3_S3_ ; -- Begin function _ZN9rocsolver6v33100L23getf2_npvt_small_kernelILi3EfiiPfEEvT1_T3_lS3_lPT2_S3_S3_
	.p2align	8
	.type	_ZN9rocsolver6v33100L23getf2_npvt_small_kernelILi3EfiiPfEEvT1_T3_lS3_lPT2_S3_S3_,@function
_ZN9rocsolver6v33100L23getf2_npvt_small_kernelILi3EfiiPfEEvT1_T3_lS3_lPT2_S3_S3_: ; @_ZN9rocsolver6v33100L23getf2_npvt_small_kernelILi3EfiiPfEEvT1_T3_lS3_lPT2_S3_S3_
; %bb.0:
	s_load_dword s2, s[0:1], 0x44
	s_load_dwordx2 s[8:9], s[0:1], 0x30
	v_bfe_u32 v12, v0, 10, 10
	s_waitcnt lgkmcnt(0)
	s_lshr_b32 s2, s2, 16
	s_mul_i32 s3, s3, s2
	v_add_u32_e32 v4, s3, v12
	v_cmp_gt_i32_e32 vcc, s8, v4
	s_and_saveexec_b64 s[4:5], vcc
	s_cbranch_execz .LBB5_19
; %bb.1:
	s_load_dwordx4 s[12:15], s[0:1], 0x8
	s_load_dword s10, s[0:1], 0x18
	s_load_dwordx4 s[4:7], s[0:1], 0x20
	v_ashrrev_i32_e32 v5, 31, v4
	v_and_b32_e32 v3, 0x3ff, v0
	s_waitcnt lgkmcnt(0)
	v_mov_b32_e32 v6, s12
	v_mov_b32_e32 v7, s13
	v_mul_lo_u32 v2, s5, v4
	v_mul_lo_u32 v8, s4, v5
	v_mad_u64_u32 v[0:1], s[0:1], s4, v4, 0
	v_add3_u32 v1, v1, v8, v2
	v_lshl_add_u64 v[0:1], v[0:1], 2, v[6:7]
	s_add_i32 s0, s10, s10
	v_lshl_add_u64 v[0:1], s[14:15], 2, v[0:1]
	v_lshlrev_b32_e32 v6, 2, v3
	v_mov_b32_e32 v7, 0
	v_add_u32_e32 v10, s0, v3
	s_ashr_i32 s11, s10, 31
	v_lshl_add_u64 v[6:7], v[0:1], 0, v[6:7]
	v_ashrrev_i32_e32 v11, 31, v10
	v_lshl_add_u64 v[8:9], s[10:11], 2, v[6:7]
	v_lshl_add_u64 v[10:11], v[10:11], 2, v[0:1]
	global_load_dword v0, v[6:7], off
	global_load_dword v1, v[8:9], off
	;; [unrolled: 1-line block ×3, first 2 shown]
	s_mul_i32 s2, s2, 12
	v_mul_u32_u24_e32 v13, 12, v12
	s_add_i32 s0, s2, 0
	v_lshl_add_u32 v12, v12, 2, s0
	v_cmp_ne_u32_e64 s[2:3], 0, v3
	v_cmp_eq_u32_e64 s[0:1], 0, v3
	v_add_u32_e32 v14, 0, v13
	s_and_saveexec_b64 s[4:5], s[0:1]
	s_cbranch_execz .LBB5_4
; %bb.2:
	s_waitcnt vmcnt(2)
	ds_write_b32 v12, v0
	s_waitcnt vmcnt(0)
	ds_write2_b32 v14, v1, v2 offset0:1 offset1:2
	ds_read_b32 v13, v12
	s_waitcnt lgkmcnt(0)
	v_cmp_neq_f32_e32 vcc, 0, v13
	s_and_b64 exec, exec, vcc
	s_cbranch_execz .LBB5_4
; %bb.3:
	v_div_scale_f32 v15, s[10:11], v13, v13, 1.0
	v_rcp_f32_e32 v16, v15
	v_div_scale_f32 v17, vcc, 1.0, v13, 1.0
	v_fma_f32 v18, -v15, v16, 1.0
	v_fmac_f32_e32 v16, v18, v16
	v_mul_f32_e32 v18, v17, v16
	v_fma_f32 v19, -v15, v18, v17
	v_fmac_f32_e32 v18, v19, v16
	v_fma_f32 v15, -v15, v18, v17
	v_div_fmas_f32 v15, v15, v16, v18
	v_div_fixup_f32 v13, v15, v13, 1.0
	ds_write_b32 v12, v13
.LBB5_4:
	s_or_b64 exec, exec, s[4:5]
	s_waitcnt lgkmcnt(0)
	s_barrier
	ds_read_b32 v13, v12
	s_and_saveexec_b64 s[4:5], s[2:3]
	s_cbranch_execz .LBB5_6
; %bb.5:
	ds_read2_b32 v[16:17], v14 offset0:1 offset1:2
	s_waitcnt vmcnt(2) lgkmcnt(1)
	v_mul_f32_e32 v0, v0, v13
	s_waitcnt vmcnt(1)
	v_mov_b32_e32 v18, v1
	s_waitcnt vmcnt(0)
	v_mov_b32_e32 v19, v2
	s_waitcnt lgkmcnt(0)
	v_pk_fma_f32 v[16:17], v[0:1], v[16:17], v[18:19] op_sel_hi:[0,1,1] neg_lo:[1,0,0] neg_hi:[1,0,0]
	v_mov_b32_e32 v1, v16
	v_mov_b32_e32 v2, v17
.LBB5_6:
	s_or_b64 exec, exec, s[4:5]
	v_cmp_eq_u32_e32 vcc, 1, v3
	s_waitcnt lgkmcnt(0)
	s_barrier
	s_and_saveexec_b64 s[2:3], vcc
	s_cbranch_execz .LBB5_9
; %bb.7:
	s_waitcnt vmcnt(1)
	ds_write_b32 v12, v1
	s_waitcnt vmcnt(0)
	ds_write_b32 v14, v2 offset:8
	ds_read_b32 v15, v12
	s_waitcnt lgkmcnt(0)
	v_cmp_neq_f32_e32 vcc, 0, v15
	s_and_b64 exec, exec, vcc
	s_cbranch_execz .LBB5_9
; %bb.8:
	v_div_scale_f32 v16, s[4:5], v15, v15, 1.0
	v_rcp_f32_e32 v17, v16
	v_div_scale_f32 v18, vcc, 1.0, v15, 1.0
	v_fma_f32 v19, -v16, v17, 1.0
	v_fmac_f32_e32 v17, v19, v17
	v_mul_f32_e32 v19, v18, v17
	v_fma_f32 v20, -v16, v19, v18
	v_fmac_f32_e32 v19, v20, v17
	v_fma_f32 v16, -v16, v19, v18
	v_div_fmas_f32 v16, v16, v17, v19
	v_div_fixup_f32 v15, v16, v15, 1.0
	ds_write_b32 v12, v15
.LBB5_9:
	s_or_b64 exec, exec, s[2:3]
	s_waitcnt lgkmcnt(0)
	s_barrier
	ds_read_b32 v15, v12
	v_cmp_lt_u32_e32 vcc, 1, v3
	s_and_saveexec_b64 s[2:3], vcc
	s_cbranch_execz .LBB5_11
; %bb.10:
	ds_read_b32 v14, v14 offset:8
	s_waitcnt vmcnt(1) lgkmcnt(1)
	v_mul_f32_e32 v1, v1, v15
	s_waitcnt vmcnt(0) lgkmcnt(0)
	v_fma_f32 v2, -v1, v14, v2
.LBB5_11:
	s_or_b64 exec, exec, s[2:3]
	v_cmp_ne_u32_e32 vcc, 2, v3
	s_waitcnt lgkmcnt(0)
	s_barrier
	s_and_saveexec_b64 s[2:3], vcc
	s_xor_b64 s[2:3], exec, s[2:3]
	s_andn2_saveexec_b64 s[2:3], s[2:3]
	s_cbranch_execz .LBB5_15
; %bb.12:
	s_waitcnt vmcnt(0)
	v_cmp_neq_f32_e32 vcc, 0, v2
	ds_write_b32 v12, v2
	s_and_saveexec_b64 s[4:5], vcc
	s_cbranch_execz .LBB5_14
; %bb.13:
	v_div_scale_f32 v14, s[10:11], v2, v2, 1.0
	v_rcp_f32_e32 v16, v14
	v_div_scale_f32 v17, vcc, 1.0, v2, 1.0
	v_fma_f32 v18, -v14, v16, 1.0
	v_fmac_f32_e32 v16, v18, v16
	v_mul_f32_e32 v18, v17, v16
	v_fma_f32 v19, -v14, v18, v17
	v_fmac_f32_e32 v18, v19, v16
	v_fma_f32 v14, -v14, v18, v17
	v_div_fmas_f32 v14, v14, v16, v18
	v_div_fixup_f32 v14, v14, v2, 1.0
	ds_write_b32 v12, v14
.LBB5_14:
	s_or_b64 exec, exec, s[4:5]
.LBB5_15:
	s_or_b64 exec, exec, s[2:3]
	s_waitcnt lgkmcnt(0)
	s_barrier
	ds_read_b32 v12, v12
	s_waitcnt lgkmcnt(0)
	s_barrier
	s_and_saveexec_b64 s[4:5], s[0:1]
	s_cbranch_execz .LBB5_18
; %bb.16:
	v_mov_b32_e32 v16, s6
	v_mov_b32_e32 v17, s7
	v_lshl_add_u64 v[4:5], v[4:5], 2, v[16:17]
	global_load_dword v14, v[4:5], off
	v_cmp_eq_f32_e32 vcc, 0, v13
	v_cmp_neq_f32_e64 s[0:1], 0, v15
	v_cmp_eq_f32_e64 s[2:3], 0, v12
	v_cndmask_b32_e64 v13, 0, 1, vcc
	s_or_b64 vcc, s[0:1], vcc
	v_cndmask_b32_e32 v13, 2, v13, vcc
	v_cmp_eq_u32_e32 vcc, 0, v13
	s_and_b64 s[0:1], s[2:3], vcc
	v_cndmask_b32_e64 v13, v13, 3, s[0:1]
	v_cmp_ne_u32_e64 s[0:1], 0, v13
	s_waitcnt vmcnt(0)
	v_cmp_eq_u32_e32 vcc, 0, v14
	s_and_b64 s[0:1], vcc, s[0:1]
	s_and_b64 exec, exec, s[0:1]
	s_cbranch_execz .LBB5_18
; %bb.17:
	v_add_u32_e32 v13, s9, v13
	global_store_dword v[4:5], v13, off
.LBB5_18:
	s_or_b64 exec, exec, s[4:5]
	s_waitcnt vmcnt(0)
	v_mul_f32_e32 v4, v2, v12
	v_cmp_lt_u32_e32 vcc, 2, v3
	s_nop 1
	v_cndmask_b32_e32 v2, v2, v4, vcc
	global_store_dword v[6:7], v0, off
	global_store_dword v[8:9], v1, off
	;; [unrolled: 1-line block ×3, first 2 shown]
.LBB5_19:
	s_endpgm
	.section	.rodata,"a",@progbits
	.p2align	6, 0x0
	.amdhsa_kernel _ZN9rocsolver6v33100L23getf2_npvt_small_kernelILi3EfiiPfEEvT1_T3_lS3_lPT2_S3_S3_
		.amdhsa_group_segment_fixed_size 0
		.amdhsa_private_segment_fixed_size 0
		.amdhsa_kernarg_size 312
		.amdhsa_user_sgpr_count 2
		.amdhsa_user_sgpr_dispatch_ptr 0
		.amdhsa_user_sgpr_queue_ptr 0
		.amdhsa_user_sgpr_kernarg_segment_ptr 1
		.amdhsa_user_sgpr_dispatch_id 0
		.amdhsa_user_sgpr_kernarg_preload_length 0
		.amdhsa_user_sgpr_kernarg_preload_offset 0
		.amdhsa_user_sgpr_private_segment_size 0
		.amdhsa_uses_dynamic_stack 0
		.amdhsa_enable_private_segment 0
		.amdhsa_system_sgpr_workgroup_id_x 1
		.amdhsa_system_sgpr_workgroup_id_y 1
		.amdhsa_system_sgpr_workgroup_id_z 0
		.amdhsa_system_sgpr_workgroup_info 0
		.amdhsa_system_vgpr_workitem_id 1
		.amdhsa_next_free_vgpr 21
		.amdhsa_next_free_sgpr 16
		.amdhsa_accum_offset 24
		.amdhsa_reserve_vcc 1
		.amdhsa_float_round_mode_32 0
		.amdhsa_float_round_mode_16_64 0
		.amdhsa_float_denorm_mode_32 3
		.amdhsa_float_denorm_mode_16_64 3
		.amdhsa_dx10_clamp 1
		.amdhsa_ieee_mode 1
		.amdhsa_fp16_overflow 0
		.amdhsa_tg_split 0
		.amdhsa_exception_fp_ieee_invalid_op 0
		.amdhsa_exception_fp_denorm_src 0
		.amdhsa_exception_fp_ieee_div_zero 0
		.amdhsa_exception_fp_ieee_overflow 0
		.amdhsa_exception_fp_ieee_underflow 0
		.amdhsa_exception_fp_ieee_inexact 0
		.amdhsa_exception_int_div_zero 0
	.end_amdhsa_kernel
	.section	.text._ZN9rocsolver6v33100L23getf2_npvt_small_kernelILi3EfiiPfEEvT1_T3_lS3_lPT2_S3_S3_,"axG",@progbits,_ZN9rocsolver6v33100L23getf2_npvt_small_kernelILi3EfiiPfEEvT1_T3_lS3_lPT2_S3_S3_,comdat
.Lfunc_end5:
	.size	_ZN9rocsolver6v33100L23getf2_npvt_small_kernelILi3EfiiPfEEvT1_T3_lS3_lPT2_S3_S3_, .Lfunc_end5-_ZN9rocsolver6v33100L23getf2_npvt_small_kernelILi3EfiiPfEEvT1_T3_lS3_lPT2_S3_S3_
                                        ; -- End function
	.set _ZN9rocsolver6v33100L23getf2_npvt_small_kernelILi3EfiiPfEEvT1_T3_lS3_lPT2_S3_S3_.num_vgpr, 21
	.set _ZN9rocsolver6v33100L23getf2_npvt_small_kernelILi3EfiiPfEEvT1_T3_lS3_lPT2_S3_S3_.num_agpr, 0
	.set _ZN9rocsolver6v33100L23getf2_npvt_small_kernelILi3EfiiPfEEvT1_T3_lS3_lPT2_S3_S3_.numbered_sgpr, 16
	.set _ZN9rocsolver6v33100L23getf2_npvt_small_kernelILi3EfiiPfEEvT1_T3_lS3_lPT2_S3_S3_.num_named_barrier, 0
	.set _ZN9rocsolver6v33100L23getf2_npvt_small_kernelILi3EfiiPfEEvT1_T3_lS3_lPT2_S3_S3_.private_seg_size, 0
	.set _ZN9rocsolver6v33100L23getf2_npvt_small_kernelILi3EfiiPfEEvT1_T3_lS3_lPT2_S3_S3_.uses_vcc, 1
	.set _ZN9rocsolver6v33100L23getf2_npvt_small_kernelILi3EfiiPfEEvT1_T3_lS3_lPT2_S3_S3_.uses_flat_scratch, 0
	.set _ZN9rocsolver6v33100L23getf2_npvt_small_kernelILi3EfiiPfEEvT1_T3_lS3_lPT2_S3_S3_.has_dyn_sized_stack, 0
	.set _ZN9rocsolver6v33100L23getf2_npvt_small_kernelILi3EfiiPfEEvT1_T3_lS3_lPT2_S3_S3_.has_recursion, 0
	.set _ZN9rocsolver6v33100L23getf2_npvt_small_kernelILi3EfiiPfEEvT1_T3_lS3_lPT2_S3_S3_.has_indirect_call, 0
	.section	.AMDGPU.csdata,"",@progbits
; Kernel info:
; codeLenInByte = 1032
; TotalNumSgprs: 22
; NumVgprs: 21
; NumAgprs: 0
; TotalNumVgprs: 21
; ScratchSize: 0
; MemoryBound: 0
; FloatMode: 240
; IeeeMode: 1
; LDSByteSize: 0 bytes/workgroup (compile time only)
; SGPRBlocks: 2
; VGPRBlocks: 2
; NumSGPRsForWavesPerEU: 22
; NumVGPRsForWavesPerEU: 21
; AccumOffset: 24
; Occupancy: 8
; WaveLimiterHint : 0
; COMPUTE_PGM_RSRC2:SCRATCH_EN: 0
; COMPUTE_PGM_RSRC2:USER_SGPR: 2
; COMPUTE_PGM_RSRC2:TRAP_HANDLER: 0
; COMPUTE_PGM_RSRC2:TGID_X_EN: 1
; COMPUTE_PGM_RSRC2:TGID_Y_EN: 1
; COMPUTE_PGM_RSRC2:TGID_Z_EN: 0
; COMPUTE_PGM_RSRC2:TIDIG_COMP_CNT: 1
; COMPUTE_PGM_RSRC3_GFX90A:ACCUM_OFFSET: 5
; COMPUTE_PGM_RSRC3_GFX90A:TG_SPLIT: 0
	.section	.text._ZN9rocsolver6v33100L18getf2_small_kernelILi4EfiiPfEEvT1_T3_lS3_lPS3_llPT2_S3_S3_S5_l,"axG",@progbits,_ZN9rocsolver6v33100L18getf2_small_kernelILi4EfiiPfEEvT1_T3_lS3_lPS3_llPT2_S3_S3_S5_l,comdat
	.globl	_ZN9rocsolver6v33100L18getf2_small_kernelILi4EfiiPfEEvT1_T3_lS3_lPS3_llPT2_S3_S3_S5_l ; -- Begin function _ZN9rocsolver6v33100L18getf2_small_kernelILi4EfiiPfEEvT1_T3_lS3_lPS3_llPT2_S3_S3_S5_l
	.p2align	8
	.type	_ZN9rocsolver6v33100L18getf2_small_kernelILi4EfiiPfEEvT1_T3_lS3_lPS3_llPT2_S3_S3_S5_l,@function
_ZN9rocsolver6v33100L18getf2_small_kernelILi4EfiiPfEEvT1_T3_lS3_lPS3_llPT2_S3_S3_S5_l: ; @_ZN9rocsolver6v33100L18getf2_small_kernelILi4EfiiPfEEvT1_T3_lS3_lPS3_llPT2_S3_S3_S5_l
; %bb.0:
	s_load_dword s2, s[0:1], 0x6c
	s_load_dwordx2 s[12:13], s[0:1], 0x48
	v_bfe_u32 v7, v0, 10, 10
	s_waitcnt lgkmcnt(0)
	s_lshr_b32 s2, s2, 16
	s_mul_i32 s3, s3, s2
	v_add_u32_e32 v8, s3, v7
	v_cmp_gt_i32_e32 vcc, s12, v8
	s_and_saveexec_b64 s[2:3], vcc
	s_cbranch_execz .LBB6_65
; %bb.1:
	s_load_dwordx4 s[4:7], s[0:1], 0x50
	v_ashrrev_i32_e32 v9, 31, v8
	v_mov_b64_e32 v[12:13], 0
	s_waitcnt lgkmcnt(0)
	s_cmp_eq_u64 s[4:5], 0
	s_cselect_b64 s[16:17], -1, 0
	s_and_b64 vcc, exec, s[16:17]
	s_cbranch_vccnz .LBB6_3
; %bb.2:
	v_mul_lo_u32 v1, s7, v8
	v_mul_lo_u32 v4, s6, v9
	v_mad_u64_u32 v[2:3], s[2:3], s6, v8, 0
	v_add3_u32 v3, v3, v4, v1
	v_lshl_add_u64 v[12:13], v[2:3], 2, s[4:5]
.LBB6_3:
	s_load_dwordx4 s[20:23], s[0:1], 0x8
	s_load_dwordx8 s[4:11], s[0:1], 0x20
	s_load_dword s14, s[0:1], 0x18
	s_waitcnt lgkmcnt(0)
	v_mov_b32_e32 v2, s20
	v_mul_lo_u32 v1, s5, v8
	v_mul_lo_u32 v6, s4, v9
	v_mad_u64_u32 v[4:5], s[2:3], s4, v8, 0
	v_mov_b32_e32 v3, s21
	v_add3_u32 v5, v5, v6, v1
	v_lshl_add_u64 v[2:3], v[4:5], 2, v[2:3]
	v_and_b32_e32 v6, 0x3ff, v0
	v_lshl_add_u64 v[10:11], s[22:23], 2, v[2:3]
	v_lshlrev_b32_e32 v4, 2, v6
	v_mov_b32_e32 v5, 0
	v_lshl_add_u64 v[2:3], v[10:11], 0, v[4:5]
	s_ashr_i32 s15, s14, 31
	s_add_i32 s12, s14, s14
	global_load_dword v0, v[2:3], off
	v_lshl_add_u64 v[14:15], s[14:15], 2, v[2:3]
	v_add_u32_e32 v2, s12, v6
	v_ashrrev_i32_e32 v3, 31, v2
	v_lshl_add_u64 v[16:17], v[2:3], 2, v[10:11]
	v_add_u32_e32 v2, s14, v2
	v_ashrrev_i32_e32 v3, 31, v2
	v_lshl_add_u64 v[18:19], v[2:3], 2, v[10:11]
	global_load_dword v1, v[14:15], off
	global_load_dword v2, v[16:17], off
	;; [unrolled: 1-line block ×3, first 2 shown]
	s_load_dword s22, s[0:1], 0x0
	s_load_dwordx2 s[4:5], s[0:1], 0x40
	s_waitcnt lgkmcnt(0)
	s_max_i32 s0, s22, 4
	v_mul_lo_u32 v7, s0, v7
	v_lshl_add_u32 v17, v7, 2, 0
	v_add_u32_e32 v4, v17, v4
	s_cmp_lt_i32 s22, 2
	v_lshlrev_b32_e32 v18, 2, v7
	s_waitcnt vmcnt(3)
	ds_write_b32 v4, v0
	s_waitcnt lgkmcnt(0)
	s_barrier
	ds_read_b32 v14, v17
	s_cbranch_scc1 .LBB6_6
; %bb.4:
	v_add3_u32 v4, v18, 0, 4
	v_mov_b32_e32 v5, 0
	s_mov_b32 s0, 1
.LBB6_5:                                ; =>This Inner Loop Header: Depth=1
	ds_read_b32 v7, v4
	v_mov_b32_e32 v15, s0
	s_add_i32 s0, s0, 1
	v_add_u32_e32 v4, 4, v4
	s_cmp_eq_u32 s22, s0
	s_waitcnt lgkmcnt(0)
	v_cmp_lt_f32_e64 vcc, |v14|, |v7|
	s_nop 1
	v_cndmask_b32_e32 v14, v14, v7, vcc
	v_cndmask_b32_e32 v5, v5, v15, vcc
	s_cbranch_scc0 .LBB6_5
.LBB6_6:
	v_cmp_ne_u32_e32 vcc, v6, v5
                                        ; implicit-def: $vgpr15
	s_and_saveexec_b64 s[0:1], vcc
	s_xor_b64 s[0:1], exec, s[0:1]
	s_cbranch_execz .LBB6_12
; %bb.7:
	v_cmp_eq_u32_e32 vcc, 0, v6
	s_and_saveexec_b64 s[2:3], vcc
	s_cbranch_execz .LBB6_11
; %bb.8:
	v_cmp_ne_u32_e32 vcc, 0, v5
	s_xor_b64 s[18:19], s[16:17], -1
	s_and_b64 s[20:21], s[18:19], vcc
	s_and_saveexec_b64 s[18:19], s[20:21]
	s_cbranch_execz .LBB6_10
; %bb.9:
	v_ashrrev_i32_e32 v7, 31, v5
	v_mov_b32_e32 v6, v5
	v_lshl_add_u64 v[6:7], v[6:7], 2, v[12:13]
	global_load_dword v4, v[6:7], off
	global_load_dword v15, v[12:13], off
	s_waitcnt vmcnt(1)
	global_store_dword v[12:13], v4, off
	s_waitcnt vmcnt(1)
	global_store_dword v[6:7], v15, off
.LBB6_10:
	s_or_b64 exec, exec, s[18:19]
	v_mov_b32_e32 v6, v5
.LBB6_11:
	s_or_b64 exec, exec, s[2:3]
	v_mov_b32_e32 v15, v6
                                        ; implicit-def: $vgpr6
.LBB6_12:
	s_or_saveexec_b64 s[0:1], s[0:1]
	v_mov_b32_e32 v16, v15
	s_xor_b64 exec, exec, s[0:1]
	s_cbranch_execz .LBB6_14
; %bb.13:
	v_mov_b32_e32 v15, 0
	v_mov_b32_e32 v16, v6
	s_waitcnt vmcnt(1)
	ds_write2_b32 v17, v1, v2 offset0:1 offset1:2
	s_waitcnt vmcnt(0)
	ds_write_b32 v17, v3 offset:12
.LBB6_14:
	s_or_b64 exec, exec, s[0:1]
	s_waitcnt vmcnt(0)
	v_mov_b64_e32 v[6:7], v[2:3]
	s_waitcnt lgkmcnt(0)
	v_cmp_eq_f32_e64 s[0:1], 0, v14
	v_cmp_lt_i32_e32 vcc, 0, v15
	v_mov_b64_e32 v[4:5], v[0:1]
	s_barrier
	s_and_saveexec_b64 s[2:3], vcc
	s_cbranch_execz .LBB6_16
; %bb.15:
	v_div_scale_f32 v4, s[18:19], v14, v14, 1.0
	v_rcp_f32_e32 v5, v4
	v_div_scale_f32 v6, vcc, 1.0, v14, 1.0
	v_fma_f32 v7, -v4, v5, 1.0
	v_fmac_f32_e32 v5, v7, v5
	v_mul_f32_e32 v7, v6, v5
	v_fma_f32 v19, -v4, v7, v6
	v_fmac_f32_e32 v7, v19, v5
	v_fma_f32 v4, -v4, v7, v6
	v_div_fmas_f32 v4, v4, v5, v7
	ds_read2_b32 v[6:7], v17 offset0:1 offset1:2
	ds_read_b32 v5, v17 offset:12
	v_div_fixup_f32 v4, v4, v14, 1.0
	v_cndmask_b32_e64 v4, v4, v14, s[0:1]
	v_mul_f32_e32 v4, v0, v4
	v_mov_b32_e32 v0, v1
	v_mov_b32_e32 v1, v2
	s_waitcnt lgkmcnt(0)
	v_pk_fma_f32 v[20:21], v[4:5], v[6:7], v[0:1] op_sel_hi:[0,1,1] neg_lo:[1,0,0] neg_hi:[1,0,0]
	v_fma_f32 v7, -v4, v5, v3
	v_mov_b32_e32 v5, v20
	v_mov_b32_e32 v6, v21
	v_mov_b32_e32 v1, v20
	v_mov_b32_e32 v2, v21
	v_mov_b32_e32 v3, v7
.LBB6_16:
	s_or_b64 exec, exec, s[2:3]
	v_lshl_add_u32 v0, v15, 2, v17
	s_barrier
	ds_write_b32 v0, v1
	s_waitcnt lgkmcnt(0)
	s_barrier
	ds_read_b32 v0, v17 offset:4
	s_mov_b32 s2, 2
	s_cmp_lt_i32 s22, 3
	v_mov_b32_e32 v14, 1
	s_cbranch_scc1 .LBB6_19
; %bb.17:
	v_add3_u32 v19, v18, 0, 8
	v_mov_b32_e32 v14, 1
.LBB6_18:                               ; =>This Inner Loop Header: Depth=1
	ds_read_b32 v20, v19
	v_mov_b32_e32 v21, s2
	s_add_i32 s2, s2, 1
	v_add_u32_e32 v19, 4, v19
	s_cmp_lg_u32 s22, s2
	s_waitcnt lgkmcnt(0)
	v_cmp_lt_f32_e64 vcc, |v0|, |v20|
	s_nop 1
	v_cndmask_b32_e32 v0, v0, v20, vcc
	v_cndmask_b32_e32 v14, v14, v21, vcc
	s_cbranch_scc1 .LBB6_18
.LBB6_19:
	v_cmp_ne_u32_e32 vcc, v15, v14
	s_and_saveexec_b64 s[2:3], vcc
	s_xor_b64 s[2:3], exec, s[2:3]
	s_cbranch_execz .LBB6_25
; %bb.20:
	v_cmp_eq_u32_e32 vcc, 1, v15
	s_and_saveexec_b64 s[18:19], vcc
	s_cbranch_execz .LBB6_24
; %bb.21:
	v_cmp_ne_u32_e32 vcc, 1, v14
	s_xor_b64 s[20:21], s[16:17], -1
	s_and_b64 s[24:25], s[20:21], vcc
	s_and_saveexec_b64 s[20:21], s[24:25]
	s_cbranch_execz .LBB6_23
; %bb.22:
	v_ashrrev_i32_e32 v15, 31, v14
	v_lshl_add_u64 v[20:21], v[14:15], 2, v[12:13]
	global_load_dword v15, v[20:21], off
	global_load_dword v16, v[12:13], off offset:4
	s_waitcnt vmcnt(1)
	global_store_dword v[12:13], v15, off offset:4
	s_waitcnt vmcnt(1)
	global_store_dword v[20:21], v16, off
.LBB6_23:
	s_or_b64 exec, exec, s[20:21]
	v_mov_b32_e32 v16, v14
	v_mov_b32_e32 v15, v14
.LBB6_24:
	s_or_b64 exec, exec, s[18:19]
.LBB6_25:
	s_andn2_saveexec_b64 s[2:3], s[2:3]
; %bb.26:
	v_mov_b32_e32 v15, 1
	ds_write2_b32 v17, v6, v7 offset0:2 offset1:3
; %bb.27:
	s_or_b64 exec, exec, s[2:3]
	s_waitcnt lgkmcnt(0)
	v_cmp_neq_f32_e64 s[2:3], 0, v0
	v_cmp_lt_i32_e32 vcc, 1, v15
	s_barrier
	s_and_saveexec_b64 s[18:19], vcc
	s_cbranch_execz .LBB6_29
; %bb.28:
	v_div_scale_f32 v2, s[20:21], v0, v0, 1.0
	v_rcp_f32_e32 v5, v2
	v_div_scale_f32 v3, vcc, 1.0, v0, 1.0
	v_fma_f32 v14, -v2, v5, 1.0
	v_fmac_f32_e32 v5, v14, v5
	v_mul_f32_e32 v14, v3, v5
	v_fma_f32 v19, -v2, v14, v3
	v_fmac_f32_e32 v14, v19, v5
	v_fma_f32 v19, -v2, v14, v3
	ds_read2_b32 v[2:3], v17 offset0:2 offset1:3
	v_div_fmas_f32 v5, v19, v5, v14
	v_div_fixup_f32 v5, v5, v0, 1.0
	v_cndmask_b32_e64 v0, v0, v5, s[2:3]
	v_mul_f32_e32 v0, v1, v0
	s_waitcnt lgkmcnt(0)
	v_pk_fma_f32 v[2:3], v[0:1], v[2:3], v[6:7] op_sel_hi:[0,1,1] neg_lo:[1,0,0] neg_hi:[1,0,0]
	v_mov_b32_e32 v5, v0
	v_mov_b32_e32 v6, v2
	;; [unrolled: 1-line block ×3, first 2 shown]
.LBB6_29:
	s_or_b64 exec, exec, s[18:19]
	v_lshl_add_u32 v0, v15, 2, v17
	s_barrier
	ds_write_b32 v0, v2
	s_waitcnt lgkmcnt(0)
	s_barrier
	ds_read_b32 v14, v17 offset:8
	s_cmp_lt_i32 s22, 4
	v_mov_b32_e32 v0, 2
	s_cbranch_scc1 .LBB6_32
; %bb.30:
	v_mov_b32_e32 v0, 2
	v_add3_u32 v1, v18, 0, 12
	s_mov_b32 s18, 3
.LBB6_31:                               ; =>This Inner Loop Header: Depth=1
	ds_read_b32 v19, v1
	v_mov_b32_e32 v20, s18
	s_add_i32 s18, s18, 1
	v_add_u32_e32 v1, 4, v1
	s_cmp_lg_u32 s22, s18
	s_waitcnt lgkmcnt(0)
	v_cmp_lt_f32_e64 vcc, |v14|, |v19|
	s_nop 1
	v_cndmask_b32_e32 v14, v14, v19, vcc
	v_cndmask_b32_e32 v0, v0, v20, vcc
	s_cbranch_scc1 .LBB6_31
.LBB6_32:
	v_cndmask_b32_e64 v1, 2, 1, s[0:1]
	v_cndmask_b32_e64 v19, 0, 1, s[0:1]
	;; [unrolled: 1-line block ×3, first 2 shown]
	s_waitcnt lgkmcnt(0)
	v_cmp_eq_f32_e32 vcc, 0, v14
	s_and_saveexec_b64 s[0:1], vcc
	s_xor_b64 s[0:1], exec, s[0:1]
; %bb.33:
	v_cmp_ne_u32_e32 vcc, 0, v19
	s_nop 1
	v_cndmask_b32_e32 v19, 3, v19, vcc
; %bb.34:
	s_andn2_saveexec_b64 s[0:1], s[0:1]
	s_cbranch_execz .LBB6_36
; %bb.35:
	v_div_scale_f32 v1, s[2:3], v14, v14, 1.0
	v_rcp_f32_e32 v20, v1
	v_div_scale_f32 v21, vcc, 1.0, v14, 1.0
	v_fma_f32 v22, -v1, v20, 1.0
	v_fmac_f32_e32 v20, v22, v20
	v_mul_f32_e32 v22, v21, v20
	v_fma_f32 v23, -v1, v22, v21
	v_fmac_f32_e32 v22, v23, v20
	v_fma_f32 v1, -v1, v22, v21
	v_div_fmas_f32 v1, v1, v20, v22
	v_div_fixup_f32 v14, v1, v14, 1.0
.LBB6_36:
	s_or_b64 exec, exec, s[0:1]
	v_cmp_ne_u32_e32 vcc, v15, v0
	s_and_saveexec_b64 s[0:1], vcc
	s_xor_b64 s[0:1], exec, s[0:1]
	s_cbranch_execz .LBB6_42
; %bb.37:
	v_cmp_eq_u32_e32 vcc, 2, v15
	s_and_saveexec_b64 s[2:3], vcc
	s_cbranch_execz .LBB6_41
; %bb.38:
	v_cmp_ne_u32_e32 vcc, 2, v0
	s_xor_b64 s[18:19], s[16:17], -1
	s_and_b64 s[20:21], s[18:19], vcc
	s_and_saveexec_b64 s[18:19], s[20:21]
	s_cbranch_execz .LBB6_40
; %bb.39:
	v_ashrrev_i32_e32 v1, 31, v0
	v_lshl_add_u64 v[20:21], v[0:1], 2, v[12:13]
	global_load_dword v1, v[20:21], off
	global_load_dword v15, v[12:13], off offset:8
	s_waitcnt vmcnt(1)
	global_store_dword v[12:13], v1, off offset:8
	s_waitcnt vmcnt(1)
	global_store_dword v[20:21], v15, off
.LBB6_40:
	s_or_b64 exec, exec, s[18:19]
	v_mov_b32_e32 v16, v0
	v_mov_b32_e32 v15, v0
.LBB6_41:
	s_or_b64 exec, exec, s[2:3]
.LBB6_42:
	s_andn2_saveexec_b64 s[0:1], s[0:1]
; %bb.43:
	v_mov_b32_e32 v15, 2
	ds_write_b32 v17, v3 offset:12
; %bb.44:
	s_or_b64 exec, exec, s[0:1]
	v_cmp_lt_i32_e32 vcc, 2, v15
	s_waitcnt lgkmcnt(0)
	s_barrier
	s_and_saveexec_b64 s[0:1], vcc
	s_cbranch_execz .LBB6_46
; %bb.45:
	ds_read_b32 v0, v17 offset:12
	v_mul_f32_e32 v6, v2, v14
	s_waitcnt lgkmcnt(0)
	v_fma_f32 v7, -v6, v0, v3
	v_mov_b32_e32 v3, v7
.LBB6_46:
	s_or_b64 exec, exec, s[0:1]
	v_lshl_add_u32 v0, v15, 2, v17
	s_barrier
	ds_write_b32 v0, v3
	s_waitcnt lgkmcnt(0)
	s_barrier
	ds_read_b32 v2, v17 offset:12
	s_cmp_lt_i32 s22, 5
	v_mov_b32_e32 v0, 3
	s_cbranch_scc1 .LBB6_49
; %bb.47:
	v_add3_u32 v1, v18, 0, 16
	v_mov_b32_e32 v0, 3
	s_mov_b32 s0, 4
.LBB6_48:                               ; =>This Inner Loop Header: Depth=1
	ds_read_b32 v14, v1
	v_mov_b32_e32 v17, s0
	s_add_i32 s0, s0, 1
	v_add_u32_e32 v1, 4, v1
	s_cmp_lg_u32 s22, s0
	s_waitcnt lgkmcnt(0)
	v_cmp_lt_f32_e64 vcc, |v2|, |v14|
	s_nop 1
	v_cndmask_b32_e32 v2, v2, v14, vcc
	v_cndmask_b32_e32 v0, v0, v17, vcc
	s_cbranch_scc1 .LBB6_48
.LBB6_49:
	s_waitcnt lgkmcnt(0)
	v_cmp_eq_f32_e32 vcc, 0, v2
	s_and_saveexec_b64 s[0:1], vcc
	s_xor_b64 s[0:1], exec, s[0:1]
; %bb.50:
	v_cmp_ne_u32_e32 vcc, 0, v19
	s_nop 1
	v_cndmask_b32_e32 v19, 4, v19, vcc
; %bb.51:
	s_andn2_saveexec_b64 s[0:1], s[0:1]
	s_cbranch_execz .LBB6_53
; %bb.52:
	v_div_scale_f32 v1, s[2:3], v2, v2, 1.0
	v_rcp_f32_e32 v14, v1
	v_div_scale_f32 v17, vcc, 1.0, v2, 1.0
	v_fma_f32 v18, -v1, v14, 1.0
	v_fmac_f32_e32 v14, v18, v14
	v_mul_f32_e32 v18, v17, v14
	v_fma_f32 v20, -v1, v18, v17
	v_fmac_f32_e32 v18, v20, v14
	v_fma_f32 v1, -v1, v18, v17
	v_div_fmas_f32 v1, v1, v14, v18
	v_div_fixup_f32 v2, v1, v2, 1.0
.LBB6_53:
	s_or_b64 exec, exec, s[0:1]
	v_cmp_ne_u32_e32 vcc, v15, v0
	v_mov_b32_e32 v14, 3
	s_and_saveexec_b64 s[0:1], vcc
	s_cbranch_execz .LBB6_59
; %bb.54:
	v_cmp_eq_u32_e32 vcc, 3, v15
	s_and_saveexec_b64 s[2:3], vcc
	s_cbranch_execz .LBB6_58
; %bb.55:
	v_cmp_ne_u32_e32 vcc, 3, v0
	s_xor_b64 s[16:17], s[16:17], -1
	s_and_b64 s[18:19], s[16:17], vcc
	s_and_saveexec_b64 s[16:17], s[18:19]
	s_cbranch_execz .LBB6_57
; %bb.56:
	v_ashrrev_i32_e32 v1, 31, v0
	v_lshl_add_u64 v[14:15], v[0:1], 2, v[12:13]
	global_load_dword v1, v[14:15], off
	global_load_dword v16, v[12:13], off offset:12
	s_waitcnt vmcnt(1)
	global_store_dword v[12:13], v1, off offset:12
	s_waitcnt vmcnt(1)
	global_store_dword v[14:15], v16, off
.LBB6_57:
	s_or_b64 exec, exec, s[16:17]
	v_mov_b32_e32 v16, v0
	v_mov_b32_e32 v15, v0
.LBB6_58:
	s_or_b64 exec, exec, s[2:3]
	v_mov_b32_e32 v14, v15
.LBB6_59:
	s_or_b64 exec, exec, s[0:1]
	v_cmp_gt_i32_e32 vcc, 4, v14
	v_ashrrev_i32_e32 v15, 31, v14
	s_barrier
	s_barrier
	s_and_saveexec_b64 s[0:1], vcc
	s_cbranch_execz .LBB6_61
; %bb.60:
	v_mul_lo_u32 v17, s11, v8
	v_mul_lo_u32 v18, s10, v9
	v_mad_u64_u32 v[12:13], s[2:3], s10, v8, 0
	v_mov_b32_e32 v0, s6
	v_mov_b32_e32 v1, s7
	v_add3_u32 v13, v13, v18, v17
	v_lshl_add_u64 v[0:1], v[12:13], 2, v[0:1]
	v_lshl_add_u64 v[0:1], s[8:9], 2, v[0:1]
	;; [unrolled: 1-line block ×3, first 2 shown]
	v_add3_u32 v12, v16, s13, 1
	global_store_dword v[0:1], v12, off
.LBB6_61:
	s_or_b64 exec, exec, s[0:1]
	v_cmp_eq_u32_e32 vcc, 0, v14
	s_and_saveexec_b64 s[2:3], vcc
	s_cbranch_execz .LBB6_64
; %bb.62:
	v_mov_b32_e32 v0, s4
	v_mov_b32_e32 v1, s5
	v_lshl_add_u64 v[0:1], v[8:9], 2, v[0:1]
	global_load_dword v8, v[0:1], off
	v_cmp_ne_u32_e64 s[0:1], 0, v19
	s_waitcnt vmcnt(0)
	v_cmp_eq_u32_e32 vcc, 0, v8
	s_and_b64 s[0:1], vcc, s[0:1]
	s_and_b64 exec, exec, s[0:1]
	s_cbranch_execz .LBB6_64
; %bb.63:
	v_add_u32_e32 v8, s13, v19
	global_store_dword v[0:1], v8, off
.LBB6_64:
	s_or_b64 exec, exec, s[2:3]
	v_mul_f32_e32 v0, v3, v2
	v_cmp_lt_i32_e32 vcc, 3, v14
	s_nop 1
	v_cndmask_b32_e32 v7, v7, v0, vcc
	v_lshl_add_u64 v[0:1], v[14:15], 2, v[10:11]
	global_store_dword v[0:1], v4, off
	v_lshl_add_u64 v[0:1], s[14:15], 2, v[0:1]
	global_store_dword v[0:1], v5, off
	v_add_u32_e32 v0, s12, v14
	v_ashrrev_i32_e32 v1, 31, v0
	v_lshl_add_u64 v[2:3], v[0:1], 2, v[10:11]
	v_add_u32_e32 v0, s14, v0
	v_ashrrev_i32_e32 v1, 31, v0
	v_lshl_add_u64 v[0:1], v[0:1], 2, v[10:11]
	global_store_dword v[2:3], v6, off
	global_store_dword v[0:1], v7, off
.LBB6_65:
	s_endpgm
	.section	.rodata,"a",@progbits
	.p2align	6, 0x0
	.amdhsa_kernel _ZN9rocsolver6v33100L18getf2_small_kernelILi4EfiiPfEEvT1_T3_lS3_lPS3_llPT2_S3_S3_S5_l
		.amdhsa_group_segment_fixed_size 0
		.amdhsa_private_segment_fixed_size 0
		.amdhsa_kernarg_size 352
		.amdhsa_user_sgpr_count 2
		.amdhsa_user_sgpr_dispatch_ptr 0
		.amdhsa_user_sgpr_queue_ptr 0
		.amdhsa_user_sgpr_kernarg_segment_ptr 1
		.amdhsa_user_sgpr_dispatch_id 0
		.amdhsa_user_sgpr_kernarg_preload_length 0
		.amdhsa_user_sgpr_kernarg_preload_offset 0
		.amdhsa_user_sgpr_private_segment_size 0
		.amdhsa_uses_dynamic_stack 0
		.amdhsa_enable_private_segment 0
		.amdhsa_system_sgpr_workgroup_id_x 1
		.amdhsa_system_sgpr_workgroup_id_y 1
		.amdhsa_system_sgpr_workgroup_id_z 0
		.amdhsa_system_sgpr_workgroup_info 0
		.amdhsa_system_vgpr_workitem_id 1
		.amdhsa_next_free_vgpr 24
		.amdhsa_next_free_sgpr 26
		.amdhsa_accum_offset 24
		.amdhsa_reserve_vcc 1
		.amdhsa_float_round_mode_32 0
		.amdhsa_float_round_mode_16_64 0
		.amdhsa_float_denorm_mode_32 3
		.amdhsa_float_denorm_mode_16_64 3
		.amdhsa_dx10_clamp 1
		.amdhsa_ieee_mode 1
		.amdhsa_fp16_overflow 0
		.amdhsa_tg_split 0
		.amdhsa_exception_fp_ieee_invalid_op 0
		.amdhsa_exception_fp_denorm_src 0
		.amdhsa_exception_fp_ieee_div_zero 0
		.amdhsa_exception_fp_ieee_overflow 0
		.amdhsa_exception_fp_ieee_underflow 0
		.amdhsa_exception_fp_ieee_inexact 0
		.amdhsa_exception_int_div_zero 0
	.end_amdhsa_kernel
	.section	.text._ZN9rocsolver6v33100L18getf2_small_kernelILi4EfiiPfEEvT1_T3_lS3_lPS3_llPT2_S3_S3_S5_l,"axG",@progbits,_ZN9rocsolver6v33100L18getf2_small_kernelILi4EfiiPfEEvT1_T3_lS3_lPS3_llPT2_S3_S3_S5_l,comdat
.Lfunc_end6:
	.size	_ZN9rocsolver6v33100L18getf2_small_kernelILi4EfiiPfEEvT1_T3_lS3_lPS3_llPT2_S3_S3_S5_l, .Lfunc_end6-_ZN9rocsolver6v33100L18getf2_small_kernelILi4EfiiPfEEvT1_T3_lS3_lPS3_llPT2_S3_S3_S5_l
                                        ; -- End function
	.set _ZN9rocsolver6v33100L18getf2_small_kernelILi4EfiiPfEEvT1_T3_lS3_lPS3_llPT2_S3_S3_S5_l.num_vgpr, 24
	.set _ZN9rocsolver6v33100L18getf2_small_kernelILi4EfiiPfEEvT1_T3_lS3_lPS3_llPT2_S3_S3_S5_l.num_agpr, 0
	.set _ZN9rocsolver6v33100L18getf2_small_kernelILi4EfiiPfEEvT1_T3_lS3_lPS3_llPT2_S3_S3_S5_l.numbered_sgpr, 26
	.set _ZN9rocsolver6v33100L18getf2_small_kernelILi4EfiiPfEEvT1_T3_lS3_lPS3_llPT2_S3_S3_S5_l.num_named_barrier, 0
	.set _ZN9rocsolver6v33100L18getf2_small_kernelILi4EfiiPfEEvT1_T3_lS3_lPS3_llPT2_S3_S3_S5_l.private_seg_size, 0
	.set _ZN9rocsolver6v33100L18getf2_small_kernelILi4EfiiPfEEvT1_T3_lS3_lPS3_llPT2_S3_S3_S5_l.uses_vcc, 1
	.set _ZN9rocsolver6v33100L18getf2_small_kernelILi4EfiiPfEEvT1_T3_lS3_lPS3_llPT2_S3_S3_S5_l.uses_flat_scratch, 0
	.set _ZN9rocsolver6v33100L18getf2_small_kernelILi4EfiiPfEEvT1_T3_lS3_lPS3_llPT2_S3_S3_S5_l.has_dyn_sized_stack, 0
	.set _ZN9rocsolver6v33100L18getf2_small_kernelILi4EfiiPfEEvT1_T3_lS3_lPS3_llPT2_S3_S3_S5_l.has_recursion, 0
	.set _ZN9rocsolver6v33100L18getf2_small_kernelILi4EfiiPfEEvT1_T3_lS3_lPS3_llPT2_S3_S3_S5_l.has_indirect_call, 0
	.section	.AMDGPU.csdata,"",@progbits
; Kernel info:
; codeLenInByte = 2312
; TotalNumSgprs: 32
; NumVgprs: 24
; NumAgprs: 0
; TotalNumVgprs: 24
; ScratchSize: 0
; MemoryBound: 0
; FloatMode: 240
; IeeeMode: 1
; LDSByteSize: 0 bytes/workgroup (compile time only)
; SGPRBlocks: 3
; VGPRBlocks: 2
; NumSGPRsForWavesPerEU: 32
; NumVGPRsForWavesPerEU: 24
; AccumOffset: 24
; Occupancy: 8
; WaveLimiterHint : 0
; COMPUTE_PGM_RSRC2:SCRATCH_EN: 0
; COMPUTE_PGM_RSRC2:USER_SGPR: 2
; COMPUTE_PGM_RSRC2:TRAP_HANDLER: 0
; COMPUTE_PGM_RSRC2:TGID_X_EN: 1
; COMPUTE_PGM_RSRC2:TGID_Y_EN: 1
; COMPUTE_PGM_RSRC2:TGID_Z_EN: 0
; COMPUTE_PGM_RSRC2:TIDIG_COMP_CNT: 1
; COMPUTE_PGM_RSRC3_GFX90A:ACCUM_OFFSET: 5
; COMPUTE_PGM_RSRC3_GFX90A:TG_SPLIT: 0
	.section	.text._ZN9rocsolver6v33100L23getf2_npvt_small_kernelILi4EfiiPfEEvT1_T3_lS3_lPT2_S3_S3_,"axG",@progbits,_ZN9rocsolver6v33100L23getf2_npvt_small_kernelILi4EfiiPfEEvT1_T3_lS3_lPT2_S3_S3_,comdat
	.globl	_ZN9rocsolver6v33100L23getf2_npvt_small_kernelILi4EfiiPfEEvT1_T3_lS3_lPT2_S3_S3_ ; -- Begin function _ZN9rocsolver6v33100L23getf2_npvt_small_kernelILi4EfiiPfEEvT1_T3_lS3_lPT2_S3_S3_
	.p2align	8
	.type	_ZN9rocsolver6v33100L23getf2_npvt_small_kernelILi4EfiiPfEEvT1_T3_lS3_lPT2_S3_S3_,@function
_ZN9rocsolver6v33100L23getf2_npvt_small_kernelILi4EfiiPfEEvT1_T3_lS3_lPT2_S3_S3_: ; @_ZN9rocsolver6v33100L23getf2_npvt_small_kernelILi4EfiiPfEEvT1_T3_lS3_lPT2_S3_S3_
; %bb.0:
	s_load_dword s2, s[0:1], 0x44
	s_load_dwordx2 s[8:9], s[0:1], 0x30
	v_bfe_u32 v4, v0, 10, 10
	s_waitcnt lgkmcnt(0)
	s_lshr_b32 s2, s2, 16
	s_mul_i32 s3, s3, s2
	v_add_u32_e32 v8, s3, v4
	v_cmp_gt_i32_e32 vcc, s8, v8
	s_and_saveexec_b64 s[4:5], vcc
	s_cbranch_execz .LBB7_23
; %bb.1:
	s_load_dwordx4 s[12:15], s[0:1], 0x8
	s_load_dword s10, s[0:1], 0x18
	s_load_dwordx4 s[4:7], s[0:1], 0x20
	v_ashrrev_i32_e32 v9, 31, v8
	v_and_b32_e32 v18, 0x3ff, v0
	s_waitcnt lgkmcnt(0)
	v_mov_b32_e32 v2, s12
	v_mov_b32_e32 v3, s13
	v_mul_lo_u32 v5, s5, v8
	v_mul_lo_u32 v6, s4, v9
	v_mad_u64_u32 v[0:1], s[0:1], s4, v8, 0
	v_add3_u32 v1, v1, v6, v5
	v_lshl_add_u64 v[0:1], v[0:1], 2, v[2:3]
	v_lshl_add_u64 v[0:1], s[14:15], 2, v[0:1]
	v_lshlrev_b32_e32 v2, 2, v18
	v_mov_b32_e32 v3, 0
	s_add_i32 s0, s10, s10
	v_lshl_add_u64 v[10:11], v[0:1], 0, v[2:3]
	v_add_u32_e32 v2, s0, v18
	v_ashrrev_i32_e32 v3, 31, v2
	v_lshl_add_u64 v[14:15], v[2:3], 2, v[0:1]
	v_add_u32_e32 v2, s10, v2
	s_ashr_i32 s11, s10, 31
	v_ashrrev_i32_e32 v3, 31, v2
	v_lshl_add_u64 v[12:13], s[10:11], 2, v[10:11]
	v_lshl_add_u64 v[16:17], v[2:3], 2, v[0:1]
	global_load_dword v0, v[10:11], off
	global_load_dword v1, v[12:13], off
	;; [unrolled: 1-line block ×4, first 2 shown]
	s_lshl_b32 s0, s2, 4
	v_lshlrev_b32_e32 v5, 4, v4
	s_add_i32 s0, s0, 0
	v_lshl_add_u32 v19, v4, 2, s0
	v_cmp_ne_u32_e64 s[2:3], 0, v18
	v_cmp_eq_u32_e64 s[0:1], 0, v18
	v_add_u32_e32 v21, 0, v5
	s_and_saveexec_b64 s[4:5], s[0:1]
	s_cbranch_execz .LBB7_4
; %bb.2:
	s_waitcnt vmcnt(3)
	ds_write_b32 v19, v0
	s_waitcnt vmcnt(1)
	ds_write2_b32 v21, v1, v2 offset0:1 offset1:2
	s_waitcnt vmcnt(0)
	ds_write_b32 v21, v3 offset:12
	ds_read_b32 v4, v19
	s_waitcnt lgkmcnt(0)
	v_cmp_neq_f32_e32 vcc, 0, v4
	s_and_b64 exec, exec, vcc
	s_cbranch_execz .LBB7_4
; %bb.3:
	v_div_scale_f32 v5, s[10:11], v4, v4, 1.0
	v_rcp_f32_e32 v6, v5
	v_div_scale_f32 v7, vcc, 1.0, v4, 1.0
	v_fma_f32 v20, -v5, v6, 1.0
	v_fmac_f32_e32 v6, v20, v6
	v_mul_f32_e32 v20, v7, v6
	v_fma_f32 v22, -v5, v20, v7
	v_fmac_f32_e32 v20, v22, v6
	v_fma_f32 v5, -v5, v20, v7
	v_div_fmas_f32 v5, v5, v6, v20
	v_div_fixup_f32 v4, v5, v4, 1.0
	ds_write_b32 v19, v4
.LBB7_4:
	s_or_b64 exec, exec, s[4:5]
	s_waitcnt lgkmcnt(0)
	s_barrier
	ds_read_b32 v20, v19
	s_waitcnt vmcnt(0)
	v_mov_b64_e32 v[6:7], v[2:3]
	v_mov_b64_e32 v[4:5], v[0:1]
	s_and_saveexec_b64 s[4:5], s[2:3]
	s_cbranch_execz .LBB7_6
; %bb.5:
	ds_read2_b32 v[6:7], v21 offset0:1 offset1:2
	ds_read_b32 v5, v21 offset:12
	s_waitcnt lgkmcnt(2)
	v_mul_f32_e32 v4, v0, v20
	v_mov_b32_e32 v0, v1
	v_mov_b32_e32 v1, v2
	s_waitcnt lgkmcnt(0)
	v_pk_fma_f32 v[22:23], v[4:5], v[6:7], v[0:1] op_sel_hi:[0,1,1] neg_lo:[1,0,0] neg_hi:[1,0,0]
	v_fma_f32 v7, -v4, v5, v3
	v_mov_b32_e32 v5, v22
	v_mov_b32_e32 v6, v23
	;; [unrolled: 1-line block ×5, first 2 shown]
.LBB7_6:
	s_or_b64 exec, exec, s[4:5]
	v_cmp_eq_u32_e32 vcc, 1, v18
	s_waitcnt lgkmcnt(0)
	s_barrier
	s_and_saveexec_b64 s[2:3], vcc
	s_cbranch_execz .LBB7_9
; %bb.7:
	ds_write_b32 v19, v1
	ds_write_b64 v21, v[6:7] offset:8
	ds_read_b32 v0, v19
	s_waitcnt lgkmcnt(0)
	v_cmp_neq_f32_e32 vcc, 0, v0
	s_and_b64 exec, exec, vcc
	s_cbranch_execz .LBB7_9
; %bb.8:
	v_div_scale_f32 v22, s[4:5], v0, v0, 1.0
	v_rcp_f32_e32 v23, v22
	v_div_scale_f32 v24, vcc, 1.0, v0, 1.0
	v_fma_f32 v25, -v22, v23, 1.0
	v_fmac_f32_e32 v23, v25, v23
	v_mul_f32_e32 v25, v24, v23
	v_fma_f32 v26, -v22, v25, v24
	v_fmac_f32_e32 v25, v26, v23
	v_fma_f32 v22, -v22, v25, v24
	v_div_fmas_f32 v22, v22, v23, v25
	v_div_fixup_f32 v0, v22, v0, 1.0
	ds_write_b32 v19, v0
.LBB7_9:
	s_or_b64 exec, exec, s[2:3]
	s_waitcnt lgkmcnt(0)
	s_barrier
	ds_read_b32 v22, v19
	v_cmp_lt_u32_e32 vcc, 1, v18
	s_and_saveexec_b64 s[2:3], vcc
	s_cbranch_execz .LBB7_11
; %bb.10:
	ds_read_b64 v[2:3], v21 offset:8
	s_waitcnt lgkmcnt(1)
	v_mul_f32_e32 v0, v1, v22
	v_mov_b32_e32 v5, v0
	s_waitcnt lgkmcnt(0)
	v_pk_fma_f32 v[2:3], v[0:1], v[2:3], v[6:7] op_sel_hi:[0,1,1] neg_lo:[1,0,0] neg_hi:[1,0,0]
	v_mov_b32_e32 v6, v2
	v_mov_b32_e32 v7, v3
.LBB7_11:
	s_or_b64 exec, exec, s[2:3]
	v_cmp_eq_u32_e32 vcc, 2, v18
	s_waitcnt lgkmcnt(0)
	s_barrier
	s_and_saveexec_b64 s[2:3], vcc
	s_cbranch_execz .LBB7_14
; %bb.12:
	ds_write_b32 v19, v2
	ds_write_b32 v21, v3 offset:12
	ds_read_b32 v0, v19
	s_waitcnt lgkmcnt(0)
	v_cmp_neq_f32_e32 vcc, 0, v0
	s_and_b64 exec, exec, vcc
	s_cbranch_execz .LBB7_14
; %bb.13:
	v_div_scale_f32 v1, s[4:5], v0, v0, 1.0
	v_rcp_f32_e32 v23, v1
	v_div_scale_f32 v24, vcc, 1.0, v0, 1.0
	v_fma_f32 v25, -v1, v23, 1.0
	v_fmac_f32_e32 v23, v25, v23
	v_mul_f32_e32 v25, v24, v23
	v_fma_f32 v26, -v1, v25, v24
	v_fmac_f32_e32 v25, v26, v23
	v_fma_f32 v1, -v1, v25, v24
	v_div_fmas_f32 v1, v1, v23, v25
	v_div_fixup_f32 v0, v1, v0, 1.0
	ds_write_b32 v19, v0
.LBB7_14:
	s_or_b64 exec, exec, s[2:3]
	s_waitcnt lgkmcnt(0)
	s_barrier
	ds_read_b32 v23, v19
	v_cmp_lt_u32_e32 vcc, 2, v18
	s_and_saveexec_b64 s[2:3], vcc
	s_cbranch_execz .LBB7_16
; %bb.15:
	ds_read_b32 v0, v21 offset:12
	s_waitcnt lgkmcnt(1)
	v_mul_f32_e32 v6, v2, v23
	s_waitcnt lgkmcnt(0)
	v_fma_f32 v7, -v6, v0, v3
	v_mov_b32_e32 v3, v7
.LBB7_16:
	s_or_b64 exec, exec, s[2:3]
	v_cmp_eq_u32_e32 vcc, 3, v18
	s_waitcnt lgkmcnt(0)
	s_barrier
	s_and_saveexec_b64 s[2:3], vcc
	s_cbranch_execz .LBB7_19
; %bb.17:
	v_cmp_neq_f32_e32 vcc, 0, v3
	ds_write_b32 v19, v3
	s_and_b64 exec, exec, vcc
	s_cbranch_execz .LBB7_19
; %bb.18:
	v_div_scale_f32 v0, s[4:5], v3, v3, 1.0
	v_rcp_f32_e32 v1, v0
	v_div_scale_f32 v2, vcc, 1.0, v3, 1.0
	v_fma_f32 v21, -v0, v1, 1.0
	v_fmac_f32_e32 v1, v21, v1
	v_mul_f32_e32 v21, v2, v1
	v_fma_f32 v24, -v0, v21, v2
	v_fmac_f32_e32 v21, v24, v1
	v_fma_f32 v0, -v0, v21, v2
	v_div_fmas_f32 v0, v0, v1, v21
	v_div_fixup_f32 v0, v0, v3, 1.0
	ds_write_b32 v19, v0
.LBB7_19:
	s_or_b64 exec, exec, s[2:3]
	s_waitcnt lgkmcnt(0)
	s_barrier
	ds_read_b32 v2, v19
	s_waitcnt lgkmcnt(0)
	s_barrier
	s_and_saveexec_b64 s[10:11], s[0:1]
	s_cbranch_execz .LBB7_22
; %bb.20:
	v_mov_b32_e32 v0, s6
	v_mov_b32_e32 v1, s7
	v_lshl_add_u64 v[0:1], v[8:9], 2, v[0:1]
	global_load_dword v9, v[0:1], off
	v_cmp_eq_f32_e32 vcc, 0, v20
	v_cmp_neq_f32_e64 s[0:1], 0, v22
	v_cmp_eq_f32_e64 s[2:3], 0, v23
	v_cndmask_b32_e64 v8, 0, 1, vcc
	s_or_b64 vcc, s[0:1], vcc
	v_cndmask_b32_e32 v8, 2, v8, vcc
	v_cmp_eq_u32_e32 vcc, 0, v8
	s_and_b64 s[0:1], s[2:3], vcc
	v_cndmask_b32_e64 v8, v8, 3, s[0:1]
	v_cmp_eq_f32_e64 s[4:5], 0, v2
	v_cmp_eq_u32_e32 vcc, 0, v8
	s_and_b64 s[0:1], s[4:5], vcc
	v_cndmask_b32_e64 v8, v8, 4, s[0:1]
	v_cmp_ne_u32_e64 s[0:1], 0, v8
	s_waitcnt vmcnt(0)
	v_cmp_eq_u32_e32 vcc, 0, v9
	s_and_b64 s[0:1], vcc, s[0:1]
	s_and_b64 exec, exec, s[0:1]
	s_cbranch_execz .LBB7_22
; %bb.21:
	v_add_u32_e32 v8, s9, v8
	global_store_dword v[0:1], v8, off
.LBB7_22:
	s_or_b64 exec, exec, s[10:11]
	v_mul_f32_e32 v0, v3, v2
	v_cmp_lt_u32_e32 vcc, 3, v18
	s_nop 1
	v_cndmask_b32_e32 v0, v7, v0, vcc
	global_store_dword v[10:11], v4, off
	global_store_dword v[12:13], v5, off
	;; [unrolled: 1-line block ×4, first 2 shown]
.LBB7_23:
	s_endpgm
	.section	.rodata,"a",@progbits
	.p2align	6, 0x0
	.amdhsa_kernel _ZN9rocsolver6v33100L23getf2_npvt_small_kernelILi4EfiiPfEEvT1_T3_lS3_lPT2_S3_S3_
		.amdhsa_group_segment_fixed_size 0
		.amdhsa_private_segment_fixed_size 0
		.amdhsa_kernarg_size 312
		.amdhsa_user_sgpr_count 2
		.amdhsa_user_sgpr_dispatch_ptr 0
		.amdhsa_user_sgpr_queue_ptr 0
		.amdhsa_user_sgpr_kernarg_segment_ptr 1
		.amdhsa_user_sgpr_dispatch_id 0
		.amdhsa_user_sgpr_kernarg_preload_length 0
		.amdhsa_user_sgpr_kernarg_preload_offset 0
		.amdhsa_user_sgpr_private_segment_size 0
		.amdhsa_uses_dynamic_stack 0
		.amdhsa_enable_private_segment 0
		.amdhsa_system_sgpr_workgroup_id_x 1
		.amdhsa_system_sgpr_workgroup_id_y 1
		.amdhsa_system_sgpr_workgroup_id_z 0
		.amdhsa_system_sgpr_workgroup_info 0
		.amdhsa_system_vgpr_workitem_id 1
		.amdhsa_next_free_vgpr 27
		.amdhsa_next_free_sgpr 16
		.amdhsa_accum_offset 28
		.amdhsa_reserve_vcc 1
		.amdhsa_float_round_mode_32 0
		.amdhsa_float_round_mode_16_64 0
		.amdhsa_float_denorm_mode_32 3
		.amdhsa_float_denorm_mode_16_64 3
		.amdhsa_dx10_clamp 1
		.amdhsa_ieee_mode 1
		.amdhsa_fp16_overflow 0
		.amdhsa_tg_split 0
		.amdhsa_exception_fp_ieee_invalid_op 0
		.amdhsa_exception_fp_denorm_src 0
		.amdhsa_exception_fp_ieee_div_zero 0
		.amdhsa_exception_fp_ieee_overflow 0
		.amdhsa_exception_fp_ieee_underflow 0
		.amdhsa_exception_fp_ieee_inexact 0
		.amdhsa_exception_int_div_zero 0
	.end_amdhsa_kernel
	.section	.text._ZN9rocsolver6v33100L23getf2_npvt_small_kernelILi4EfiiPfEEvT1_T3_lS3_lPT2_S3_S3_,"axG",@progbits,_ZN9rocsolver6v33100L23getf2_npvt_small_kernelILi4EfiiPfEEvT1_T3_lS3_lPT2_S3_S3_,comdat
.Lfunc_end7:
	.size	_ZN9rocsolver6v33100L23getf2_npvt_small_kernelILi4EfiiPfEEvT1_T3_lS3_lPT2_S3_S3_, .Lfunc_end7-_ZN9rocsolver6v33100L23getf2_npvt_small_kernelILi4EfiiPfEEvT1_T3_lS3_lPT2_S3_S3_
                                        ; -- End function
	.set _ZN9rocsolver6v33100L23getf2_npvt_small_kernelILi4EfiiPfEEvT1_T3_lS3_lPT2_S3_S3_.num_vgpr, 27
	.set _ZN9rocsolver6v33100L23getf2_npvt_small_kernelILi4EfiiPfEEvT1_T3_lS3_lPT2_S3_S3_.num_agpr, 0
	.set _ZN9rocsolver6v33100L23getf2_npvt_small_kernelILi4EfiiPfEEvT1_T3_lS3_lPT2_S3_S3_.numbered_sgpr, 16
	.set _ZN9rocsolver6v33100L23getf2_npvt_small_kernelILi4EfiiPfEEvT1_T3_lS3_lPT2_S3_S3_.num_named_barrier, 0
	.set _ZN9rocsolver6v33100L23getf2_npvt_small_kernelILi4EfiiPfEEvT1_T3_lS3_lPT2_S3_S3_.private_seg_size, 0
	.set _ZN9rocsolver6v33100L23getf2_npvt_small_kernelILi4EfiiPfEEvT1_T3_lS3_lPT2_S3_S3_.uses_vcc, 1
	.set _ZN9rocsolver6v33100L23getf2_npvt_small_kernelILi4EfiiPfEEvT1_T3_lS3_lPT2_S3_S3_.uses_flat_scratch, 0
	.set _ZN9rocsolver6v33100L23getf2_npvt_small_kernelILi4EfiiPfEEvT1_T3_lS3_lPT2_S3_S3_.has_dyn_sized_stack, 0
	.set _ZN9rocsolver6v33100L23getf2_npvt_small_kernelILi4EfiiPfEEvT1_T3_lS3_lPT2_S3_S3_.has_recursion, 0
	.set _ZN9rocsolver6v33100L23getf2_npvt_small_kernelILi4EfiiPfEEvT1_T3_lS3_lPT2_S3_S3_.has_indirect_call, 0
	.section	.AMDGPU.csdata,"",@progbits
; Kernel info:
; codeLenInByte = 1324
; TotalNumSgprs: 22
; NumVgprs: 27
; NumAgprs: 0
; TotalNumVgprs: 27
; ScratchSize: 0
; MemoryBound: 0
; FloatMode: 240
; IeeeMode: 1
; LDSByteSize: 0 bytes/workgroup (compile time only)
; SGPRBlocks: 2
; VGPRBlocks: 3
; NumSGPRsForWavesPerEU: 22
; NumVGPRsForWavesPerEU: 27
; AccumOffset: 28
; Occupancy: 8
; WaveLimiterHint : 0
; COMPUTE_PGM_RSRC2:SCRATCH_EN: 0
; COMPUTE_PGM_RSRC2:USER_SGPR: 2
; COMPUTE_PGM_RSRC2:TRAP_HANDLER: 0
; COMPUTE_PGM_RSRC2:TGID_X_EN: 1
; COMPUTE_PGM_RSRC2:TGID_Y_EN: 1
; COMPUTE_PGM_RSRC2:TGID_Z_EN: 0
; COMPUTE_PGM_RSRC2:TIDIG_COMP_CNT: 1
; COMPUTE_PGM_RSRC3_GFX90A:ACCUM_OFFSET: 6
; COMPUTE_PGM_RSRC3_GFX90A:TG_SPLIT: 0
	.section	.text._ZN9rocsolver6v33100L18getf2_small_kernelILi5EfiiPfEEvT1_T3_lS3_lPS3_llPT2_S3_S3_S5_l,"axG",@progbits,_ZN9rocsolver6v33100L18getf2_small_kernelILi5EfiiPfEEvT1_T3_lS3_lPS3_llPT2_S3_S3_S5_l,comdat
	.globl	_ZN9rocsolver6v33100L18getf2_small_kernelILi5EfiiPfEEvT1_T3_lS3_lPS3_llPT2_S3_S3_S5_l ; -- Begin function _ZN9rocsolver6v33100L18getf2_small_kernelILi5EfiiPfEEvT1_T3_lS3_lPS3_llPT2_S3_S3_S5_l
	.p2align	8
	.type	_ZN9rocsolver6v33100L18getf2_small_kernelILi5EfiiPfEEvT1_T3_lS3_lPS3_llPT2_S3_S3_S5_l,@function
_ZN9rocsolver6v33100L18getf2_small_kernelILi5EfiiPfEEvT1_T3_lS3_lPS3_llPT2_S3_S3_S5_l: ; @_ZN9rocsolver6v33100L18getf2_small_kernelILi5EfiiPfEEvT1_T3_lS3_lPS3_llPT2_S3_S3_S5_l
; %bb.0:
	s_load_dword s2, s[0:1], 0x6c
	s_load_dwordx2 s[12:13], s[0:1], 0x48
	v_bfe_u32 v5, v0, 10, 10
	s_waitcnt lgkmcnt(0)
	s_lshr_b32 s2, s2, 16
	s_mul_i32 s3, s3, s2
	v_add_u32_e32 v18, s3, v5
	v_cmp_gt_i32_e32 vcc, s12, v18
	s_and_saveexec_b64 s[2:3], vcc
	s_cbranch_execz .LBB8_82
; %bb.1:
	s_load_dwordx4 s[4:7], s[0:1], 0x50
	v_ashrrev_i32_e32 v19, 31, v18
	v_mov_b64_e32 v[22:23], 0
	s_waitcnt lgkmcnt(0)
	s_cmp_eq_u64 s[4:5], 0
	s_cselect_b64 s[16:17], -1, 0
	s_and_b64 vcc, exec, s[16:17]
	s_cbranch_vccnz .LBB8_3
; %bb.2:
	v_mul_lo_u32 v1, s7, v18
	v_mul_lo_u32 v4, s6, v19
	v_mad_u64_u32 v[2:3], s[2:3], s6, v18, 0
	v_add3_u32 v3, v3, v4, v1
	v_lshl_add_u64 v[22:23], v[2:3], 2, s[4:5]
.LBB8_3:
	s_load_dwordx4 s[20:23], s[0:1], 0x8
	s_load_dwordx8 s[4:11], s[0:1], 0x20
	s_load_dword s14, s[0:1], 0x18
	v_and_b32_e32 v8, 0x3ff, v0
	s_waitcnt lgkmcnt(0)
	v_mov_b32_e32 v2, s20
	v_mul_lo_u32 v1, s5, v18
	v_mul_lo_u32 v4, s4, v19
	v_mad_u64_u32 v[6:7], s[2:3], s4, v18, 0
	v_mov_b32_e32 v3, s21
	v_add3_u32 v7, v7, v4, v1
	v_lshl_add_u64 v[2:3], v[6:7], 2, v[2:3]
	v_lshl_add_u64 v[20:21], s[22:23], 2, v[2:3]
	v_lshlrev_b32_e32 v6, 2, v8
	v_mov_b32_e32 v7, 0
	v_lshl_add_u64 v[2:3], v[20:21], 0, v[6:7]
	s_ashr_i32 s15, s14, 31
	s_add_i32 s12, s14, s14
	global_load_dword v0, v[2:3], off
	v_lshl_add_u64 v[10:11], s[14:15], 2, v[2:3]
	v_add_u32_e32 v2, s12, v8
	v_ashrrev_i32_e32 v3, 31, v2
	v_lshl_add_u64 v[12:13], v[2:3], 2, v[20:21]
	v_add_u32_e32 v2, s14, v2
	v_ashrrev_i32_e32 v3, 31, v2
	;; [unrolled: 3-line block ×3, first 2 shown]
	v_lshl_add_u64 v[16:17], v[2:3], 2, v[20:21]
	global_load_dword v1, v[10:11], off
	global_load_dword v2, v[12:13], off
	;; [unrolled: 1-line block ×4, first 2 shown]
	s_load_dword s22, s[0:1], 0x0
	s_load_dwordx2 s[4:5], s[0:1], 0x40
	s_waitcnt lgkmcnt(0)
	s_max_i32 s0, s22, 5
	v_mul_lo_u32 v9, s0, v5
	v_lshl_add_u32 v5, v9, 2, 0
	v_add_u32_e32 v6, v5, v6
	s_cmp_lt_i32 s22, 2
	v_lshlrev_b32_e32 v11, 2, v9
	s_waitcnt vmcnt(4)
	ds_write_b32 v6, v0
	s_waitcnt lgkmcnt(0)
	s_barrier
	ds_read_b32 v24, v5
	s_cbranch_scc1 .LBB8_6
; %bb.4:
	v_add3_u32 v6, v11, 0, 4
	v_mov_b32_e32 v7, 0
	s_mov_b32 s0, 1
.LBB8_5:                                ; =>This Inner Loop Header: Depth=1
	ds_read_b32 v9, v6
	v_mov_b32_e32 v10, s0
	s_add_i32 s0, s0, 1
	v_add_u32_e32 v6, 4, v6
	s_cmp_eq_u32 s22, s0
	s_waitcnt lgkmcnt(0)
	v_cmp_lt_f32_e64 vcc, |v24|, |v9|
	s_nop 1
	v_cndmask_b32_e32 v24, v24, v9, vcc
	v_cndmask_b32_e32 v7, v7, v10, vcc
	s_cbranch_scc0 .LBB8_5
.LBB8_6:
	v_cmp_ne_u32_e32 vcc, v8, v7
                                        ; implicit-def: $vgpr25
	s_and_saveexec_b64 s[0:1], vcc
	s_xor_b64 s[0:1], exec, s[0:1]
	s_cbranch_execz .LBB8_12
; %bb.7:
	v_cmp_eq_u32_e32 vcc, 0, v8
	s_and_saveexec_b64 s[2:3], vcc
	s_cbranch_execz .LBB8_11
; %bb.8:
	v_cmp_ne_u32_e32 vcc, 0, v7
	s_xor_b64 s[18:19], s[16:17], -1
	s_and_b64 s[20:21], s[18:19], vcc
	s_and_saveexec_b64 s[18:19], s[20:21]
	s_cbranch_execz .LBB8_10
; %bb.9:
	v_ashrrev_i32_e32 v9, 31, v7
	v_mov_b32_e32 v8, v7
	v_lshl_add_u64 v[8:9], v[8:9], 2, v[22:23]
	global_load_dword v6, v[8:9], off
	global_load_dword v10, v[22:23], off
	s_waitcnt vmcnt(1)
	global_store_dword v[22:23], v6, off
	s_waitcnt vmcnt(1)
	global_store_dword v[8:9], v10, off
.LBB8_10:
	s_or_b64 exec, exec, s[18:19]
	v_mov_b32_e32 v8, v7
.LBB8_11:
	s_or_b64 exec, exec, s[2:3]
	v_mov_b32_e32 v25, v8
                                        ; implicit-def: $vgpr8
.LBB8_12:
	s_or_saveexec_b64 s[0:1], s[0:1]
	v_mov_b32_e32 v17, v25
	s_xor_b64 exec, exec, s[0:1]
	s_cbranch_execz .LBB8_14
; %bb.13:
	v_mov_b32_e32 v25, 0
	v_mov_b32_e32 v17, v8
	s_waitcnt vmcnt(2)
	ds_write2_b32 v5, v1, v2 offset0:1 offset1:2
	s_waitcnt vmcnt(0)
	ds_write2_b32 v5, v3, v4 offset0:3 offset1:4
.LBB8_14:
	s_or_b64 exec, exec, s[0:1]
	s_waitcnt vmcnt(0)
	v_mov_b32_e32 v10, v4
	v_mov_b32_e32 v16, v4
	s_waitcnt lgkmcnt(0)
	v_cmp_eq_f32_e64 s[0:1], 0, v24
	v_cmp_lt_i32_e32 vcc, 0, v25
	v_mov_b32_e32 v9, v3
	v_mov_b32_e32 v8, v2
	;; [unrolled: 1-line block ×8, first 2 shown]
	s_barrier
	s_and_saveexec_b64 s[2:3], vcc
	s_cbranch_execz .LBB8_16
; %bb.15:
	v_div_scale_f32 v6, s[18:19], v24, v24, 1.0
	v_rcp_f32_e32 v7, v6
	v_div_scale_f32 v8, vcc, 1.0, v24, 1.0
	ds_read2_b32 v[12:13], v5 offset0:3 offset1:4
	v_fma_f32 v9, -v6, v7, 1.0
	v_fmac_f32_e32 v7, v9, v7
	v_mul_f32_e32 v9, v8, v7
	v_fma_f32 v10, -v6, v9, v8
	v_fmac_f32_e32 v9, v10, v7
	v_fma_f32 v6, -v6, v9, v8
	v_div_fmas_f32 v6, v6, v7, v9
	ds_read2_b32 v[8:9], v5 offset0:1 offset1:2
	v_div_fixup_f32 v6, v6, v24, 1.0
	v_cndmask_b32_e64 v6, v6, v24, s[0:1]
	v_mul_f32_e32 v6, v0, v6
	v_mov_b32_e32 v0, v1
	v_mov_b32_e32 v1, v2
	s_waitcnt lgkmcnt(0)
	v_pk_fma_f32 v[26:27], v[6:7], v[8:9], v[0:1] op_sel_hi:[0,1,1] neg_lo:[1,0,0] neg_hi:[1,0,0]
	v_mov_b32_e32 v0, v3
	v_mov_b32_e32 v1, v4
	v_pk_fma_f32 v[28:29], v[6:7], v[12:13], v[0:1] op_sel_hi:[0,1,1] neg_lo:[1,0,0] neg_hi:[1,0,0]
	v_mov_b32_e32 v10, v29
	v_mov_b32_e32 v7, v26
	;; [unrolled: 1-line block ×13, first 2 shown]
.LBB8_16:
	s_or_b64 exec, exec, s[2:3]
	v_lshl_add_u32 v0, v25, 2, v5
	s_barrier
	ds_write_b32 v0, v1
	s_waitcnt lgkmcnt(0)
	s_barrier
	ds_read_b32 v0, v5 offset:4
	s_mov_b32 s2, 2
	s_cmp_lt_i32 s22, 3
	v_mov_b32_e32 v24, 1
	s_cbranch_scc1 .LBB8_19
; %bb.17:
	v_add3_u32 v26, v11, 0, 8
	v_mov_b32_e32 v24, 1
.LBB8_18:                               ; =>This Inner Loop Header: Depth=1
	ds_read_b32 v27, v26
	v_mov_b32_e32 v28, s2
	s_add_i32 s2, s2, 1
	v_add_u32_e32 v26, 4, v26
	s_cmp_lg_u32 s22, s2
	s_waitcnt lgkmcnt(0)
	v_cmp_lt_f32_e64 vcc, |v0|, |v27|
	s_nop 1
	v_cndmask_b32_e32 v0, v0, v27, vcc
	v_cndmask_b32_e32 v24, v24, v28, vcc
	s_cbranch_scc1 .LBB8_18
.LBB8_19:
	v_cmp_ne_u32_e32 vcc, v25, v24
	s_and_saveexec_b64 s[2:3], vcc
	s_xor_b64 s[2:3], exec, s[2:3]
	s_cbranch_execz .LBB8_25
; %bb.20:
	v_cmp_eq_u32_e32 vcc, 1, v25
	s_and_saveexec_b64 s[18:19], vcc
	s_cbranch_execz .LBB8_24
; %bb.21:
	v_cmp_ne_u32_e32 vcc, 1, v24
	s_xor_b64 s[20:21], s[16:17], -1
	s_and_b64 s[24:25], s[20:21], vcc
	s_and_saveexec_b64 s[20:21], s[24:25]
	s_cbranch_execz .LBB8_23
; %bb.22:
	v_ashrrev_i32_e32 v25, 31, v24
	v_lshl_add_u64 v[26:27], v[24:25], 2, v[22:23]
	global_load_dword v17, v[26:27], off
	global_load_dword v25, v[22:23], off offset:4
	s_waitcnt vmcnt(1)
	global_store_dword v[22:23], v17, off offset:4
	s_waitcnt vmcnt(1)
	global_store_dword v[26:27], v25, off
.LBB8_23:
	s_or_b64 exec, exec, s[20:21]
	v_mov_b32_e32 v17, v24
	v_mov_b32_e32 v25, v24
.LBB8_24:
	s_or_b64 exec, exec, s[18:19]
.LBB8_25:
	s_andn2_saveexec_b64 s[2:3], s[2:3]
	s_cbranch_execz .LBB8_27
; %bb.26:
	v_mov_b32_e32 v25, 1
	ds_write2_b32 v5, v8, v9 offset0:2 offset1:3
	ds_write_b32 v5, v4 offset:16
.LBB8_27:
	s_or_b64 exec, exec, s[2:3]
	s_waitcnt lgkmcnt(0)
	v_cmp_neq_f32_e64 s[2:3], 0, v0
	v_cmp_lt_i32_e32 vcc, 1, v25
	s_barrier
	s_and_saveexec_b64 s[18:19], vcc
	s_cbranch_execz .LBB8_29
; %bb.28:
	v_div_scale_f32 v2, s[20:21], v0, v0, 1.0
	v_rcp_f32_e32 v3, v2
	v_div_scale_f32 v12, vcc, 1.0, v0, 1.0
	v_fma_f32 v13, -v2, v3, 1.0
	v_fmac_f32_e32 v3, v13, v3
	v_mul_f32_e32 v13, v12, v3
	v_fma_f32 v14, -v2, v13, v12
	v_fmac_f32_e32 v13, v14, v3
	v_fma_f32 v2, -v2, v13, v12
	v_div_fmas_f32 v12, v2, v3, v13
	ds_read2_b32 v[2:3], v5 offset0:2 offset1:3
	ds_read_b32 v13, v5 offset:16
	v_div_fixup_f32 v12, v12, v0, 1.0
	v_cndmask_b32_e64 v0, v0, v12, s[2:3]
	v_mul_f32_e32 v0, v1, v0
	s_waitcnt lgkmcnt(1)
	v_pk_fma_f32 v[2:3], v[0:1], v[2:3], v[8:9] op_sel_hi:[0,1,1] neg_lo:[1,0,0] neg_hi:[1,0,0]
	s_waitcnt lgkmcnt(0)
	v_fma_f32 v4, -v0, v13, v4
	v_mov_b32_e32 v16, v10
	v_mov_b32_e32 v14, v8
	;; [unrolled: 1-line block ×14, first 2 shown]
.LBB8_29:
	s_or_b64 exec, exec, s[18:19]
	v_lshl_add_u32 v0, v25, 2, v5
	s_barrier
	ds_write_b32 v0, v2
	s_waitcnt lgkmcnt(0)
	s_barrier
	ds_read_b32 v26, v5 offset:8
	s_cmp_lt_i32 s22, 4
	v_mov_b32_e32 v0, 2
	s_cbranch_scc1 .LBB8_32
; %bb.30:
	v_mov_b32_e32 v0, 2
	v_add3_u32 v1, v11, 0, 12
	s_mov_b32 s18, 3
.LBB8_31:                               ; =>This Inner Loop Header: Depth=1
	ds_read_b32 v24, v1
	v_mov_b32_e32 v27, s18
	s_add_i32 s18, s18, 1
	v_add_u32_e32 v1, 4, v1
	s_cmp_lg_u32 s22, s18
	s_waitcnt lgkmcnt(0)
	v_cmp_lt_f32_e64 vcc, |v26|, |v24|
	s_nop 1
	v_cndmask_b32_e32 v26, v26, v24, vcc
	v_cndmask_b32_e32 v0, v0, v27, vcc
	s_cbranch_scc1 .LBB8_31
.LBB8_32:
	v_cndmask_b32_e64 v1, 2, 1, s[0:1]
	v_cndmask_b32_e64 v24, 0, 1, s[0:1]
	;; [unrolled: 1-line block ×3, first 2 shown]
	s_waitcnt lgkmcnt(0)
	v_cmp_eq_f32_e32 vcc, 0, v26
	s_and_saveexec_b64 s[0:1], vcc
	s_xor_b64 s[0:1], exec, s[0:1]
; %bb.33:
	v_cmp_ne_u32_e32 vcc, 0, v24
	s_nop 1
	v_cndmask_b32_e32 v24, 3, v24, vcc
; %bb.34:
	s_andn2_saveexec_b64 s[0:1], s[0:1]
	s_cbranch_execz .LBB8_36
; %bb.35:
	v_div_scale_f32 v1, s[2:3], v26, v26, 1.0
	v_rcp_f32_e32 v27, v1
	v_div_scale_f32 v28, vcc, 1.0, v26, 1.0
	v_fma_f32 v29, -v1, v27, 1.0
	v_fmac_f32_e32 v27, v29, v27
	v_mul_f32_e32 v29, v28, v27
	v_fma_f32 v30, -v1, v29, v28
	v_fmac_f32_e32 v29, v30, v27
	v_fma_f32 v1, -v1, v29, v28
	v_div_fmas_f32 v1, v1, v27, v29
	v_div_fixup_f32 v26, v1, v26, 1.0
.LBB8_36:
	s_or_b64 exec, exec, s[0:1]
	v_cmp_ne_u32_e32 vcc, v25, v0
	s_and_saveexec_b64 s[0:1], vcc
	s_xor_b64 s[0:1], exec, s[0:1]
	s_cbranch_execz .LBB8_42
; %bb.37:
	v_cmp_eq_u32_e32 vcc, 2, v25
	s_and_saveexec_b64 s[2:3], vcc
	s_cbranch_execz .LBB8_41
; %bb.38:
	v_cmp_ne_u32_e32 vcc, 2, v0
	s_xor_b64 s[18:19], s[16:17], -1
	s_and_b64 s[20:21], s[18:19], vcc
	s_and_saveexec_b64 s[18:19], s[20:21]
	s_cbranch_execz .LBB8_40
; %bb.39:
	v_ashrrev_i32_e32 v1, 31, v0
	v_lshl_add_u64 v[28:29], v[0:1], 2, v[22:23]
	global_load_dword v1, v[28:29], off
	global_load_dword v17, v[22:23], off offset:8
	s_waitcnt vmcnt(1)
	global_store_dword v[22:23], v1, off offset:8
	s_waitcnt vmcnt(1)
	global_store_dword v[28:29], v17, off
.LBB8_40:
	s_or_b64 exec, exec, s[18:19]
	v_mov_b32_e32 v17, v0
	v_mov_b32_e32 v25, v0
.LBB8_41:
	s_or_b64 exec, exec, s[2:3]
.LBB8_42:
	s_andn2_saveexec_b64 s[0:1], s[0:1]
; %bb.43:
	v_mov_b32_e32 v25, 2
	ds_write2_b32 v5, v9, v10 offset0:3 offset1:4
; %bb.44:
	s_or_b64 exec, exec, s[0:1]
	v_cmp_lt_i32_e32 vcc, 2, v25
	s_waitcnt lgkmcnt(0)
	s_barrier
	s_and_saveexec_b64 s[0:1], vcc
	s_cbranch_execz .LBB8_46
; %bb.45:
	ds_read2_b32 v[0:1], v5 offset0:3 offset1:4
	v_mul_f32_e32 v14, v2, v26
	v_mov_b32_e32 v2, v9
	v_mov_b32_e32 v3, v10
	;; [unrolled: 1-line block ×5, first 2 shown]
	s_waitcnt lgkmcnt(0)
	v_pk_fma_f32 v[0:1], v[14:15], v[0:1], v[2:3] op_sel_hi:[0,1,1] neg_lo:[1,0,0] neg_hi:[1,0,0]
	v_mov_b32_e32 v7, v13
	v_mov_b32_e32 v8, v14
	;; [unrolled: 1-line block ×6, first 2 shown]
.LBB8_46:
	s_or_b64 exec, exec, s[0:1]
	v_lshl_add_u32 v0, v25, 2, v5
	s_barrier
	ds_write_b32 v0, v3
	s_waitcnt lgkmcnt(0)
	s_barrier
	ds_read_b32 v2, v5 offset:12
	s_cmp_lt_i32 s22, 5
	v_mov_b32_e32 v0, 3
	s_cbranch_scc1 .LBB8_49
; %bb.47:
	v_add3_u32 v1, v11, 0, 16
	v_mov_b32_e32 v0, 3
	s_mov_b32 s0, 4
.LBB8_48:                               ; =>This Inner Loop Header: Depth=1
	ds_read_b32 v15, v1
	v_mov_b32_e32 v16, s0
	s_add_i32 s0, s0, 1
	v_add_u32_e32 v1, 4, v1
	s_cmp_lg_u32 s22, s0
	s_waitcnt lgkmcnt(0)
	v_cmp_lt_f32_e64 vcc, |v2|, |v15|
	s_nop 1
	v_cndmask_b32_e32 v2, v2, v15, vcc
	v_cndmask_b32_e32 v0, v0, v16, vcc
	s_cbranch_scc1 .LBB8_48
.LBB8_49:
	s_waitcnt lgkmcnt(0)
	v_cmp_eq_f32_e32 vcc, 0, v2
	s_and_saveexec_b64 s[0:1], vcc
	s_xor_b64 s[0:1], exec, s[0:1]
; %bb.50:
	v_cmp_ne_u32_e32 vcc, 0, v24
	s_nop 1
	v_cndmask_b32_e32 v24, 4, v24, vcc
; %bb.51:
	s_andn2_saveexec_b64 s[0:1], s[0:1]
	s_cbranch_execz .LBB8_53
; %bb.52:
	v_div_scale_f32 v1, s[2:3], v2, v2, 1.0
	v_rcp_f32_e32 v15, v1
	v_div_scale_f32 v16, vcc, 1.0, v2, 1.0
	v_fma_f32 v26, -v1, v15, 1.0
	v_fmac_f32_e32 v15, v26, v15
	v_mul_f32_e32 v26, v16, v15
	v_fma_f32 v27, -v1, v26, v16
	v_fmac_f32_e32 v26, v27, v15
	v_fma_f32 v1, -v1, v26, v16
	v_div_fmas_f32 v1, v1, v15, v26
	v_div_fixup_f32 v2, v1, v2, 1.0
.LBB8_53:
	s_or_b64 exec, exec, s[0:1]
	v_cmp_ne_u32_e32 vcc, v25, v0
	s_and_saveexec_b64 s[0:1], vcc
	s_xor_b64 s[0:1], exec, s[0:1]
	s_cbranch_execz .LBB8_59
; %bb.54:
	v_cmp_eq_u32_e32 vcc, 3, v25
	s_and_saveexec_b64 s[2:3], vcc
	s_cbranch_execz .LBB8_58
; %bb.55:
	v_cmp_ne_u32_e32 vcc, 3, v0
	s_xor_b64 s[18:19], s[16:17], -1
	s_and_b64 s[20:21], s[18:19], vcc
	s_and_saveexec_b64 s[18:19], s[20:21]
	s_cbranch_execz .LBB8_57
; %bb.56:
	v_ashrrev_i32_e32 v1, 31, v0
	v_lshl_add_u64 v[16:17], v[0:1], 2, v[22:23]
	global_load_dword v1, v[16:17], off
	global_load_dword v15, v[22:23], off offset:12
	s_waitcnt vmcnt(1)
	global_store_dword v[22:23], v1, off offset:12
	s_waitcnt vmcnt(1)
	global_store_dword v[16:17], v15, off
.LBB8_57:
	s_or_b64 exec, exec, s[18:19]
	v_mov_b32_e32 v17, v0
	v_mov_b32_e32 v25, v0
.LBB8_58:
	s_or_b64 exec, exec, s[2:3]
.LBB8_59:
	s_andn2_saveexec_b64 s[0:1], s[0:1]
; %bb.60:
	v_mov_b32_e32 v25, 3
	ds_write_b32 v5, v4 offset:16
; %bb.61:
	s_or_b64 exec, exec, s[0:1]
	v_cmp_lt_i32_e32 vcc, 3, v25
	s_waitcnt lgkmcnt(0)
	s_barrier
	s_and_saveexec_b64 s[0:1], vcc
	s_cbranch_execz .LBB8_63
; %bb.62:
	ds_read_b32 v0, v5 offset:16
	v_mul_f32_e32 v15, v3, v2
	s_waitcnt lgkmcnt(0)
	v_fma_f32 v16, -v15, v0, v4
	v_mov_b32_e32 v6, v12
	v_mov_b32_e32 v7, v13
	;; [unrolled: 1-line block ×6, first 2 shown]
.LBB8_63:
	s_or_b64 exec, exec, s[0:1]
	v_lshl_add_u32 v0, v25, 2, v5
	s_barrier
	ds_write_b32 v0, v4
	s_waitcnt lgkmcnt(0)
	s_barrier
	ds_read_b32 v5, v5 offset:16
	s_cmp_lt_i32 s22, 6
	v_mov_b32_e32 v0, 4
	s_cbranch_scc1 .LBB8_66
; %bb.64:
	v_add3_u32 v1, v11, 0, 20
	v_mov_b32_e32 v0, 4
	s_mov_b32 s0, 5
.LBB8_65:                               ; =>This Inner Loop Header: Depth=1
	ds_read_b32 v2, v1
	v_mov_b32_e32 v3, s0
	s_add_i32 s0, s0, 1
	v_add_u32_e32 v1, 4, v1
	s_cmp_lg_u32 s22, s0
	s_waitcnt lgkmcnt(0)
	v_cmp_lt_f32_e64 vcc, |v5|, |v2|
	s_nop 1
	v_cndmask_b32_e32 v5, v5, v2, vcc
	v_cndmask_b32_e32 v0, v0, v3, vcc
	s_cbranch_scc1 .LBB8_65
.LBB8_66:
	s_waitcnt lgkmcnt(0)
	v_cmp_eq_f32_e32 vcc, 0, v5
	s_and_saveexec_b64 s[0:1], vcc
	s_xor_b64 s[0:1], exec, s[0:1]
; %bb.67:
	v_cmp_ne_u32_e32 vcc, 0, v24
	s_nop 1
	v_cndmask_b32_e32 v24, 5, v24, vcc
; %bb.68:
	s_andn2_saveexec_b64 s[0:1], s[0:1]
	s_cbranch_execz .LBB8_70
; %bb.69:
	v_div_scale_f32 v1, s[2:3], v5, v5, 1.0
	v_rcp_f32_e32 v2, v1
	v_div_scale_f32 v3, vcc, 1.0, v5, 1.0
	v_fma_f32 v11, -v1, v2, 1.0
	v_fmac_f32_e32 v2, v11, v2
	v_mul_f32_e32 v11, v3, v2
	v_fma_f32 v12, -v1, v11, v3
	v_fmac_f32_e32 v11, v12, v2
	v_fma_f32 v1, -v1, v11, v3
	v_div_fmas_f32 v1, v1, v2, v11
	v_div_fixup_f32 v5, v1, v5, 1.0
.LBB8_70:
	s_or_b64 exec, exec, s[0:1]
	v_cmp_ne_u32_e32 vcc, v25, v0
	v_mov_b32_e32 v2, 4
	s_and_saveexec_b64 s[0:1], vcc
	s_cbranch_execz .LBB8_76
; %bb.71:
	v_cmp_eq_u32_e32 vcc, 4, v25
	s_and_saveexec_b64 s[2:3], vcc
	s_cbranch_execz .LBB8_75
; %bb.72:
	v_cmp_ne_u32_e32 vcc, 4, v0
	s_xor_b64 s[16:17], s[16:17], -1
	s_and_b64 s[18:19], s[16:17], vcc
	s_and_saveexec_b64 s[16:17], s[18:19]
	s_cbranch_execz .LBB8_74
; %bb.73:
	v_ashrrev_i32_e32 v1, 31, v0
	v_lshl_add_u64 v[2:3], v[0:1], 2, v[22:23]
	global_load_dword v1, v[2:3], off
	global_load_dword v11, v[22:23], off offset:16
	s_waitcnt vmcnt(1)
	global_store_dword v[22:23], v1, off offset:16
	s_waitcnt vmcnt(1)
	global_store_dword v[2:3], v11, off
.LBB8_74:
	s_or_b64 exec, exec, s[16:17]
	v_mov_b32_e32 v17, v0
	v_mov_b32_e32 v25, v0
.LBB8_75:
	s_or_b64 exec, exec, s[2:3]
	v_mov_b32_e32 v2, v25
.LBB8_76:
	s_or_b64 exec, exec, s[0:1]
	v_cmp_gt_i32_e32 vcc, 5, v2
	v_ashrrev_i32_e32 v3, 31, v2
	s_barrier
	s_barrier
	s_and_saveexec_b64 s[0:1], vcc
	s_cbranch_execz .LBB8_78
; %bb.77:
	v_mul_lo_u32 v11, s11, v18
	v_mul_lo_u32 v14, s10, v19
	v_mad_u64_u32 v[12:13], s[2:3], s10, v18, 0
	v_mov_b32_e32 v0, s6
	v_mov_b32_e32 v1, s7
	v_add3_u32 v13, v13, v14, v11
	v_lshl_add_u64 v[0:1], v[12:13], 2, v[0:1]
	v_lshl_add_u64 v[0:1], s[8:9], 2, v[0:1]
	;; [unrolled: 1-line block ×3, first 2 shown]
	v_add3_u32 v11, v17, s13, 1
	global_store_dword v[0:1], v11, off
.LBB8_78:
	s_or_b64 exec, exec, s[0:1]
	v_cmp_eq_u32_e32 vcc, 0, v2
	s_and_saveexec_b64 s[2:3], vcc
	s_cbranch_execz .LBB8_81
; %bb.79:
	v_mov_b32_e32 v0, s4
	v_mov_b32_e32 v1, s5
	v_lshl_add_u64 v[0:1], v[18:19], 2, v[0:1]
	global_load_dword v11, v[0:1], off
	v_cmp_ne_u32_e64 s[0:1], 0, v24
	s_waitcnt vmcnt(0)
	v_cmp_eq_u32_e32 vcc, 0, v11
	s_and_b64 s[0:1], vcc, s[0:1]
	s_and_b64 exec, exec, s[0:1]
	s_cbranch_execz .LBB8_81
; %bb.80:
	v_add_u32_e32 v11, s13, v24
	global_store_dword v[0:1], v11, off
.LBB8_81:
	s_or_b64 exec, exec, s[2:3]
	v_mul_f32_e32 v0, v4, v5
	v_cmp_lt_i32_e32 vcc, 4, v2
	s_nop 1
	v_cndmask_b32_e32 v4, v10, v0, vcc
	v_lshl_add_u64 v[0:1], v[2:3], 2, v[20:21]
	global_store_dword v[0:1], v6, off
	v_lshl_add_u64 v[0:1], s[14:15], 2, v[0:1]
	global_store_dword v[0:1], v7, off
	v_add_u32_e32 v0, s12, v2
	v_ashrrev_i32_e32 v1, 31, v0
	v_lshl_add_u64 v[2:3], v[0:1], 2, v[20:21]
	v_add_u32_e32 v0, s14, v0
	v_ashrrev_i32_e32 v1, 31, v0
	global_store_dword v[2:3], v8, off
	v_lshl_add_u64 v[2:3], v[0:1], 2, v[20:21]
	v_add_u32_e32 v0, s14, v0
	v_ashrrev_i32_e32 v1, 31, v0
	v_lshl_add_u64 v[0:1], v[0:1], 2, v[20:21]
	global_store_dword v[2:3], v9, off
	global_store_dword v[0:1], v4, off
.LBB8_82:
	s_endpgm
	.section	.rodata,"a",@progbits
	.p2align	6, 0x0
	.amdhsa_kernel _ZN9rocsolver6v33100L18getf2_small_kernelILi5EfiiPfEEvT1_T3_lS3_lPS3_llPT2_S3_S3_S5_l
		.amdhsa_group_segment_fixed_size 0
		.amdhsa_private_segment_fixed_size 0
		.amdhsa_kernarg_size 352
		.amdhsa_user_sgpr_count 2
		.amdhsa_user_sgpr_dispatch_ptr 0
		.amdhsa_user_sgpr_queue_ptr 0
		.amdhsa_user_sgpr_kernarg_segment_ptr 1
		.amdhsa_user_sgpr_dispatch_id 0
		.amdhsa_user_sgpr_kernarg_preload_length 0
		.amdhsa_user_sgpr_kernarg_preload_offset 0
		.amdhsa_user_sgpr_private_segment_size 0
		.amdhsa_uses_dynamic_stack 0
		.amdhsa_enable_private_segment 0
		.amdhsa_system_sgpr_workgroup_id_x 1
		.amdhsa_system_sgpr_workgroup_id_y 1
		.amdhsa_system_sgpr_workgroup_id_z 0
		.amdhsa_system_sgpr_workgroup_info 0
		.amdhsa_system_vgpr_workitem_id 1
		.amdhsa_next_free_vgpr 31
		.amdhsa_next_free_sgpr 26
		.amdhsa_accum_offset 32
		.amdhsa_reserve_vcc 1
		.amdhsa_float_round_mode_32 0
		.amdhsa_float_round_mode_16_64 0
		.amdhsa_float_denorm_mode_32 3
		.amdhsa_float_denorm_mode_16_64 3
		.amdhsa_dx10_clamp 1
		.amdhsa_ieee_mode 1
		.amdhsa_fp16_overflow 0
		.amdhsa_tg_split 0
		.amdhsa_exception_fp_ieee_invalid_op 0
		.amdhsa_exception_fp_denorm_src 0
		.amdhsa_exception_fp_ieee_div_zero 0
		.amdhsa_exception_fp_ieee_overflow 0
		.amdhsa_exception_fp_ieee_underflow 0
		.amdhsa_exception_fp_ieee_inexact 0
		.amdhsa_exception_int_div_zero 0
	.end_amdhsa_kernel
	.section	.text._ZN9rocsolver6v33100L18getf2_small_kernelILi5EfiiPfEEvT1_T3_lS3_lPS3_llPT2_S3_S3_S5_l,"axG",@progbits,_ZN9rocsolver6v33100L18getf2_small_kernelILi5EfiiPfEEvT1_T3_lS3_lPS3_llPT2_S3_S3_S5_l,comdat
.Lfunc_end8:
	.size	_ZN9rocsolver6v33100L18getf2_small_kernelILi5EfiiPfEEvT1_T3_lS3_lPS3_llPT2_S3_S3_S5_l, .Lfunc_end8-_ZN9rocsolver6v33100L18getf2_small_kernelILi5EfiiPfEEvT1_T3_lS3_lPS3_llPT2_S3_S3_S5_l
                                        ; -- End function
	.set _ZN9rocsolver6v33100L18getf2_small_kernelILi5EfiiPfEEvT1_T3_lS3_lPS3_llPT2_S3_S3_S5_l.num_vgpr, 31
	.set _ZN9rocsolver6v33100L18getf2_small_kernelILi5EfiiPfEEvT1_T3_lS3_lPS3_llPT2_S3_S3_S5_l.num_agpr, 0
	.set _ZN9rocsolver6v33100L18getf2_small_kernelILi5EfiiPfEEvT1_T3_lS3_lPS3_llPT2_S3_S3_S5_l.numbered_sgpr, 26
	.set _ZN9rocsolver6v33100L18getf2_small_kernelILi5EfiiPfEEvT1_T3_lS3_lPS3_llPT2_S3_S3_S5_l.num_named_barrier, 0
	.set _ZN9rocsolver6v33100L18getf2_small_kernelILi5EfiiPfEEvT1_T3_lS3_lPS3_llPT2_S3_S3_S5_l.private_seg_size, 0
	.set _ZN9rocsolver6v33100L18getf2_small_kernelILi5EfiiPfEEvT1_T3_lS3_lPS3_llPT2_S3_S3_S5_l.uses_vcc, 1
	.set _ZN9rocsolver6v33100L18getf2_small_kernelILi5EfiiPfEEvT1_T3_lS3_lPS3_llPT2_S3_S3_S5_l.uses_flat_scratch, 0
	.set _ZN9rocsolver6v33100L18getf2_small_kernelILi5EfiiPfEEvT1_T3_lS3_lPS3_llPT2_S3_S3_S5_l.has_dyn_sized_stack, 0
	.set _ZN9rocsolver6v33100L18getf2_small_kernelILi5EfiiPfEEvT1_T3_lS3_lPS3_llPT2_S3_S3_S5_l.has_recursion, 0
	.set _ZN9rocsolver6v33100L18getf2_small_kernelILi5EfiiPfEEvT1_T3_lS3_lPS3_llPT2_S3_S3_S5_l.has_indirect_call, 0
	.section	.AMDGPU.csdata,"",@progbits
; Kernel info:
; codeLenInByte = 2984
; TotalNumSgprs: 32
; NumVgprs: 31
; NumAgprs: 0
; TotalNumVgprs: 31
; ScratchSize: 0
; MemoryBound: 0
; FloatMode: 240
; IeeeMode: 1
; LDSByteSize: 0 bytes/workgroup (compile time only)
; SGPRBlocks: 3
; VGPRBlocks: 3
; NumSGPRsForWavesPerEU: 32
; NumVGPRsForWavesPerEU: 31
; AccumOffset: 32
; Occupancy: 8
; WaveLimiterHint : 0
; COMPUTE_PGM_RSRC2:SCRATCH_EN: 0
; COMPUTE_PGM_RSRC2:USER_SGPR: 2
; COMPUTE_PGM_RSRC2:TRAP_HANDLER: 0
; COMPUTE_PGM_RSRC2:TGID_X_EN: 1
; COMPUTE_PGM_RSRC2:TGID_Y_EN: 1
; COMPUTE_PGM_RSRC2:TGID_Z_EN: 0
; COMPUTE_PGM_RSRC2:TIDIG_COMP_CNT: 1
; COMPUTE_PGM_RSRC3_GFX90A:ACCUM_OFFSET: 7
; COMPUTE_PGM_RSRC3_GFX90A:TG_SPLIT: 0
	.section	.text._ZN9rocsolver6v33100L23getf2_npvt_small_kernelILi5EfiiPfEEvT1_T3_lS3_lPT2_S3_S3_,"axG",@progbits,_ZN9rocsolver6v33100L23getf2_npvt_small_kernelILi5EfiiPfEEvT1_T3_lS3_lPT2_S3_S3_,comdat
	.globl	_ZN9rocsolver6v33100L23getf2_npvt_small_kernelILi5EfiiPfEEvT1_T3_lS3_lPT2_S3_S3_ ; -- Begin function _ZN9rocsolver6v33100L23getf2_npvt_small_kernelILi5EfiiPfEEvT1_T3_lS3_lPT2_S3_S3_
	.p2align	8
	.type	_ZN9rocsolver6v33100L23getf2_npvt_small_kernelILi5EfiiPfEEvT1_T3_lS3_lPT2_S3_S3_,@function
_ZN9rocsolver6v33100L23getf2_npvt_small_kernelILi5EfiiPfEEvT1_T3_lS3_lPT2_S3_S3_: ; @_ZN9rocsolver6v33100L23getf2_npvt_small_kernelILi5EfiiPfEEvT1_T3_lS3_lPT2_S3_S3_
; %bb.0:
	s_load_dword s2, s[0:1], 0x44
	s_load_dwordx2 s[8:9], s[0:1], 0x30
	v_bfe_u32 v6, v0, 10, 10
	s_waitcnt lgkmcnt(0)
	s_lshr_b32 s2, s2, 16
	s_mul_i32 s3, s3, s2
	v_add_u32_e32 v18, s3, v6
	v_cmp_gt_i32_e32 vcc, s8, v18
	s_and_saveexec_b64 s[4:5], vcc
	s_cbranch_execz .LBB9_28
; %bb.1:
	s_load_dwordx4 s[12:15], s[0:1], 0x8
	s_load_dword s10, s[0:1], 0x18
	s_load_dwordx4 s[4:7], s[0:1], 0x20
	v_ashrrev_i32_e32 v19, 31, v18
	v_and_b32_e32 v5, 0x3ff, v0
	s_waitcnt lgkmcnt(0)
	v_mov_b32_e32 v2, s12
	v_mov_b32_e32 v3, s13
	v_mul_lo_u32 v4, s5, v18
	v_mul_lo_u32 v7, s4, v19
	v_mad_u64_u32 v[0:1], s[0:1], s4, v18, 0
	v_add3_u32 v1, v1, v7, v4
	v_lshl_add_u64 v[0:1], v[0:1], 2, v[2:3]
	v_lshl_add_u64 v[0:1], s[14:15], 2, v[0:1]
	v_lshlrev_b32_e32 v2, 2, v5
	v_mov_b32_e32 v3, 0
	s_add_i32 s0, s10, s10
	v_lshl_add_u64 v[20:21], v[0:1], 0, v[2:3]
	v_add_u32_e32 v2, s0, v5
	v_ashrrev_i32_e32 v3, 31, v2
	v_lshl_add_u64 v[24:25], v[2:3], 2, v[0:1]
	v_add_u32_e32 v2, s10, v2
	v_ashrrev_i32_e32 v3, 31, v2
	v_lshl_add_u64 v[26:27], v[2:3], 2, v[0:1]
	v_add_u32_e32 v2, s10, v2
	s_ashr_i32 s11, s10, 31
	v_ashrrev_i32_e32 v3, 31, v2
	v_lshl_add_u64 v[22:23], s[10:11], 2, v[20:21]
	v_lshl_add_u64 v[28:29], v[2:3], 2, v[0:1]
	global_load_dword v0, v[20:21], off
	global_load_dword v1, v[22:23], off
	;; [unrolled: 1-line block ×5, first 2 shown]
	s_mul_i32 s2, s2, 20
	v_mul_u32_u24_e32 v7, 20, v6
	s_add_i32 s0, s2, 0
	v_lshl_add_u32 v11, v6, 2, s0
	v_cmp_ne_u32_e64 s[2:3], 0, v5
	v_cmp_eq_u32_e64 s[0:1], 0, v5
	v_add_u32_e32 v30, 0, v7
	s_and_saveexec_b64 s[4:5], s[0:1]
	s_cbranch_execz .LBB9_4
; %bb.2:
	s_waitcnt vmcnt(4)
	ds_write_b32 v11, v0
	s_waitcnt vmcnt(2)
	ds_write2_b32 v30, v1, v2 offset0:1 offset1:2
	s_waitcnt vmcnt(0)
	ds_write2_b32 v30, v3, v4 offset0:3 offset1:4
	ds_read_b32 v6, v11
	s_waitcnt lgkmcnt(0)
	v_cmp_neq_f32_e32 vcc, 0, v6
	s_and_b64 exec, exec, vcc
	s_cbranch_execz .LBB9_4
; %bb.3:
	v_div_scale_f32 v7, s[10:11], v6, v6, 1.0
	v_rcp_f32_e32 v8, v7
	v_div_scale_f32 v9, vcc, 1.0, v6, 1.0
	v_fma_f32 v10, -v7, v8, 1.0
	v_fmac_f32_e32 v8, v10, v8
	v_mul_f32_e32 v10, v9, v8
	v_fma_f32 v12, -v7, v10, v9
	v_fmac_f32_e32 v10, v12, v8
	v_fma_f32 v7, -v7, v10, v9
	v_div_fmas_f32 v7, v7, v8, v10
	v_div_fixup_f32 v6, v7, v6, 1.0
	ds_write_b32 v11, v6
.LBB9_4:
	s_or_b64 exec, exec, s[4:5]
	s_waitcnt lgkmcnt(0)
	s_barrier
	ds_read_b32 v17, v11
	s_waitcnt vmcnt(0)
	v_mov_b32_e32 v10, v4
	v_mov_b32_e32 v16, v4
	;; [unrolled: 1-line block ×10, first 2 shown]
	s_and_saveexec_b64 s[4:5], s[2:3]
	s_cbranch_execz .LBB9_6
; %bb.5:
	ds_read2_b32 v[8:9], v30 offset0:1 offset1:2
	ds_read2_b32 v[12:13], v30 offset0:3 offset1:4
	s_waitcnt lgkmcnt(2)
	v_mul_f32_e32 v6, v0, v17
	v_mov_b32_e32 v0, v1
	v_mov_b32_e32 v1, v2
	s_waitcnt lgkmcnt(1)
	v_pk_fma_f32 v[32:33], v[6:7], v[8:9], v[0:1] op_sel_hi:[0,1,1] neg_lo:[1,0,0] neg_hi:[1,0,0]
	v_mov_b32_e32 v0, v3
	v_mov_b32_e32 v1, v4
	s_waitcnt lgkmcnt(0)
	v_pk_fma_f32 v[34:35], v[6:7], v[12:13], v[0:1] op_sel_hi:[0,1,1] neg_lo:[1,0,0] neg_hi:[1,0,0]
	v_mov_b32_e32 v10, v35
	v_mov_b32_e32 v7, v32
	;; [unrolled: 1-line block ×13, first 2 shown]
.LBB9_6:
	s_or_b64 exec, exec, s[4:5]
	v_cmp_eq_u32_e32 vcc, 1, v5
	s_waitcnt lgkmcnt(0)
	s_barrier
	s_and_saveexec_b64 s[2:3], vcc
	s_cbranch_execz .LBB9_9
; %bb.7:
	ds_write_b32 v11, v1
	ds_write2_b32 v30, v8, v9 offset0:2 offset1:3
	ds_write_b32 v30, v4 offset:16
	ds_read_b32 v0, v11
	s_waitcnt lgkmcnt(0)
	v_cmp_neq_f32_e32 vcc, 0, v0
	s_and_b64 exec, exec, vcc
	s_cbranch_execz .LBB9_9
; %bb.8:
	v_div_scale_f32 v31, s[4:5], v0, v0, 1.0
	v_rcp_f32_e32 v32, v31
	v_div_scale_f32 v33, vcc, 1.0, v0, 1.0
	v_fma_f32 v34, -v31, v32, 1.0
	v_fmac_f32_e32 v32, v34, v32
	v_mul_f32_e32 v34, v33, v32
	v_fma_f32 v35, -v31, v34, v33
	v_fmac_f32_e32 v34, v35, v32
	v_fma_f32 v31, -v31, v34, v33
	v_div_fmas_f32 v31, v31, v32, v34
	v_div_fixup_f32 v0, v31, v0, 1.0
	ds_write_b32 v11, v0
.LBB9_9:
	s_or_b64 exec, exec, s[2:3]
	s_waitcnt lgkmcnt(0)
	s_barrier
	ds_read_b32 v31, v11
	v_cmp_lt_u32_e32 vcc, 1, v5
	s_and_saveexec_b64 s[2:3], vcc
	s_cbranch_execz .LBB9_11
; %bb.10:
	ds_read2_b32 v[2:3], v30 offset0:2 offset1:3
	ds_read_b32 v32, v30 offset:16
	s_waitcnt lgkmcnt(2)
	v_mul_f32_e32 v0, v1, v31
	v_mov_b32_e32 v16, v10
	v_mov_b32_e32 v14, v8
	;; [unrolled: 1-line block ×4, first 2 shown]
	s_waitcnt lgkmcnt(1)
	v_pk_fma_f32 v[2:3], v[0:1], v[2:3], v[8:9] op_sel_hi:[0,1,1] neg_lo:[1,0,0] neg_hi:[1,0,0]
	v_mov_b32_e32 v15, v9
	v_mov_b32_e32 v13, v0
	;; [unrolled: 1-line block ×4, first 2 shown]
	s_waitcnt lgkmcnt(0)
	v_fma_f32 v4, -v0, v32, v4
	v_mov_b32_e32 v9, v15
	v_mov_b32_e32 v10, v16
	;; [unrolled: 1-line block ×6, first 2 shown]
.LBB9_11:
	s_or_b64 exec, exec, s[2:3]
	v_cmp_eq_u32_e32 vcc, 2, v5
	s_waitcnt lgkmcnt(0)
	s_barrier
	s_and_saveexec_b64 s[2:3], vcc
	s_cbranch_execz .LBB9_14
; %bb.12:
	ds_write_b32 v11, v2
	ds_write2_b32 v30, v9, v10 offset0:3 offset1:4
	ds_read_b32 v0, v11
	s_waitcnt lgkmcnt(0)
	v_cmp_neq_f32_e32 vcc, 0, v0
	s_and_b64 exec, exec, vcc
	s_cbranch_execz .LBB9_14
; %bb.13:
	v_div_scale_f32 v1, s[4:5], v0, v0, 1.0
	v_rcp_f32_e32 v32, v1
	v_div_scale_f32 v33, vcc, 1.0, v0, 1.0
	v_fma_f32 v34, -v1, v32, 1.0
	v_fmac_f32_e32 v32, v34, v32
	v_mul_f32_e32 v34, v33, v32
	v_fma_f32 v35, -v1, v34, v33
	v_fmac_f32_e32 v34, v35, v32
	v_fma_f32 v1, -v1, v34, v33
	v_div_fmas_f32 v1, v1, v32, v34
	v_div_fixup_f32 v0, v1, v0, 1.0
	ds_write_b32 v11, v0
.LBB9_14:
	s_or_b64 exec, exec, s[2:3]
	s_waitcnt lgkmcnt(0)
	s_barrier
	ds_read_b32 v32, v11
	v_cmp_lt_u32_e32 vcc, 2, v5
	s_and_saveexec_b64 s[2:3], vcc
	s_cbranch_execz .LBB9_16
; %bb.15:
	ds_read2_b32 v[0:1], v30 offset0:3 offset1:4
	s_waitcnt lgkmcnt(1)
	v_mul_f32_e32 v14, v2, v32
	v_mov_b32_e32 v2, v9
	v_mov_b32_e32 v3, v10
	;; [unrolled: 1-line block ×5, first 2 shown]
	s_waitcnt lgkmcnt(0)
	v_pk_fma_f32 v[0:1], v[14:15], v[0:1], v[2:3] op_sel_hi:[0,1,1] neg_lo:[1,0,0] neg_hi:[1,0,0]
	v_mov_b32_e32 v7, v13
	v_mov_b32_e32 v8, v14
	;; [unrolled: 1-line block ×6, first 2 shown]
.LBB9_16:
	s_or_b64 exec, exec, s[2:3]
	v_cmp_eq_u32_e32 vcc, 3, v5
	s_waitcnt lgkmcnt(0)
	s_barrier
	s_and_saveexec_b64 s[2:3], vcc
	s_cbranch_execz .LBB9_19
; %bb.17:
	ds_write_b32 v11, v3
	ds_write_b32 v30, v4 offset:16
	ds_read_b32 v0, v11
	s_waitcnt lgkmcnt(0)
	v_cmp_neq_f32_e32 vcc, 0, v0
	s_and_b64 exec, exec, vcc
	s_cbranch_execz .LBB9_19
; %bb.18:
	v_div_scale_f32 v1, s[4:5], v0, v0, 1.0
	v_rcp_f32_e32 v2, v1
	v_div_scale_f32 v15, vcc, 1.0, v0, 1.0
	v_fma_f32 v16, -v1, v2, 1.0
	v_fmac_f32_e32 v2, v16, v2
	v_mul_f32_e32 v16, v15, v2
	v_fma_f32 v33, -v1, v16, v15
	v_fmac_f32_e32 v16, v33, v2
	v_fma_f32 v1, -v1, v16, v15
	v_div_fmas_f32 v1, v1, v2, v16
	v_div_fixup_f32 v0, v1, v0, 1.0
	ds_write_b32 v11, v0
.LBB9_19:
	s_or_b64 exec, exec, s[2:3]
	s_waitcnt lgkmcnt(0)
	s_barrier
	ds_read_b32 v2, v11
	v_cmp_lt_u32_e32 vcc, 3, v5
	s_and_saveexec_b64 s[2:3], vcc
	s_cbranch_execz .LBB9_21
; %bb.20:
	ds_read_b32 v0, v30 offset:16
	s_waitcnt lgkmcnt(1)
	v_mul_f32_e32 v15, v3, v2
	s_waitcnt lgkmcnt(0)
	v_fma_f32 v16, -v15, v0, v4
	v_mov_b32_e32 v6, v12
	v_mov_b32_e32 v7, v13
	v_mov_b32_e32 v8, v14
	v_mov_b32_e32 v9, v15
	v_mov_b32_e32 v10, v16
	v_mov_b32_e32 v4, v16
.LBB9_21:
	s_or_b64 exec, exec, s[2:3]
	v_cmp_eq_u32_e32 vcc, 4, v5
	s_waitcnt lgkmcnt(0)
	s_barrier
	s_and_saveexec_b64 s[2:3], vcc
	s_cbranch_execz .LBB9_24
; %bb.22:
	v_cmp_neq_f32_e32 vcc, 0, v4
	ds_write_b32 v11, v4
	s_and_b64 exec, exec, vcc
	s_cbranch_execz .LBB9_24
; %bb.23:
	v_div_scale_f32 v0, s[4:5], v4, v4, 1.0
	v_rcp_f32_e32 v1, v0
	v_div_scale_f32 v3, vcc, 1.0, v4, 1.0
	v_fma_f32 v12, -v0, v1, 1.0
	v_fmac_f32_e32 v1, v12, v1
	v_mul_f32_e32 v12, v3, v1
	v_fma_f32 v13, -v0, v12, v3
	v_fmac_f32_e32 v12, v13, v1
	v_fma_f32 v0, -v0, v12, v3
	v_div_fmas_f32 v0, v0, v1, v12
	v_div_fixup_f32 v0, v0, v4, 1.0
	ds_write_b32 v11, v0
.LBB9_24:
	s_or_b64 exec, exec, s[2:3]
	s_waitcnt lgkmcnt(0)
	s_barrier
	ds_read_b32 v3, v11
	s_waitcnt lgkmcnt(0)
	s_barrier
	s_and_saveexec_b64 s[10:11], s[0:1]
	s_cbranch_execz .LBB9_27
; %bb.25:
	v_mov_b32_e32 v0, s6
	v_mov_b32_e32 v1, s7
	v_lshl_add_u64 v[0:1], v[18:19], 2, v[0:1]
	global_load_dword v11, v[0:1], off
	v_cmp_eq_f32_e32 vcc, 0, v17
	v_cmp_neq_f32_e64 s[0:1], 0, v31
	v_cmp_eq_f32_e64 s[4:5], 0, v2
	v_cndmask_b32_e64 v12, 0, 1, vcc
	s_or_b64 vcc, s[0:1], vcc
	v_cndmask_b32_e32 v2, 2, v12, vcc
	v_cmp_eq_f32_e64 s[2:3], 0, v32
	v_cmp_eq_u32_e32 vcc, 0, v2
	s_and_b64 s[0:1], s[2:3], vcc
	v_cndmask_b32_e64 v2, v2, 3, s[0:1]
	v_cmp_eq_u32_e32 vcc, 0, v2
	s_and_b64 s[0:1], s[4:5], vcc
	v_cndmask_b32_e64 v2, v2, 4, s[0:1]
	v_cmp_eq_f32_e64 s[6:7], 0, v3
	v_cmp_eq_u32_e32 vcc, 0, v2
	s_and_b64 s[0:1], s[6:7], vcc
	v_cndmask_b32_e64 v2, v2, 5, s[0:1]
	v_cmp_ne_u32_e64 s[0:1], 0, v2
	s_waitcnt vmcnt(0)
	v_cmp_eq_u32_e32 vcc, 0, v11
	s_and_b64 s[0:1], vcc, s[0:1]
	s_and_b64 exec, exec, s[0:1]
	s_cbranch_execz .LBB9_27
; %bb.26:
	v_add_u32_e32 v2, s9, v2
	global_store_dword v[0:1], v2, off
.LBB9_27:
	s_or_b64 exec, exec, s[10:11]
	v_mul_f32_e32 v0, v4, v3
	v_cmp_lt_u32_e32 vcc, 4, v5
	s_nop 1
	v_cndmask_b32_e32 v0, v10, v0, vcc
	global_store_dword v[20:21], v6, off
	global_store_dword v[22:23], v7, off
	;; [unrolled: 1-line block ×5, first 2 shown]
.LBB9_28:
	s_endpgm
	.section	.rodata,"a",@progbits
	.p2align	6, 0x0
	.amdhsa_kernel _ZN9rocsolver6v33100L23getf2_npvt_small_kernelILi5EfiiPfEEvT1_T3_lS3_lPT2_S3_S3_
		.amdhsa_group_segment_fixed_size 0
		.amdhsa_private_segment_fixed_size 0
		.amdhsa_kernarg_size 312
		.amdhsa_user_sgpr_count 2
		.amdhsa_user_sgpr_dispatch_ptr 0
		.amdhsa_user_sgpr_queue_ptr 0
		.amdhsa_user_sgpr_kernarg_segment_ptr 1
		.amdhsa_user_sgpr_dispatch_id 0
		.amdhsa_user_sgpr_kernarg_preload_length 0
		.amdhsa_user_sgpr_kernarg_preload_offset 0
		.amdhsa_user_sgpr_private_segment_size 0
		.amdhsa_uses_dynamic_stack 0
		.amdhsa_enable_private_segment 0
		.amdhsa_system_sgpr_workgroup_id_x 1
		.amdhsa_system_sgpr_workgroup_id_y 1
		.amdhsa_system_sgpr_workgroup_id_z 0
		.amdhsa_system_sgpr_workgroup_info 0
		.amdhsa_system_vgpr_workitem_id 1
		.amdhsa_next_free_vgpr 36
		.amdhsa_next_free_sgpr 16
		.amdhsa_accum_offset 36
		.amdhsa_reserve_vcc 1
		.amdhsa_float_round_mode_32 0
		.amdhsa_float_round_mode_16_64 0
		.amdhsa_float_denorm_mode_32 3
		.amdhsa_float_denorm_mode_16_64 3
		.amdhsa_dx10_clamp 1
		.amdhsa_ieee_mode 1
		.amdhsa_fp16_overflow 0
		.amdhsa_tg_split 0
		.amdhsa_exception_fp_ieee_invalid_op 0
		.amdhsa_exception_fp_denorm_src 0
		.amdhsa_exception_fp_ieee_div_zero 0
		.amdhsa_exception_fp_ieee_overflow 0
		.amdhsa_exception_fp_ieee_underflow 0
		.amdhsa_exception_fp_ieee_inexact 0
		.amdhsa_exception_int_div_zero 0
	.end_amdhsa_kernel
	.section	.text._ZN9rocsolver6v33100L23getf2_npvt_small_kernelILi5EfiiPfEEvT1_T3_lS3_lPT2_S3_S3_,"axG",@progbits,_ZN9rocsolver6v33100L23getf2_npvt_small_kernelILi5EfiiPfEEvT1_T3_lS3_lPT2_S3_S3_,comdat
.Lfunc_end9:
	.size	_ZN9rocsolver6v33100L23getf2_npvt_small_kernelILi5EfiiPfEEvT1_T3_lS3_lPT2_S3_S3_, .Lfunc_end9-_ZN9rocsolver6v33100L23getf2_npvt_small_kernelILi5EfiiPfEEvT1_T3_lS3_lPT2_S3_S3_
                                        ; -- End function
	.set _ZN9rocsolver6v33100L23getf2_npvt_small_kernelILi5EfiiPfEEvT1_T3_lS3_lPT2_S3_S3_.num_vgpr, 36
	.set _ZN9rocsolver6v33100L23getf2_npvt_small_kernelILi5EfiiPfEEvT1_T3_lS3_lPT2_S3_S3_.num_agpr, 0
	.set _ZN9rocsolver6v33100L23getf2_npvt_small_kernelILi5EfiiPfEEvT1_T3_lS3_lPT2_S3_S3_.numbered_sgpr, 16
	.set _ZN9rocsolver6v33100L23getf2_npvt_small_kernelILi5EfiiPfEEvT1_T3_lS3_lPT2_S3_S3_.num_named_barrier, 0
	.set _ZN9rocsolver6v33100L23getf2_npvt_small_kernelILi5EfiiPfEEvT1_T3_lS3_lPT2_S3_S3_.private_seg_size, 0
	.set _ZN9rocsolver6v33100L23getf2_npvt_small_kernelILi5EfiiPfEEvT1_T3_lS3_lPT2_S3_S3_.uses_vcc, 1
	.set _ZN9rocsolver6v33100L23getf2_npvt_small_kernelILi5EfiiPfEEvT1_T3_lS3_lPT2_S3_S3_.uses_flat_scratch, 0
	.set _ZN9rocsolver6v33100L23getf2_npvt_small_kernelILi5EfiiPfEEvT1_T3_lS3_lPT2_S3_S3_.has_dyn_sized_stack, 0
	.set _ZN9rocsolver6v33100L23getf2_npvt_small_kernelILi5EfiiPfEEvT1_T3_lS3_lPT2_S3_S3_.has_recursion, 0
	.set _ZN9rocsolver6v33100L23getf2_npvt_small_kernelILi5EfiiPfEEvT1_T3_lS3_lPT2_S3_S3_.has_indirect_call, 0
	.section	.AMDGPU.csdata,"",@progbits
; Kernel info:
; codeLenInByte = 1796
; TotalNumSgprs: 22
; NumVgprs: 36
; NumAgprs: 0
; TotalNumVgprs: 36
; ScratchSize: 0
; MemoryBound: 0
; FloatMode: 240
; IeeeMode: 1
; LDSByteSize: 0 bytes/workgroup (compile time only)
; SGPRBlocks: 2
; VGPRBlocks: 4
; NumSGPRsForWavesPerEU: 22
; NumVGPRsForWavesPerEU: 36
; AccumOffset: 36
; Occupancy: 8
; WaveLimiterHint : 0
; COMPUTE_PGM_RSRC2:SCRATCH_EN: 0
; COMPUTE_PGM_RSRC2:USER_SGPR: 2
; COMPUTE_PGM_RSRC2:TRAP_HANDLER: 0
; COMPUTE_PGM_RSRC2:TGID_X_EN: 1
; COMPUTE_PGM_RSRC2:TGID_Y_EN: 1
; COMPUTE_PGM_RSRC2:TGID_Z_EN: 0
; COMPUTE_PGM_RSRC2:TIDIG_COMP_CNT: 1
; COMPUTE_PGM_RSRC3_GFX90A:ACCUM_OFFSET: 8
; COMPUTE_PGM_RSRC3_GFX90A:TG_SPLIT: 0
	.section	.text._ZN9rocsolver6v33100L18getf2_small_kernelILi6EfiiPfEEvT1_T3_lS3_lPS3_llPT2_S3_S3_S5_l,"axG",@progbits,_ZN9rocsolver6v33100L18getf2_small_kernelILi6EfiiPfEEvT1_T3_lS3_lPS3_llPT2_S3_S3_S5_l,comdat
	.globl	_ZN9rocsolver6v33100L18getf2_small_kernelILi6EfiiPfEEvT1_T3_lS3_lPS3_llPT2_S3_S3_S5_l ; -- Begin function _ZN9rocsolver6v33100L18getf2_small_kernelILi6EfiiPfEEvT1_T3_lS3_lPS3_llPT2_S3_S3_S5_l
	.p2align	8
	.type	_ZN9rocsolver6v33100L18getf2_small_kernelILi6EfiiPfEEvT1_T3_lS3_lPS3_llPT2_S3_S3_S5_l,@function
_ZN9rocsolver6v33100L18getf2_small_kernelILi6EfiiPfEEvT1_T3_lS3_lPS3_llPT2_S3_S3_S5_l: ; @_ZN9rocsolver6v33100L18getf2_small_kernelILi6EfiiPfEEvT1_T3_lS3_lPS3_llPT2_S3_S3_S5_l
; %bb.0:
	s_load_dword s2, s[0:1], 0x6c
	s_load_dwordx2 s[12:13], s[0:1], 0x48
	v_bfe_u32 v9, v0, 10, 10
	s_waitcnt lgkmcnt(0)
	s_lshr_b32 s2, s2, 16
	s_mul_i32 s3, s3, s2
	v_add_u32_e32 v24, s3, v9
	v_cmp_gt_i32_e32 vcc, s12, v24
	s_and_saveexec_b64 s[2:3], vcc
	s_cbranch_execz .LBB10_99
; %bb.1:
	s_load_dwordx4 s[4:7], s[0:1], 0x50
	v_ashrrev_i32_e32 v25, 31, v24
	v_mov_b64_e32 v[28:29], 0
	s_waitcnt lgkmcnt(0)
	s_cmp_eq_u64 s[4:5], 0
	s_cselect_b64 s[16:17], -1, 0
	s_and_b64 vcc, exec, s[16:17]
	s_cbranch_vccnz .LBB10_3
; %bb.2:
	v_mul_lo_u32 v1, s7, v24
	v_mul_lo_u32 v4, s6, v25
	v_mad_u64_u32 v[2:3], s[2:3], s6, v24, 0
	v_add3_u32 v3, v3, v4, v1
	v_lshl_add_u64 v[28:29], v[2:3], 2, s[4:5]
.LBB10_3:
	s_load_dwordx4 s[20:23], s[0:1], 0x8
	s_load_dwordx8 s[4:11], s[0:1], 0x20
	s_load_dword s14, s[0:1], 0x18
	v_and_b32_e32 v8, 0x3ff, v0
	v_mov_b32_e32 v7, 0
	s_waitcnt lgkmcnt(0)
	v_mov_b32_e32 v2, s20
	v_mul_lo_u32 v1, s5, v24
	v_mul_lo_u32 v6, s4, v25
	v_mad_u64_u32 v[4:5], s[2:3], s4, v24, 0
	v_mov_b32_e32 v3, s21
	v_add3_u32 v5, v5, v6, v1
	v_lshl_add_u64 v[2:3], v[4:5], 2, v[2:3]
	v_lshl_add_u64 v[26:27], s[22:23], 2, v[2:3]
	v_lshlrev_b32_e32 v6, 2, v8
	v_lshl_add_u64 v[2:3], v[26:27], 0, v[6:7]
	s_ashr_i32 s15, s14, 31
	s_add_i32 s12, s14, s14
	global_load_dword v0, v[2:3], off
	v_lshl_add_u64 v[10:11], s[14:15], 2, v[2:3]
	v_add_u32_e32 v2, s12, v8
	v_ashrrev_i32_e32 v3, 31, v2
	v_lshl_add_u64 v[12:13], v[2:3], 2, v[26:27]
	v_add_u32_e32 v2, s14, v2
	v_ashrrev_i32_e32 v3, 31, v2
	;; [unrolled: 3-line block ×4, first 2 shown]
	v_lshl_add_u64 v[18:19], v[2:3], 2, v[26:27]
	global_load_dword v1, v[10:11], off
	global_load_dword v2, v[12:13], off
	;; [unrolled: 1-line block ×5, first 2 shown]
	s_load_dword s22, s[0:1], 0x0
	s_load_dwordx2 s[4:5], s[0:1], 0x40
	s_waitcnt lgkmcnt(0)
	s_max_i32 s0, s22, 6
	v_mul_lo_u32 v9, s0, v9
	v_lshl_add_u32 v30, v9, 2, 0
	v_add_u32_e32 v6, v30, v6
	s_cmp_lt_i32 s22, 2
	v_lshlrev_b32_e32 v31, 2, v9
	s_waitcnt vmcnt(5)
	ds_write_b32 v6, v0
	s_waitcnt lgkmcnt(0)
	s_barrier
	ds_read_b32 v34, v30
	s_cbranch_scc1 .LBB10_6
; %bb.4:
	v_add3_u32 v6, v31, 0, 4
	v_mov_b32_e32 v7, 0
	s_mov_b32 s0, 1
.LBB10_5:                               ; =>This Inner Loop Header: Depth=1
	ds_read_b32 v9, v6
	v_mov_b32_e32 v10, s0
	s_add_i32 s0, s0, 1
	v_add_u32_e32 v6, 4, v6
	s_cmp_eq_u32 s22, s0
	s_waitcnt lgkmcnt(0)
	v_cmp_lt_f32_e64 vcc, |v34|, |v9|
	s_nop 1
	v_cndmask_b32_e32 v34, v34, v9, vcc
	v_cndmask_b32_e32 v7, v7, v10, vcc
	s_cbranch_scc0 .LBB10_5
.LBB10_6:
	v_cmp_ne_u32_e32 vcc, v8, v7
                                        ; implicit-def: $vgpr33
	s_and_saveexec_b64 s[0:1], vcc
	s_xor_b64 s[0:1], exec, s[0:1]
	s_cbranch_execz .LBB10_12
; %bb.7:
	v_cmp_eq_u32_e32 vcc, 0, v8
	s_and_saveexec_b64 s[2:3], vcc
	s_cbranch_execz .LBB10_11
; %bb.8:
	v_cmp_ne_u32_e32 vcc, 0, v7
	s_xor_b64 s[18:19], s[16:17], -1
	s_and_b64 s[20:21], s[18:19], vcc
	s_and_saveexec_b64 s[18:19], s[20:21]
	s_cbranch_execz .LBB10_10
; %bb.9:
	v_ashrrev_i32_e32 v9, 31, v7
	v_mov_b32_e32 v8, v7
	v_lshl_add_u64 v[8:9], v[8:9], 2, v[28:29]
	global_load_dword v6, v[8:9], off
	global_load_dword v10, v[28:29], off
	s_waitcnt vmcnt(1)
	global_store_dword v[28:29], v6, off
	s_waitcnt vmcnt(1)
	global_store_dword v[8:9], v10, off
.LBB10_10:
	s_or_b64 exec, exec, s[18:19]
	v_mov_b32_e32 v8, v7
.LBB10_11:
	s_or_b64 exec, exec, s[2:3]
	v_mov_b32_e32 v33, v8
                                        ; implicit-def: $vgpr8
.LBB10_12:
	s_or_saveexec_b64 s[0:1], s[0:1]
	v_mov_b32_e32 v32, v33
	s_xor_b64 exec, exec, s[0:1]
	s_cbranch_execz .LBB10_14
; %bb.13:
	v_mov_b32_e32 v33, 0
	v_mov_b32_e32 v32, v8
	s_waitcnt vmcnt(3)
	ds_write2_b32 v30, v1, v2 offset0:1 offset1:2
	s_waitcnt vmcnt(1)
	ds_write2_b32 v30, v3, v4 offset0:3 offset1:4
	s_waitcnt vmcnt(0)
	ds_write_b32 v30, v5 offset:20
.LBB10_14:
	s_or_b64 exec, exec, s[0:1]
	s_waitcnt vmcnt(0)
	v_mov_b64_e32 v[10:11], v[4:5]
	v_mov_b64_e32 v[16:17], v[4:5]
	;; [unrolled: 1-line block ×3, first 2 shown]
	s_waitcnt lgkmcnt(0)
	v_cmp_eq_f32_e64 s[0:1], 0, v34
	v_cmp_lt_i32_e32 vcc, 0, v33
	v_mov_b64_e32 v[8:9], v[2:3]
	v_mov_b64_e32 v[6:7], v[0:1]
	;; [unrolled: 1-line block ×6, first 2 shown]
	s_barrier
	s_and_saveexec_b64 s[2:3], vcc
	s_cbranch_execz .LBB10_16
; %bb.15:
	v_div_scale_f32 v6, s[18:19], v34, v34, 1.0
	v_rcp_f32_e32 v7, v6
	v_div_scale_f32 v8, vcc, 1.0, v34, 1.0
	v_fma_f32 v9, -v6, v7, 1.0
	v_fmac_f32_e32 v7, v9, v7
	v_mul_f32_e32 v9, v8, v7
	v_fma_f32 v10, -v6, v9, v8
	v_fmac_f32_e32 v9, v10, v7
	v_fma_f32 v6, -v6, v9, v8
	v_div_fmas_f32 v6, v6, v7, v9
	v_div_fixup_f32 v6, v6, v34, 1.0
	ds_read2_b32 v[8:9], v30 offset0:1 offset1:2
	v_cndmask_b32_e64 v6, v6, v34, s[0:1]
	v_mul_f32_e32 v6, v0, v6
	v_mov_b32_e32 v0, v1
	v_mov_b32_e32 v1, v2
	ds_read2_b32 v[10:11], v30 offset0:3 offset1:4
	ds_read_b32 v2, v30 offset:20
	s_waitcnt lgkmcnt(2)
	v_pk_fma_f32 v[34:35], v[6:7], v[8:9], v[0:1] op_sel_hi:[0,1,1] neg_lo:[1,0,0] neg_hi:[1,0,0]
	v_mov_b32_e32 v0, v3
	v_mov_b32_e32 v1, v4
	s_waitcnt lgkmcnt(1)
	v_pk_fma_f32 v[36:37], v[6:7], v[10:11], v[0:1] op_sel_hi:[0,1,1] neg_lo:[1,0,0] neg_hi:[1,0,0]
	s_waitcnt lgkmcnt(0)
	v_fma_f32 v11, -v6, v2, v5
	v_mov_b32_e32 v10, v37
	v_mov_b32_e32 v7, v34
	v_mov_b32_e32 v8, v35
	v_mov_b32_e32 v9, v36
	v_mov_b64_e32 v[16:17], v[10:11]
	v_mov_b64_e32 v[22:23], v[10:11]
	;; [unrolled: 1-line block ×6, first 2 shown]
	v_mov_b32_e32 v1, v34
	v_mov_b32_e32 v2, v35
	;; [unrolled: 1-line block ×5, first 2 shown]
.LBB10_16:
	s_or_b64 exec, exec, s[2:3]
	v_lshl_add_u32 v0, v33, 2, v30
	s_barrier
	ds_write_b32 v0, v1
	s_waitcnt lgkmcnt(0)
	s_barrier
	ds_read_b32 v0, v30 offset:4
	s_mov_b32 s2, 2
	s_cmp_lt_i32 s22, 3
	v_mov_b32_e32 v16, 1
	s_cbranch_scc1 .LBB10_19
; %bb.17:
	v_add3_u32 v17, v31, 0, 8
	v_mov_b32_e32 v16, 1
.LBB10_18:                              ; =>This Inner Loop Header: Depth=1
	ds_read_b32 v34, v17
	v_mov_b32_e32 v35, s2
	s_add_i32 s2, s2, 1
	v_add_u32_e32 v17, 4, v17
	s_cmp_lg_u32 s22, s2
	s_waitcnt lgkmcnt(0)
	v_cmp_lt_f32_e64 vcc, |v0|, |v34|
	s_nop 1
	v_cndmask_b32_e32 v0, v0, v34, vcc
	v_cndmask_b32_e32 v16, v16, v35, vcc
	s_cbranch_scc1 .LBB10_18
.LBB10_19:
	v_cmp_ne_u32_e32 vcc, v33, v16
	s_and_saveexec_b64 s[2:3], vcc
	s_xor_b64 s[2:3], exec, s[2:3]
	s_cbranch_execz .LBB10_25
; %bb.20:
	v_cmp_eq_u32_e32 vcc, 1, v33
	s_and_saveexec_b64 s[18:19], vcc
	s_cbranch_execz .LBB10_24
; %bb.21:
	v_cmp_ne_u32_e32 vcc, 1, v16
	s_xor_b64 s[20:21], s[16:17], -1
	s_and_b64 s[24:25], s[20:21], vcc
	s_and_saveexec_b64 s[20:21], s[24:25]
	s_cbranch_execz .LBB10_23
; %bb.22:
	v_ashrrev_i32_e32 v17, 31, v16
	v_lshl_add_u64 v[32:33], v[16:17], 2, v[28:29]
	global_load_dword v17, v[32:33], off
	global_load_dword v34, v[28:29], off offset:4
	s_waitcnt vmcnt(1)
	global_store_dword v[28:29], v17, off offset:4
	s_waitcnt vmcnt(1)
	global_store_dword v[32:33], v34, off
.LBB10_23:
	s_or_b64 exec, exec, s[20:21]
	v_mov_b32_e32 v32, v16
	v_mov_b32_e32 v33, v16
.LBB10_24:
	s_or_b64 exec, exec, s[18:19]
.LBB10_25:
	s_andn2_saveexec_b64 s[2:3], s[2:3]
	s_cbranch_execz .LBB10_27
; %bb.26:
	v_mov_b32_e32 v33, 1
	ds_write2_b32 v30, v8, v9 offset0:2 offset1:3
	ds_write2_b32 v30, v10, v11 offset0:4 offset1:5
.LBB10_27:
	s_or_b64 exec, exec, s[2:3]
	s_waitcnt lgkmcnt(0)
	v_cmp_neq_f32_e64 s[2:3], 0, v0
	v_cmp_lt_i32_e32 vcc, 1, v33
	s_barrier
	s_and_saveexec_b64 s[18:19], vcc
	s_cbranch_execz .LBB10_29
; %bb.28:
	v_div_scale_f32 v2, s[20:21], v0, v0, 1.0
	v_rcp_f32_e32 v3, v2
	v_div_scale_f32 v4, vcc, 1.0, v0, 1.0
	v_mov_b64_e32 v[22:23], v[10:11]
	v_fma_f32 v5, -v2, v3, 1.0
	v_fmac_f32_e32 v3, v5, v3
	v_mul_f32_e32 v5, v4, v3
	v_fma_f32 v12, -v2, v5, v4
	v_fmac_f32_e32 v5, v12, v3
	v_fma_f32 v2, -v2, v5, v4
	v_div_fmas_f32 v12, v2, v3, v5
	ds_read2_b32 v[2:3], v30 offset0:2 offset1:3
	ds_read2_b32 v[4:5], v30 offset0:4 offset1:5
	v_div_fixup_f32 v12, v12, v0, 1.0
	v_cndmask_b32_e64 v0, v0, v12, s[2:3]
	v_mul_f32_e32 v0, v1, v0
	v_mov_b64_e32 v[18:19], v[6:7]
	s_waitcnt lgkmcnt(1)
	v_pk_fma_f32 v[2:3], v[0:1], v[2:3], v[8:9] op_sel_hi:[0,1,1] neg_lo:[1,0,0] neg_hi:[1,0,0]
	v_mov_b64_e32 v[20:21], v[8:9]
	v_mov_b32_e32 v19, v0
	v_mov_b32_e32 v20, v2
	v_mov_b64_e32 v[12:13], v[18:19]
	v_mov_b64_e32 v[14:15], v[20:21]
	s_waitcnt lgkmcnt(0)
	v_pk_fma_f32 v[4:5], v[0:1], v[4:5], v[10:11] op_sel_hi:[0,1,1] neg_lo:[1,0,0] neg_hi:[1,0,0]
	v_mov_b64_e32 v[16:17], v[22:23]
	v_mov_b32_e32 v15, v3
	v_mov_b64_e32 v[6:7], v[12:13]
	v_mov_b64_e32 v[10:11], v[16:17]
	;; [unrolled: 1-line block ×3, first 2 shown]
	v_mov_b32_e32 v10, v4
	v_mov_b32_e32 v11, v5
.LBB10_29:
	s_or_b64 exec, exec, s[18:19]
	v_lshl_add_u32 v0, v33, 2, v30
	s_barrier
	ds_write_b32 v0, v2
	s_waitcnt lgkmcnt(0)
	s_barrier
	ds_read_b32 v16, v30 offset:8
	s_cmp_lt_i32 s22, 4
	v_mov_b32_e32 v0, 2
	s_cbranch_scc1 .LBB10_32
; %bb.30:
	v_mov_b32_e32 v0, 2
	v_add3_u32 v1, v31, 0, 12
	s_mov_b32 s18, 3
.LBB10_31:                              ; =>This Inner Loop Header: Depth=1
	ds_read_b32 v17, v1
	v_mov_b32_e32 v34, s18
	s_add_i32 s18, s18, 1
	v_add_u32_e32 v1, 4, v1
	s_cmp_lg_u32 s22, s18
	s_waitcnt lgkmcnt(0)
	v_cmp_lt_f32_e64 vcc, |v16|, |v17|
	s_nop 1
	v_cndmask_b32_e32 v16, v16, v17, vcc
	v_cndmask_b32_e32 v0, v0, v34, vcc
	s_cbranch_scc1 .LBB10_31
.LBB10_32:
	v_cndmask_b32_e64 v1, 2, 1, s[0:1]
	v_cndmask_b32_e64 v17, 0, 1, s[0:1]
	;; [unrolled: 1-line block ×3, first 2 shown]
	s_waitcnt lgkmcnt(0)
	v_cmp_eq_f32_e32 vcc, 0, v16
	s_and_saveexec_b64 s[0:1], vcc
	s_xor_b64 s[0:1], exec, s[0:1]
; %bb.33:
	v_cmp_ne_u32_e32 vcc, 0, v34
	s_nop 1
	v_cndmask_b32_e32 v34, 3, v34, vcc
; %bb.34:
	s_andn2_saveexec_b64 s[0:1], s[0:1]
	s_cbranch_execz .LBB10_36
; %bb.35:
	v_div_scale_f32 v1, s[2:3], v16, v16, 1.0
	v_rcp_f32_e32 v17, v1
	v_div_scale_f32 v35, vcc, 1.0, v16, 1.0
	v_fma_f32 v36, -v1, v17, 1.0
	v_fmac_f32_e32 v17, v36, v17
	v_mul_f32_e32 v36, v35, v17
	v_fma_f32 v37, -v1, v36, v35
	v_fmac_f32_e32 v36, v37, v17
	v_fma_f32 v1, -v1, v36, v35
	v_div_fmas_f32 v1, v1, v17, v36
	v_div_fixup_f32 v16, v1, v16, 1.0
.LBB10_36:
	s_or_b64 exec, exec, s[0:1]
	v_cmp_ne_u32_e32 vcc, v33, v0
	s_and_saveexec_b64 s[0:1], vcc
	s_xor_b64 s[0:1], exec, s[0:1]
	s_cbranch_execz .LBB10_42
; %bb.37:
	v_cmp_eq_u32_e32 vcc, 2, v33
	s_and_saveexec_b64 s[2:3], vcc
	s_cbranch_execz .LBB10_41
; %bb.38:
	v_cmp_ne_u32_e32 vcc, 2, v0
	s_xor_b64 s[18:19], s[16:17], -1
	s_and_b64 s[20:21], s[18:19], vcc
	s_and_saveexec_b64 s[18:19], s[20:21]
	s_cbranch_execz .LBB10_40
; %bb.39:
	v_ashrrev_i32_e32 v1, 31, v0
	v_lshl_add_u64 v[32:33], v[0:1], 2, v[28:29]
	global_load_dword v1, v[32:33], off
	global_load_dword v17, v[28:29], off offset:8
	s_waitcnt vmcnt(1)
	global_store_dword v[28:29], v1, off offset:8
	s_waitcnt vmcnt(1)
	global_store_dword v[32:33], v17, off
.LBB10_40:
	s_or_b64 exec, exec, s[18:19]
	v_mov_b32_e32 v32, v0
	v_mov_b32_e32 v33, v0
.LBB10_41:
	s_or_b64 exec, exec, s[2:3]
.LBB10_42:
	s_andn2_saveexec_b64 s[0:1], s[0:1]
	s_cbranch_execz .LBB10_44
; %bb.43:
	v_mov_b32_e32 v33, 2
	ds_write2_b32 v30, v9, v10 offset0:3 offset1:4
	ds_write_b32 v30, v5 offset:20
.LBB10_44:
	s_or_b64 exec, exec, s[0:1]
	v_cmp_lt_i32_e32 vcc, 2, v33
	s_waitcnt lgkmcnt(0)
	s_barrier
	s_and_saveexec_b64 s[0:1], vcc
	s_cbranch_execz .LBB10_46
; %bb.45:
	ds_read2_b32 v[0:1], v30 offset0:3 offset1:4
	ds_read_b32 v4, v30 offset:20
	v_mul_f32_e32 v20, v2, v16
	v_mov_b32_e32 v2, v9
	v_mov_b32_e32 v3, v10
	v_mov_b64_e32 v[12:13], v[18:19]
	s_waitcnt lgkmcnt(1)
	v_pk_fma_f32 v[0:1], v[20:21], v[0:1], v[2:3] op_sel_hi:[0,1,1] neg_lo:[1,0,0] neg_hi:[1,0,0]
	v_mov_b64_e32 v[14:15], v[20:21]
	v_mov_b64_e32 v[16:17], v[22:23]
	v_mov_b32_e32 v15, v0
	v_mov_b64_e32 v[6:7], v[12:13]
	s_waitcnt lgkmcnt(0)
	v_fma_f32 v5, -v20, v4, v5
	v_mov_b64_e32 v[10:11], v[16:17]
	v_mov_b64_e32 v[8:9], v[14:15]
	v_mov_b32_e32 v10, v1
	v_mov_b32_e32 v11, v5
	;; [unrolled: 1-line block ×4, first 2 shown]
.LBB10_46:
	s_or_b64 exec, exec, s[0:1]
	v_lshl_add_u32 v0, v33, 2, v30
	s_barrier
	ds_write_b32 v0, v3
	s_waitcnt lgkmcnt(0)
	s_barrier
	ds_read_b32 v2, v30 offset:12
	s_cmp_lt_i32 s22, 5
	v_mov_b32_e32 v0, 3
	s_cbranch_scc1 .LBB10_49
; %bb.47:
	v_add3_u32 v1, v31, 0, 16
	v_mov_b32_e32 v0, 3
	s_mov_b32 s0, 4
.LBB10_48:                              ; =>This Inner Loop Header: Depth=1
	ds_read_b32 v16, v1
	v_mov_b32_e32 v17, s0
	s_add_i32 s0, s0, 1
	v_add_u32_e32 v1, 4, v1
	s_cmp_lg_u32 s22, s0
	s_waitcnt lgkmcnt(0)
	v_cmp_lt_f32_e64 vcc, |v2|, |v16|
	s_nop 1
	v_cndmask_b32_e32 v2, v2, v16, vcc
	v_cndmask_b32_e32 v0, v0, v17, vcc
	s_cbranch_scc1 .LBB10_48
.LBB10_49:
	s_waitcnt lgkmcnt(0)
	v_cmp_eq_f32_e32 vcc, 0, v2
	s_and_saveexec_b64 s[0:1], vcc
	s_xor_b64 s[0:1], exec, s[0:1]
; %bb.50:
	v_cmp_ne_u32_e32 vcc, 0, v34
	s_nop 1
	v_cndmask_b32_e32 v34, 4, v34, vcc
; %bb.51:
	s_andn2_saveexec_b64 s[0:1], s[0:1]
	s_cbranch_execz .LBB10_53
; %bb.52:
	v_div_scale_f32 v1, s[2:3], v2, v2, 1.0
	v_rcp_f32_e32 v16, v1
	v_div_scale_f32 v17, vcc, 1.0, v2, 1.0
	v_fma_f32 v21, -v1, v16, 1.0
	v_fmac_f32_e32 v16, v21, v16
	v_mul_f32_e32 v21, v17, v16
	v_fma_f32 v35, -v1, v21, v17
	v_fmac_f32_e32 v21, v35, v16
	v_fma_f32 v1, -v1, v21, v17
	v_div_fmas_f32 v1, v1, v16, v21
	v_div_fixup_f32 v2, v1, v2, 1.0
.LBB10_53:
	s_or_b64 exec, exec, s[0:1]
	v_cmp_ne_u32_e32 vcc, v33, v0
	s_and_saveexec_b64 s[0:1], vcc
	s_xor_b64 s[0:1], exec, s[0:1]
	s_cbranch_execz .LBB10_59
; %bb.54:
	v_cmp_eq_u32_e32 vcc, 3, v33
	s_and_saveexec_b64 s[2:3], vcc
	s_cbranch_execz .LBB10_58
; %bb.55:
	v_cmp_ne_u32_e32 vcc, 3, v0
	s_xor_b64 s[18:19], s[16:17], -1
	s_and_b64 s[20:21], s[18:19], vcc
	s_and_saveexec_b64 s[18:19], s[20:21]
	s_cbranch_execz .LBB10_57
; %bb.56:
	v_ashrrev_i32_e32 v1, 31, v0
	v_lshl_add_u64 v[16:17], v[0:1], 2, v[28:29]
	global_load_dword v1, v[16:17], off
	global_load_dword v21, v[28:29], off offset:12
	s_waitcnt vmcnt(1)
	global_store_dword v[28:29], v1, off offset:12
	s_waitcnt vmcnt(1)
	global_store_dword v[16:17], v21, off
.LBB10_57:
	s_or_b64 exec, exec, s[18:19]
	v_mov_b32_e32 v32, v0
	v_mov_b32_e32 v33, v0
.LBB10_58:
	s_or_b64 exec, exec, s[2:3]
.LBB10_59:
	s_andn2_saveexec_b64 s[0:1], s[0:1]
; %bb.60:
	v_mov_b32_e32 v33, 3
	ds_write2_b32 v30, v10, v11 offset0:4 offset1:5
; %bb.61:
	s_or_b64 exec, exec, s[0:1]
	v_cmp_lt_i32_e32 vcc, 3, v33
	s_waitcnt lgkmcnt(0)
	s_barrier
	s_and_saveexec_b64 s[0:1], vcc
	s_cbranch_execz .LBB10_63
; %bb.62:
	ds_read2_b32 v[0:1], v30 offset0:4 offset1:5
	v_mul_f32_e32 v2, v3, v2
	v_mov_b32_e32 v21, v2
	v_mov_b64_e32 v[12:13], v[18:19]
	v_mov_b64_e32 v[14:15], v[20:21]
	s_waitcnt lgkmcnt(0)
	v_pk_fma_f32 v[4:5], v[2:3], v[0:1], v[10:11] op_sel_hi:[0,1,1] neg_lo:[1,0,0] neg_hi:[1,0,0]
	v_mov_b64_e32 v[6:7], v[18:19]
	v_mov_b64_e32 v[10:11], v[22:23]
	;; [unrolled: 1-line block ×3, first 2 shown]
	v_mov_b32_e32 v10, v4
	v_mov_b32_e32 v11, v5
	v_mov_b64_e32 v[16:17], v[22:23]
.LBB10_63:
	s_or_b64 exec, exec, s[0:1]
	v_lshl_add_u32 v0, v33, 2, v30
	s_barrier
	ds_write_b32 v0, v4
	s_waitcnt lgkmcnt(0)
	s_barrier
	ds_read_b32 v2, v30 offset:16
	s_cmp_lt_i32 s22, 6
	v_mov_b32_e32 v0, 4
	s_cbranch_scc1 .LBB10_66
; %bb.64:
	v_add3_u32 v1, v31, 0, 20
	v_mov_b32_e32 v0, 4
	s_mov_b32 s0, 5
.LBB10_65:                              ; =>This Inner Loop Header: Depth=1
	ds_read_b32 v3, v1
	v_mov_b32_e32 v16, s0
	s_add_i32 s0, s0, 1
	v_add_u32_e32 v1, 4, v1
	s_cmp_lg_u32 s22, s0
	s_waitcnt lgkmcnt(0)
	v_cmp_lt_f32_e64 vcc, |v2|, |v3|
	s_nop 1
	v_cndmask_b32_e32 v2, v2, v3, vcc
	v_cndmask_b32_e32 v0, v0, v16, vcc
	s_cbranch_scc1 .LBB10_65
.LBB10_66:
	s_waitcnt lgkmcnt(0)
	v_cmp_eq_f32_e32 vcc, 0, v2
	s_and_saveexec_b64 s[0:1], vcc
	s_xor_b64 s[0:1], exec, s[0:1]
; %bb.67:
	v_cmp_ne_u32_e32 vcc, 0, v34
	s_nop 1
	v_cndmask_b32_e32 v34, 5, v34, vcc
; %bb.68:
	s_andn2_saveexec_b64 s[0:1], s[0:1]
	s_cbranch_execz .LBB10_70
; %bb.69:
	v_div_scale_f32 v1, s[2:3], v2, v2, 1.0
	v_rcp_f32_e32 v3, v1
	v_div_scale_f32 v16, vcc, 1.0, v2, 1.0
	v_fma_f32 v17, -v1, v3, 1.0
	v_fmac_f32_e32 v3, v17, v3
	v_mul_f32_e32 v17, v16, v3
	v_fma_f32 v18, -v1, v17, v16
	v_fmac_f32_e32 v17, v18, v3
	v_fma_f32 v1, -v1, v17, v16
	v_div_fmas_f32 v1, v1, v3, v17
	v_div_fixup_f32 v2, v1, v2, 1.0
.LBB10_70:
	s_or_b64 exec, exec, s[0:1]
	v_cmp_ne_u32_e32 vcc, v33, v0
	s_and_saveexec_b64 s[0:1], vcc
	s_xor_b64 s[0:1], exec, s[0:1]
	s_cbranch_execz .LBB10_76
; %bb.71:
	v_cmp_eq_u32_e32 vcc, 4, v33
	s_and_saveexec_b64 s[2:3], vcc
	s_cbranch_execz .LBB10_75
; %bb.72:
	v_cmp_ne_u32_e32 vcc, 4, v0
	s_xor_b64 s[18:19], s[16:17], -1
	s_and_b64 s[20:21], s[18:19], vcc
	s_and_saveexec_b64 s[18:19], s[20:21]
	s_cbranch_execz .LBB10_74
; %bb.73:
	v_ashrrev_i32_e32 v1, 31, v0
	v_lshl_add_u64 v[16:17], v[0:1], 2, v[28:29]
	global_load_dword v1, v[16:17], off
	global_load_dword v3, v[28:29], off offset:16
	s_waitcnt vmcnt(1)
	global_store_dword v[28:29], v1, off offset:16
	s_waitcnt vmcnt(1)
	global_store_dword v[16:17], v3, off
.LBB10_74:
	s_or_b64 exec, exec, s[18:19]
	v_mov_b32_e32 v32, v0
	v_mov_b32_e32 v33, v0
.LBB10_75:
	s_or_b64 exec, exec, s[2:3]
.LBB10_76:
	s_andn2_saveexec_b64 s[0:1], s[0:1]
; %bb.77:
	v_mov_b32_e32 v33, 4
	ds_write_b32 v30, v5 offset:20
; %bb.78:
	s_or_b64 exec, exec, s[0:1]
	v_cmp_lt_i32_e32 vcc, 4, v33
	s_waitcnt lgkmcnt(0)
	s_barrier
	s_and_saveexec_b64 s[0:1], vcc
	s_cbranch_execz .LBB10_80
; %bb.79:
	ds_read_b32 v0, v30 offset:20
	v_mul_f32_e32 v16, v4, v2
	s_waitcnt lgkmcnt(0)
	v_fma_f32 v17, -v16, v0, v5
	v_mov_b64_e32 v[6:7], v[12:13]
	v_mov_b64_e32 v[8:9], v[14:15]
	;; [unrolled: 1-line block ×3, first 2 shown]
	v_mov_b32_e32 v5, v17
.LBB10_80:
	s_or_b64 exec, exec, s[0:1]
	v_lshl_add_u32 v0, v33, 2, v30
	s_barrier
	ds_write_b32 v0, v5
	s_waitcnt lgkmcnt(0)
	s_barrier
	ds_read_b32 v4, v30 offset:20
	s_cmp_lt_i32 s22, 7
	v_mov_b32_e32 v0, 5
	s_cbranch_scc1 .LBB10_83
; %bb.81:
	v_add3_u32 v1, v31, 0, 24
	v_mov_b32_e32 v0, 5
	s_mov_b32 s0, 6
.LBB10_82:                              ; =>This Inner Loop Header: Depth=1
	ds_read_b32 v2, v1
	v_mov_b32_e32 v3, s0
	s_add_i32 s0, s0, 1
	v_add_u32_e32 v1, 4, v1
	s_cmp_lg_u32 s22, s0
	s_waitcnt lgkmcnt(0)
	v_cmp_lt_f32_e64 vcc, |v4|, |v2|
	s_nop 1
	v_cndmask_b32_e32 v4, v4, v2, vcc
	v_cndmask_b32_e32 v0, v0, v3, vcc
	s_cbranch_scc1 .LBB10_82
.LBB10_83:
	s_waitcnt lgkmcnt(0)
	v_cmp_eq_f32_e32 vcc, 0, v4
	s_and_saveexec_b64 s[0:1], vcc
	s_xor_b64 s[0:1], exec, s[0:1]
; %bb.84:
	v_cmp_ne_u32_e32 vcc, 0, v34
	s_nop 1
	v_cndmask_b32_e32 v34, 6, v34, vcc
; %bb.85:
	s_andn2_saveexec_b64 s[0:1], s[0:1]
	s_cbranch_execz .LBB10_87
; %bb.86:
	v_div_scale_f32 v1, s[2:3], v4, v4, 1.0
	v_rcp_f32_e32 v2, v1
	v_div_scale_f32 v3, vcc, 1.0, v4, 1.0
	v_fma_f32 v12, -v1, v2, 1.0
	v_fmac_f32_e32 v2, v12, v2
	v_mul_f32_e32 v12, v3, v2
	v_fma_f32 v13, -v1, v12, v3
	v_fmac_f32_e32 v12, v13, v2
	v_fma_f32 v1, -v1, v12, v3
	v_div_fmas_f32 v1, v1, v2, v12
	v_div_fixup_f32 v4, v1, v4, 1.0
.LBB10_87:
	s_or_b64 exec, exec, s[0:1]
	v_cmp_ne_u32_e32 vcc, v33, v0
	v_mov_b32_e32 v2, 5
	s_and_saveexec_b64 s[0:1], vcc
	s_cbranch_execz .LBB10_93
; %bb.88:
	v_cmp_eq_u32_e32 vcc, 5, v33
	s_and_saveexec_b64 s[2:3], vcc
	s_cbranch_execz .LBB10_92
; %bb.89:
	v_cmp_ne_u32_e32 vcc, 5, v0
	s_xor_b64 s[16:17], s[16:17], -1
	s_and_b64 s[18:19], s[16:17], vcc
	s_and_saveexec_b64 s[16:17], s[18:19]
	s_cbranch_execz .LBB10_91
; %bb.90:
	v_ashrrev_i32_e32 v1, 31, v0
	v_lshl_add_u64 v[2:3], v[0:1], 2, v[28:29]
	global_load_dword v1, v[2:3], off
	global_load_dword v12, v[28:29], off offset:20
	s_waitcnt vmcnt(1)
	global_store_dword v[28:29], v1, off offset:20
	s_waitcnt vmcnt(1)
	global_store_dword v[2:3], v12, off
.LBB10_91:
	s_or_b64 exec, exec, s[16:17]
	v_mov_b32_e32 v32, v0
	v_mov_b32_e32 v33, v0
.LBB10_92:
	s_or_b64 exec, exec, s[2:3]
	v_mov_b32_e32 v2, v33
.LBB10_93:
	s_or_b64 exec, exec, s[0:1]
	v_cmp_gt_i32_e32 vcc, 6, v2
	v_ashrrev_i32_e32 v3, 31, v2
	s_barrier
	s_barrier
	s_and_saveexec_b64 s[0:1], vcc
	s_cbranch_execz .LBB10_95
; %bb.94:
	v_mul_lo_u32 v14, s11, v24
	v_mul_lo_u32 v15, s10, v25
	v_mad_u64_u32 v[12:13], s[2:3], s10, v24, 0
	v_mov_b32_e32 v0, s6
	v_mov_b32_e32 v1, s7
	v_add3_u32 v13, v13, v15, v14
	v_lshl_add_u64 v[0:1], v[12:13], 2, v[0:1]
	v_lshl_add_u64 v[0:1], s[8:9], 2, v[0:1]
	;; [unrolled: 1-line block ×3, first 2 shown]
	v_add3_u32 v12, v32, s13, 1
	global_store_dword v[0:1], v12, off
.LBB10_95:
	s_or_b64 exec, exec, s[0:1]
	v_cmp_eq_u32_e32 vcc, 0, v2
	s_and_saveexec_b64 s[2:3], vcc
	s_cbranch_execz .LBB10_98
; %bb.96:
	v_mov_b32_e32 v0, s4
	v_mov_b32_e32 v1, s5
	v_lshl_add_u64 v[0:1], v[24:25], 2, v[0:1]
	global_load_dword v12, v[0:1], off
	v_cmp_ne_u32_e64 s[0:1], 0, v34
	s_waitcnt vmcnt(0)
	v_cmp_eq_u32_e32 vcc, 0, v12
	s_and_b64 s[0:1], vcc, s[0:1]
	s_and_b64 exec, exec, s[0:1]
	s_cbranch_execz .LBB10_98
; %bb.97:
	v_add_u32_e32 v12, s13, v34
	global_store_dword v[0:1], v12, off
.LBB10_98:
	s_or_b64 exec, exec, s[2:3]
	v_mul_f32_e32 v0, v5, v4
	v_cmp_lt_i32_e32 vcc, 5, v2
	s_nop 1
	v_cndmask_b32_e32 v4, v11, v0, vcc
	v_lshl_add_u64 v[0:1], v[2:3], 2, v[26:27]
	global_store_dword v[0:1], v6, off
	v_lshl_add_u64 v[0:1], s[14:15], 2, v[0:1]
	global_store_dword v[0:1], v7, off
	v_add_u32_e32 v0, s12, v2
	v_ashrrev_i32_e32 v1, 31, v0
	v_lshl_add_u64 v[2:3], v[0:1], 2, v[26:27]
	v_add_u32_e32 v0, s14, v0
	v_ashrrev_i32_e32 v1, 31, v0
	global_store_dword v[2:3], v8, off
	v_lshl_add_u64 v[2:3], v[0:1], 2, v[26:27]
	v_add_u32_e32 v0, s14, v0
	v_ashrrev_i32_e32 v1, 31, v0
	global_store_dword v[2:3], v9, off
	v_lshl_add_u64 v[2:3], v[0:1], 2, v[26:27]
	v_add_u32_e32 v0, s14, v0
	v_ashrrev_i32_e32 v1, 31, v0
	v_lshl_add_u64 v[0:1], v[0:1], 2, v[26:27]
	global_store_dword v[2:3], v10, off
	global_store_dword v[0:1], v4, off
.LBB10_99:
	s_endpgm
	.section	.rodata,"a",@progbits
	.p2align	6, 0x0
	.amdhsa_kernel _ZN9rocsolver6v33100L18getf2_small_kernelILi6EfiiPfEEvT1_T3_lS3_lPS3_llPT2_S3_S3_S5_l
		.amdhsa_group_segment_fixed_size 0
		.amdhsa_private_segment_fixed_size 0
		.amdhsa_kernarg_size 352
		.amdhsa_user_sgpr_count 2
		.amdhsa_user_sgpr_dispatch_ptr 0
		.amdhsa_user_sgpr_queue_ptr 0
		.amdhsa_user_sgpr_kernarg_segment_ptr 1
		.amdhsa_user_sgpr_dispatch_id 0
		.amdhsa_user_sgpr_kernarg_preload_length 0
		.amdhsa_user_sgpr_kernarg_preload_offset 0
		.amdhsa_user_sgpr_private_segment_size 0
		.amdhsa_uses_dynamic_stack 0
		.amdhsa_enable_private_segment 0
		.amdhsa_system_sgpr_workgroup_id_x 1
		.amdhsa_system_sgpr_workgroup_id_y 1
		.amdhsa_system_sgpr_workgroup_id_z 0
		.amdhsa_system_sgpr_workgroup_info 0
		.amdhsa_system_vgpr_workitem_id 1
		.amdhsa_next_free_vgpr 38
		.amdhsa_next_free_sgpr 26
		.amdhsa_accum_offset 40
		.amdhsa_reserve_vcc 1
		.amdhsa_float_round_mode_32 0
		.amdhsa_float_round_mode_16_64 0
		.amdhsa_float_denorm_mode_32 3
		.amdhsa_float_denorm_mode_16_64 3
		.amdhsa_dx10_clamp 1
		.amdhsa_ieee_mode 1
		.amdhsa_fp16_overflow 0
		.amdhsa_tg_split 0
		.amdhsa_exception_fp_ieee_invalid_op 0
		.amdhsa_exception_fp_denorm_src 0
		.amdhsa_exception_fp_ieee_div_zero 0
		.amdhsa_exception_fp_ieee_overflow 0
		.amdhsa_exception_fp_ieee_underflow 0
		.amdhsa_exception_fp_ieee_inexact 0
		.amdhsa_exception_int_div_zero 0
	.end_amdhsa_kernel
	.section	.text._ZN9rocsolver6v33100L18getf2_small_kernelILi6EfiiPfEEvT1_T3_lS3_lPS3_llPT2_S3_S3_S5_l,"axG",@progbits,_ZN9rocsolver6v33100L18getf2_small_kernelILi6EfiiPfEEvT1_T3_lS3_lPS3_llPT2_S3_S3_S5_l,comdat
.Lfunc_end10:
	.size	_ZN9rocsolver6v33100L18getf2_small_kernelILi6EfiiPfEEvT1_T3_lS3_lPS3_llPT2_S3_S3_S5_l, .Lfunc_end10-_ZN9rocsolver6v33100L18getf2_small_kernelILi6EfiiPfEEvT1_T3_lS3_lPS3_llPT2_S3_S3_S5_l
                                        ; -- End function
	.set _ZN9rocsolver6v33100L18getf2_small_kernelILi6EfiiPfEEvT1_T3_lS3_lPS3_llPT2_S3_S3_S5_l.num_vgpr, 38
	.set _ZN9rocsolver6v33100L18getf2_small_kernelILi6EfiiPfEEvT1_T3_lS3_lPS3_llPT2_S3_S3_S5_l.num_agpr, 0
	.set _ZN9rocsolver6v33100L18getf2_small_kernelILi6EfiiPfEEvT1_T3_lS3_lPS3_llPT2_S3_S3_S5_l.numbered_sgpr, 26
	.set _ZN9rocsolver6v33100L18getf2_small_kernelILi6EfiiPfEEvT1_T3_lS3_lPS3_llPT2_S3_S3_S5_l.num_named_barrier, 0
	.set _ZN9rocsolver6v33100L18getf2_small_kernelILi6EfiiPfEEvT1_T3_lS3_lPS3_llPT2_S3_S3_S5_l.private_seg_size, 0
	.set _ZN9rocsolver6v33100L18getf2_small_kernelILi6EfiiPfEEvT1_T3_lS3_lPS3_llPT2_S3_S3_S5_l.uses_vcc, 1
	.set _ZN9rocsolver6v33100L18getf2_small_kernelILi6EfiiPfEEvT1_T3_lS3_lPS3_llPT2_S3_S3_S5_l.uses_flat_scratch, 0
	.set _ZN9rocsolver6v33100L18getf2_small_kernelILi6EfiiPfEEvT1_T3_lS3_lPS3_llPT2_S3_S3_S5_l.has_dyn_sized_stack, 0
	.set _ZN9rocsolver6v33100L18getf2_small_kernelILi6EfiiPfEEvT1_T3_lS3_lPS3_llPT2_S3_S3_S5_l.has_recursion, 0
	.set _ZN9rocsolver6v33100L18getf2_small_kernelILi6EfiiPfEEvT1_T3_lS3_lPS3_llPT2_S3_S3_S5_l.has_indirect_call, 0
	.section	.AMDGPU.csdata,"",@progbits
; Kernel info:
; codeLenInByte = 3552
; TotalNumSgprs: 32
; NumVgprs: 38
; NumAgprs: 0
; TotalNumVgprs: 38
; ScratchSize: 0
; MemoryBound: 0
; FloatMode: 240
; IeeeMode: 1
; LDSByteSize: 0 bytes/workgroup (compile time only)
; SGPRBlocks: 3
; VGPRBlocks: 4
; NumSGPRsForWavesPerEU: 32
; NumVGPRsForWavesPerEU: 38
; AccumOffset: 40
; Occupancy: 8
; WaveLimiterHint : 0
; COMPUTE_PGM_RSRC2:SCRATCH_EN: 0
; COMPUTE_PGM_RSRC2:USER_SGPR: 2
; COMPUTE_PGM_RSRC2:TRAP_HANDLER: 0
; COMPUTE_PGM_RSRC2:TGID_X_EN: 1
; COMPUTE_PGM_RSRC2:TGID_Y_EN: 1
; COMPUTE_PGM_RSRC2:TGID_Z_EN: 0
; COMPUTE_PGM_RSRC2:TIDIG_COMP_CNT: 1
; COMPUTE_PGM_RSRC3_GFX90A:ACCUM_OFFSET: 9
; COMPUTE_PGM_RSRC3_GFX90A:TG_SPLIT: 0
	.section	.text._ZN9rocsolver6v33100L23getf2_npvt_small_kernelILi6EfiiPfEEvT1_T3_lS3_lPT2_S3_S3_,"axG",@progbits,_ZN9rocsolver6v33100L23getf2_npvt_small_kernelILi6EfiiPfEEvT1_T3_lS3_lPT2_S3_S3_,comdat
	.globl	_ZN9rocsolver6v33100L23getf2_npvt_small_kernelILi6EfiiPfEEvT1_T3_lS3_lPT2_S3_S3_ ; -- Begin function _ZN9rocsolver6v33100L23getf2_npvt_small_kernelILi6EfiiPfEEvT1_T3_lS3_lPT2_S3_S3_
	.p2align	8
	.type	_ZN9rocsolver6v33100L23getf2_npvt_small_kernelILi6EfiiPfEEvT1_T3_lS3_lPT2_S3_S3_,@function
_ZN9rocsolver6v33100L23getf2_npvt_small_kernelILi6EfiiPfEEvT1_T3_lS3_lPT2_S3_S3_: ; @_ZN9rocsolver6v33100L23getf2_npvt_small_kernelILi6EfiiPfEEvT1_T3_lS3_lPT2_S3_S3_
; %bb.0:
	s_load_dword s2, s[0:1], 0x44
	s_load_dwordx2 s[10:11], s[0:1], 0x30
	v_bfe_u32 v6, v0, 10, 10
	s_waitcnt lgkmcnt(0)
	s_lshr_b32 s2, s2, 16
	s_mul_i32 s3, s3, s2
	v_add_u32_e32 v28, s3, v6
	v_cmp_gt_i32_e32 vcc, s10, v28
	s_and_saveexec_b64 s[4:5], vcc
	s_cbranch_execz .LBB11_33
; %bb.1:
	s_load_dwordx4 s[12:15], s[0:1], 0x8
	s_load_dword s8, s[0:1], 0x18
	s_load_dwordx4 s[4:7], s[0:1], 0x20
	v_ashrrev_i32_e32 v29, 31, v28
	v_and_b32_e32 v38, 0x3ff, v0
	s_waitcnt lgkmcnt(0)
	v_mov_b32_e32 v2, s12
	v_mov_b32_e32 v3, s13
	v_mul_lo_u32 v4, s5, v28
	v_mul_lo_u32 v5, s4, v29
	v_mad_u64_u32 v[0:1], s[0:1], s4, v28, 0
	v_add3_u32 v1, v1, v5, v4
	v_lshl_add_u64 v[0:1], v[0:1], 2, v[2:3]
	v_lshl_add_u64 v[0:1], s[14:15], 2, v[0:1]
	v_lshlrev_b32_e32 v2, 2, v38
	v_mov_b32_e32 v3, 0
	s_add_i32 s0, s8, s8
	v_lshl_add_u64 v[24:25], v[0:1], 0, v[2:3]
	v_add_u32_e32 v2, s0, v38
	v_ashrrev_i32_e32 v3, 31, v2
	v_lshl_add_u64 v[30:31], v[2:3], 2, v[0:1]
	v_add_u32_e32 v2, s8, v2
	v_ashrrev_i32_e32 v3, 31, v2
	;; [unrolled: 3-line block ×3, first 2 shown]
	v_lshl_add_u64 v[34:35], v[2:3], 2, v[0:1]
	v_add_u32_e32 v2, s8, v2
	s_ashr_i32 s9, s8, 31
	v_ashrrev_i32_e32 v3, 31, v2
	v_lshl_add_u64 v[26:27], s[8:9], 2, v[24:25]
	v_lshl_add_u64 v[36:37], v[2:3], 2, v[0:1]
	global_load_dword v0, v[24:25], off
	global_load_dword v1, v[26:27], off
	;; [unrolled: 1-line block ×6, first 2 shown]
	s_mul_i32 s2, s2, 24
	v_mul_u32_u24_e32 v7, 24, v6
	s_add_i32 s0, s2, 0
	v_lshl_add_u32 v39, v6, 2, s0
	v_cmp_ne_u32_e64 s[2:3], 0, v38
	v_cmp_eq_u32_e64 s[0:1], 0, v38
	v_add_u32_e32 v41, 0, v7
	s_and_saveexec_b64 s[4:5], s[0:1]
	s_cbranch_execz .LBB11_4
; %bb.2:
	s_waitcnt vmcnt(5)
	ds_write_b32 v39, v0
	s_waitcnt vmcnt(3)
	ds_write2_b32 v41, v1, v2 offset0:1 offset1:2
	s_waitcnt vmcnt(1)
	ds_write2_b32 v41, v3, v4 offset0:3 offset1:4
	s_waitcnt vmcnt(0)
	ds_write_b32 v41, v5 offset:20
	ds_read_b32 v6, v39
	s_waitcnt lgkmcnt(0)
	v_cmp_neq_f32_e32 vcc, 0, v6
	s_and_b64 exec, exec, vcc
	s_cbranch_execz .LBB11_4
; %bb.3:
	v_div_scale_f32 v7, s[8:9], v6, v6, 1.0
	v_rcp_f32_e32 v8, v7
	v_div_scale_f32 v9, vcc, 1.0, v6, 1.0
	v_fma_f32 v10, -v7, v8, 1.0
	v_fmac_f32_e32 v8, v10, v8
	v_mul_f32_e32 v10, v9, v8
	v_fma_f32 v11, -v7, v10, v9
	v_fmac_f32_e32 v10, v11, v8
	v_fma_f32 v7, -v7, v10, v9
	v_div_fmas_f32 v7, v7, v8, v10
	v_div_fixup_f32 v6, v7, v6, 1.0
	ds_write_b32 v39, v6
.LBB11_4:
	s_or_b64 exec, exec, s[4:5]
	s_waitcnt lgkmcnt(0)
	s_barrier
	ds_read_b32 v40, v39
	s_waitcnt vmcnt(0)
	v_mov_b64_e32 v[10:11], v[4:5]
	v_mov_b64_e32 v[16:17], v[4:5]
	;; [unrolled: 1-line block ×9, first 2 shown]
	s_and_saveexec_b64 s[4:5], s[2:3]
	s_cbranch_execz .LBB11_6
; %bb.5:
	ds_read2_b32 v[8:9], v41 offset0:1 offset1:2
	s_waitcnt lgkmcnt(1)
	v_mul_f32_e32 v6, v0, v40
	v_mov_b32_e32 v0, v1
	v_mov_b32_e32 v1, v2
	ds_read2_b32 v[10:11], v41 offset0:3 offset1:4
	ds_read_b32 v2, v41 offset:20
	s_waitcnt lgkmcnt(2)
	v_pk_fma_f32 v[42:43], v[6:7], v[8:9], v[0:1] op_sel_hi:[0,1,1] neg_lo:[1,0,0] neg_hi:[1,0,0]
	v_mov_b32_e32 v0, v3
	v_mov_b32_e32 v1, v4
	s_waitcnt lgkmcnt(1)
	v_pk_fma_f32 v[44:45], v[6:7], v[10:11], v[0:1] op_sel_hi:[0,1,1] neg_lo:[1,0,0] neg_hi:[1,0,0]
	s_waitcnt lgkmcnt(0)
	v_fma_f32 v11, -v6, v2, v5
	v_mov_b32_e32 v10, v45
	v_mov_b32_e32 v7, v42
	;; [unrolled: 1-line block ×4, first 2 shown]
	v_mov_b64_e32 v[16:17], v[10:11]
	v_mov_b64_e32 v[22:23], v[10:11]
	;; [unrolled: 1-line block ×6, first 2 shown]
	v_mov_b32_e32 v1, v42
	v_mov_b32_e32 v2, v43
	;; [unrolled: 1-line block ×5, first 2 shown]
.LBB11_6:
	s_or_b64 exec, exec, s[4:5]
	v_cmp_eq_u32_e32 vcc, 1, v38
	s_waitcnt lgkmcnt(0)
	s_barrier
	s_and_saveexec_b64 s[2:3], vcc
	s_cbranch_execz .LBB11_9
; %bb.7:
	ds_write_b32 v39, v1
	ds_write2_b64 v41, v[8:9], v[10:11] offset0:1 offset1:2
	ds_read_b32 v0, v39
	s_waitcnt lgkmcnt(0)
	v_cmp_neq_f32_e32 vcc, 0, v0
	s_and_b64 exec, exec, vcc
	s_cbranch_execz .LBB11_9
; %bb.8:
	v_div_scale_f32 v16, s[4:5], v0, v0, 1.0
	v_rcp_f32_e32 v17, v16
	v_div_scale_f32 v42, vcc, 1.0, v0, 1.0
	v_fma_f32 v43, -v16, v17, 1.0
	v_fmac_f32_e32 v17, v43, v17
	v_mul_f32_e32 v43, v42, v17
	v_fma_f32 v44, -v16, v43, v42
	v_fmac_f32_e32 v43, v44, v17
	v_fma_f32 v16, -v16, v43, v42
	v_div_fmas_f32 v16, v16, v17, v43
	v_div_fixup_f32 v0, v16, v0, 1.0
	ds_write_b32 v39, v0
.LBB11_9:
	s_or_b64 exec, exec, s[2:3]
	s_waitcnt lgkmcnt(0)
	s_barrier
	ds_read_b32 v42, v39
	v_cmp_lt_u32_e32 vcc, 1, v38
	s_and_saveexec_b64 s[2:3], vcc
	s_cbranch_execz .LBB11_11
; %bb.10:
	ds_read2_b64 v[2:5], v41 offset0:1 offset1:2
	v_mov_b64_e32 v[22:23], v[10:11]
	s_waitcnt lgkmcnt(1)
	v_mul_f32_e32 v0, v1, v42
	v_mov_b64_e32 v[18:19], v[6:7]
	v_mov_b64_e32 v[20:21], v[8:9]
	v_mov_b32_e32 v19, v0
	s_waitcnt lgkmcnt(0)
	v_pk_fma_f32 v[2:3], v[0:1], v[2:3], v[8:9] op_sel_hi:[0,1,1] neg_lo:[1,0,0] neg_hi:[1,0,0]
	v_mov_b32_e32 v20, v2
	v_mov_b64_e32 v[12:13], v[18:19]
	v_mov_b64_e32 v[14:15], v[20:21]
	v_pk_fma_f32 v[4:5], v[0:1], v[4:5], v[10:11] op_sel_hi:[0,1,1] neg_lo:[1,0,0] neg_hi:[1,0,0]
	v_mov_b64_e32 v[16:17], v[22:23]
	v_mov_b32_e32 v15, v3
	v_mov_b64_e32 v[6:7], v[12:13]
	v_mov_b64_e32 v[10:11], v[16:17]
	;; [unrolled: 1-line block ×3, first 2 shown]
	v_mov_b32_e32 v10, v4
	v_mov_b32_e32 v11, v5
.LBB11_11:
	s_or_b64 exec, exec, s[2:3]
	v_cmp_eq_u32_e32 vcc, 2, v38
	s_waitcnt lgkmcnt(0)
	s_barrier
	s_and_saveexec_b64 s[2:3], vcc
	s_cbranch_execz .LBB11_14
; %bb.12:
	ds_write_b32 v39, v2
	ds_write2_b32 v41, v9, v10 offset0:3 offset1:4
	ds_write_b32 v41, v5 offset:20
	ds_read_b32 v0, v39
	s_waitcnt lgkmcnt(0)
	v_cmp_neq_f32_e32 vcc, 0, v0
	s_and_b64 exec, exec, vcc
	s_cbranch_execz .LBB11_14
; %bb.13:
	v_div_scale_f32 v1, s[4:5], v0, v0, 1.0
	v_rcp_f32_e32 v16, v1
	v_div_scale_f32 v17, vcc, 1.0, v0, 1.0
	v_fma_f32 v43, -v1, v16, 1.0
	v_fmac_f32_e32 v16, v43, v16
	v_mul_f32_e32 v43, v17, v16
	v_fma_f32 v44, -v1, v43, v17
	v_fmac_f32_e32 v43, v44, v16
	v_fma_f32 v1, -v1, v43, v17
	v_div_fmas_f32 v1, v1, v16, v43
	v_div_fixup_f32 v0, v1, v0, 1.0
	ds_write_b32 v39, v0
.LBB11_14:
	s_or_b64 exec, exec, s[2:3]
	s_waitcnt lgkmcnt(0)
	s_barrier
	ds_read_b32 v43, v39
	v_cmp_lt_u32_e32 vcc, 2, v38
	s_and_saveexec_b64 s[2:3], vcc
	s_cbranch_execz .LBB11_16
; %bb.15:
	ds_read2_b32 v[0:1], v41 offset0:3 offset1:4
	ds_read_b32 v4, v41 offset:20
	s_waitcnt lgkmcnt(2)
	v_mul_f32_e32 v20, v2, v43
	v_mov_b32_e32 v2, v9
	v_mov_b32_e32 v3, v10
	v_mov_b64_e32 v[12:13], v[18:19]
	s_waitcnt lgkmcnt(1)
	v_pk_fma_f32 v[0:1], v[20:21], v[0:1], v[2:3] op_sel_hi:[0,1,1] neg_lo:[1,0,0] neg_hi:[1,0,0]
	v_mov_b64_e32 v[14:15], v[20:21]
	v_mov_b64_e32 v[16:17], v[22:23]
	v_mov_b32_e32 v15, v0
	v_mov_b64_e32 v[6:7], v[12:13]
	s_waitcnt lgkmcnt(0)
	v_fma_f32 v5, -v20, v4, v5
	v_mov_b64_e32 v[10:11], v[16:17]
	v_mov_b64_e32 v[8:9], v[14:15]
	v_mov_b32_e32 v10, v1
	v_mov_b32_e32 v11, v5
	;; [unrolled: 1-line block ×4, first 2 shown]
.LBB11_16:
	s_or_b64 exec, exec, s[2:3]
	v_cmp_eq_u32_e32 vcc, 3, v38
	s_waitcnt lgkmcnt(0)
	s_barrier
	s_and_saveexec_b64 s[2:3], vcc
	s_cbranch_execz .LBB11_19
; %bb.17:
	ds_write_b32 v39, v3
	ds_write_b64 v41, v[10:11] offset:16
	ds_read_b32 v0, v39
	s_waitcnt lgkmcnt(0)
	v_cmp_neq_f32_e32 vcc, 0, v0
	s_and_b64 exec, exec, vcc
	s_cbranch_execz .LBB11_19
; %bb.18:
	v_div_scale_f32 v1, s[4:5], v0, v0, 1.0
	v_rcp_f32_e32 v2, v1
	v_div_scale_f32 v16, vcc, 1.0, v0, 1.0
	v_fma_f32 v17, -v1, v2, 1.0
	v_fmac_f32_e32 v2, v17, v2
	v_mul_f32_e32 v17, v16, v2
	v_fma_f32 v21, -v1, v17, v16
	v_fmac_f32_e32 v17, v21, v2
	v_fma_f32 v1, -v1, v17, v16
	v_div_fmas_f32 v1, v1, v2, v17
	v_div_fixup_f32 v0, v1, v0, 1.0
	ds_write_b32 v39, v0
.LBB11_19:
	s_or_b64 exec, exec, s[2:3]
	s_waitcnt lgkmcnt(0)
	s_barrier
	ds_read_b32 v2, v39
	v_cmp_lt_u32_e32 vcc, 3, v38
	s_and_saveexec_b64 s[2:3], vcc
	s_cbranch_execz .LBB11_21
; %bb.20:
	ds_read_b64 v[0:1], v41 offset:16
	s_waitcnt lgkmcnt(1)
	v_mul_f32_e32 v4, v3, v2
	v_mov_b32_e32 v21, v4
	v_mov_b64_e32 v[12:13], v[18:19]
	v_mov_b64_e32 v[14:15], v[20:21]
	s_waitcnt lgkmcnt(0)
	v_pk_fma_f32 v[4:5], v[4:5], v[0:1], v[10:11] op_sel_hi:[0,1,1] neg_lo:[1,0,0] neg_hi:[1,0,0]
	v_mov_b64_e32 v[6:7], v[18:19]
	v_mov_b64_e32 v[10:11], v[22:23]
	v_mov_b64_e32 v[8:9], v[20:21]
	v_mov_b32_e32 v10, v4
	v_mov_b32_e32 v11, v5
	v_mov_b64_e32 v[16:17], v[22:23]
.LBB11_21:
	s_or_b64 exec, exec, s[2:3]
	v_cmp_eq_u32_e32 vcc, 4, v38
	s_waitcnt lgkmcnt(0)
	s_barrier
	s_and_saveexec_b64 s[2:3], vcc
	s_cbranch_execz .LBB11_24
; %bb.22:
	ds_write_b32 v39, v4
	ds_write_b32 v41, v5 offset:20
	ds_read_b32 v0, v39
	s_waitcnt lgkmcnt(0)
	v_cmp_neq_f32_e32 vcc, 0, v0
	s_and_b64 exec, exec, vcc
	s_cbranch_execz .LBB11_24
; %bb.23:
	v_div_scale_f32 v1, s[4:5], v0, v0, 1.0
	v_rcp_f32_e32 v3, v1
	v_div_scale_f32 v16, vcc, 1.0, v0, 1.0
	v_fma_f32 v17, -v1, v3, 1.0
	v_fmac_f32_e32 v3, v17, v3
	v_mul_f32_e32 v17, v16, v3
	v_fma_f32 v18, -v1, v17, v16
	v_fmac_f32_e32 v17, v18, v3
	v_fma_f32 v1, -v1, v17, v16
	v_div_fmas_f32 v1, v1, v3, v17
	v_div_fixup_f32 v0, v1, v0, 1.0
	ds_write_b32 v39, v0
.LBB11_24:
	s_or_b64 exec, exec, s[2:3]
	s_waitcnt lgkmcnt(0)
	s_barrier
	ds_read_b32 v3, v39
	v_cmp_lt_u32_e32 vcc, 4, v38
	s_and_saveexec_b64 s[2:3], vcc
	s_cbranch_execz .LBB11_26
; %bb.25:
	ds_read_b32 v0, v41 offset:20
	s_waitcnt lgkmcnt(1)
	v_mul_f32_e32 v16, v4, v3
	s_waitcnt lgkmcnt(0)
	v_fma_f32 v17, -v16, v0, v5
	v_mov_b64_e32 v[6:7], v[12:13]
	v_mov_b64_e32 v[8:9], v[14:15]
	;; [unrolled: 1-line block ×3, first 2 shown]
	v_mov_b32_e32 v5, v17
.LBB11_26:
	s_or_b64 exec, exec, s[2:3]
	v_cmp_eq_u32_e32 vcc, 5, v38
	s_waitcnt lgkmcnt(0)
	s_barrier
	s_and_saveexec_b64 s[2:3], vcc
	s_cbranch_execz .LBB11_29
; %bb.27:
	v_cmp_neq_f32_e32 vcc, 0, v5
	ds_write_b32 v39, v5
	s_and_b64 exec, exec, vcc
	s_cbranch_execz .LBB11_29
; %bb.28:
	v_div_scale_f32 v0, s[4:5], v5, v5, 1.0
	v_rcp_f32_e32 v1, v0
	v_div_scale_f32 v4, vcc, 1.0, v5, 1.0
	v_fma_f32 v12, -v0, v1, 1.0
	v_fmac_f32_e32 v1, v12, v1
	v_mul_f32_e32 v12, v4, v1
	v_fma_f32 v13, -v0, v12, v4
	v_fmac_f32_e32 v12, v13, v1
	v_fma_f32 v0, -v0, v12, v4
	v_div_fmas_f32 v0, v0, v1, v12
	v_div_fixup_f32 v0, v0, v5, 1.0
	ds_write_b32 v39, v0
.LBB11_29:
	s_or_b64 exec, exec, s[2:3]
	s_waitcnt lgkmcnt(0)
	s_barrier
	ds_read_b32 v4, v39
	s_waitcnt lgkmcnt(0)
	s_barrier
	s_and_saveexec_b64 s[12:13], s[0:1]
	s_cbranch_execz .LBB11_32
; %bb.30:
	v_mov_b32_e32 v0, s6
	v_mov_b32_e32 v1, s7
	v_lshl_add_u64 v[0:1], v[28:29], 2, v[0:1]
	global_load_dword v12, v[0:1], off
	v_cmp_eq_f32_e32 vcc, 0, v40
	v_cmp_neq_f32_e64 s[0:1], 0, v42
	v_cmp_eq_f32_e64 s[4:5], 0, v2
	v_cndmask_b32_e64 v13, 0, 1, vcc
	s_or_b64 vcc, s[0:1], vcc
	v_cndmask_b32_e32 v2, 2, v13, vcc
	v_cmp_eq_f32_e64 s[2:3], 0, v43
	v_cmp_eq_u32_e32 vcc, 0, v2
	s_and_b64 s[0:1], s[2:3], vcc
	v_cndmask_b32_e64 v2, v2, 3, s[0:1]
	v_cmp_eq_u32_e32 vcc, 0, v2
	s_and_b64 s[0:1], s[4:5], vcc
	v_cndmask_b32_e64 v2, v2, 4, s[0:1]
	v_cmp_eq_f32_e64 s[6:7], 0, v3
	v_cmp_eq_u32_e32 vcc, 0, v2
	s_and_b64 s[0:1], s[6:7], vcc
	v_cndmask_b32_e64 v2, v2, 5, s[0:1]
	v_cmp_eq_f32_e64 s[8:9], 0, v4
	v_cmp_eq_u32_e32 vcc, 0, v2
	s_and_b64 s[0:1], s[8:9], vcc
	v_cndmask_b32_e64 v2, v2, 6, s[0:1]
	v_cmp_ne_u32_e64 s[0:1], 0, v2
	s_waitcnt vmcnt(0)
	v_cmp_eq_u32_e32 vcc, 0, v12
	s_and_b64 s[0:1], vcc, s[0:1]
	s_and_b64 exec, exec, s[0:1]
	s_cbranch_execz .LBB11_32
; %bb.31:
	v_add_u32_e32 v2, s11, v2
	global_store_dword v[0:1], v2, off
.LBB11_32:
	s_or_b64 exec, exec, s[12:13]
	v_mul_f32_e32 v0, v5, v4
	v_cmp_lt_u32_e32 vcc, 5, v38
	s_nop 1
	v_cndmask_b32_e32 v0, v11, v0, vcc
	global_store_dword v[24:25], v6, off
	global_store_dword v[26:27], v7, off
	;; [unrolled: 1-line block ×6, first 2 shown]
.LBB11_33:
	s_endpgm
	.section	.rodata,"a",@progbits
	.p2align	6, 0x0
	.amdhsa_kernel _ZN9rocsolver6v33100L23getf2_npvt_small_kernelILi6EfiiPfEEvT1_T3_lS3_lPT2_S3_S3_
		.amdhsa_group_segment_fixed_size 0
		.amdhsa_private_segment_fixed_size 0
		.amdhsa_kernarg_size 312
		.amdhsa_user_sgpr_count 2
		.amdhsa_user_sgpr_dispatch_ptr 0
		.amdhsa_user_sgpr_queue_ptr 0
		.amdhsa_user_sgpr_kernarg_segment_ptr 1
		.amdhsa_user_sgpr_dispatch_id 0
		.amdhsa_user_sgpr_kernarg_preload_length 0
		.amdhsa_user_sgpr_kernarg_preload_offset 0
		.amdhsa_user_sgpr_private_segment_size 0
		.amdhsa_uses_dynamic_stack 0
		.amdhsa_enable_private_segment 0
		.amdhsa_system_sgpr_workgroup_id_x 1
		.amdhsa_system_sgpr_workgroup_id_y 1
		.amdhsa_system_sgpr_workgroup_id_z 0
		.amdhsa_system_sgpr_workgroup_info 0
		.amdhsa_system_vgpr_workitem_id 1
		.amdhsa_next_free_vgpr 46
		.amdhsa_next_free_sgpr 16
		.amdhsa_accum_offset 48
		.amdhsa_reserve_vcc 1
		.amdhsa_float_round_mode_32 0
		.amdhsa_float_round_mode_16_64 0
		.amdhsa_float_denorm_mode_32 3
		.amdhsa_float_denorm_mode_16_64 3
		.amdhsa_dx10_clamp 1
		.amdhsa_ieee_mode 1
		.amdhsa_fp16_overflow 0
		.amdhsa_tg_split 0
		.amdhsa_exception_fp_ieee_invalid_op 0
		.amdhsa_exception_fp_denorm_src 0
		.amdhsa_exception_fp_ieee_div_zero 0
		.amdhsa_exception_fp_ieee_overflow 0
		.amdhsa_exception_fp_ieee_underflow 0
		.amdhsa_exception_fp_ieee_inexact 0
		.amdhsa_exception_int_div_zero 0
	.end_amdhsa_kernel
	.section	.text._ZN9rocsolver6v33100L23getf2_npvt_small_kernelILi6EfiiPfEEvT1_T3_lS3_lPT2_S3_S3_,"axG",@progbits,_ZN9rocsolver6v33100L23getf2_npvt_small_kernelILi6EfiiPfEEvT1_T3_lS3_lPT2_S3_S3_,comdat
.Lfunc_end11:
	.size	_ZN9rocsolver6v33100L23getf2_npvt_small_kernelILi6EfiiPfEEvT1_T3_lS3_lPT2_S3_S3_, .Lfunc_end11-_ZN9rocsolver6v33100L23getf2_npvt_small_kernelILi6EfiiPfEEvT1_T3_lS3_lPT2_S3_S3_
                                        ; -- End function
	.set _ZN9rocsolver6v33100L23getf2_npvt_small_kernelILi6EfiiPfEEvT1_T3_lS3_lPT2_S3_S3_.num_vgpr, 46
	.set _ZN9rocsolver6v33100L23getf2_npvt_small_kernelILi6EfiiPfEEvT1_T3_lS3_lPT2_S3_S3_.num_agpr, 0
	.set _ZN9rocsolver6v33100L23getf2_npvt_small_kernelILi6EfiiPfEEvT1_T3_lS3_lPT2_S3_S3_.numbered_sgpr, 16
	.set _ZN9rocsolver6v33100L23getf2_npvt_small_kernelILi6EfiiPfEEvT1_T3_lS3_lPT2_S3_S3_.num_named_barrier, 0
	.set _ZN9rocsolver6v33100L23getf2_npvt_small_kernelILi6EfiiPfEEvT1_T3_lS3_lPT2_S3_S3_.private_seg_size, 0
	.set _ZN9rocsolver6v33100L23getf2_npvt_small_kernelILi6EfiiPfEEvT1_T3_lS3_lPT2_S3_S3_.uses_vcc, 1
	.set _ZN9rocsolver6v33100L23getf2_npvt_small_kernelILi6EfiiPfEEvT1_T3_lS3_lPT2_S3_S3_.uses_flat_scratch, 0
	.set _ZN9rocsolver6v33100L23getf2_npvt_small_kernelILi6EfiiPfEEvT1_T3_lS3_lPT2_S3_S3_.has_dyn_sized_stack, 0
	.set _ZN9rocsolver6v33100L23getf2_npvt_small_kernelILi6EfiiPfEEvT1_T3_lS3_lPT2_S3_S3_.has_recursion, 0
	.set _ZN9rocsolver6v33100L23getf2_npvt_small_kernelILi6EfiiPfEEvT1_T3_lS3_lPT2_S3_S3_.has_indirect_call, 0
	.section	.AMDGPU.csdata,"",@progbits
; Kernel info:
; codeLenInByte = 2136
; TotalNumSgprs: 22
; NumVgprs: 46
; NumAgprs: 0
; TotalNumVgprs: 46
; ScratchSize: 0
; MemoryBound: 0
; FloatMode: 240
; IeeeMode: 1
; LDSByteSize: 0 bytes/workgroup (compile time only)
; SGPRBlocks: 2
; VGPRBlocks: 5
; NumSGPRsForWavesPerEU: 22
; NumVGPRsForWavesPerEU: 46
; AccumOffset: 48
; Occupancy: 8
; WaveLimiterHint : 0
; COMPUTE_PGM_RSRC2:SCRATCH_EN: 0
; COMPUTE_PGM_RSRC2:USER_SGPR: 2
; COMPUTE_PGM_RSRC2:TRAP_HANDLER: 0
; COMPUTE_PGM_RSRC2:TGID_X_EN: 1
; COMPUTE_PGM_RSRC2:TGID_Y_EN: 1
; COMPUTE_PGM_RSRC2:TGID_Z_EN: 0
; COMPUTE_PGM_RSRC2:TIDIG_COMP_CNT: 1
; COMPUTE_PGM_RSRC3_GFX90A:ACCUM_OFFSET: 11
; COMPUTE_PGM_RSRC3_GFX90A:TG_SPLIT: 0
	.section	.text._ZN9rocsolver6v33100L18getf2_small_kernelILi7EfiiPfEEvT1_T3_lS3_lPS3_llPT2_S3_S3_S5_l,"axG",@progbits,_ZN9rocsolver6v33100L18getf2_small_kernelILi7EfiiPfEEvT1_T3_lS3_lPS3_llPT2_S3_S3_S5_l,comdat
	.globl	_ZN9rocsolver6v33100L18getf2_small_kernelILi7EfiiPfEEvT1_T3_lS3_lPS3_llPT2_S3_S3_S5_l ; -- Begin function _ZN9rocsolver6v33100L18getf2_small_kernelILi7EfiiPfEEvT1_T3_lS3_lPS3_llPT2_S3_S3_S5_l
	.p2align	8
	.type	_ZN9rocsolver6v33100L18getf2_small_kernelILi7EfiiPfEEvT1_T3_lS3_lPS3_llPT2_S3_S3_S5_l,@function
_ZN9rocsolver6v33100L18getf2_small_kernelILi7EfiiPfEEvT1_T3_lS3_lPS3_llPT2_S3_S3_S5_l: ; @_ZN9rocsolver6v33100L18getf2_small_kernelILi7EfiiPfEEvT1_T3_lS3_lPS3_llPT2_S3_S3_S5_l
; %bb.0:
	s_load_dword s2, s[0:1], 0x6c
	s_load_dwordx2 s[12:13], s[0:1], 0x48
	v_bfe_u32 v7, v0, 10, 10
	s_waitcnt lgkmcnt(0)
	s_lshr_b32 s2, s2, 16
	s_mul_i32 s3, s3, s2
	v_add_u32_e32 v42, s3, v7
	v_cmp_gt_i32_e32 vcc, s12, v42
	s_and_saveexec_b64 s[2:3], vcc
	s_cbranch_execz .LBB12_116
; %bb.1:
	s_load_dwordx4 s[4:7], s[0:1], 0x50
	v_ashrrev_i32_e32 v43, 31, v42
	v_mov_b64_e32 v[44:45], 0
	s_waitcnt lgkmcnt(0)
	s_cmp_eq_u64 s[4:5], 0
	s_cselect_b64 s[16:17], -1, 0
	s_and_b64 vcc, exec, s[16:17]
	s_cbranch_vccnz .LBB12_3
; %bb.2:
	v_mul_lo_u32 v1, s7, v42
	v_mul_lo_u32 v4, s6, v43
	v_mad_u64_u32 v[2:3], s[2:3], s6, v42, 0
	v_add3_u32 v3, v3, v4, v1
	v_lshl_add_u64 v[44:45], v[2:3], 2, s[4:5]
.LBB12_3:
	s_load_dwordx4 s[20:23], s[0:1], 0x8
	s_load_dwordx8 s[4:11], s[0:1], 0x20
	s_load_dword s14, s[0:1], 0x18
	v_and_b32_e32 v10, 0x3ff, v0
	v_lshlrev_b32_e32 v8, 2, v10
	s_waitcnt lgkmcnt(0)
	v_mov_b32_e32 v2, s20
	v_mul_lo_u32 v1, s5, v42
	v_mul_lo_u32 v6, s4, v43
	v_mad_u64_u32 v[4:5], s[2:3], s4, v42, 0
	v_mov_b32_e32 v3, s21
	v_add3_u32 v5, v5, v6, v1
	v_lshl_add_u64 v[2:3], v[4:5], 2, v[2:3]
	v_lshl_add_u64 v[40:41], s[22:23], 2, v[2:3]
	v_mov_b32_e32 v9, 0
	v_lshl_add_u64 v[2:3], v[40:41], 0, v[8:9]
	s_ashr_i32 s15, s14, 31
	s_add_i32 s12, s14, s14
	global_load_dword v0, v[2:3], off
	v_lshl_add_u64 v[12:13], s[14:15], 2, v[2:3]
	v_add_u32_e32 v2, s12, v10
	v_ashrrev_i32_e32 v3, 31, v2
	v_lshl_add_u64 v[14:15], v[2:3], 2, v[40:41]
	v_add_u32_e32 v2, s14, v2
	v_ashrrev_i32_e32 v3, 31, v2
	;; [unrolled: 3-line block ×5, first 2 shown]
	v_lshl_add_u64 v[22:23], v[2:3], 2, v[40:41]
	global_load_dword v1, v[12:13], off
	global_load_dword v2, v[14:15], off
	;; [unrolled: 1-line block ×6, first 2 shown]
	s_load_dword s22, s[0:1], 0x0
	s_load_dwordx2 s[4:5], s[0:1], 0x40
	s_waitcnt lgkmcnt(0)
	s_max_i32 s0, s22, 7
	v_mul_lo_u32 v11, s0, v7
	v_lshl_add_u32 v7, v11, 2, 0
	v_add_u32_e32 v8, v7, v8
	s_cmp_lt_i32 s22, 2
	v_lshlrev_b32_e32 v15, 2, v11
	s_waitcnt vmcnt(6)
	ds_write_b32 v8, v0
	s_waitcnt lgkmcnt(0)
	s_barrier
	ds_read_b32 v39, v7
	s_cbranch_scc1 .LBB12_6
; %bb.4:
	v_add3_u32 v8, v15, 0, 4
	v_mov_b32_e32 v9, 0
	s_mov_b32 s0, 1
.LBB12_5:                               ; =>This Inner Loop Header: Depth=1
	ds_read_b32 v11, v8
	v_mov_b32_e32 v12, s0
	s_add_i32 s0, s0, 1
	v_add_u32_e32 v8, 4, v8
	s_cmp_eq_u32 s22, s0
	s_waitcnt lgkmcnt(0)
	v_cmp_lt_f32_e64 vcc, |v39|, |v11|
	s_nop 1
	v_cndmask_b32_e32 v39, v39, v11, vcc
	v_cndmask_b32_e32 v9, v9, v12, vcc
	s_cbranch_scc0 .LBB12_5
.LBB12_6:
	v_cmp_ne_u32_e32 vcc, v10, v9
                                        ; implicit-def: $vgpr31
	s_and_saveexec_b64 s[0:1], vcc
	s_xor_b64 s[0:1], exec, s[0:1]
	s_cbranch_execz .LBB12_12
; %bb.7:
	v_cmp_eq_u32_e32 vcc, 0, v10
	s_and_saveexec_b64 s[2:3], vcc
	s_cbranch_execz .LBB12_11
; %bb.8:
	v_cmp_ne_u32_e32 vcc, 0, v9
	s_xor_b64 s[18:19], s[16:17], -1
	s_and_b64 s[20:21], s[18:19], vcc
	s_and_saveexec_b64 s[18:19], s[20:21]
	s_cbranch_execz .LBB12_10
; %bb.9:
	v_ashrrev_i32_e32 v11, 31, v9
	v_mov_b32_e32 v10, v9
	v_lshl_add_u64 v[10:11], v[10:11], 2, v[44:45]
	global_load_dword v8, v[10:11], off
	global_load_dword v12, v[44:45], off
	s_waitcnt vmcnt(1)
	global_store_dword v[44:45], v8, off
	s_waitcnt vmcnt(1)
	global_store_dword v[10:11], v12, off
.LBB12_10:
	s_or_b64 exec, exec, s[18:19]
	v_mov_b32_e32 v10, v9
.LBB12_11:
	s_or_b64 exec, exec, s[2:3]
	v_mov_b32_e32 v31, v10
                                        ; implicit-def: $vgpr10
.LBB12_12:
	s_or_saveexec_b64 s[0:1], s[0:1]
	v_mov_b32_e32 v23, v31
	s_xor_b64 exec, exec, s[0:1]
	s_cbranch_execz .LBB12_14
; %bb.13:
	v_mov_b32_e32 v31, 0
	v_mov_b32_e32 v23, v10
	s_waitcnt vmcnt(4)
	ds_write2_b32 v7, v1, v2 offset0:1 offset1:2
	s_waitcnt vmcnt(2)
	ds_write2_b32 v7, v3, v4 offset0:3 offset1:4
	;; [unrolled: 2-line block ×3, first 2 shown]
.LBB12_14:
	s_or_b64 exec, exec, s[0:1]
	s_waitcnt vmcnt(0)
	v_mov_b32_e32 v14, v6
	v_mov_b32_e32 v22, v6
	;; [unrolled: 1-line block ×4, first 2 shown]
	s_waitcnt lgkmcnt(0)
	v_cmp_eq_f32_e64 s[0:1], 0, v39
	v_cmp_lt_i32_e32 vcc, 0, v31
	v_mov_b32_e32 v13, v5
	v_mov_b32_e32 v12, v4
	;; [unrolled: 1-line block ×22, first 2 shown]
	s_barrier
	v_mov_b32_e32 v21, v5
	v_mov_b32_e32 v28, v4
	s_and_saveexec_b64 s[2:3], vcc
	s_cbranch_execz .LBB12_16
; %bb.15:
	v_div_scale_f32 v8, s[18:19], v39, v39, 1.0
	v_rcp_f32_e32 v9, v8
	v_div_scale_f32 v10, vcc, 1.0, v39, 1.0
	v_fma_f32 v11, -v8, v9, 1.0
	v_fmac_f32_e32 v9, v11, v9
	v_mul_f32_e32 v11, v10, v9
	v_fma_f32 v12, -v8, v11, v10
	v_fmac_f32_e32 v11, v12, v9
	v_fma_f32 v8, -v8, v11, v10
	v_div_fmas_f32 v8, v8, v9, v11
	ds_read2_b32 v[10:11], v7 offset0:1 offset1:2
	v_div_fixup_f32 v8, v8, v39, 1.0
	ds_read2_b32 v[12:13], v7 offset0:3 offset1:4
	ds_read2_b32 v[16:17], v7 offset0:5 offset1:6
	v_cndmask_b32_e64 v8, v8, v39, s[0:1]
	v_mul_f32_e32 v8, v0, v8
	v_mov_b32_e32 v0, v1
	v_mov_b32_e32 v1, v2
	s_waitcnt lgkmcnt(2)
	v_pk_fma_f32 v[46:47], v[8:9], v[10:11], v[0:1] op_sel_hi:[0,1,1] neg_lo:[1,0,0] neg_hi:[1,0,0]
	v_mov_b32_e32 v0, v3
	v_mov_b32_e32 v1, v4
	s_waitcnt lgkmcnt(1)
	v_pk_fma_f32 v[48:49], v[8:9], v[12:13], v[0:1] op_sel_hi:[0,1,1] neg_lo:[1,0,0] neg_hi:[1,0,0]
	;; [unrolled: 4-line block ×3, first 2 shown]
	v_mov_b32_e32 v14, v51
	v_mov_b32_e32 v9, v46
	;; [unrolled: 1-line block ×33, first 2 shown]
.LBB12_16:
	s_or_b64 exec, exec, s[2:3]
	v_lshl_add_u32 v0, v31, 2, v7
	s_barrier
	ds_write_b32 v0, v1
	s_waitcnt lgkmcnt(0)
	s_barrier
	ds_read_b32 v0, v7 offset:4
	s_mov_b32 s2, 2
	s_cmp_lt_i32 s22, 3
	v_mov_b32_e32 v22, 1
	s_cbranch_scc1 .LBB12_19
; %bb.17:
	v_add3_u32 v21, v15, 0, 8
	v_mov_b32_e32 v22, 1
.LBB12_18:                              ; =>This Inner Loop Header: Depth=1
	ds_read_b32 v28, v21
	v_mov_b32_e32 v39, s2
	s_add_i32 s2, s2, 1
	v_add_u32_e32 v21, 4, v21
	s_cmp_lg_u32 s22, s2
	s_waitcnt lgkmcnt(0)
	v_cmp_lt_f32_e64 vcc, |v0|, |v28|
	s_nop 1
	v_cndmask_b32_e32 v0, v0, v28, vcc
	v_cndmask_b32_e32 v22, v22, v39, vcc
	s_cbranch_scc1 .LBB12_18
.LBB12_19:
	v_cmp_ne_u32_e32 vcc, v31, v22
	s_and_saveexec_b64 s[2:3], vcc
	s_xor_b64 s[2:3], exec, s[2:3]
	s_cbranch_execz .LBB12_25
; %bb.20:
	v_cmp_eq_u32_e32 vcc, 1, v31
	s_and_saveexec_b64 s[18:19], vcc
	s_cbranch_execz .LBB12_24
; %bb.21:
	v_cmp_ne_u32_e32 vcc, 1, v22
	s_xor_b64 s[20:21], s[16:17], -1
	s_and_b64 s[24:25], s[20:21], vcc
	s_and_saveexec_b64 s[20:21], s[24:25]
	s_cbranch_execz .LBB12_23
; %bb.22:
	v_ashrrev_i32_e32 v23, 31, v22
	v_lshl_add_u64 v[46:47], v[22:23], 2, v[44:45]
	global_load_dword v21, v[46:47], off
	global_load_dword v23, v[44:45], off offset:4
	s_waitcnt vmcnt(1)
	global_store_dword v[44:45], v21, off offset:4
	s_waitcnt vmcnt(1)
	global_store_dword v[46:47], v23, off
.LBB12_23:
	s_or_b64 exec, exec, s[20:21]
	v_mov_b32_e32 v23, v22
	v_mov_b32_e32 v31, v22
.LBB12_24:
	s_or_b64 exec, exec, s[18:19]
.LBB12_25:
	s_andn2_saveexec_b64 s[2:3], s[2:3]
	s_cbranch_execz .LBB12_27
; %bb.26:
	v_mov_b32_e32 v31, 1
	ds_write2_b32 v7, v10, v11 offset0:2 offset1:3
	ds_write2_b32 v7, v12, v13 offset0:4 offset1:5
	ds_write_b32 v7, v6 offset:24
.LBB12_27:
	s_or_b64 exec, exec, s[2:3]
	s_waitcnt lgkmcnt(0)
	v_cmp_neq_f32_e64 s[2:3], 0, v0
	v_cmp_lt_i32_e32 vcc, 1, v31
	s_barrier
	s_and_saveexec_b64 s[18:19], vcc
	s_cbranch_execz .LBB12_29
; %bb.28:
	v_div_scale_f32 v2, s[20:21], v0, v0, 1.0
	v_rcp_f32_e32 v3, v2
	v_div_scale_f32 v4, vcc, 1.0, v0, 1.0
	v_mov_b32_e32 v38, v14
	v_fma_f32 v5, -v2, v3, 1.0
	v_fmac_f32_e32 v3, v5, v3
	v_mul_f32_e32 v5, v4, v3
	v_fma_f32 v16, -v2, v5, v4
	v_fmac_f32_e32 v5, v16, v3
	v_fma_f32 v2, -v2, v5, v4
	v_div_fmas_f32 v2, v2, v3, v5
	v_div_fixup_f32 v16, v2, v0, 1.0
	ds_read2_b32 v[2:3], v7 offset0:2 offset1:3
	ds_read2_b32 v[4:5], v7 offset0:4 offset1:5
	ds_read_b32 v17, v7 offset:24
	v_cndmask_b32_e64 v0, v0, v16, s[2:3]
	v_mul_f32_e32 v0, v1, v0
	s_waitcnt lgkmcnt(2)
	v_pk_fma_f32 v[2:3], v[0:1], v[2:3], v[10:11] op_sel_hi:[0,1,1] neg_lo:[1,0,0] neg_hi:[1,0,0]
	v_mov_b32_e32 v34, v10
	v_mov_b32_e32 v33, v9
	;; [unrolled: 1-line block ×10, first 2 shown]
	s_waitcnt lgkmcnt(0)
	v_fma_f32 v6, -v0, v17, v6
	v_mov_b32_e32 v25, v33
	v_mov_b32_e32 v26, v34
	;; [unrolled: 1-line block ×7, first 2 shown]
	v_pk_fma_f32 v[4:5], v[0:1], v[4:5], v[12:13] op_sel_hi:[0,1,1] neg_lo:[1,0,0] neg_hi:[1,0,0]
	v_mov_b32_e32 v20, v28
	v_mov_b32_e32 v17, v25
	;; [unrolled: 1-line block ×16, first 2 shown]
.LBB12_29:
	s_or_b64 exec, exec, s[18:19]
	v_lshl_add_u32 v0, v31, 2, v7
	s_barrier
	ds_write_b32 v0, v2
	s_waitcnt lgkmcnt(0)
	s_barrier
	ds_read_b32 v21, v7 offset:8
	s_cmp_lt_i32 s22, 4
	v_mov_b32_e32 v0, 2
	s_cbranch_scc1 .LBB12_32
; %bb.30:
	v_mov_b32_e32 v0, 2
	v_add3_u32 v1, v15, 0, 12
	s_mov_b32 s18, 3
.LBB12_31:                              ; =>This Inner Loop Header: Depth=1
	ds_read_b32 v22, v1
	v_mov_b32_e32 v28, s18
	s_add_i32 s18, s18, 1
	v_add_u32_e32 v1, 4, v1
	s_cmp_lg_u32 s22, s18
	s_waitcnt lgkmcnt(0)
	v_cmp_lt_f32_e64 vcc, |v21|, |v22|
	s_nop 1
	v_cndmask_b32_e32 v21, v21, v22, vcc
	v_cndmask_b32_e32 v0, v0, v28, vcc
	s_cbranch_scc1 .LBB12_31
.LBB12_32:
	v_cndmask_b32_e64 v1, 2, 1, s[0:1]
	v_cndmask_b32_e64 v22, 0, 1, s[0:1]
	;; [unrolled: 1-line block ×3, first 2 shown]
	s_waitcnt lgkmcnt(0)
	v_cmp_eq_f32_e32 vcc, 0, v21
	s_and_saveexec_b64 s[0:1], vcc
	s_xor_b64 s[0:1], exec, s[0:1]
; %bb.33:
	v_cmp_ne_u32_e32 vcc, 0, v39
	s_nop 1
	v_cndmask_b32_e32 v39, 3, v39, vcc
; %bb.34:
	s_andn2_saveexec_b64 s[0:1], s[0:1]
	s_cbranch_execz .LBB12_36
; %bb.35:
	v_div_scale_f32 v1, s[2:3], v21, v21, 1.0
	v_rcp_f32_e32 v22, v1
	v_div_scale_f32 v28, vcc, 1.0, v21, 1.0
	v_fma_f32 v46, -v1, v22, 1.0
	v_fmac_f32_e32 v22, v46, v22
	v_mul_f32_e32 v46, v28, v22
	v_fma_f32 v47, -v1, v46, v28
	v_fmac_f32_e32 v46, v47, v22
	v_fma_f32 v1, -v1, v46, v28
	v_div_fmas_f32 v1, v1, v22, v46
	v_div_fixup_f32 v21, v1, v21, 1.0
.LBB12_36:
	s_or_b64 exec, exec, s[0:1]
	v_cmp_ne_u32_e32 vcc, v31, v0
	s_and_saveexec_b64 s[0:1], vcc
	s_xor_b64 s[0:1], exec, s[0:1]
	s_cbranch_execz .LBB12_42
; %bb.37:
	v_cmp_eq_u32_e32 vcc, 2, v31
	s_and_saveexec_b64 s[2:3], vcc
	s_cbranch_execz .LBB12_41
; %bb.38:
	v_cmp_ne_u32_e32 vcc, 2, v0
	s_xor_b64 s[18:19], s[16:17], -1
	s_and_b64 s[20:21], s[18:19], vcc
	s_and_saveexec_b64 s[18:19], s[20:21]
	s_cbranch_execz .LBB12_40
; %bb.39:
	v_ashrrev_i32_e32 v1, 31, v0
	v_lshl_add_u64 v[22:23], v[0:1], 2, v[44:45]
	global_load_dword v1, v[22:23], off
	global_load_dword v28, v[44:45], off offset:8
	s_waitcnt vmcnt(1)
	global_store_dword v[44:45], v1, off offset:8
	s_waitcnt vmcnt(1)
	global_store_dword v[22:23], v28, off
.LBB12_40:
	s_or_b64 exec, exec, s[18:19]
	v_mov_b32_e32 v23, v0
	v_mov_b32_e32 v31, v0
.LBB12_41:
	s_or_b64 exec, exec, s[2:3]
.LBB12_42:
	s_andn2_saveexec_b64 s[0:1], s[0:1]
	s_cbranch_execz .LBB12_44
; %bb.43:
	v_mov_b32_e32 v31, 2
	ds_write2_b32 v7, v11, v12 offset0:3 offset1:4
	ds_write2_b32 v7, v13, v14 offset0:5 offset1:6
.LBB12_44:
	s_or_b64 exec, exec, s[0:1]
	v_cmp_lt_i32_e32 vcc, 2, v31
	s_waitcnt lgkmcnt(0)
	s_barrier
	s_and_saveexec_b64 s[0:1], vcc
	s_cbranch_execz .LBB12_46
; %bb.45:
	ds_read2_b32 v[0:1], v7 offset0:3 offset1:4
	ds_read2_b32 v[4:5], v7 offset0:5 offset1:6
	v_mul_f32_e32 v34, v2, v21
	v_mov_b32_e32 v2, v11
	v_mov_b32_e32 v3, v12
	;; [unrolled: 1-line block ×3, first 2 shown]
	s_waitcnt lgkmcnt(1)
	v_pk_fma_f32 v[0:1], v[34:35], v[0:1], v[2:3] op_sel_hi:[0,1,1] neg_lo:[1,0,0] neg_hi:[1,0,0]
	v_mov_b32_e32 v27, v35
	v_mov_b32_e32 v25, v33
	;; [unrolled: 1-line block ×18, first 2 shown]
	s_waitcnt lgkmcnt(0)
	v_pk_fma_f32 v[46:47], v[34:35], v[4:5], v[2:3] op_sel_hi:[0,1,1] neg_lo:[1,0,0] neg_hi:[1,0,0]
	v_mov_b32_e32 v13, v21
	v_mov_b32_e32 v14, v22
	;; [unrolled: 1-line block ×12, first 2 shown]
.LBB12_46:
	s_or_b64 exec, exec, s[0:1]
	v_lshl_add_u32 v0, v31, 2, v7
	s_barrier
	ds_write_b32 v0, v3
	s_waitcnt lgkmcnt(0)
	s_barrier
	ds_read_b32 v2, v7 offset:12
	s_cmp_lt_i32 s22, 5
	v_mov_b32_e32 v0, 3
	s_cbranch_scc1 .LBB12_49
; %bb.47:
	v_add3_u32 v1, v15, 0, 16
	v_mov_b32_e32 v0, 3
	s_mov_b32 s0, 4
.LBB12_48:                              ; =>This Inner Loop Header: Depth=1
	ds_read_b32 v21, v1
	v_mov_b32_e32 v22, s0
	s_add_i32 s0, s0, 1
	v_add_u32_e32 v1, 4, v1
	s_cmp_lg_u32 s22, s0
	s_waitcnt lgkmcnt(0)
	v_cmp_lt_f32_e64 vcc, |v2|, |v21|
	s_nop 1
	v_cndmask_b32_e32 v2, v2, v21, vcc
	v_cndmask_b32_e32 v0, v0, v22, vcc
	s_cbranch_scc1 .LBB12_48
.LBB12_49:
	s_waitcnt lgkmcnt(0)
	v_cmp_eq_f32_e32 vcc, 0, v2
	s_and_saveexec_b64 s[0:1], vcc
	s_xor_b64 s[0:1], exec, s[0:1]
; %bb.50:
	v_cmp_ne_u32_e32 vcc, 0, v39
	s_nop 1
	v_cndmask_b32_e32 v39, 4, v39, vcc
; %bb.51:
	s_andn2_saveexec_b64 s[0:1], s[0:1]
	s_cbranch_execz .LBB12_53
; %bb.52:
	v_div_scale_f32 v1, s[2:3], v2, v2, 1.0
	v_rcp_f32_e32 v21, v1
	v_div_scale_f32 v22, vcc, 1.0, v2, 1.0
	v_fma_f32 v28, -v1, v21, 1.0
	v_fmac_f32_e32 v21, v28, v21
	v_mul_f32_e32 v28, v22, v21
	v_fma_f32 v35, -v1, v28, v22
	v_fmac_f32_e32 v28, v35, v21
	v_fma_f32 v1, -v1, v28, v22
	v_div_fmas_f32 v1, v1, v21, v28
	v_div_fixup_f32 v2, v1, v2, 1.0
.LBB12_53:
	s_or_b64 exec, exec, s[0:1]
	v_cmp_ne_u32_e32 vcc, v31, v0
	s_and_saveexec_b64 s[0:1], vcc
	s_xor_b64 s[0:1], exec, s[0:1]
	s_cbranch_execz .LBB12_59
; %bb.54:
	v_cmp_eq_u32_e32 vcc, 3, v31
	s_and_saveexec_b64 s[2:3], vcc
	s_cbranch_execz .LBB12_58
; %bb.55:
	v_cmp_ne_u32_e32 vcc, 3, v0
	s_xor_b64 s[18:19], s[16:17], -1
	s_and_b64 s[20:21], s[18:19], vcc
	s_and_saveexec_b64 s[18:19], s[20:21]
	s_cbranch_execz .LBB12_57
; %bb.56:
	v_ashrrev_i32_e32 v1, 31, v0
	v_lshl_add_u64 v[22:23], v[0:1], 2, v[44:45]
	global_load_dword v1, v[22:23], off
	global_load_dword v21, v[44:45], off offset:12
	s_waitcnt vmcnt(1)
	global_store_dword v[44:45], v1, off offset:12
	s_waitcnt vmcnt(1)
	global_store_dword v[22:23], v21, off
.LBB12_57:
	s_or_b64 exec, exec, s[18:19]
	v_mov_b32_e32 v23, v0
	v_mov_b32_e32 v31, v0
.LBB12_58:
	s_or_b64 exec, exec, s[2:3]
.LBB12_59:
	s_andn2_saveexec_b64 s[0:1], s[0:1]
	s_cbranch_execz .LBB12_61
; %bb.60:
	v_mov_b32_e32 v31, 3
	ds_write2_b32 v7, v12, v13 offset0:4 offset1:5
	ds_write_b32 v7, v6 offset:24
.LBB12_61:
	s_or_b64 exec, exec, s[0:1]
	v_cmp_lt_i32_e32 vcc, 3, v31
	s_waitcnt lgkmcnt(0)
	s_barrier
	s_and_saveexec_b64 s[0:1], vcc
	s_cbranch_execz .LBB12_63
; %bb.62:
	ds_read2_b32 v[0:1], v7 offset0:4 offset1:5
	ds_read_b32 v8, v7 offset:24
	v_mul_f32_e32 v2, v3, v2
	v_mov_b32_e32 v35, v2
	v_mov_b32_e32 v16, v32
	s_waitcnt lgkmcnt(1)
	v_pk_fma_f32 v[4:5], v[2:3], v[0:1], v[12:13] op_sel_hi:[0,1,1] neg_lo:[1,0,0] neg_hi:[1,0,0]
	v_mov_b32_e32 v20, v36
	s_waitcnt lgkmcnt(0)
	v_fma_f32 v6, -v2, v8, v6
	v_mov_b32_e32 v17, v33
	v_mov_b32_e32 v18, v34
	;; [unrolled: 1-line block ×22, first 2 shown]
.LBB12_63:
	s_or_b64 exec, exec, s[0:1]
	v_lshl_add_u32 v0, v31, 2, v7
	s_barrier
	ds_write_b32 v0, v4
	s_waitcnt lgkmcnt(0)
	s_barrier
	ds_read_b32 v2, v7 offset:16
	s_cmp_lt_i32 s22, 6
	v_mov_b32_e32 v0, 4
	s_cbranch_scc1 .LBB12_66
; %bb.64:
	v_add3_u32 v1, v15, 0, 20
	v_mov_b32_e32 v0, 4
	s_mov_b32 s0, 5
.LBB12_65:                              ; =>This Inner Loop Header: Depth=1
	ds_read_b32 v3, v1
	v_mov_b32_e32 v21, s0
	s_add_i32 s0, s0, 1
	v_add_u32_e32 v1, 4, v1
	s_cmp_lg_u32 s22, s0
	s_waitcnt lgkmcnt(0)
	v_cmp_lt_f32_e64 vcc, |v2|, |v3|
	s_nop 1
	v_cndmask_b32_e32 v2, v2, v3, vcc
	v_cndmask_b32_e32 v0, v0, v21, vcc
	s_cbranch_scc1 .LBB12_65
.LBB12_66:
	s_waitcnt lgkmcnt(0)
	v_cmp_eq_f32_e32 vcc, 0, v2
	s_and_saveexec_b64 s[0:1], vcc
	s_xor_b64 s[0:1], exec, s[0:1]
; %bb.67:
	v_cmp_ne_u32_e32 vcc, 0, v39
	s_nop 1
	v_cndmask_b32_e32 v39, 5, v39, vcc
; %bb.68:
	s_andn2_saveexec_b64 s[0:1], s[0:1]
	s_cbranch_execz .LBB12_70
; %bb.69:
	v_div_scale_f32 v1, s[2:3], v2, v2, 1.0
	v_rcp_f32_e32 v3, v1
	v_div_scale_f32 v21, vcc, 1.0, v2, 1.0
	v_fma_f32 v22, -v1, v3, 1.0
	v_fmac_f32_e32 v3, v22, v3
	v_mul_f32_e32 v22, v21, v3
	v_fma_f32 v28, -v1, v22, v21
	v_fmac_f32_e32 v22, v28, v3
	v_fma_f32 v1, -v1, v22, v21
	v_div_fmas_f32 v1, v1, v3, v22
	v_div_fixup_f32 v2, v1, v2, 1.0
.LBB12_70:
	s_or_b64 exec, exec, s[0:1]
	v_cmp_ne_u32_e32 vcc, v31, v0
	s_and_saveexec_b64 s[0:1], vcc
	s_xor_b64 s[0:1], exec, s[0:1]
	s_cbranch_execz .LBB12_76
; %bb.71:
	v_cmp_eq_u32_e32 vcc, 4, v31
	s_and_saveexec_b64 s[2:3], vcc
	s_cbranch_execz .LBB12_75
; %bb.72:
	v_cmp_ne_u32_e32 vcc, 4, v0
	s_xor_b64 s[18:19], s[16:17], -1
	s_and_b64 s[20:21], s[18:19], vcc
	s_and_saveexec_b64 s[18:19], s[20:21]
	s_cbranch_execz .LBB12_74
; %bb.73:
	v_ashrrev_i32_e32 v1, 31, v0
	v_lshl_add_u64 v[22:23], v[0:1], 2, v[44:45]
	global_load_dword v1, v[22:23], off
	global_load_dword v3, v[44:45], off offset:16
	s_waitcnt vmcnt(1)
	global_store_dword v[44:45], v1, off offset:16
	s_waitcnt vmcnt(1)
	global_store_dword v[22:23], v3, off
.LBB12_74:
	s_or_b64 exec, exec, s[18:19]
	v_mov_b32_e32 v23, v0
	v_mov_b32_e32 v31, v0
.LBB12_75:
	s_or_b64 exec, exec, s[2:3]
.LBB12_76:
	s_andn2_saveexec_b64 s[0:1], s[0:1]
; %bb.77:
	v_mov_b32_e32 v31, 4
	ds_write2_b32 v7, v13, v14 offset0:5 offset1:6
; %bb.78:
	s_or_b64 exec, exec, s[0:1]
	v_cmp_lt_i32_e32 vcc, 4, v31
	s_waitcnt lgkmcnt(0)
	s_barrier
	s_and_saveexec_b64 s[0:1], vcc
	s_cbranch_execz .LBB12_80
; %bb.79:
	ds_read2_b32 v[0:1], v7 offset0:5 offset1:6
	v_mul_f32_e32 v28, v4, v2
	v_mov_b32_e32 v2, v13
	v_mov_b32_e32 v3, v14
	;; [unrolled: 1-line block ×5, first 2 shown]
	s_waitcnt lgkmcnt(0)
	v_pk_fma_f32 v[0:1], v[28:29], v[0:1], v[2:3] op_sel_hi:[0,1,1] neg_lo:[1,0,0] neg_hi:[1,0,0]
	v_mov_b32_e32 v16, v24
	v_mov_b32_e32 v9, v25
	;; [unrolled: 1-line block ×15, first 2 shown]
.LBB12_80:
	s_or_b64 exec, exec, s[0:1]
	v_lshl_add_u32 v0, v31, 2, v7
	s_barrier
	ds_write_b32 v0, v5
	s_waitcnt lgkmcnt(0)
	s_barrier
	ds_read_b32 v2, v7 offset:20
	s_cmp_lt_i32 s22, 7
	v_mov_b32_e32 v0, 5
	s_cbranch_scc1 .LBB12_83
; %bb.81:
	v_add3_u32 v1, v15, 0, 24
	v_mov_b32_e32 v0, 5
	s_mov_b32 s0, 6
.LBB12_82:                              ; =>This Inner Loop Header: Depth=1
	ds_read_b32 v3, v1
	v_mov_b32_e32 v4, s0
	s_add_i32 s0, s0, 1
	v_add_u32_e32 v1, 4, v1
	s_cmp_lg_u32 s22, s0
	s_waitcnt lgkmcnt(0)
	v_cmp_lt_f32_e64 vcc, |v2|, |v3|
	s_nop 1
	v_cndmask_b32_e32 v2, v2, v3, vcc
	v_cndmask_b32_e32 v0, v0, v4, vcc
	s_cbranch_scc1 .LBB12_82
.LBB12_83:
	s_waitcnt lgkmcnt(0)
	v_cmp_eq_f32_e32 vcc, 0, v2
	s_and_saveexec_b64 s[0:1], vcc
	s_xor_b64 s[0:1], exec, s[0:1]
; %bb.84:
	v_cmp_ne_u32_e32 vcc, 0, v39
	s_nop 1
	v_cndmask_b32_e32 v39, 6, v39, vcc
; %bb.85:
	s_andn2_saveexec_b64 s[0:1], s[0:1]
	s_cbranch_execz .LBB12_87
; %bb.86:
	v_div_scale_f32 v1, s[2:3], v2, v2, 1.0
	v_rcp_f32_e32 v3, v1
	v_div_scale_f32 v4, vcc, 1.0, v2, 1.0
	v_fma_f32 v21, -v1, v3, 1.0
	v_fmac_f32_e32 v3, v21, v3
	v_mul_f32_e32 v21, v4, v3
	v_fma_f32 v22, -v1, v21, v4
	v_fmac_f32_e32 v21, v22, v3
	v_fma_f32 v1, -v1, v21, v4
	v_div_fmas_f32 v1, v1, v3, v21
	v_div_fixup_f32 v2, v1, v2, 1.0
.LBB12_87:
	s_or_b64 exec, exec, s[0:1]
	v_cmp_ne_u32_e32 vcc, v31, v0
	s_and_saveexec_b64 s[0:1], vcc
	s_xor_b64 s[0:1], exec, s[0:1]
	s_cbranch_execz .LBB12_93
; %bb.88:
	v_cmp_eq_u32_e32 vcc, 5, v31
	s_and_saveexec_b64 s[2:3], vcc
	s_cbranch_execz .LBB12_92
; %bb.89:
	v_cmp_ne_u32_e32 vcc, 5, v0
	s_xor_b64 s[18:19], s[16:17], -1
	s_and_b64 s[20:21], s[18:19], vcc
	s_and_saveexec_b64 s[18:19], s[20:21]
	s_cbranch_execz .LBB12_91
; %bb.90:
	v_ashrrev_i32_e32 v1, 31, v0
	v_lshl_add_u64 v[22:23], v[0:1], 2, v[44:45]
	global_load_dword v1, v[22:23], off
	global_load_dword v3, v[44:45], off offset:20
	s_waitcnt vmcnt(1)
	global_store_dword v[44:45], v1, off offset:20
	s_waitcnt vmcnt(1)
	global_store_dword v[22:23], v3, off
.LBB12_91:
	s_or_b64 exec, exec, s[18:19]
	v_mov_b32_e32 v23, v0
	v_mov_b32_e32 v31, v0
.LBB12_92:
	s_or_b64 exec, exec, s[2:3]
.LBB12_93:
	s_andn2_saveexec_b64 s[0:1], s[0:1]
; %bb.94:
	v_mov_b32_e32 v31, 5
	ds_write_b32 v7, v6 offset:24
; %bb.95:
	s_or_b64 exec, exec, s[0:1]
	v_cmp_lt_i32_e32 vcc, 5, v31
	s_waitcnt lgkmcnt(0)
	s_barrier
	s_and_saveexec_b64 s[0:1], vcc
	s_cbranch_execz .LBB12_97
; %bb.96:
	ds_read_b32 v0, v7 offset:24
	v_mul_f32_e32 v21, v5, v2
	s_waitcnt lgkmcnt(0)
	v_fma_f32 v22, -v21, v0, v6
	v_mov_b32_e32 v8, v16
	v_mov_b32_e32 v9, v17
	v_mov_b32_e32 v10, v18
	v_mov_b32_e32 v11, v19
	v_mov_b32_e32 v12, v20
	v_mov_b32_e32 v13, v21
	v_mov_b32_e32 v14, v22
	v_mov_b32_e32 v6, v22
.LBB12_97:
	s_or_b64 exec, exec, s[0:1]
	v_lshl_add_u32 v0, v31, 2, v7
	s_barrier
	ds_write_b32 v0, v6
	s_waitcnt lgkmcnt(0)
	s_barrier
	ds_read_b32 v4, v7 offset:24
	s_cmp_lt_i32 s22, 8
	v_mov_b32_e32 v0, 6
	s_cbranch_scc1 .LBB12_100
; %bb.98:
	v_add3_u32 v1, v15, 0, 28
	v_mov_b32_e32 v0, 6
	s_mov_b32 s0, 7
.LBB12_99:                              ; =>This Inner Loop Header: Depth=1
	ds_read_b32 v2, v1
	v_mov_b32_e32 v3, s0
	s_add_i32 s0, s0, 1
	v_add_u32_e32 v1, 4, v1
	s_cmp_lg_u32 s22, s0
	s_waitcnt lgkmcnt(0)
	v_cmp_lt_f32_e64 vcc, |v4|, |v2|
	s_nop 1
	v_cndmask_b32_e32 v4, v4, v2, vcc
	v_cndmask_b32_e32 v0, v0, v3, vcc
	s_cbranch_scc1 .LBB12_99
.LBB12_100:
	s_waitcnt lgkmcnt(0)
	v_cmp_eq_f32_e32 vcc, 0, v4
	s_and_saveexec_b64 s[0:1], vcc
	s_xor_b64 s[0:1], exec, s[0:1]
; %bb.101:
	v_cmp_ne_u32_e32 vcc, 0, v39
	s_nop 1
	v_cndmask_b32_e32 v39, 7, v39, vcc
; %bb.102:
	s_andn2_saveexec_b64 s[0:1], s[0:1]
	s_cbranch_execz .LBB12_104
; %bb.103:
	v_div_scale_f32 v1, s[2:3], v4, v4, 1.0
	v_rcp_f32_e32 v2, v1
	v_div_scale_f32 v3, vcc, 1.0, v4, 1.0
	v_fma_f32 v5, -v1, v2, 1.0
	v_fmac_f32_e32 v2, v5, v2
	v_mul_f32_e32 v5, v3, v2
	v_fma_f32 v7, -v1, v5, v3
	v_fmac_f32_e32 v5, v7, v2
	v_fma_f32 v1, -v1, v5, v3
	v_div_fmas_f32 v1, v1, v2, v5
	v_div_fixup_f32 v4, v1, v4, 1.0
.LBB12_104:
	s_or_b64 exec, exec, s[0:1]
	v_cmp_ne_u32_e32 vcc, v31, v0
	v_mov_b32_e32 v2, 6
	s_and_saveexec_b64 s[0:1], vcc
	s_cbranch_execz .LBB12_110
; %bb.105:
	v_cmp_eq_u32_e32 vcc, 6, v31
	s_and_saveexec_b64 s[2:3], vcc
	s_cbranch_execz .LBB12_109
; %bb.106:
	v_cmp_ne_u32_e32 vcc, 6, v0
	s_xor_b64 s[16:17], s[16:17], -1
	s_and_b64 s[18:19], s[16:17], vcc
	s_and_saveexec_b64 s[16:17], s[18:19]
	s_cbranch_execz .LBB12_108
; %bb.107:
	v_ashrrev_i32_e32 v1, 31, v0
	v_lshl_add_u64 v[2:3], v[0:1], 2, v[44:45]
	global_load_dword v1, v[2:3], off
	global_load_dword v5, v[44:45], off offset:24
	s_waitcnt vmcnt(1)
	global_store_dword v[44:45], v1, off offset:24
	s_waitcnt vmcnt(1)
	global_store_dword v[2:3], v5, off
.LBB12_108:
	s_or_b64 exec, exec, s[16:17]
	v_mov_b32_e32 v23, v0
	v_mov_b32_e32 v31, v0
.LBB12_109:
	s_or_b64 exec, exec, s[2:3]
	v_mov_b32_e32 v2, v31
.LBB12_110:
	s_or_b64 exec, exec, s[0:1]
	v_cmp_gt_i32_e32 vcc, 7, v2
	v_ashrrev_i32_e32 v3, 31, v2
	s_barrier
	s_barrier
	s_and_saveexec_b64 s[0:1], vcc
	s_cbranch_execz .LBB12_112
; %bb.111:
	v_mul_lo_u32 v5, s11, v42
	v_mul_lo_u32 v7, s10, v43
	v_mad_u64_u32 v[16:17], s[2:3], s10, v42, 0
	v_mov_b32_e32 v0, s6
	v_mov_b32_e32 v1, s7
	v_add3_u32 v17, v17, v7, v5
	v_lshl_add_u64 v[0:1], v[16:17], 2, v[0:1]
	v_lshl_add_u64 v[0:1], s[8:9], 2, v[0:1]
	;; [unrolled: 1-line block ×3, first 2 shown]
	v_add3_u32 v5, v23, s13, 1
	global_store_dword v[0:1], v5, off
.LBB12_112:
	s_or_b64 exec, exec, s[0:1]
	v_cmp_eq_u32_e32 vcc, 0, v2
	s_and_saveexec_b64 s[2:3], vcc
	s_cbranch_execz .LBB12_115
; %bb.113:
	v_mov_b32_e32 v0, s4
	v_mov_b32_e32 v1, s5
	v_lshl_add_u64 v[0:1], v[42:43], 2, v[0:1]
	global_load_dword v5, v[0:1], off
	v_cmp_ne_u32_e64 s[0:1], 0, v39
	s_waitcnt vmcnt(0)
	v_cmp_eq_u32_e32 vcc, 0, v5
	s_and_b64 s[0:1], vcc, s[0:1]
	s_and_b64 exec, exec, s[0:1]
	s_cbranch_execz .LBB12_115
; %bb.114:
	v_add_u32_e32 v5, s13, v39
	global_store_dword v[0:1], v5, off
.LBB12_115:
	s_or_b64 exec, exec, s[2:3]
	v_mul_f32_e32 v0, v6, v4
	v_cmp_lt_i32_e32 vcc, 6, v2
	s_nop 1
	v_cndmask_b32_e32 v4, v14, v0, vcc
	v_lshl_add_u64 v[0:1], v[2:3], 2, v[40:41]
	global_store_dword v[0:1], v8, off
	v_lshl_add_u64 v[0:1], s[14:15], 2, v[0:1]
	global_store_dword v[0:1], v9, off
	v_add_u32_e32 v0, s12, v2
	v_ashrrev_i32_e32 v1, 31, v0
	v_lshl_add_u64 v[2:3], v[0:1], 2, v[40:41]
	v_add_u32_e32 v0, s14, v0
	v_ashrrev_i32_e32 v1, 31, v0
	global_store_dword v[2:3], v10, off
	v_lshl_add_u64 v[2:3], v[0:1], 2, v[40:41]
	v_add_u32_e32 v0, s14, v0
	v_ashrrev_i32_e32 v1, 31, v0
	global_store_dword v[2:3], v11, off
	;; [unrolled: 4-line block ×3, first 2 shown]
	v_lshl_add_u64 v[2:3], v[0:1], 2, v[40:41]
	v_add_u32_e32 v0, s14, v0
	v_ashrrev_i32_e32 v1, 31, v0
	v_lshl_add_u64 v[0:1], v[0:1], 2, v[40:41]
	global_store_dword v[2:3], v13, off
	global_store_dword v[0:1], v4, off
.LBB12_116:
	s_endpgm
	.section	.rodata,"a",@progbits
	.p2align	6, 0x0
	.amdhsa_kernel _ZN9rocsolver6v33100L18getf2_small_kernelILi7EfiiPfEEvT1_T3_lS3_lPS3_llPT2_S3_S3_S5_l
		.amdhsa_group_segment_fixed_size 0
		.amdhsa_private_segment_fixed_size 0
		.amdhsa_kernarg_size 352
		.amdhsa_user_sgpr_count 2
		.amdhsa_user_sgpr_dispatch_ptr 0
		.amdhsa_user_sgpr_queue_ptr 0
		.amdhsa_user_sgpr_kernarg_segment_ptr 1
		.amdhsa_user_sgpr_dispatch_id 0
		.amdhsa_user_sgpr_kernarg_preload_length 0
		.amdhsa_user_sgpr_kernarg_preload_offset 0
		.amdhsa_user_sgpr_private_segment_size 0
		.amdhsa_uses_dynamic_stack 0
		.amdhsa_enable_private_segment 0
		.amdhsa_system_sgpr_workgroup_id_x 1
		.amdhsa_system_sgpr_workgroup_id_y 1
		.amdhsa_system_sgpr_workgroup_id_z 0
		.amdhsa_system_sgpr_workgroup_info 0
		.amdhsa_system_vgpr_workitem_id 1
		.amdhsa_next_free_vgpr 52
		.amdhsa_next_free_sgpr 26
		.amdhsa_accum_offset 52
		.amdhsa_reserve_vcc 1
		.amdhsa_float_round_mode_32 0
		.amdhsa_float_round_mode_16_64 0
		.amdhsa_float_denorm_mode_32 3
		.amdhsa_float_denorm_mode_16_64 3
		.amdhsa_dx10_clamp 1
		.amdhsa_ieee_mode 1
		.amdhsa_fp16_overflow 0
		.amdhsa_tg_split 0
		.amdhsa_exception_fp_ieee_invalid_op 0
		.amdhsa_exception_fp_denorm_src 0
		.amdhsa_exception_fp_ieee_div_zero 0
		.amdhsa_exception_fp_ieee_overflow 0
		.amdhsa_exception_fp_ieee_underflow 0
		.amdhsa_exception_fp_ieee_inexact 0
		.amdhsa_exception_int_div_zero 0
	.end_amdhsa_kernel
	.section	.text._ZN9rocsolver6v33100L18getf2_small_kernelILi7EfiiPfEEvT1_T3_lS3_lPS3_llPT2_S3_S3_S5_l,"axG",@progbits,_ZN9rocsolver6v33100L18getf2_small_kernelILi7EfiiPfEEvT1_T3_lS3_lPS3_llPT2_S3_S3_S5_l,comdat
.Lfunc_end12:
	.size	_ZN9rocsolver6v33100L18getf2_small_kernelILi7EfiiPfEEvT1_T3_lS3_lPS3_llPT2_S3_S3_S5_l, .Lfunc_end12-_ZN9rocsolver6v33100L18getf2_small_kernelILi7EfiiPfEEvT1_T3_lS3_lPS3_llPT2_S3_S3_S5_l
                                        ; -- End function
	.set _ZN9rocsolver6v33100L18getf2_small_kernelILi7EfiiPfEEvT1_T3_lS3_lPS3_llPT2_S3_S3_S5_l.num_vgpr, 52
	.set _ZN9rocsolver6v33100L18getf2_small_kernelILi7EfiiPfEEvT1_T3_lS3_lPS3_llPT2_S3_S3_S5_l.num_agpr, 0
	.set _ZN9rocsolver6v33100L18getf2_small_kernelILi7EfiiPfEEvT1_T3_lS3_lPS3_llPT2_S3_S3_S5_l.numbered_sgpr, 26
	.set _ZN9rocsolver6v33100L18getf2_small_kernelILi7EfiiPfEEvT1_T3_lS3_lPS3_llPT2_S3_S3_S5_l.num_named_barrier, 0
	.set _ZN9rocsolver6v33100L18getf2_small_kernelILi7EfiiPfEEvT1_T3_lS3_lPS3_llPT2_S3_S3_S5_l.private_seg_size, 0
	.set _ZN9rocsolver6v33100L18getf2_small_kernelILi7EfiiPfEEvT1_T3_lS3_lPS3_llPT2_S3_S3_S5_l.uses_vcc, 1
	.set _ZN9rocsolver6v33100L18getf2_small_kernelILi7EfiiPfEEvT1_T3_lS3_lPS3_llPT2_S3_S3_S5_l.uses_flat_scratch, 0
	.set _ZN9rocsolver6v33100L18getf2_small_kernelILi7EfiiPfEEvT1_T3_lS3_lPS3_llPT2_S3_S3_S5_l.has_dyn_sized_stack, 0
	.set _ZN9rocsolver6v33100L18getf2_small_kernelILi7EfiiPfEEvT1_T3_lS3_lPS3_llPT2_S3_S3_S5_l.has_recursion, 0
	.set _ZN9rocsolver6v33100L18getf2_small_kernelILi7EfiiPfEEvT1_T3_lS3_lPS3_llPT2_S3_S3_S5_l.has_indirect_call, 0
	.section	.AMDGPU.csdata,"",@progbits
; Kernel info:
; codeLenInByte = 4544
; TotalNumSgprs: 32
; NumVgprs: 52
; NumAgprs: 0
; TotalNumVgprs: 52
; ScratchSize: 0
; MemoryBound: 0
; FloatMode: 240
; IeeeMode: 1
; LDSByteSize: 0 bytes/workgroup (compile time only)
; SGPRBlocks: 3
; VGPRBlocks: 6
; NumSGPRsForWavesPerEU: 32
; NumVGPRsForWavesPerEU: 52
; AccumOffset: 52
; Occupancy: 8
; WaveLimiterHint : 0
; COMPUTE_PGM_RSRC2:SCRATCH_EN: 0
; COMPUTE_PGM_RSRC2:USER_SGPR: 2
; COMPUTE_PGM_RSRC2:TRAP_HANDLER: 0
; COMPUTE_PGM_RSRC2:TGID_X_EN: 1
; COMPUTE_PGM_RSRC2:TGID_Y_EN: 1
; COMPUTE_PGM_RSRC2:TGID_Z_EN: 0
; COMPUTE_PGM_RSRC2:TIDIG_COMP_CNT: 1
; COMPUTE_PGM_RSRC3_GFX90A:ACCUM_OFFSET: 12
; COMPUTE_PGM_RSRC3_GFX90A:TG_SPLIT: 0
	.section	.text._ZN9rocsolver6v33100L23getf2_npvt_small_kernelILi7EfiiPfEEvT1_T3_lS3_lPT2_S3_S3_,"axG",@progbits,_ZN9rocsolver6v33100L23getf2_npvt_small_kernelILi7EfiiPfEEvT1_T3_lS3_lPT2_S3_S3_,comdat
	.globl	_ZN9rocsolver6v33100L23getf2_npvt_small_kernelILi7EfiiPfEEvT1_T3_lS3_lPT2_S3_S3_ ; -- Begin function _ZN9rocsolver6v33100L23getf2_npvt_small_kernelILi7EfiiPfEEvT1_T3_lS3_lPT2_S3_S3_
	.p2align	8
	.type	_ZN9rocsolver6v33100L23getf2_npvt_small_kernelILi7EfiiPfEEvT1_T3_lS3_lPT2_S3_S3_,@function
_ZN9rocsolver6v33100L23getf2_npvt_small_kernelILi7EfiiPfEEvT1_T3_lS3_lPT2_S3_S3_: ; @_ZN9rocsolver6v33100L23getf2_npvt_small_kernelILi7EfiiPfEEvT1_T3_lS3_lPT2_S3_S3_
; %bb.0:
	s_load_dword s2, s[0:1], 0x44
	s_load_dwordx2 s[12:13], s[0:1], 0x30
	v_bfe_u32 v8, v0, 10, 10
	s_waitcnt lgkmcnt(0)
	s_lshr_b32 s2, s2, 16
	s_mul_i32 s3, s3, s2
	v_add_u32_e32 v44, s3, v8
	v_cmp_gt_i32_e32 vcc, s12, v44
	s_and_saveexec_b64 s[4:5], vcc
	s_cbranch_execz .LBB13_38
; %bb.1:
	s_load_dwordx4 s[8:11], s[0:1], 0x8
	s_load_dword s14, s[0:1], 0x18
	s_load_dwordx4 s[4:7], s[0:1], 0x20
	v_ashrrev_i32_e32 v45, 31, v44
	v_and_b32_e32 v7, 0x3ff, v0
	s_waitcnt lgkmcnt(0)
	v_mov_b32_e32 v2, s8
	v_mov_b32_e32 v3, s9
	v_mul_lo_u32 v4, s5, v44
	v_mul_lo_u32 v5, s4, v45
	v_mad_u64_u32 v[0:1], s[0:1], s4, v44, 0
	v_add3_u32 v1, v1, v5, v4
	v_lshl_add_u64 v[0:1], v[0:1], 2, v[2:3]
	v_lshl_add_u64 v[0:1], s[10:11], 2, v[0:1]
	v_lshlrev_b32_e32 v2, 2, v7
	v_mov_b32_e32 v3, 0
	s_add_i32 s0, s14, s14
	v_lshl_add_u64 v[40:41], v[0:1], 0, v[2:3]
	v_add_u32_e32 v2, s0, v7
	v_ashrrev_i32_e32 v3, 31, v2
	v_lshl_add_u64 v[46:47], v[2:3], 2, v[0:1]
	v_add_u32_e32 v2, s14, v2
	v_ashrrev_i32_e32 v3, 31, v2
	;; [unrolled: 3-line block ×4, first 2 shown]
	v_lshl_add_u64 v[52:53], v[2:3], 2, v[0:1]
	v_add_u32_e32 v2, s14, v2
	s_ashr_i32 s15, s14, 31
	v_ashrrev_i32_e32 v3, 31, v2
	v_lshl_add_u64 v[42:43], s[14:15], 2, v[40:41]
	v_lshl_add_u64 v[54:55], v[2:3], 2, v[0:1]
	global_load_dword v0, v[40:41], off
	global_load_dword v1, v[42:43], off
	;; [unrolled: 1-line block ×7, first 2 shown]
	s_mul_i32 s2, s2, 28
	v_mul_u32_u24_e32 v9, 28, v8
	s_add_i32 s0, s2, 0
	v_lshl_add_u32 v15, v8, 2, s0
	v_cmp_ne_u32_e64 s[2:3], 0, v7
	v_cmp_eq_u32_e64 s[0:1], 0, v7
	v_add_u32_e32 v31, 0, v9
	s_and_saveexec_b64 s[4:5], s[0:1]
	s_cbranch_execz .LBB13_4
; %bb.2:
	s_waitcnt vmcnt(6)
	ds_write_b32 v15, v0
	s_waitcnt vmcnt(4)
	ds_write2_b32 v31, v1, v2 offset0:1 offset1:2
	s_waitcnt vmcnt(2)
	ds_write2_b32 v31, v3, v4 offset0:3 offset1:4
	;; [unrolled: 2-line block ×3, first 2 shown]
	ds_read_b32 v8, v15
	s_waitcnt lgkmcnt(0)
	v_cmp_neq_f32_e32 vcc, 0, v8
	s_and_b64 exec, exec, vcc
	s_cbranch_execz .LBB13_4
; %bb.3:
	v_div_scale_f32 v9, s[8:9], v8, v8, 1.0
	v_rcp_f32_e32 v10, v9
	v_div_scale_f32 v11, vcc, 1.0, v8, 1.0
	v_fma_f32 v12, -v9, v10, 1.0
	v_fmac_f32_e32 v10, v12, v10
	v_mul_f32_e32 v12, v11, v10
	v_fma_f32 v13, -v9, v12, v11
	v_fmac_f32_e32 v12, v13, v10
	v_fma_f32 v9, -v9, v12, v11
	v_div_fmas_f32 v9, v9, v10, v12
	v_div_fixup_f32 v8, v9, v8, 1.0
	ds_write_b32 v15, v8
.LBB13_4:
	s_or_b64 exec, exec, s[4:5]
	s_waitcnt lgkmcnt(0)
	s_barrier
	ds_read_b32 v23, v15
	s_waitcnt vmcnt(0)
	v_mov_b32_e32 v14, v6
	v_mov_b32_e32 v22, v6
	;; [unrolled: 1-line block ×28, first 2 shown]
	s_and_saveexec_b64 s[4:5], s[2:3]
	s_cbranch_execz .LBB13_6
; %bb.5:
	ds_read2_b32 v[10:11], v31 offset0:1 offset1:2
	ds_read2_b32 v[12:13], v31 offset0:3 offset1:4
	;; [unrolled: 1-line block ×3, first 2 shown]
	s_waitcnt lgkmcnt(3)
	v_mul_f32_e32 v8, v0, v23
	v_mov_b32_e32 v0, v1
	v_mov_b32_e32 v1, v2
	s_waitcnt lgkmcnt(2)
	v_pk_fma_f32 v[56:57], v[8:9], v[10:11], v[0:1] op_sel_hi:[0,1,1] neg_lo:[1,0,0] neg_hi:[1,0,0]
	v_mov_b32_e32 v0, v3
	v_mov_b32_e32 v1, v4
	s_waitcnt lgkmcnt(1)
	v_pk_fma_f32 v[58:59], v[8:9], v[12:13], v[0:1] op_sel_hi:[0,1,1] neg_lo:[1,0,0] neg_hi:[1,0,0]
	;; [unrolled: 4-line block ×3, first 2 shown]
	v_mov_b32_e32 v14, v61
	v_mov_b32_e32 v9, v56
	;; [unrolled: 1-line block ×33, first 2 shown]
.LBB13_6:
	s_or_b64 exec, exec, s[4:5]
	v_cmp_eq_u32_e32 vcc, 1, v7
	s_waitcnt lgkmcnt(0)
	s_barrier
	s_and_saveexec_b64 s[2:3], vcc
	s_cbranch_execz .LBB13_9
; %bb.7:
	ds_write_b32 v15, v1
	ds_write2_b32 v31, v10, v11 offset0:2 offset1:3
	ds_write2_b32 v31, v12, v13 offset0:4 offset1:5
	ds_write_b32 v31, v6 offset:24
	ds_read_b32 v0, v15
	s_waitcnt lgkmcnt(0)
	v_cmp_neq_f32_e32 vcc, 0, v0
	s_and_b64 exec, exec, vcc
	s_cbranch_execz .LBB13_9
; %bb.8:
	v_div_scale_f32 v21, s[4:5], v0, v0, 1.0
	v_rcp_f32_e32 v22, v21
	v_div_scale_f32 v28, vcc, 1.0, v0, 1.0
	v_fma_f32 v39, -v21, v22, 1.0
	v_fmac_f32_e32 v22, v39, v22
	v_mul_f32_e32 v39, v28, v22
	v_fma_f32 v56, -v21, v39, v28
	v_fmac_f32_e32 v39, v56, v22
	v_fma_f32 v21, -v21, v39, v28
	v_div_fmas_f32 v21, v21, v22, v39
	v_div_fixup_f32 v0, v21, v0, 1.0
	ds_write_b32 v15, v0
.LBB13_9:
	s_or_b64 exec, exec, s[2:3]
	s_waitcnt lgkmcnt(0)
	s_barrier
	ds_read_b32 v39, v15
	v_cmp_lt_u32_e32 vcc, 1, v7
	s_and_saveexec_b64 s[2:3], vcc
	s_cbranch_execz .LBB13_11
; %bb.10:
	ds_read2_b32 v[2:3], v31 offset0:2 offset1:3
	ds_read2_b32 v[4:5], v31 offset0:4 offset1:5
	ds_read_b32 v16, v31 offset:24
	s_waitcnt lgkmcnt(3)
	v_mul_f32_e32 v0, v1, v39
	v_mov_b32_e32 v38, v14
	s_waitcnt lgkmcnt(2)
	v_pk_fma_f32 v[2:3], v[0:1], v[2:3], v[10:11] op_sel_hi:[0,1,1] neg_lo:[1,0,0] neg_hi:[1,0,0]
	v_mov_b32_e32 v34, v10
	v_mov_b32_e32 v33, v9
	;; [unrolled: 1-line block ×10, first 2 shown]
	s_waitcnt lgkmcnt(0)
	v_fma_f32 v6, -v0, v16, v6
	v_mov_b32_e32 v25, v33
	v_mov_b32_e32 v26, v34
	;; [unrolled: 1-line block ×7, first 2 shown]
	v_pk_fma_f32 v[4:5], v[0:1], v[4:5], v[12:13] op_sel_hi:[0,1,1] neg_lo:[1,0,0] neg_hi:[1,0,0]
	v_mov_b32_e32 v20, v28
	v_mov_b32_e32 v17, v25
	;; [unrolled: 1-line block ×16, first 2 shown]
.LBB13_11:
	s_or_b64 exec, exec, s[2:3]
	v_cmp_eq_u32_e32 vcc, 2, v7
	s_waitcnt lgkmcnt(0)
	s_barrier
	s_and_saveexec_b64 s[2:3], vcc
	s_cbranch_execz .LBB13_14
; %bb.12:
	ds_write_b32 v15, v2
	ds_write2_b32 v31, v11, v12 offset0:3 offset1:4
	ds_write2_b32 v31, v13, v14 offset0:5 offset1:6
	ds_read_b32 v0, v15
	s_waitcnt lgkmcnt(0)
	v_cmp_neq_f32_e32 vcc, 0, v0
	s_and_b64 exec, exec, vcc
	s_cbranch_execz .LBB13_14
; %bb.13:
	v_div_scale_f32 v1, s[4:5], v0, v0, 1.0
	v_rcp_f32_e32 v21, v1
	v_div_scale_f32 v22, vcc, 1.0, v0, 1.0
	v_fma_f32 v28, -v1, v21, 1.0
	v_fmac_f32_e32 v21, v28, v21
	v_mul_f32_e32 v28, v22, v21
	v_fma_f32 v56, -v1, v28, v22
	v_fmac_f32_e32 v28, v56, v21
	v_fma_f32 v1, -v1, v28, v22
	v_div_fmas_f32 v1, v1, v21, v28
	v_div_fixup_f32 v0, v1, v0, 1.0
	ds_write_b32 v15, v0
.LBB13_14:
	s_or_b64 exec, exec, s[2:3]
	s_waitcnt lgkmcnt(0)
	s_barrier
	ds_read_b32 v56, v15
	v_cmp_lt_u32_e32 vcc, 2, v7
	s_and_saveexec_b64 s[2:3], vcc
	s_cbranch_execz .LBB13_16
; %bb.15:
	ds_read2_b32 v[0:1], v31 offset0:3 offset1:4
	ds_read2_b32 v[4:5], v31 offset0:5 offset1:6
	s_waitcnt lgkmcnt(2)
	v_mul_f32_e32 v34, v2, v56
	v_mov_b32_e32 v2, v11
	v_mov_b32_e32 v3, v12
	;; [unrolled: 1-line block ×3, first 2 shown]
	s_waitcnt lgkmcnt(1)
	v_pk_fma_f32 v[0:1], v[34:35], v[0:1], v[2:3] op_sel_hi:[0,1,1] neg_lo:[1,0,0] neg_hi:[1,0,0]
	v_mov_b32_e32 v27, v35
	v_mov_b32_e32 v25, v33
	;; [unrolled: 1-line block ×18, first 2 shown]
	s_waitcnt lgkmcnt(0)
	v_pk_fma_f32 v[58:59], v[34:35], v[4:5], v[2:3] op_sel_hi:[0,1,1] neg_lo:[1,0,0] neg_hi:[1,0,0]
	v_mov_b32_e32 v13, v21
	v_mov_b32_e32 v14, v22
	;; [unrolled: 1-line block ×12, first 2 shown]
.LBB13_16:
	s_or_b64 exec, exec, s[2:3]
	v_cmp_eq_u32_e32 vcc, 3, v7
	s_waitcnt lgkmcnt(0)
	s_barrier
	s_and_saveexec_b64 s[2:3], vcc
	s_cbranch_execz .LBB13_19
; %bb.17:
	ds_write_b32 v15, v3
	ds_write2_b32 v31, v12, v13 offset0:4 offset1:5
	ds_write_b32 v31, v6 offset:24
	ds_read_b32 v0, v15
	s_waitcnt lgkmcnt(0)
	v_cmp_neq_f32_e32 vcc, 0, v0
	s_and_b64 exec, exec, vcc
	s_cbranch_execz .LBB13_19
; %bb.18:
	v_div_scale_f32 v1, s[4:5], v0, v0, 1.0
	v_rcp_f32_e32 v2, v1
	v_div_scale_f32 v21, vcc, 1.0, v0, 1.0
	v_fma_f32 v22, -v1, v2, 1.0
	v_fmac_f32_e32 v2, v22, v2
	v_mul_f32_e32 v22, v21, v2
	v_fma_f32 v28, -v1, v22, v21
	v_fmac_f32_e32 v22, v28, v2
	v_fma_f32 v1, -v1, v22, v21
	v_div_fmas_f32 v1, v1, v2, v22
	v_div_fixup_f32 v0, v1, v0, 1.0
	ds_write_b32 v15, v0
.LBB13_19:
	s_or_b64 exec, exec, s[2:3]
	s_waitcnt lgkmcnt(0)
	s_barrier
	ds_read_b32 v2, v15
	v_cmp_lt_u32_e32 vcc, 3, v7
	s_and_saveexec_b64 s[2:3], vcc
	s_cbranch_execz .LBB13_21
; %bb.20:
	ds_read2_b32 v[0:1], v31 offset0:4 offset1:5
	ds_read_b32 v9, v31 offset:24
	s_waitcnt lgkmcnt(2)
	v_mul_f32_e32 v8, v3, v2
	v_mov_b32_e32 v35, v8
	v_mov_b32_e32 v16, v32
	;; [unrolled: 1-line block ×3, first 2 shown]
	s_waitcnt lgkmcnt(0)
	v_pk_fma_f32 v[4:5], v[8:9], v[0:1], v[12:13] op_sel_hi:[0,1,1] neg_lo:[1,0,0] neg_hi:[1,0,0]
	v_fma_f32 v6, -v8, v9, v6
	v_mov_b32_e32 v17, v33
	v_mov_b32_e32 v18, v34
	;; [unrolled: 1-line block ×22, first 2 shown]
.LBB13_21:
	s_or_b64 exec, exec, s[2:3]
	v_cmp_eq_u32_e32 vcc, 4, v7
	s_waitcnt lgkmcnt(0)
	s_barrier
	s_and_saveexec_b64 s[2:3], vcc
	s_cbranch_execz .LBB13_24
; %bb.22:
	ds_write_b32 v15, v4
	ds_write2_b32 v31, v13, v14 offset0:5 offset1:6
	ds_read_b32 v0, v15
	s_waitcnt lgkmcnt(0)
	v_cmp_neq_f32_e32 vcc, 0, v0
	s_and_b64 exec, exec, vcc
	s_cbranch_execz .LBB13_24
; %bb.23:
	v_div_scale_f32 v1, s[4:5], v0, v0, 1.0
	v_rcp_f32_e32 v3, v1
	v_div_scale_f32 v21, vcc, 1.0, v0, 1.0
	v_fma_f32 v22, -v1, v3, 1.0
	v_fmac_f32_e32 v3, v22, v3
	v_mul_f32_e32 v22, v21, v3
	v_fma_f32 v28, -v1, v22, v21
	v_fmac_f32_e32 v22, v28, v3
	v_fma_f32 v1, -v1, v22, v21
	v_div_fmas_f32 v1, v1, v3, v22
	v_div_fixup_f32 v0, v1, v0, 1.0
	ds_write_b32 v15, v0
.LBB13_24:
	s_or_b64 exec, exec, s[2:3]
	s_waitcnt lgkmcnt(0)
	s_barrier
	ds_read_b32 v3, v15
	v_cmp_lt_u32_e32 vcc, 4, v7
	s_and_saveexec_b64 s[2:3], vcc
	s_cbranch_execz .LBB13_26
; %bb.25:
	ds_read2_b32 v[0:1], v31 offset0:5 offset1:6
	s_waitcnt lgkmcnt(1)
	v_mul_f32_e32 v28, v4, v3
	v_mov_b32_e32 v4, v13
	v_mov_b32_e32 v5, v14
	;; [unrolled: 1-line block ×5, first 2 shown]
	s_waitcnt lgkmcnt(0)
	v_pk_fma_f32 v[0:1], v[28:29], v[0:1], v[4:5] op_sel_hi:[0,1,1] neg_lo:[1,0,0] neg_hi:[1,0,0]
	v_mov_b32_e32 v16, v24
	v_mov_b32_e32 v9, v25
	;; [unrolled: 1-line block ×15, first 2 shown]
.LBB13_26:
	s_or_b64 exec, exec, s[2:3]
	v_cmp_eq_u32_e32 vcc, 5, v7
	s_waitcnt lgkmcnt(0)
	s_barrier
	s_and_saveexec_b64 s[2:3], vcc
	s_cbranch_execz .LBB13_29
; %bb.27:
	ds_write_b32 v15, v5
	ds_write_b32 v31, v6 offset:24
	ds_read_b32 v0, v15
	s_waitcnt lgkmcnt(0)
	v_cmp_neq_f32_e32 vcc, 0, v0
	s_and_b64 exec, exec, vcc
	s_cbranch_execz .LBB13_29
; %bb.28:
	v_div_scale_f32 v1, s[4:5], v0, v0, 1.0
	v_rcp_f32_e32 v4, v1
	v_div_scale_f32 v21, vcc, 1.0, v0, 1.0
	v_fma_f32 v22, -v1, v4, 1.0
	v_fmac_f32_e32 v4, v22, v4
	v_mul_f32_e32 v22, v21, v4
	v_fma_f32 v24, -v1, v22, v21
	v_fmac_f32_e32 v22, v24, v4
	v_fma_f32 v1, -v1, v22, v21
	v_div_fmas_f32 v1, v1, v4, v22
	v_div_fixup_f32 v0, v1, v0, 1.0
	ds_write_b32 v15, v0
.LBB13_29:
	s_or_b64 exec, exec, s[2:3]
	s_waitcnt lgkmcnt(0)
	s_barrier
	ds_read_b32 v4, v15
	v_cmp_lt_u32_e32 vcc, 5, v7
	s_and_saveexec_b64 s[2:3], vcc
	s_cbranch_execz .LBB13_31
; %bb.30:
	ds_read_b32 v0, v31 offset:24
	s_waitcnt lgkmcnt(1)
	v_mul_f32_e32 v21, v5, v4
	s_waitcnt lgkmcnt(0)
	v_fma_f32 v22, -v21, v0, v6
	v_mov_b32_e32 v8, v16
	v_mov_b32_e32 v9, v17
	;; [unrolled: 1-line block ×8, first 2 shown]
.LBB13_31:
	s_or_b64 exec, exec, s[2:3]
	v_cmp_eq_u32_e32 vcc, 6, v7
	s_waitcnt lgkmcnt(0)
	s_barrier
	s_and_saveexec_b64 s[2:3], vcc
	s_cbranch_execz .LBB13_34
; %bb.32:
	v_cmp_neq_f32_e32 vcc, 0, v6
	ds_write_b32 v15, v6
	s_and_b64 exec, exec, vcc
	s_cbranch_execz .LBB13_34
; %bb.33:
	v_div_scale_f32 v0, s[4:5], v6, v6, 1.0
	v_rcp_f32_e32 v1, v0
	v_div_scale_f32 v5, vcc, 1.0, v6, 1.0
	v_fma_f32 v16, -v0, v1, 1.0
	v_fmac_f32_e32 v1, v16, v1
	v_mul_f32_e32 v16, v5, v1
	v_fma_f32 v17, -v0, v16, v5
	v_fmac_f32_e32 v16, v17, v1
	v_fma_f32 v0, -v0, v16, v5
	v_div_fmas_f32 v0, v0, v1, v16
	v_div_fixup_f32 v0, v0, v6, 1.0
	ds_write_b32 v15, v0
.LBB13_34:
	s_or_b64 exec, exec, s[2:3]
	s_waitcnt lgkmcnt(0)
	s_barrier
	ds_read_b32 v5, v15
	s_waitcnt lgkmcnt(0)
	s_barrier
	s_and_saveexec_b64 s[14:15], s[0:1]
	s_cbranch_execz .LBB13_37
; %bb.35:
	v_mov_b32_e32 v0, s6
	v_mov_b32_e32 v1, s7
	v_lshl_add_u64 v[0:1], v[44:45], 2, v[0:1]
	global_load_dword v15, v[0:1], off
	v_cmp_eq_f32_e32 vcc, 0, v23
	v_cmp_neq_f32_e64 s[0:1], 0, v39
	v_cmp_eq_f32_e64 s[4:5], 0, v2
	v_cndmask_b32_e64 v16, 0, 1, vcc
	s_or_b64 vcc, s[0:1], vcc
	v_cndmask_b32_e32 v2, 2, v16, vcc
	v_cmp_eq_f32_e64 s[2:3], 0, v56
	v_cmp_eq_u32_e32 vcc, 0, v2
	s_and_b64 s[0:1], s[2:3], vcc
	v_cndmask_b32_e64 v2, v2, 3, s[0:1]
	v_cmp_eq_u32_e32 vcc, 0, v2
	s_and_b64 s[0:1], s[4:5], vcc
	v_cndmask_b32_e64 v2, v2, 4, s[0:1]
	v_cmp_eq_f32_e64 s[6:7], 0, v3
	v_cmp_eq_u32_e32 vcc, 0, v2
	s_and_b64 s[0:1], s[6:7], vcc
	v_cndmask_b32_e64 v2, v2, 5, s[0:1]
	v_cmp_eq_f32_e64 s[8:9], 0, v4
	;; [unrolled: 4-line block ×3, first 2 shown]
	v_cmp_eq_u32_e32 vcc, 0, v2
	s_and_b64 s[0:1], s[10:11], vcc
	v_cndmask_b32_e64 v2, v2, 7, s[0:1]
	v_cmp_ne_u32_e64 s[0:1], 0, v2
	s_waitcnt vmcnt(0)
	v_cmp_eq_u32_e32 vcc, 0, v15
	s_and_b64 s[0:1], vcc, s[0:1]
	s_and_b64 exec, exec, s[0:1]
	s_cbranch_execz .LBB13_37
; %bb.36:
	v_add_u32_e32 v2, s13, v2
	global_store_dword v[0:1], v2, off
.LBB13_37:
	s_or_b64 exec, exec, s[14:15]
	v_mul_f32_e32 v0, v6, v5
	v_cmp_lt_u32_e32 vcc, 6, v7
	s_nop 1
	v_cndmask_b32_e32 v0, v14, v0, vcc
	global_store_dword v[40:41], v8, off
	global_store_dword v[42:43], v9, off
	;; [unrolled: 1-line block ×7, first 2 shown]
.LBB13_38:
	s_endpgm
	.section	.rodata,"a",@progbits
	.p2align	6, 0x0
	.amdhsa_kernel _ZN9rocsolver6v33100L23getf2_npvt_small_kernelILi7EfiiPfEEvT1_T3_lS3_lPT2_S3_S3_
		.amdhsa_group_segment_fixed_size 0
		.amdhsa_private_segment_fixed_size 0
		.amdhsa_kernarg_size 312
		.amdhsa_user_sgpr_count 2
		.amdhsa_user_sgpr_dispatch_ptr 0
		.amdhsa_user_sgpr_queue_ptr 0
		.amdhsa_user_sgpr_kernarg_segment_ptr 1
		.amdhsa_user_sgpr_dispatch_id 0
		.amdhsa_user_sgpr_kernarg_preload_length 0
		.amdhsa_user_sgpr_kernarg_preload_offset 0
		.amdhsa_user_sgpr_private_segment_size 0
		.amdhsa_uses_dynamic_stack 0
		.amdhsa_enable_private_segment 0
		.amdhsa_system_sgpr_workgroup_id_x 1
		.amdhsa_system_sgpr_workgroup_id_y 1
		.amdhsa_system_sgpr_workgroup_id_z 0
		.amdhsa_system_sgpr_workgroup_info 0
		.amdhsa_system_vgpr_workitem_id 1
		.amdhsa_next_free_vgpr 62
		.amdhsa_next_free_sgpr 16
		.amdhsa_accum_offset 64
		.amdhsa_reserve_vcc 1
		.amdhsa_float_round_mode_32 0
		.amdhsa_float_round_mode_16_64 0
		.amdhsa_float_denorm_mode_32 3
		.amdhsa_float_denorm_mode_16_64 3
		.amdhsa_dx10_clamp 1
		.amdhsa_ieee_mode 1
		.amdhsa_fp16_overflow 0
		.amdhsa_tg_split 0
		.amdhsa_exception_fp_ieee_invalid_op 0
		.amdhsa_exception_fp_denorm_src 0
		.amdhsa_exception_fp_ieee_div_zero 0
		.amdhsa_exception_fp_ieee_overflow 0
		.amdhsa_exception_fp_ieee_underflow 0
		.amdhsa_exception_fp_ieee_inexact 0
		.amdhsa_exception_int_div_zero 0
	.end_amdhsa_kernel
	.section	.text._ZN9rocsolver6v33100L23getf2_npvt_small_kernelILi7EfiiPfEEvT1_T3_lS3_lPT2_S3_S3_,"axG",@progbits,_ZN9rocsolver6v33100L23getf2_npvt_small_kernelILi7EfiiPfEEvT1_T3_lS3_lPT2_S3_S3_,comdat
.Lfunc_end13:
	.size	_ZN9rocsolver6v33100L23getf2_npvt_small_kernelILi7EfiiPfEEvT1_T3_lS3_lPT2_S3_S3_, .Lfunc_end13-_ZN9rocsolver6v33100L23getf2_npvt_small_kernelILi7EfiiPfEEvT1_T3_lS3_lPT2_S3_S3_
                                        ; -- End function
	.set _ZN9rocsolver6v33100L23getf2_npvt_small_kernelILi7EfiiPfEEvT1_T3_lS3_lPT2_S3_S3_.num_vgpr, 62
	.set _ZN9rocsolver6v33100L23getf2_npvt_small_kernelILi7EfiiPfEEvT1_T3_lS3_lPT2_S3_S3_.num_agpr, 0
	.set _ZN9rocsolver6v33100L23getf2_npvt_small_kernelILi7EfiiPfEEvT1_T3_lS3_lPT2_S3_S3_.numbered_sgpr, 16
	.set _ZN9rocsolver6v33100L23getf2_npvt_small_kernelILi7EfiiPfEEvT1_T3_lS3_lPT2_S3_S3_.num_named_barrier, 0
	.set _ZN9rocsolver6v33100L23getf2_npvt_small_kernelILi7EfiiPfEEvT1_T3_lS3_lPT2_S3_S3_.private_seg_size, 0
	.set _ZN9rocsolver6v33100L23getf2_npvt_small_kernelILi7EfiiPfEEvT1_T3_lS3_lPT2_S3_S3_.uses_vcc, 1
	.set _ZN9rocsolver6v33100L23getf2_npvt_small_kernelILi7EfiiPfEEvT1_T3_lS3_lPT2_S3_S3_.uses_flat_scratch, 0
	.set _ZN9rocsolver6v33100L23getf2_npvt_small_kernelILi7EfiiPfEEvT1_T3_lS3_lPT2_S3_S3_.has_dyn_sized_stack, 0
	.set _ZN9rocsolver6v33100L23getf2_npvt_small_kernelILi7EfiiPfEEvT1_T3_lS3_lPT2_S3_S3_.has_recursion, 0
	.set _ZN9rocsolver6v33100L23getf2_npvt_small_kernelILi7EfiiPfEEvT1_T3_lS3_lPT2_S3_S3_.has_indirect_call, 0
	.section	.AMDGPU.csdata,"",@progbits
; Kernel info:
; codeLenInByte = 2940
; TotalNumSgprs: 22
; NumVgprs: 62
; NumAgprs: 0
; TotalNumVgprs: 62
; ScratchSize: 0
; MemoryBound: 0
; FloatMode: 240
; IeeeMode: 1
; LDSByteSize: 0 bytes/workgroup (compile time only)
; SGPRBlocks: 2
; VGPRBlocks: 7
; NumSGPRsForWavesPerEU: 22
; NumVGPRsForWavesPerEU: 62
; AccumOffset: 64
; Occupancy: 8
; WaveLimiterHint : 0
; COMPUTE_PGM_RSRC2:SCRATCH_EN: 0
; COMPUTE_PGM_RSRC2:USER_SGPR: 2
; COMPUTE_PGM_RSRC2:TRAP_HANDLER: 0
; COMPUTE_PGM_RSRC2:TGID_X_EN: 1
; COMPUTE_PGM_RSRC2:TGID_Y_EN: 1
; COMPUTE_PGM_RSRC2:TGID_Z_EN: 0
; COMPUTE_PGM_RSRC2:TIDIG_COMP_CNT: 1
; COMPUTE_PGM_RSRC3_GFX90A:ACCUM_OFFSET: 15
; COMPUTE_PGM_RSRC3_GFX90A:TG_SPLIT: 0
	.section	.text._ZN9rocsolver6v33100L18getf2_small_kernelILi8EfiiPfEEvT1_T3_lS3_lPS3_llPT2_S3_S3_S5_l,"axG",@progbits,_ZN9rocsolver6v33100L18getf2_small_kernelILi8EfiiPfEEvT1_T3_lS3_lPS3_llPT2_S3_S3_S5_l,comdat
	.globl	_ZN9rocsolver6v33100L18getf2_small_kernelILi8EfiiPfEEvT1_T3_lS3_lPS3_llPT2_S3_S3_S5_l ; -- Begin function _ZN9rocsolver6v33100L18getf2_small_kernelILi8EfiiPfEEvT1_T3_lS3_lPS3_llPT2_S3_S3_S5_l
	.p2align	8
	.type	_ZN9rocsolver6v33100L18getf2_small_kernelILi8EfiiPfEEvT1_T3_lS3_lPS3_llPT2_S3_S3_S5_l,@function
_ZN9rocsolver6v33100L18getf2_small_kernelILi8EfiiPfEEvT1_T3_lS3_lPS3_llPT2_S3_S3_S5_l: ; @_ZN9rocsolver6v33100L18getf2_small_kernelILi8EfiiPfEEvT1_T3_lS3_lPS3_llPT2_S3_S3_S5_l
; %bb.0:
	s_load_dword s2, s[0:1], 0x6c
	s_load_dwordx2 s[14:15], s[0:1], 0x48
	v_bfe_u32 v11, v0, 10, 10
	s_waitcnt lgkmcnt(0)
	s_lshr_b32 s2, s2, 16
	s_mul_i32 s3, s3, s2
	v_add_u32_e32 v50, s3, v11
	v_cmp_gt_i32_e32 vcc, s14, v50
	s_and_saveexec_b64 s[2:3], vcc
	s_cbranch_execz .LBB14_133
; %bb.1:
	s_load_dwordx4 s[4:7], s[0:1], 0x50
	v_ashrrev_i32_e32 v51, 31, v50
	v_mov_b64_e32 v[52:53], 0
	s_waitcnt lgkmcnt(0)
	s_cmp_eq_u64 s[4:5], 0
	s_cselect_b64 s[16:17], -1, 0
	s_and_b64 vcc, exec, s[16:17]
	s_cbranch_vccnz .LBB14_3
; %bb.2:
	v_mul_lo_u32 v1, s7, v50
	v_mul_lo_u32 v4, s6, v51
	v_mad_u64_u32 v[2:3], s[2:3], s6, v50, 0
	v_add3_u32 v3, v3, v4, v1
	v_lshl_add_u64 v[52:53], v[2:3], 2, s[4:5]
.LBB14_3:
	s_load_dwordx4 s[20:23], s[0:1], 0x8
	s_load_dwordx8 s[4:11], s[0:1], 0x20
	s_load_dword s12, s[0:1], 0x18
	v_and_b32_e32 v10, 0x3ff, v0
	v_lshlrev_b32_e32 v8, 2, v10
	s_waitcnt lgkmcnt(0)
	v_mov_b32_e32 v2, s20
	v_mul_lo_u32 v1, s5, v50
	v_mul_lo_u32 v6, s4, v51
	v_mad_u64_u32 v[4:5], s[2:3], s4, v50, 0
	v_mov_b32_e32 v3, s21
	v_add3_u32 v5, v5, v6, v1
	v_lshl_add_u64 v[2:3], v[4:5], 2, v[2:3]
	v_lshl_add_u64 v[48:49], s[22:23], 2, v[2:3]
	v_mov_b32_e32 v9, 0
	v_lshl_add_u64 v[2:3], v[48:49], 0, v[8:9]
	s_ashr_i32 s13, s12, 31
	s_add_i32 s14, s12, s12
	global_load_dword v0, v[2:3], off
	v_lshl_add_u64 v[12:13], s[12:13], 2, v[2:3]
	v_add_u32_e32 v2, s14, v10
	v_ashrrev_i32_e32 v3, 31, v2
	v_lshl_add_u64 v[14:15], v[2:3], 2, v[48:49]
	v_add_u32_e32 v2, s12, v2
	v_ashrrev_i32_e32 v3, 31, v2
	;; [unrolled: 3-line block ×6, first 2 shown]
	v_lshl_add_u64 v[24:25], v[2:3], 2, v[48:49]
	global_load_dword v1, v[12:13], off
	global_load_dword v2, v[14:15], off
	;; [unrolled: 1-line block ×7, first 2 shown]
	s_load_dword s22, s[0:1], 0x0
	s_load_dwordx2 s[4:5], s[0:1], 0x40
	s_waitcnt lgkmcnt(0)
	s_max_i32 s0, s22, 8
	v_mul_lo_u32 v11, s0, v11
	v_lshl_add_u32 v54, v11, 2, 0
	v_add_u32_e32 v8, v54, v8
	s_cmp_lt_i32 s22, 2
	v_lshlrev_b32_e32 v55, 2, v11
	s_waitcnt vmcnt(7)
	ds_write_b32 v8, v0
	s_waitcnt lgkmcnt(0)
	s_barrier
	ds_read_b32 v58, v54
	s_cbranch_scc1 .LBB14_6
; %bb.4:
	v_add3_u32 v8, v55, 0, 4
	v_mov_b32_e32 v9, 0
	s_mov_b32 s0, 1
.LBB14_5:                               ; =>This Inner Loop Header: Depth=1
	ds_read_b32 v11, v8
	v_mov_b32_e32 v12, s0
	s_add_i32 s0, s0, 1
	v_add_u32_e32 v8, 4, v8
	s_cmp_eq_u32 s22, s0
	s_waitcnt lgkmcnt(0)
	v_cmp_lt_f32_e64 vcc, |v58|, |v11|
	s_nop 1
	v_cndmask_b32_e32 v58, v58, v11, vcc
	v_cndmask_b32_e32 v9, v9, v12, vcc
	s_cbranch_scc0 .LBB14_5
.LBB14_6:
	v_cmp_ne_u32_e32 vcc, v10, v9
                                        ; implicit-def: $vgpr57
	s_and_saveexec_b64 s[0:1], vcc
	s_xor_b64 s[0:1], exec, s[0:1]
	s_cbranch_execz .LBB14_12
; %bb.7:
	v_cmp_eq_u32_e32 vcc, 0, v10
	s_and_saveexec_b64 s[2:3], vcc
	s_cbranch_execz .LBB14_11
; %bb.8:
	v_cmp_ne_u32_e32 vcc, 0, v9
	s_xor_b64 s[18:19], s[16:17], -1
	s_and_b64 s[20:21], s[18:19], vcc
	s_and_saveexec_b64 s[18:19], s[20:21]
	s_cbranch_execz .LBB14_10
; %bb.9:
	v_ashrrev_i32_e32 v11, 31, v9
	v_mov_b32_e32 v10, v9
	v_lshl_add_u64 v[10:11], v[10:11], 2, v[52:53]
	global_load_dword v8, v[10:11], off
	global_load_dword v12, v[52:53], off
	s_waitcnt vmcnt(1)
	global_store_dword v[52:53], v8, off
	s_waitcnt vmcnt(1)
	global_store_dword v[10:11], v12, off
.LBB14_10:
	s_or_b64 exec, exec, s[18:19]
	v_mov_b32_e32 v10, v9
.LBB14_11:
	s_or_b64 exec, exec, s[2:3]
	v_mov_b32_e32 v57, v10
                                        ; implicit-def: $vgpr10
.LBB14_12:
	s_or_saveexec_b64 s[0:1], s[0:1]
	v_mov_b32_e32 v56, v57
	s_xor_b64 exec, exec, s[0:1]
	s_cbranch_execz .LBB14_14
; %bb.13:
	v_mov_b32_e32 v57, 0
	v_mov_b32_e32 v56, v10
	s_waitcnt vmcnt(5)
	ds_write2_b32 v54, v1, v2 offset0:1 offset1:2
	s_waitcnt vmcnt(3)
	ds_write2_b32 v54, v3, v4 offset0:3 offset1:4
	;; [unrolled: 2-line block ×3, first 2 shown]
	s_waitcnt vmcnt(0)
	ds_write_b32 v54, v7 offset:28
.LBB14_14:
	s_or_b64 exec, exec, s[0:1]
	s_waitcnt vmcnt(0)
	v_mov_b64_e32 v[14:15], v[6:7]
	v_mov_b64_e32 v[22:23], v[6:7]
	;; [unrolled: 1-line block ×5, first 2 shown]
	s_waitcnt lgkmcnt(0)
	v_cmp_eq_f32_e64 s[0:1], 0, v58
	v_cmp_lt_i32_e32 vcc, 0, v57
	v_mov_b64_e32 v[12:13], v[4:5]
	v_mov_b64_e32 v[10:11], v[2:3]
	;; [unrolled: 1-line block ×15, first 2 shown]
	s_barrier
	s_and_saveexec_b64 s[2:3], vcc
	s_cbranch_execz .LBB14_16
; %bb.15:
	v_div_scale_f32 v8, s[18:19], v58, v58, 1.0
	v_rcp_f32_e32 v9, v8
	v_div_scale_f32 v10, vcc, 1.0, v58, 1.0
	v_fma_f32 v11, -v8, v9, 1.0
	v_fmac_f32_e32 v9, v11, v9
	v_mul_f32_e32 v11, v10, v9
	v_fma_f32 v12, -v8, v11, v10
	v_fmac_f32_e32 v11, v12, v9
	v_fma_f32 v8, -v8, v11, v10
	v_div_fmas_f32 v8, v8, v9, v11
	ds_read2_b32 v[10:11], v54 offset0:1 offset1:2
	v_div_fixup_f32 v8, v8, v58, 1.0
	v_cndmask_b32_e64 v8, v8, v58, s[0:1]
	v_mul_f32_e32 v8, v0, v8
	v_mov_b32_e32 v0, v1
	v_mov_b32_e32 v1, v2
	ds_read2_b32 v[12:13], v54 offset0:3 offset1:4
	ds_read2_b32 v[14:15], v54 offset0:5 offset1:6
	ds_read_b32 v2, v54 offset:28
	s_waitcnt lgkmcnt(3)
	v_pk_fma_f32 v[58:59], v[8:9], v[10:11], v[0:1] op_sel_hi:[0,1,1] neg_lo:[1,0,0] neg_hi:[1,0,0]
	v_mov_b32_e32 v0, v3
	v_mov_b32_e32 v1, v4
	s_waitcnt lgkmcnt(2)
	v_pk_fma_f32 v[60:61], v[8:9], v[12:13], v[0:1] op_sel_hi:[0,1,1] neg_lo:[1,0,0] neg_hi:[1,0,0]
	v_mov_b32_e32 v0, v5
	v_mov_b32_e32 v1, v6
	s_waitcnt lgkmcnt(1)
	v_pk_fma_f32 v[62:63], v[8:9], v[14:15], v[0:1] op_sel_hi:[0,1,1] neg_lo:[1,0,0] neg_hi:[1,0,0]
	s_waitcnt lgkmcnt(0)
	v_fma_f32 v15, -v8, v2, v7
	v_mov_b32_e32 v14, v63
	v_mov_b32_e32 v9, v58
	;; [unrolled: 1-line block ×6, first 2 shown]
	v_mov_b64_e32 v[22:23], v[14:15]
	v_mov_b64_e32 v[30:31], v[14:15]
	;; [unrolled: 1-line block ×16, first 2 shown]
	v_mov_b32_e32 v1, v58
	v_mov_b32_e32 v2, v59
	;; [unrolled: 1-line block ×7, first 2 shown]
.LBB14_16:
	s_or_b64 exec, exec, s[2:3]
	v_lshl_add_u32 v0, v57, 2, v54
	s_barrier
	ds_write_b32 v0, v1
	s_waitcnt lgkmcnt(0)
	s_barrier
	ds_read_b32 v0, v54 offset:4
	s_mov_b32 s2, 2
	s_cmp_lt_i32 s22, 3
	v_mov_b32_e32 v22, 1
	s_cbranch_scc1 .LBB14_19
; %bb.17:
	v_add3_u32 v23, v55, 0, 8
	v_mov_b32_e32 v22, 1
.LBB14_18:                              ; =>This Inner Loop Header: Depth=1
	ds_read_b32 v29, v23
	v_mov_b32_e32 v36, s2
	s_add_i32 s2, s2, 1
	v_add_u32_e32 v23, 4, v23
	s_cmp_lg_u32 s22, s2
	s_waitcnt lgkmcnt(0)
	v_cmp_lt_f32_e64 vcc, |v0|, |v29|
	s_nop 1
	v_cndmask_b32_e32 v0, v0, v29, vcc
	v_cndmask_b32_e32 v22, v22, v36, vcc
	s_cbranch_scc1 .LBB14_18
.LBB14_19:
	v_cmp_ne_u32_e32 vcc, v57, v22
	s_and_saveexec_b64 s[2:3], vcc
	s_xor_b64 s[2:3], exec, s[2:3]
	s_cbranch_execz .LBB14_25
; %bb.20:
	v_cmp_eq_u32_e32 vcc, 1, v57
	s_and_saveexec_b64 s[18:19], vcc
	s_cbranch_execz .LBB14_24
; %bb.21:
	v_cmp_ne_u32_e32 vcc, 1, v22
	s_xor_b64 s[20:21], s[16:17], -1
	s_and_b64 s[24:25], s[20:21], vcc
	s_and_saveexec_b64 s[20:21], s[24:25]
	s_cbranch_execz .LBB14_23
; %bb.22:
	v_ashrrev_i32_e32 v23, 31, v22
	v_lshl_add_u64 v[56:57], v[22:23], 2, v[52:53]
	global_load_dword v23, v[56:57], off
	global_load_dword v29, v[52:53], off offset:4
	s_waitcnt vmcnt(1)
	global_store_dword v[52:53], v23, off offset:4
	s_waitcnt vmcnt(1)
	global_store_dword v[56:57], v29, off
.LBB14_23:
	s_or_b64 exec, exec, s[20:21]
	v_mov_b32_e32 v56, v22
	v_mov_b32_e32 v57, v22
.LBB14_24:
	s_or_b64 exec, exec, s[18:19]
.LBB14_25:
	s_andn2_saveexec_b64 s[2:3], s[2:3]
	s_cbranch_execz .LBB14_27
; %bb.26:
	v_mov_b32_e32 v57, 1
	ds_write2_b32 v54, v10, v11 offset0:2 offset1:3
	ds_write2_b32 v54, v12, v13 offset0:4 offset1:5
	;; [unrolled: 1-line block ×3, first 2 shown]
.LBB14_27:
	s_or_b64 exec, exec, s[2:3]
	s_waitcnt lgkmcnt(0)
	v_cmp_neq_f32_e64 s[2:3], 0, v0
	v_cmp_lt_i32_e32 vcc, 1, v57
	s_barrier
	s_and_saveexec_b64 s[18:19], vcc
	s_cbranch_execz .LBB14_29
; %bb.28:
	v_div_scale_f32 v2, s[20:21], v0, v0, 1.0
	v_rcp_f32_e32 v3, v2
	v_div_scale_f32 v4, vcc, 1.0, v0, 1.0
	v_mov_b64_e32 v[46:47], v[14:15]
	v_fma_f32 v5, -v2, v3, 1.0
	v_fmac_f32_e32 v3, v5, v3
	v_mul_f32_e32 v5, v4, v3
	v_fma_f32 v6, -v2, v5, v4
	v_fmac_f32_e32 v5, v6, v3
	v_fma_f32 v2, -v2, v5, v4
	v_div_fmas_f32 v2, v2, v3, v5
	v_div_fixup_f32 v16, v2, v0, 1.0
	ds_read2_b32 v[2:3], v54 offset0:2 offset1:3
	ds_read2_b32 v[4:5], v54 offset0:4 offset1:5
	;; [unrolled: 1-line block ×3, first 2 shown]
	v_cndmask_b32_e64 v0, v0, v16, s[2:3]
	v_mul_f32_e32 v0, v1, v0
	v_mov_b64_e32 v[40:41], v[8:9]
	s_waitcnt lgkmcnt(2)
	v_pk_fma_f32 v[2:3], v[0:1], v[2:3], v[10:11] op_sel_hi:[0,1,1] neg_lo:[1,0,0] neg_hi:[1,0,0]
	v_mov_b64_e32 v[42:43], v[10:11]
	v_mov_b32_e32 v41, v0
	v_mov_b64_e32 v[44:45], v[12:13]
	v_mov_b32_e32 v42, v2
	v_mov_b64_e32 v[32:33], v[40:41]
	v_mov_b64_e32 v[34:35], v[42:43]
	;; [unrolled: 1-line block ×4, first 2 shown]
	v_mov_b32_e32 v35, v3
	v_mov_b64_e32 v[24:25], v[32:33]
	s_waitcnt lgkmcnt(1)
	v_pk_fma_f32 v[4:5], v[0:1], v[4:5], v[12:13] op_sel_hi:[0,1,1] neg_lo:[1,0,0] neg_hi:[1,0,0]
	v_mov_b64_e32 v[28:29], v[36:37]
	v_mov_b64_e32 v[26:27], v[34:35]
	;; [unrolled: 1-line block ×3, first 2 shown]
	v_mov_b32_e32 v28, v4
	v_mov_b64_e32 v[16:17], v[24:25]
	v_mov_b64_e32 v[20:21], v[28:29]
	s_waitcnt lgkmcnt(0)
	v_pk_fma_f32 v[6:7], v[0:1], v[6:7], v[14:15] op_sel_hi:[0,1,1] neg_lo:[1,0,0] neg_hi:[1,0,0]
	v_mov_b64_e32 v[18:19], v[26:27]
	v_mov_b64_e32 v[22:23], v[30:31]
	v_mov_b32_e32 v21, v5
	v_mov_b64_e32 v[8:9], v[16:17]
	v_mov_b64_e32 v[14:15], v[22:23]
	;; [unrolled: 1-line block ×4, first 2 shown]
	v_mov_b32_e32 v14, v6
	v_mov_b32_e32 v15, v7
.LBB14_29:
	s_or_b64 exec, exec, s[18:19]
	v_lshl_add_u32 v0, v57, 2, v54
	s_barrier
	ds_write_b32 v0, v2
	s_waitcnt lgkmcnt(0)
	s_barrier
	ds_read_b32 v22, v54 offset:8
	s_cmp_lt_i32 s22, 4
	v_mov_b32_e32 v0, 2
	s_cbranch_scc1 .LBB14_32
; %bb.30:
	v_mov_b32_e32 v0, 2
	v_add3_u32 v1, v55, 0, 12
	s_mov_b32 s18, 3
.LBB14_31:                              ; =>This Inner Loop Header: Depth=1
	ds_read_b32 v23, v1
	v_mov_b32_e32 v29, s18
	s_add_i32 s18, s18, 1
	v_add_u32_e32 v1, 4, v1
	s_cmp_lg_u32 s22, s18
	s_waitcnt lgkmcnt(0)
	v_cmp_lt_f32_e64 vcc, |v22|, |v23|
	s_nop 1
	v_cndmask_b32_e32 v22, v22, v23, vcc
	v_cndmask_b32_e32 v0, v0, v29, vcc
	s_cbranch_scc1 .LBB14_31
.LBB14_32:
	v_cndmask_b32_e64 v1, 2, 1, s[0:1]
	v_cndmask_b32_e64 v23, 0, 1, s[0:1]
	;; [unrolled: 1-line block ×3, first 2 shown]
	s_waitcnt lgkmcnt(0)
	v_cmp_eq_f32_e32 vcc, 0, v22
	s_and_saveexec_b64 s[0:1], vcc
	s_xor_b64 s[0:1], exec, s[0:1]
; %bb.33:
	v_cmp_ne_u32_e32 vcc, 0, v58
	s_nop 1
	v_cndmask_b32_e32 v58, 3, v58, vcc
; %bb.34:
	s_andn2_saveexec_b64 s[0:1], s[0:1]
	s_cbranch_execz .LBB14_36
; %bb.35:
	v_div_scale_f32 v1, s[2:3], v22, v22, 1.0
	v_rcp_f32_e32 v23, v1
	v_div_scale_f32 v29, vcc, 1.0, v22, 1.0
	v_fma_f32 v36, -v1, v23, 1.0
	v_fmac_f32_e32 v23, v36, v23
	v_mul_f32_e32 v36, v29, v23
	v_fma_f32 v59, -v1, v36, v29
	v_fmac_f32_e32 v36, v59, v23
	v_fma_f32 v1, -v1, v36, v29
	v_div_fmas_f32 v1, v1, v23, v36
	v_div_fixup_f32 v22, v1, v22, 1.0
.LBB14_36:
	s_or_b64 exec, exec, s[0:1]
	v_cmp_ne_u32_e32 vcc, v57, v0
	s_and_saveexec_b64 s[0:1], vcc
	s_xor_b64 s[0:1], exec, s[0:1]
	s_cbranch_execz .LBB14_42
; %bb.37:
	v_cmp_eq_u32_e32 vcc, 2, v57
	s_and_saveexec_b64 s[2:3], vcc
	s_cbranch_execz .LBB14_41
; %bb.38:
	v_cmp_ne_u32_e32 vcc, 2, v0
	s_xor_b64 s[18:19], s[16:17], -1
	s_and_b64 s[20:21], s[18:19], vcc
	s_and_saveexec_b64 s[18:19], s[20:21]
	s_cbranch_execz .LBB14_40
; %bb.39:
	v_ashrrev_i32_e32 v1, 31, v0
	v_lshl_add_u64 v[56:57], v[0:1], 2, v[52:53]
	global_load_dword v1, v[56:57], off
	global_load_dword v23, v[52:53], off offset:8
	s_waitcnt vmcnt(1)
	global_store_dword v[52:53], v1, off offset:8
	s_waitcnt vmcnt(1)
	global_store_dword v[56:57], v23, off
.LBB14_40:
	s_or_b64 exec, exec, s[18:19]
	v_mov_b32_e32 v56, v0
	v_mov_b32_e32 v57, v0
.LBB14_41:
	s_or_b64 exec, exec, s[2:3]
.LBB14_42:
	s_andn2_saveexec_b64 s[0:1], s[0:1]
	s_cbranch_execz .LBB14_44
; %bb.43:
	v_mov_b32_e32 v57, 2
	ds_write2_b32 v54, v11, v12 offset0:3 offset1:4
	ds_write2_b32 v54, v13, v14 offset0:5 offset1:6
	ds_write_b32 v54, v7 offset:28
.LBB14_44:
	s_or_b64 exec, exec, s[0:1]
	v_cmp_lt_i32_e32 vcc, 2, v57
	s_waitcnt lgkmcnt(0)
	s_barrier
	s_and_saveexec_b64 s[0:1], vcc
	s_cbranch_execz .LBB14_46
; %bb.45:
	ds_read2_b32 v[0:1], v54 offset0:3 offset1:4
	v_mul_f32_e32 v42, v2, v22
	v_mov_b32_e32 v2, v11
	v_mov_b32_e32 v3, v12
	v_mov_b64_e32 v[32:33], v[40:41]
	ds_read2_b32 v[4:5], v54 offset0:5 offset1:6
	ds_read_b32 v6, v54 offset:28
	s_waitcnt lgkmcnt(2)
	v_pk_fma_f32 v[0:1], v[42:43], v[0:1], v[2:3] op_sel_hi:[0,1,1] neg_lo:[1,0,0] neg_hi:[1,0,0]
	v_mov_b64_e32 v[34:35], v[42:43]
	v_mov_b64_e32 v[36:37], v[44:45]
	;; [unrolled: 1-line block ×3, first 2 shown]
	v_mov_b32_e32 v35, v0
	v_mov_b64_e32 v[24:25], v[32:33]
	v_mov_b64_e32 v[28:29], v[36:37]
	v_mov_b32_e32 v2, v13
	v_mov_b32_e32 v3, v14
	v_mov_b64_e32 v[26:27], v[34:35]
	v_mov_b64_e32 v[30:31], v[38:39]
	v_mov_b32_e32 v28, v1
	v_mov_b64_e32 v[16:17], v[24:25]
	s_waitcnt lgkmcnt(1)
	v_pk_fma_f32 v[60:61], v[42:43], v[4:5], v[2:3] op_sel_hi:[0,1,1] neg_lo:[1,0,0] neg_hi:[1,0,0]
	v_mov_b64_e32 v[20:21], v[28:29]
	v_mov_b64_e32 v[18:19], v[26:27]
	;; [unrolled: 1-line block ×3, first 2 shown]
	v_mov_b32_e32 v21, v60
	v_mov_b64_e32 v[8:9], v[16:17]
	s_waitcnt lgkmcnt(0)
	v_fma_f32 v7, -v42, v6, v7
	v_mov_b64_e32 v[14:15], v[22:23]
	v_mov_b64_e32 v[10:11], v[18:19]
	;; [unrolled: 1-line block ×3, first 2 shown]
	v_mov_b32_e32 v14, v61
	v_mov_b32_e32 v15, v7
	;; [unrolled: 1-line block ×6, first 2 shown]
.LBB14_46:
	s_or_b64 exec, exec, s[0:1]
	v_lshl_add_u32 v0, v57, 2, v54
	s_barrier
	ds_write_b32 v0, v3
	s_waitcnt lgkmcnt(0)
	s_barrier
	ds_read_b32 v2, v54 offset:12
	s_cmp_lt_i32 s22, 5
	v_mov_b32_e32 v0, 3
	s_cbranch_scc1 .LBB14_49
; %bb.47:
	v_add3_u32 v1, v55, 0, 16
	v_mov_b32_e32 v0, 3
	s_mov_b32 s0, 4
.LBB14_48:                              ; =>This Inner Loop Header: Depth=1
	ds_read_b32 v22, v1
	v_mov_b32_e32 v23, s0
	s_add_i32 s0, s0, 1
	v_add_u32_e32 v1, 4, v1
	s_cmp_lg_u32 s22, s0
	s_waitcnt lgkmcnt(0)
	v_cmp_lt_f32_e64 vcc, |v2|, |v22|
	s_nop 1
	v_cndmask_b32_e32 v2, v2, v22, vcc
	v_cndmask_b32_e32 v0, v0, v23, vcc
	s_cbranch_scc1 .LBB14_48
.LBB14_49:
	s_waitcnt lgkmcnt(0)
	v_cmp_eq_f32_e32 vcc, 0, v2
	s_and_saveexec_b64 s[0:1], vcc
	s_xor_b64 s[0:1], exec, s[0:1]
; %bb.50:
	v_cmp_ne_u32_e32 vcc, 0, v58
	s_nop 1
	v_cndmask_b32_e32 v58, 4, v58, vcc
; %bb.51:
	s_andn2_saveexec_b64 s[0:1], s[0:1]
	s_cbranch_execz .LBB14_53
; %bb.52:
	v_div_scale_f32 v1, s[2:3], v2, v2, 1.0
	v_rcp_f32_e32 v22, v1
	v_div_scale_f32 v23, vcc, 1.0, v2, 1.0
	v_fma_f32 v29, -v1, v22, 1.0
	v_fmac_f32_e32 v22, v29, v22
	v_mul_f32_e32 v29, v23, v22
	v_fma_f32 v36, -v1, v29, v23
	v_fmac_f32_e32 v29, v36, v22
	v_fma_f32 v1, -v1, v29, v23
	v_div_fmas_f32 v1, v1, v22, v29
	v_div_fixup_f32 v2, v1, v2, 1.0
.LBB14_53:
	s_or_b64 exec, exec, s[0:1]
	v_cmp_ne_u32_e32 vcc, v57, v0
	s_and_saveexec_b64 s[0:1], vcc
	s_xor_b64 s[0:1], exec, s[0:1]
	s_cbranch_execz .LBB14_59
; %bb.54:
	v_cmp_eq_u32_e32 vcc, 3, v57
	s_and_saveexec_b64 s[2:3], vcc
	s_cbranch_execz .LBB14_58
; %bb.55:
	v_cmp_ne_u32_e32 vcc, 3, v0
	s_xor_b64 s[18:19], s[16:17], -1
	s_and_b64 s[20:21], s[18:19], vcc
	s_and_saveexec_b64 s[18:19], s[20:21]
	s_cbranch_execz .LBB14_57
; %bb.56:
	v_ashrrev_i32_e32 v1, 31, v0
	v_lshl_add_u64 v[22:23], v[0:1], 2, v[52:53]
	global_load_dword v1, v[22:23], off
	global_load_dword v29, v[52:53], off offset:12
	s_waitcnt vmcnt(1)
	global_store_dword v[52:53], v1, off offset:12
	s_waitcnt vmcnt(1)
	global_store_dword v[22:23], v29, off
.LBB14_57:
	s_or_b64 exec, exec, s[18:19]
	v_mov_b32_e32 v56, v0
	v_mov_b32_e32 v57, v0
.LBB14_58:
	s_or_b64 exec, exec, s[2:3]
.LBB14_59:
	s_andn2_saveexec_b64 s[0:1], s[0:1]
	s_cbranch_execz .LBB14_61
; %bb.60:
	v_mov_b32_e32 v57, 3
	ds_write2_b32 v54, v12, v13 offset0:4 offset1:5
	ds_write2_b32 v54, v14, v15 offset0:6 offset1:7
.LBB14_61:
	s_or_b64 exec, exec, s[0:1]
	v_cmp_lt_i32_e32 vcc, 3, v57
	s_waitcnt lgkmcnt(0)
	s_barrier
	s_and_saveexec_b64 s[0:1], vcc
	s_cbranch_execz .LBB14_63
; %bb.62:
	ds_read2_b32 v[0:1], v54 offset0:4 offset1:5
	ds_read2_b32 v[6:7], v54 offset0:6 offset1:7
	v_mul_f32_e32 v2, v3, v2
	v_mov_b32_e32 v43, v2
	v_mov_b64_e32 v[24:25], v[40:41]
	s_waitcnt lgkmcnt(1)
	v_pk_fma_f32 v[4:5], v[2:3], v[0:1], v[12:13] op_sel_hi:[0,1,1] neg_lo:[1,0,0] neg_hi:[1,0,0]
	v_mov_b64_e32 v[28:29], v[44:45]
	v_mov_b64_e32 v[26:27], v[42:43]
	v_mov_b64_e32 v[30:31], v[46:47]
	v_mov_b32_e32 v28, v4
	v_mov_b64_e32 v[16:17], v[24:25]
	v_mov_b64_e32 v[20:21], v[28:29]
	s_waitcnt lgkmcnt(0)
	v_pk_fma_f32 v[6:7], v[2:3], v[6:7], v[14:15] op_sel_hi:[0,1,1] neg_lo:[1,0,0] neg_hi:[1,0,0]
	v_mov_b64_e32 v[18:19], v[26:27]
	v_mov_b64_e32 v[22:23], v[30:31]
	v_mov_b32_e32 v21, v5
	v_mov_b64_e32 v[8:9], v[16:17]
	v_mov_b64_e32 v[14:15], v[22:23]
	;; [unrolled: 1-line block ×5, first 2 shown]
	v_mov_b32_e32 v14, v6
	v_mov_b32_e32 v15, v7
	v_mov_b64_e32 v[34:35], v[42:43]
	v_mov_b64_e32 v[36:37], v[44:45]
	;; [unrolled: 1-line block ×3, first 2 shown]
.LBB14_63:
	s_or_b64 exec, exec, s[0:1]
	v_lshl_add_u32 v0, v57, 2, v54
	s_barrier
	ds_write_b32 v0, v4
	s_waitcnt lgkmcnt(0)
	s_barrier
	ds_read_b32 v2, v54 offset:16
	s_cmp_lt_i32 s22, 6
	v_mov_b32_e32 v0, 4
	s_cbranch_scc1 .LBB14_66
; %bb.64:
	v_add3_u32 v1, v55, 0, 20
	v_mov_b32_e32 v0, 4
	s_mov_b32 s0, 5
.LBB14_65:                              ; =>This Inner Loop Header: Depth=1
	ds_read_b32 v3, v1
	v_mov_b32_e32 v22, s0
	s_add_i32 s0, s0, 1
	v_add_u32_e32 v1, 4, v1
	s_cmp_lg_u32 s22, s0
	s_waitcnt lgkmcnt(0)
	v_cmp_lt_f32_e64 vcc, |v2|, |v3|
	s_nop 1
	v_cndmask_b32_e32 v2, v2, v3, vcc
	v_cndmask_b32_e32 v0, v0, v22, vcc
	s_cbranch_scc1 .LBB14_65
.LBB14_66:
	s_waitcnt lgkmcnt(0)
	v_cmp_eq_f32_e32 vcc, 0, v2
	s_and_saveexec_b64 s[0:1], vcc
	s_xor_b64 s[0:1], exec, s[0:1]
; %bb.67:
	v_cmp_ne_u32_e32 vcc, 0, v58
	s_nop 1
	v_cndmask_b32_e32 v58, 5, v58, vcc
; %bb.68:
	s_andn2_saveexec_b64 s[0:1], s[0:1]
	s_cbranch_execz .LBB14_70
; %bb.69:
	v_div_scale_f32 v1, s[2:3], v2, v2, 1.0
	v_rcp_f32_e32 v3, v1
	v_div_scale_f32 v22, vcc, 1.0, v2, 1.0
	v_fma_f32 v23, -v1, v3, 1.0
	v_fmac_f32_e32 v3, v23, v3
	v_mul_f32_e32 v23, v22, v3
	v_fma_f32 v29, -v1, v23, v22
	v_fmac_f32_e32 v23, v29, v3
	v_fma_f32 v1, -v1, v23, v22
	v_div_fmas_f32 v1, v1, v3, v23
	v_div_fixup_f32 v2, v1, v2, 1.0
.LBB14_70:
	s_or_b64 exec, exec, s[0:1]
	v_cmp_ne_u32_e32 vcc, v57, v0
	s_and_saveexec_b64 s[0:1], vcc
	s_xor_b64 s[0:1], exec, s[0:1]
	s_cbranch_execz .LBB14_76
; %bb.71:
	v_cmp_eq_u32_e32 vcc, 4, v57
	s_and_saveexec_b64 s[2:3], vcc
	s_cbranch_execz .LBB14_75
; %bb.72:
	v_cmp_ne_u32_e32 vcc, 4, v0
	s_xor_b64 s[18:19], s[16:17], -1
	s_and_b64 s[20:21], s[18:19], vcc
	s_and_saveexec_b64 s[18:19], s[20:21]
	s_cbranch_execz .LBB14_74
; %bb.73:
	v_ashrrev_i32_e32 v1, 31, v0
	v_lshl_add_u64 v[22:23], v[0:1], 2, v[52:53]
	global_load_dword v1, v[22:23], off
	global_load_dword v3, v[52:53], off offset:16
	s_waitcnt vmcnt(1)
	global_store_dword v[52:53], v1, off offset:16
	s_waitcnt vmcnt(1)
	global_store_dword v[22:23], v3, off
.LBB14_74:
	s_or_b64 exec, exec, s[18:19]
	v_mov_b32_e32 v56, v0
	v_mov_b32_e32 v57, v0
.LBB14_75:
	s_or_b64 exec, exec, s[2:3]
.LBB14_76:
	s_andn2_saveexec_b64 s[0:1], s[0:1]
	s_cbranch_execz .LBB14_78
; %bb.77:
	v_mov_b32_e32 v57, 4
	ds_write2_b32 v54, v13, v14 offset0:5 offset1:6
	ds_write_b32 v54, v7 offset:28
.LBB14_78:
	s_or_b64 exec, exec, s[0:1]
	v_cmp_lt_i32_e32 vcc, 4, v57
	s_waitcnt lgkmcnt(0)
	s_barrier
	s_and_saveexec_b64 s[0:1], vcc
	s_cbranch_execz .LBB14_80
; %bb.79:
	ds_read2_b32 v[0:1], v54 offset0:5 offset1:6
	ds_read_b32 v5, v54 offset:28
	v_mul_f32_e32 v36, v4, v2
	v_mov_b32_e32 v2, v13
	v_mov_b32_e32 v3, v14
	v_mov_b64_e32 v[16:17], v[32:33]
	s_waitcnt lgkmcnt(1)
	v_pk_fma_f32 v[0:1], v[36:37], v[0:1], v[2:3] op_sel_hi:[0,1,1] neg_lo:[1,0,0] neg_hi:[1,0,0]
	v_mov_b64_e32 v[20:21], v[36:37]
	v_mov_b64_e32 v[18:19], v[34:35]
	;; [unrolled: 1-line block ×3, first 2 shown]
	v_mov_b32_e32 v21, v0
	v_mov_b64_e32 v[8:9], v[16:17]
	s_waitcnt lgkmcnt(0)
	v_fma_f32 v7, -v36, v5, v7
	v_mov_b64_e32 v[14:15], v[22:23]
	v_mov_b64_e32 v[24:25], v[32:33]
	;; [unrolled: 1-line block ×4, first 2 shown]
	v_mov_b32_e32 v14, v1
	v_mov_b32_e32 v15, v7
	v_mov_b64_e32 v[26:27], v[34:35]
	v_mov_b64_e32 v[28:29], v[36:37]
	;; [unrolled: 1-line block ×3, first 2 shown]
	v_mov_b32_e32 v5, v0
	v_mov_b32_e32 v6, v1
.LBB14_80:
	s_or_b64 exec, exec, s[0:1]
	v_lshl_add_u32 v0, v57, 2, v54
	s_barrier
	ds_write_b32 v0, v5
	s_waitcnt lgkmcnt(0)
	s_barrier
	ds_read_b32 v2, v54 offset:20
	s_cmp_lt_i32 s22, 7
	v_mov_b32_e32 v0, 5
	s_cbranch_scc1 .LBB14_83
; %bb.81:
	v_add3_u32 v1, v55, 0, 24
	v_mov_b32_e32 v0, 5
	s_mov_b32 s0, 6
.LBB14_82:                              ; =>This Inner Loop Header: Depth=1
	ds_read_b32 v3, v1
	v_mov_b32_e32 v4, s0
	s_add_i32 s0, s0, 1
	v_add_u32_e32 v1, 4, v1
	s_cmp_lg_u32 s22, s0
	s_waitcnt lgkmcnt(0)
	v_cmp_lt_f32_e64 vcc, |v2|, |v3|
	s_nop 1
	v_cndmask_b32_e32 v2, v2, v3, vcc
	v_cndmask_b32_e32 v0, v0, v4, vcc
	s_cbranch_scc1 .LBB14_82
.LBB14_83:
	s_waitcnt lgkmcnt(0)
	v_cmp_eq_f32_e32 vcc, 0, v2
	s_and_saveexec_b64 s[0:1], vcc
	s_xor_b64 s[0:1], exec, s[0:1]
; %bb.84:
	v_cmp_ne_u32_e32 vcc, 0, v58
	s_nop 1
	v_cndmask_b32_e32 v58, 6, v58, vcc
; %bb.85:
	s_andn2_saveexec_b64 s[0:1], s[0:1]
	s_cbranch_execz .LBB14_87
; %bb.86:
	v_div_scale_f32 v1, s[2:3], v2, v2, 1.0
	v_rcp_f32_e32 v3, v1
	v_div_scale_f32 v4, vcc, 1.0, v2, 1.0
	v_fma_f32 v22, -v1, v3, 1.0
	v_fmac_f32_e32 v3, v22, v3
	v_mul_f32_e32 v22, v4, v3
	v_fma_f32 v23, -v1, v22, v4
	v_fmac_f32_e32 v22, v23, v3
	v_fma_f32 v1, -v1, v22, v4
	v_div_fmas_f32 v1, v1, v3, v22
	v_div_fixup_f32 v2, v1, v2, 1.0
.LBB14_87:
	s_or_b64 exec, exec, s[0:1]
	v_cmp_ne_u32_e32 vcc, v57, v0
	s_and_saveexec_b64 s[0:1], vcc
	s_xor_b64 s[0:1], exec, s[0:1]
	s_cbranch_execz .LBB14_93
; %bb.88:
	v_cmp_eq_u32_e32 vcc, 5, v57
	s_and_saveexec_b64 s[2:3], vcc
	s_cbranch_execz .LBB14_92
; %bb.89:
	v_cmp_ne_u32_e32 vcc, 5, v0
	s_xor_b64 s[18:19], s[16:17], -1
	s_and_b64 s[20:21], s[18:19], vcc
	s_and_saveexec_b64 s[18:19], s[20:21]
	s_cbranch_execz .LBB14_91
; %bb.90:
	v_ashrrev_i32_e32 v1, 31, v0
	v_lshl_add_u64 v[22:23], v[0:1], 2, v[52:53]
	global_load_dword v1, v[22:23], off
	global_load_dword v3, v[52:53], off offset:20
	s_waitcnt vmcnt(1)
	global_store_dword v[52:53], v1, off offset:20
	s_waitcnt vmcnt(1)
	global_store_dword v[22:23], v3, off
.LBB14_91:
	s_or_b64 exec, exec, s[18:19]
	v_mov_b32_e32 v56, v0
	v_mov_b32_e32 v57, v0
.LBB14_92:
	s_or_b64 exec, exec, s[2:3]
.LBB14_93:
	s_andn2_saveexec_b64 s[0:1], s[0:1]
; %bb.94:
	v_mov_b32_e32 v57, 5
	ds_write2_b32 v54, v14, v15 offset0:6 offset1:7
; %bb.95:
	s_or_b64 exec, exec, s[0:1]
	v_cmp_lt_i32_e32 vcc, 5, v57
	s_waitcnt lgkmcnt(0)
	s_barrier
	s_and_saveexec_b64 s[0:1], vcc
	s_cbranch_execz .LBB14_97
; %bb.96:
	ds_read2_b32 v[0:1], v54 offset0:6 offset1:7
	v_mul_f32_e32 v2, v5, v2
	v_mov_b32_e32 v29, v2
	v_mov_b64_e32 v[16:17], v[24:25]
	v_mov_b64_e32 v[18:19], v[26:27]
	s_waitcnt lgkmcnt(0)
	v_pk_fma_f32 v[6:7], v[2:3], v[0:1], v[14:15] op_sel_hi:[0,1,1] neg_lo:[1,0,0] neg_hi:[1,0,0]
	v_mov_b64_e32 v[8:9], v[24:25]
	v_mov_b64_e32 v[14:15], v[30:31]
	v_mov_b64_e32 v[10:11], v[26:27]
	v_mov_b64_e32 v[12:13], v[28:29]
	v_mov_b32_e32 v14, v6
	v_mov_b32_e32 v15, v7
	v_mov_b64_e32 v[20:21], v[28:29]
	v_mov_b64_e32 v[22:23], v[30:31]
.LBB14_97:
	s_or_b64 exec, exec, s[0:1]
	v_lshl_add_u32 v0, v57, 2, v54
	s_barrier
	ds_write_b32 v0, v6
	s_waitcnt lgkmcnt(0)
	s_barrier
	ds_read_b32 v2, v54 offset:24
	s_cmp_lt_i32 s22, 8
	v_mov_b32_e32 v0, 6
	s_cbranch_scc1 .LBB14_100
; %bb.98:
	v_add3_u32 v1, v55, 0, 28
	v_mov_b32_e32 v0, 6
	s_mov_b32 s0, 7
.LBB14_99:                              ; =>This Inner Loop Header: Depth=1
	ds_read_b32 v3, v1
	v_mov_b32_e32 v4, s0
	s_add_i32 s0, s0, 1
	v_add_u32_e32 v1, 4, v1
	s_cmp_lg_u32 s22, s0
	s_waitcnt lgkmcnt(0)
	v_cmp_lt_f32_e64 vcc, |v2|, |v3|
	s_nop 1
	v_cndmask_b32_e32 v2, v2, v3, vcc
	v_cndmask_b32_e32 v0, v0, v4, vcc
	s_cbranch_scc1 .LBB14_99
.LBB14_100:
	s_waitcnt lgkmcnt(0)
	v_cmp_eq_f32_e32 vcc, 0, v2
	s_and_saveexec_b64 s[0:1], vcc
	s_xor_b64 s[0:1], exec, s[0:1]
; %bb.101:
	v_cmp_ne_u32_e32 vcc, 0, v58
	s_nop 1
	v_cndmask_b32_e32 v58, 7, v58, vcc
; %bb.102:
	s_andn2_saveexec_b64 s[0:1], s[0:1]
	s_cbranch_execz .LBB14_104
; %bb.103:
	v_div_scale_f32 v1, s[2:3], v2, v2, 1.0
	v_rcp_f32_e32 v3, v1
	v_div_scale_f32 v4, vcc, 1.0, v2, 1.0
	v_fma_f32 v5, -v1, v3, 1.0
	v_fmac_f32_e32 v3, v5, v3
	v_mul_f32_e32 v5, v4, v3
	v_fma_f32 v22, -v1, v5, v4
	v_fmac_f32_e32 v5, v22, v3
	v_fma_f32 v1, -v1, v5, v4
	v_div_fmas_f32 v1, v1, v3, v5
	v_div_fixup_f32 v2, v1, v2, 1.0
.LBB14_104:
	s_or_b64 exec, exec, s[0:1]
	v_cmp_ne_u32_e32 vcc, v57, v0
	s_and_saveexec_b64 s[0:1], vcc
	s_xor_b64 s[0:1], exec, s[0:1]
	s_cbranch_execz .LBB14_110
; %bb.105:
	v_cmp_eq_u32_e32 vcc, 6, v57
	s_and_saveexec_b64 s[2:3], vcc
	s_cbranch_execz .LBB14_109
; %bb.106:
	v_cmp_ne_u32_e32 vcc, 6, v0
	s_xor_b64 s[18:19], s[16:17], -1
	s_and_b64 s[20:21], s[18:19], vcc
	s_and_saveexec_b64 s[18:19], s[20:21]
	s_cbranch_execz .LBB14_108
; %bb.107:
	v_ashrrev_i32_e32 v1, 31, v0
	v_lshl_add_u64 v[4:5], v[0:1], 2, v[52:53]
	global_load_dword v1, v[4:5], off
	global_load_dword v3, v[52:53], off offset:24
	s_waitcnt vmcnt(1)
	global_store_dword v[52:53], v1, off offset:24
	s_waitcnt vmcnt(1)
	global_store_dword v[4:5], v3, off
.LBB14_108:
	s_or_b64 exec, exec, s[18:19]
	v_mov_b32_e32 v56, v0
	v_mov_b32_e32 v57, v0
.LBB14_109:
	s_or_b64 exec, exec, s[2:3]
.LBB14_110:
	s_andn2_saveexec_b64 s[0:1], s[0:1]
; %bb.111:
	v_mov_b32_e32 v57, 6
	ds_write_b32 v54, v7 offset:28
; %bb.112:
	s_or_b64 exec, exec, s[0:1]
	v_cmp_lt_i32_e32 vcc, 6, v57
	s_waitcnt lgkmcnt(0)
	s_barrier
	s_and_saveexec_b64 s[0:1], vcc
	s_cbranch_execz .LBB14_114
; %bb.113:
	ds_read_b32 v0, v54 offset:28
	v_mul_f32_e32 v22, v6, v2
	s_waitcnt lgkmcnt(0)
	v_fma_f32 v23, -v22, v0, v7
	v_mov_b64_e32 v[8:9], v[16:17]
	v_mov_b64_e32 v[10:11], v[18:19]
	;; [unrolled: 1-line block ×4, first 2 shown]
	v_mov_b32_e32 v7, v23
.LBB14_114:
	s_or_b64 exec, exec, s[0:1]
	v_lshl_add_u32 v0, v57, 2, v54
	s_barrier
	ds_write_b32 v0, v7
	s_waitcnt lgkmcnt(0)
	s_barrier
	ds_read_b32 v4, v54 offset:28
	s_cmp_lt_i32 s22, 9
	v_mov_b32_e32 v0, 7
	s_cbranch_scc1 .LBB14_117
; %bb.115:
	v_add3_u32 v1, v55, 0, 32
	v_mov_b32_e32 v0, 7
	s_mov_b32 s0, 8
.LBB14_116:                             ; =>This Inner Loop Header: Depth=1
	ds_read_b32 v2, v1
	v_mov_b32_e32 v3, s0
	s_add_i32 s0, s0, 1
	v_add_u32_e32 v1, 4, v1
	s_cmp_lg_u32 s22, s0
	s_waitcnt lgkmcnt(0)
	v_cmp_lt_f32_e64 vcc, |v4|, |v2|
	s_nop 1
	v_cndmask_b32_e32 v4, v4, v2, vcc
	v_cndmask_b32_e32 v0, v0, v3, vcc
	s_cbranch_scc1 .LBB14_116
.LBB14_117:
	s_waitcnt lgkmcnt(0)
	v_cmp_eq_f32_e32 vcc, 0, v4
	s_and_saveexec_b64 s[0:1], vcc
	s_xor_b64 s[0:1], exec, s[0:1]
; %bb.118:
	v_cmp_ne_u32_e32 vcc, 0, v58
	s_nop 1
	v_cndmask_b32_e32 v58, 8, v58, vcc
; %bb.119:
	s_andn2_saveexec_b64 s[0:1], s[0:1]
	s_cbranch_execz .LBB14_121
; %bb.120:
	v_div_scale_f32 v1, s[2:3], v4, v4, 1.0
	v_rcp_f32_e32 v2, v1
	v_div_scale_f32 v3, vcc, 1.0, v4, 1.0
	v_fma_f32 v5, -v1, v2, 1.0
	v_fmac_f32_e32 v2, v5, v2
	v_mul_f32_e32 v5, v3, v2
	v_fma_f32 v6, -v1, v5, v3
	v_fmac_f32_e32 v5, v6, v2
	v_fma_f32 v1, -v1, v5, v3
	v_div_fmas_f32 v1, v1, v2, v5
	v_div_fixup_f32 v4, v1, v4, 1.0
.LBB14_121:
	s_or_b64 exec, exec, s[0:1]
	v_cmp_ne_u32_e32 vcc, v57, v0
	v_mov_b32_e32 v2, 7
	s_and_saveexec_b64 s[0:1], vcc
	s_cbranch_execz .LBB14_127
; %bb.122:
	v_cmp_eq_u32_e32 vcc, 7, v57
	s_and_saveexec_b64 s[2:3], vcc
	s_cbranch_execz .LBB14_126
; %bb.123:
	v_cmp_ne_u32_e32 vcc, 7, v0
	s_xor_b64 s[16:17], s[16:17], -1
	s_and_b64 s[18:19], s[16:17], vcc
	s_and_saveexec_b64 s[16:17], s[18:19]
	s_cbranch_execz .LBB14_125
; %bb.124:
	v_ashrrev_i32_e32 v1, 31, v0
	v_lshl_add_u64 v[2:3], v[0:1], 2, v[52:53]
	global_load_dword v1, v[2:3], off
	global_load_dword v5, v[52:53], off offset:28
	s_waitcnt vmcnt(1)
	global_store_dword v[52:53], v1, off offset:28
	s_waitcnt vmcnt(1)
	global_store_dword v[2:3], v5, off
.LBB14_125:
	s_or_b64 exec, exec, s[16:17]
	v_mov_b32_e32 v56, v0
	v_mov_b32_e32 v57, v0
.LBB14_126:
	s_or_b64 exec, exec, s[2:3]
	v_mov_b32_e32 v2, v57
.LBB14_127:
	s_or_b64 exec, exec, s[0:1]
	v_cmp_gt_i32_e32 vcc, 8, v2
	v_ashrrev_i32_e32 v3, 31, v2
	s_barrier
	s_barrier
	s_and_saveexec_b64 s[0:1], vcc
	s_cbranch_execz .LBB14_129
; %bb.128:
	v_mul_lo_u32 v5, s11, v50
	v_mul_lo_u32 v6, s10, v51
	v_mad_u64_u32 v[16:17], s[2:3], s10, v50, 0
	v_mov_b32_e32 v0, s6
	v_mov_b32_e32 v1, s7
	v_add3_u32 v17, v17, v6, v5
	v_lshl_add_u64 v[0:1], v[16:17], 2, v[0:1]
	v_lshl_add_u64 v[0:1], s[8:9], 2, v[0:1]
	;; [unrolled: 1-line block ×3, first 2 shown]
	v_add3_u32 v5, v56, s15, 1
	global_store_dword v[0:1], v5, off
.LBB14_129:
	s_or_b64 exec, exec, s[0:1]
	v_cmp_eq_u32_e32 vcc, 0, v2
	s_and_saveexec_b64 s[2:3], vcc
	s_cbranch_execz .LBB14_132
; %bb.130:
	v_mov_b32_e32 v0, s4
	v_mov_b32_e32 v1, s5
	v_lshl_add_u64 v[0:1], v[50:51], 2, v[0:1]
	global_load_dword v5, v[0:1], off
	v_cmp_ne_u32_e64 s[0:1], 0, v58
	s_waitcnt vmcnt(0)
	v_cmp_eq_u32_e32 vcc, 0, v5
	s_and_b64 s[0:1], vcc, s[0:1]
	s_and_b64 exec, exec, s[0:1]
	s_cbranch_execz .LBB14_132
; %bb.131:
	v_add_u32_e32 v5, s15, v58
	global_store_dword v[0:1], v5, off
.LBB14_132:
	s_or_b64 exec, exec, s[2:3]
	v_mul_f32_e32 v0, v7, v4
	v_cmp_lt_i32_e32 vcc, 7, v2
	s_nop 1
	v_cndmask_b32_e32 v4, v15, v0, vcc
	v_lshl_add_u64 v[0:1], v[2:3], 2, v[48:49]
	global_store_dword v[0:1], v8, off
	v_lshl_add_u64 v[0:1], s[12:13], 2, v[0:1]
	global_store_dword v[0:1], v9, off
	v_add_u32_e32 v0, s14, v2
	v_ashrrev_i32_e32 v1, 31, v0
	v_lshl_add_u64 v[2:3], v[0:1], 2, v[48:49]
	v_add_u32_e32 v0, s12, v0
	v_ashrrev_i32_e32 v1, 31, v0
	global_store_dword v[2:3], v10, off
	v_lshl_add_u64 v[2:3], v[0:1], 2, v[48:49]
	v_add_u32_e32 v0, s12, v0
	v_ashrrev_i32_e32 v1, 31, v0
	global_store_dword v[2:3], v11, off
	;; [unrolled: 4-line block ×4, first 2 shown]
	v_lshl_add_u64 v[2:3], v[0:1], 2, v[48:49]
	v_add_u32_e32 v0, s12, v0
	v_ashrrev_i32_e32 v1, 31, v0
	v_lshl_add_u64 v[0:1], v[0:1], 2, v[48:49]
	global_store_dword v[2:3], v14, off
	global_store_dword v[0:1], v4, off
.LBB14_133:
	s_endpgm
	.section	.rodata,"a",@progbits
	.p2align	6, 0x0
	.amdhsa_kernel _ZN9rocsolver6v33100L18getf2_small_kernelILi8EfiiPfEEvT1_T3_lS3_lPS3_llPT2_S3_S3_S5_l
		.amdhsa_group_segment_fixed_size 0
		.amdhsa_private_segment_fixed_size 0
		.amdhsa_kernarg_size 352
		.amdhsa_user_sgpr_count 2
		.amdhsa_user_sgpr_dispatch_ptr 0
		.amdhsa_user_sgpr_queue_ptr 0
		.amdhsa_user_sgpr_kernarg_segment_ptr 1
		.amdhsa_user_sgpr_dispatch_id 0
		.amdhsa_user_sgpr_kernarg_preload_length 0
		.amdhsa_user_sgpr_kernarg_preload_offset 0
		.amdhsa_user_sgpr_private_segment_size 0
		.amdhsa_uses_dynamic_stack 0
		.amdhsa_enable_private_segment 0
		.amdhsa_system_sgpr_workgroup_id_x 1
		.amdhsa_system_sgpr_workgroup_id_y 1
		.amdhsa_system_sgpr_workgroup_id_z 0
		.amdhsa_system_sgpr_workgroup_info 0
		.amdhsa_system_vgpr_workitem_id 1
		.amdhsa_next_free_vgpr 64
		.amdhsa_next_free_sgpr 26
		.amdhsa_accum_offset 64
		.amdhsa_reserve_vcc 1
		.amdhsa_float_round_mode_32 0
		.amdhsa_float_round_mode_16_64 0
		.amdhsa_float_denorm_mode_32 3
		.amdhsa_float_denorm_mode_16_64 3
		.amdhsa_dx10_clamp 1
		.amdhsa_ieee_mode 1
		.amdhsa_fp16_overflow 0
		.amdhsa_tg_split 0
		.amdhsa_exception_fp_ieee_invalid_op 0
		.amdhsa_exception_fp_denorm_src 0
		.amdhsa_exception_fp_ieee_div_zero 0
		.amdhsa_exception_fp_ieee_overflow 0
		.amdhsa_exception_fp_ieee_underflow 0
		.amdhsa_exception_fp_ieee_inexact 0
		.amdhsa_exception_int_div_zero 0
	.end_amdhsa_kernel
	.section	.text._ZN9rocsolver6v33100L18getf2_small_kernelILi8EfiiPfEEvT1_T3_lS3_lPS3_llPT2_S3_S3_S5_l,"axG",@progbits,_ZN9rocsolver6v33100L18getf2_small_kernelILi8EfiiPfEEvT1_T3_lS3_lPS3_llPT2_S3_S3_S5_l,comdat
.Lfunc_end14:
	.size	_ZN9rocsolver6v33100L18getf2_small_kernelILi8EfiiPfEEvT1_T3_lS3_lPS3_llPT2_S3_S3_S5_l, .Lfunc_end14-_ZN9rocsolver6v33100L18getf2_small_kernelILi8EfiiPfEEvT1_T3_lS3_lPS3_llPT2_S3_S3_S5_l
                                        ; -- End function
	.set _ZN9rocsolver6v33100L18getf2_small_kernelILi8EfiiPfEEvT1_T3_lS3_lPS3_llPT2_S3_S3_S5_l.num_vgpr, 64
	.set _ZN9rocsolver6v33100L18getf2_small_kernelILi8EfiiPfEEvT1_T3_lS3_lPS3_llPT2_S3_S3_S5_l.num_agpr, 0
	.set _ZN9rocsolver6v33100L18getf2_small_kernelILi8EfiiPfEEvT1_T3_lS3_lPS3_llPT2_S3_S3_S5_l.numbered_sgpr, 26
	.set _ZN9rocsolver6v33100L18getf2_small_kernelILi8EfiiPfEEvT1_T3_lS3_lPS3_llPT2_S3_S3_S5_l.num_named_barrier, 0
	.set _ZN9rocsolver6v33100L18getf2_small_kernelILi8EfiiPfEEvT1_T3_lS3_lPS3_llPT2_S3_S3_S5_l.private_seg_size, 0
	.set _ZN9rocsolver6v33100L18getf2_small_kernelILi8EfiiPfEEvT1_T3_lS3_lPS3_llPT2_S3_S3_S5_l.uses_vcc, 1
	.set _ZN9rocsolver6v33100L18getf2_small_kernelILi8EfiiPfEEvT1_T3_lS3_lPS3_llPT2_S3_S3_S5_l.uses_flat_scratch, 0
	.set _ZN9rocsolver6v33100L18getf2_small_kernelILi8EfiiPfEEvT1_T3_lS3_lPS3_llPT2_S3_S3_S5_l.has_dyn_sized_stack, 0
	.set _ZN9rocsolver6v33100L18getf2_small_kernelILi8EfiiPfEEvT1_T3_lS3_lPS3_llPT2_S3_S3_S5_l.has_recursion, 0
	.set _ZN9rocsolver6v33100L18getf2_small_kernelILi8EfiiPfEEvT1_T3_lS3_lPS3_llPT2_S3_S3_S5_l.has_indirect_call, 0
	.section	.AMDGPU.csdata,"",@progbits
; Kernel info:
; codeLenInByte = 5020
; TotalNumSgprs: 32
; NumVgprs: 64
; NumAgprs: 0
; TotalNumVgprs: 64
; ScratchSize: 0
; MemoryBound: 0
; FloatMode: 240
; IeeeMode: 1
; LDSByteSize: 0 bytes/workgroup (compile time only)
; SGPRBlocks: 3
; VGPRBlocks: 7
; NumSGPRsForWavesPerEU: 32
; NumVGPRsForWavesPerEU: 64
; AccumOffset: 64
; Occupancy: 8
; WaveLimiterHint : 0
; COMPUTE_PGM_RSRC2:SCRATCH_EN: 0
; COMPUTE_PGM_RSRC2:USER_SGPR: 2
; COMPUTE_PGM_RSRC2:TRAP_HANDLER: 0
; COMPUTE_PGM_RSRC2:TGID_X_EN: 1
; COMPUTE_PGM_RSRC2:TGID_Y_EN: 1
; COMPUTE_PGM_RSRC2:TGID_Z_EN: 0
; COMPUTE_PGM_RSRC2:TIDIG_COMP_CNT: 1
; COMPUTE_PGM_RSRC3_GFX90A:ACCUM_OFFSET: 15
; COMPUTE_PGM_RSRC3_GFX90A:TG_SPLIT: 0
	.section	.text._ZN9rocsolver6v33100L23getf2_npvt_small_kernelILi8EfiiPfEEvT1_T3_lS3_lPT2_S3_S3_,"axG",@progbits,_ZN9rocsolver6v33100L23getf2_npvt_small_kernelILi8EfiiPfEEvT1_T3_lS3_lPT2_S3_S3_,comdat
	.globl	_ZN9rocsolver6v33100L23getf2_npvt_small_kernelILi8EfiiPfEEvT1_T3_lS3_lPT2_S3_S3_ ; -- Begin function _ZN9rocsolver6v33100L23getf2_npvt_small_kernelILi8EfiiPfEEvT1_T3_lS3_lPT2_S3_S3_
	.p2align	8
	.type	_ZN9rocsolver6v33100L23getf2_npvt_small_kernelILi8EfiiPfEEvT1_T3_lS3_lPT2_S3_S3_,@function
_ZN9rocsolver6v33100L23getf2_npvt_small_kernelILi8EfiiPfEEvT1_T3_lS3_lPT2_S3_S3_: ; @_ZN9rocsolver6v33100L23getf2_npvt_small_kernelILi8EfiiPfEEvT1_T3_lS3_lPT2_S3_S3_
; %bb.0:
	s_load_dword s2, s[0:1], 0x44
	s_load_dwordx2 s[14:15], s[0:1], 0x30
	v_bfe_u32 v8, v0, 10, 10
	s_waitcnt lgkmcnt(0)
	s_lshr_b32 s2, s2, 16
	s_mul_i32 s3, s3, s2
	v_add_u32_e32 v54, s3, v8
	v_cmp_gt_i32_e32 vcc, s14, v54
	s_and_saveexec_b64 s[4:5], vcc
	s_cbranch_execz .LBB15_43
; %bb.1:
	s_load_dwordx4 s[8:11], s[0:1], 0x8
	s_load_dword s12, s[0:1], 0x18
	s_load_dwordx4 s[4:7], s[0:1], 0x20
	v_ashrrev_i32_e32 v55, 31, v54
	v_and_b32_e32 v66, 0x3ff, v0
	s_waitcnt lgkmcnt(0)
	v_mov_b32_e32 v2, s8
	v_mov_b32_e32 v3, s9
	v_mul_lo_u32 v4, s5, v54
	v_mul_lo_u32 v5, s4, v55
	v_mad_u64_u32 v[0:1], s[0:1], s4, v54, 0
	v_add3_u32 v1, v1, v5, v4
	v_lshl_add_u64 v[0:1], v[0:1], 2, v[2:3]
	v_lshl_add_u64 v[0:1], s[10:11], 2, v[0:1]
	v_lshlrev_b32_e32 v2, 2, v66
	v_mov_b32_e32 v3, 0
	s_add_i32 s0, s12, s12
	v_lshl_add_u64 v[48:49], v[0:1], 0, v[2:3]
	v_add_u32_e32 v2, s0, v66
	v_ashrrev_i32_e32 v3, 31, v2
	v_lshl_add_u64 v[52:53], v[2:3], 2, v[0:1]
	v_add_u32_e32 v2, s12, v2
	v_ashrrev_i32_e32 v3, 31, v2
	v_lshl_add_u64 v[56:57], v[2:3], 2, v[0:1]
	v_add_u32_e32 v2, s12, v2
	v_ashrrev_i32_e32 v3, 31, v2
	v_lshl_add_u64 v[58:59], v[2:3], 2, v[0:1]
	v_add_u32_e32 v2, s12, v2
	v_ashrrev_i32_e32 v3, 31, v2
	v_lshl_add_u64 v[60:61], v[2:3], 2, v[0:1]
	v_add_u32_e32 v2, s12, v2
	v_ashrrev_i32_e32 v3, 31, v2
	v_lshl_add_u64 v[62:63], v[2:3], 2, v[0:1]
	v_add_u32_e32 v2, s12, v2
	s_ashr_i32 s13, s12, 31
	v_ashrrev_i32_e32 v3, 31, v2
	v_lshl_add_u64 v[50:51], s[12:13], 2, v[48:49]
	v_lshl_add_u64 v[64:65], v[2:3], 2, v[0:1]
	global_load_dword v0, v[48:49], off
	global_load_dword v1, v[50:51], off
	;; [unrolled: 1-line block ×8, first 2 shown]
	s_lshl_b32 s0, s2, 5
	v_lshlrev_b32_e32 v9, 5, v8
	s_add_i32 s0, s0, 0
	v_lshl_add_u32 v67, v8, 2, s0
	v_cmp_ne_u32_e64 s[2:3], 0, v66
	v_cmp_eq_u32_e64 s[0:1], 0, v66
	v_add_u32_e32 v69, 0, v9
	s_and_saveexec_b64 s[4:5], s[0:1]
	s_cbranch_execz .LBB15_4
; %bb.2:
	s_waitcnt vmcnt(7)
	ds_write_b32 v67, v0
	s_waitcnt vmcnt(5)
	ds_write2_b32 v69, v1, v2 offset0:1 offset1:2
	s_waitcnt vmcnt(3)
	ds_write2_b32 v69, v3, v4 offset0:3 offset1:4
	;; [unrolled: 2-line block ×3, first 2 shown]
	s_waitcnt vmcnt(0)
	ds_write_b32 v69, v7 offset:28
	ds_read_b32 v8, v67
	s_waitcnt lgkmcnt(0)
	v_cmp_neq_f32_e32 vcc, 0, v8
	s_and_b64 exec, exec, vcc
	s_cbranch_execz .LBB15_4
; %bb.3:
	v_div_scale_f32 v9, s[8:9], v8, v8, 1.0
	v_rcp_f32_e32 v10, v9
	v_div_scale_f32 v11, vcc, 1.0, v8, 1.0
	v_fma_f32 v12, -v9, v10, 1.0
	v_fmac_f32_e32 v10, v12, v10
	v_mul_f32_e32 v12, v11, v10
	v_fma_f32 v13, -v9, v12, v11
	v_fmac_f32_e32 v12, v13, v10
	v_fma_f32 v9, -v9, v12, v11
	v_div_fmas_f32 v9, v9, v10, v12
	v_div_fixup_f32 v8, v9, v8, 1.0
	ds_write_b32 v67, v8
.LBB15_4:
	s_or_b64 exec, exec, s[4:5]
	s_waitcnt lgkmcnt(0)
	s_barrier
	ds_read_b32 v68, v67
	s_waitcnt vmcnt(0)
	v_mov_b64_e32 v[14:15], v[6:7]
	v_mov_b64_e32 v[22:23], v[6:7]
	;; [unrolled: 1-line block ×20, first 2 shown]
	s_and_saveexec_b64 s[4:5], s[2:3]
	s_cbranch_execz .LBB15_6
; %bb.5:
	ds_read2_b32 v[10:11], v69 offset0:1 offset1:2
	s_waitcnt lgkmcnt(1)
	v_mul_f32_e32 v8, v0, v68
	v_mov_b32_e32 v0, v1
	v_mov_b32_e32 v1, v2
	ds_read2_b32 v[12:13], v69 offset0:3 offset1:4
	ds_read2_b32 v[14:15], v69 offset0:5 offset1:6
	ds_read_b32 v2, v69 offset:28
	s_waitcnt lgkmcnt(3)
	v_pk_fma_f32 v[70:71], v[8:9], v[10:11], v[0:1] op_sel_hi:[0,1,1] neg_lo:[1,0,0] neg_hi:[1,0,0]
	v_mov_b32_e32 v0, v3
	v_mov_b32_e32 v1, v4
	s_waitcnt lgkmcnt(2)
	v_pk_fma_f32 v[72:73], v[8:9], v[12:13], v[0:1] op_sel_hi:[0,1,1] neg_lo:[1,0,0] neg_hi:[1,0,0]
	v_mov_b32_e32 v0, v5
	v_mov_b32_e32 v1, v6
	s_waitcnt lgkmcnt(1)
	v_pk_fma_f32 v[74:75], v[8:9], v[14:15], v[0:1] op_sel_hi:[0,1,1] neg_lo:[1,0,0] neg_hi:[1,0,0]
	s_waitcnt lgkmcnt(0)
	v_fma_f32 v15, -v8, v2, v7
	v_mov_b32_e32 v14, v75
	v_mov_b32_e32 v9, v70
	;; [unrolled: 1-line block ×6, first 2 shown]
	v_mov_b64_e32 v[22:23], v[14:15]
	v_mov_b64_e32 v[30:31], v[14:15]
	;; [unrolled: 1-line block ×16, first 2 shown]
	v_mov_b32_e32 v1, v70
	v_mov_b32_e32 v2, v71
	;; [unrolled: 1-line block ×7, first 2 shown]
.LBB15_6:
	s_or_b64 exec, exec, s[4:5]
	v_cmp_eq_u32_e32 vcc, 1, v66
	s_waitcnt lgkmcnt(0)
	s_barrier
	s_and_saveexec_b64 s[2:3], vcc
	s_cbranch_execz .LBB15_9
; %bb.7:
	ds_write_b32 v67, v1
	ds_write2_b64 v69, v[10:11], v[12:13] offset0:1 offset1:2
	ds_write_b64 v69, v[14:15] offset:24
	ds_read_b32 v0, v67
	s_waitcnt lgkmcnt(0)
	v_cmp_neq_f32_e32 vcc, 0, v0
	s_and_b64 exec, exec, vcc
	s_cbranch_execz .LBB15_9
; %bb.8:
	v_div_scale_f32 v22, s[4:5], v0, v0, 1.0
	v_rcp_f32_e32 v23, v22
	v_div_scale_f32 v29, vcc, 1.0, v0, 1.0
	v_fma_f32 v36, -v22, v23, 1.0
	v_fmac_f32_e32 v23, v36, v23
	v_mul_f32_e32 v36, v29, v23
	v_fma_f32 v70, -v22, v36, v29
	v_fmac_f32_e32 v36, v70, v23
	v_fma_f32 v22, -v22, v36, v29
	v_div_fmas_f32 v22, v22, v23, v36
	v_div_fixup_f32 v0, v22, v0, 1.0
	ds_write_b32 v67, v0
.LBB15_9:
	s_or_b64 exec, exec, s[2:3]
	s_waitcnt lgkmcnt(0)
	s_barrier
	ds_read_b32 v70, v67
	v_cmp_lt_u32_e32 vcc, 1, v66
	s_and_saveexec_b64 s[2:3], vcc
	s_cbranch_execz .LBB15_11
; %bb.10:
	ds_read2_b64 v[2:5], v69 offset0:1 offset1:2
	ds_read_b64 v[6:7], v69 offset:24
	v_mov_b64_e32 v[46:47], v[14:15]
	s_waitcnt lgkmcnt(2)
	v_mul_f32_e32 v0, v1, v70
	v_mov_b64_e32 v[40:41], v[8:9]
	s_waitcnt lgkmcnt(1)
	v_pk_fma_f32 v[2:3], v[0:1], v[2:3], v[10:11] op_sel_hi:[0,1,1] neg_lo:[1,0,0] neg_hi:[1,0,0]
	v_mov_b64_e32 v[42:43], v[10:11]
	v_mov_b32_e32 v41, v0
	v_mov_b64_e32 v[44:45], v[12:13]
	v_mov_b32_e32 v42, v2
	v_mov_b64_e32 v[32:33], v[40:41]
	v_mov_b64_e32 v[34:35], v[42:43]
	;; [unrolled: 1-line block ×4, first 2 shown]
	v_mov_b32_e32 v35, v3
	v_mov_b64_e32 v[24:25], v[32:33]
	v_pk_fma_f32 v[4:5], v[0:1], v[4:5], v[12:13] op_sel_hi:[0,1,1] neg_lo:[1,0,0] neg_hi:[1,0,0]
	v_mov_b64_e32 v[28:29], v[36:37]
	v_mov_b64_e32 v[26:27], v[34:35]
	;; [unrolled: 1-line block ×3, first 2 shown]
	v_mov_b32_e32 v28, v4
	v_mov_b64_e32 v[16:17], v[24:25]
	v_mov_b64_e32 v[20:21], v[28:29]
	s_waitcnt lgkmcnt(0)
	v_pk_fma_f32 v[6:7], v[0:1], v[6:7], v[14:15] op_sel_hi:[0,1,1] neg_lo:[1,0,0] neg_hi:[1,0,0]
	v_mov_b64_e32 v[18:19], v[26:27]
	v_mov_b64_e32 v[22:23], v[30:31]
	v_mov_b32_e32 v21, v5
	v_mov_b64_e32 v[8:9], v[16:17]
	v_mov_b64_e32 v[14:15], v[22:23]
	;; [unrolled: 1-line block ×4, first 2 shown]
	v_mov_b32_e32 v14, v6
	v_mov_b32_e32 v15, v7
.LBB15_11:
	s_or_b64 exec, exec, s[2:3]
	v_cmp_eq_u32_e32 vcc, 2, v66
	s_waitcnt lgkmcnt(0)
	s_barrier
	s_and_saveexec_b64 s[2:3], vcc
	s_cbranch_execz .LBB15_14
; %bb.12:
	ds_write_b32 v67, v2
	ds_write2_b32 v69, v11, v12 offset0:3 offset1:4
	ds_write2_b32 v69, v13, v14 offset0:5 offset1:6
	ds_write_b32 v69, v7 offset:28
	ds_read_b32 v0, v67
	s_waitcnt lgkmcnt(0)
	v_cmp_neq_f32_e32 vcc, 0, v0
	s_and_b64 exec, exec, vcc
	s_cbranch_execz .LBB15_14
; %bb.13:
	v_div_scale_f32 v1, s[4:5], v0, v0, 1.0
	v_rcp_f32_e32 v22, v1
	v_div_scale_f32 v23, vcc, 1.0, v0, 1.0
	v_fma_f32 v29, -v1, v22, 1.0
	v_fmac_f32_e32 v22, v29, v22
	v_mul_f32_e32 v29, v23, v22
	v_fma_f32 v36, -v1, v29, v23
	v_fmac_f32_e32 v29, v36, v22
	v_fma_f32 v1, -v1, v29, v23
	v_div_fmas_f32 v1, v1, v22, v29
	v_div_fixup_f32 v0, v1, v0, 1.0
	ds_write_b32 v67, v0
.LBB15_14:
	s_or_b64 exec, exec, s[2:3]
	s_waitcnt lgkmcnt(0)
	s_barrier
	ds_read_b32 v71, v67
	v_cmp_lt_u32_e32 vcc, 2, v66
	s_and_saveexec_b64 s[2:3], vcc
	s_cbranch_execz .LBB15_16
; %bb.15:
	ds_read2_b32 v[0:1], v69 offset0:3 offset1:4
	s_waitcnt lgkmcnt(1)
	v_mul_f32_e32 v42, v2, v71
	v_mov_b32_e32 v2, v11
	v_mov_b32_e32 v3, v12
	v_mov_b64_e32 v[32:33], v[40:41]
	ds_read2_b32 v[4:5], v69 offset0:5 offset1:6
	ds_read_b32 v6, v69 offset:28
	s_waitcnt lgkmcnt(2)
	v_pk_fma_f32 v[0:1], v[42:43], v[0:1], v[2:3] op_sel_hi:[0,1,1] neg_lo:[1,0,0] neg_hi:[1,0,0]
	v_mov_b64_e32 v[34:35], v[42:43]
	v_mov_b64_e32 v[36:37], v[44:45]
	;; [unrolled: 1-line block ×3, first 2 shown]
	v_mov_b32_e32 v35, v0
	v_mov_b64_e32 v[24:25], v[32:33]
	v_mov_b64_e32 v[28:29], v[36:37]
	v_mov_b32_e32 v2, v13
	v_mov_b32_e32 v3, v14
	v_mov_b64_e32 v[26:27], v[34:35]
	v_mov_b64_e32 v[30:31], v[38:39]
	v_mov_b32_e32 v28, v1
	v_mov_b64_e32 v[16:17], v[24:25]
	s_waitcnt lgkmcnt(1)
	v_pk_fma_f32 v[72:73], v[42:43], v[4:5], v[2:3] op_sel_hi:[0,1,1] neg_lo:[1,0,0] neg_hi:[1,0,0]
	v_mov_b64_e32 v[20:21], v[28:29]
	v_mov_b64_e32 v[18:19], v[26:27]
	;; [unrolled: 1-line block ×3, first 2 shown]
	v_mov_b32_e32 v21, v72
	v_mov_b64_e32 v[8:9], v[16:17]
	s_waitcnt lgkmcnt(0)
	v_fma_f32 v7, -v42, v6, v7
	v_mov_b64_e32 v[14:15], v[22:23]
	v_mov_b64_e32 v[10:11], v[18:19]
	;; [unrolled: 1-line block ×3, first 2 shown]
	v_mov_b32_e32 v14, v73
	v_mov_b32_e32 v15, v7
	;; [unrolled: 1-line block ×6, first 2 shown]
.LBB15_16:
	s_or_b64 exec, exec, s[2:3]
	v_cmp_eq_u32_e32 vcc, 3, v66
	s_waitcnt lgkmcnt(0)
	s_barrier
	s_and_saveexec_b64 s[2:3], vcc
	s_cbranch_execz .LBB15_19
; %bb.17:
	ds_write_b32 v67, v3
	ds_write2_b64 v69, v[12:13], v[14:15] offset0:2 offset1:3
	ds_read_b32 v0, v67
	s_waitcnt lgkmcnt(0)
	v_cmp_neq_f32_e32 vcc, 0, v0
	s_and_b64 exec, exec, vcc
	s_cbranch_execz .LBB15_19
; %bb.18:
	v_div_scale_f32 v1, s[4:5], v0, v0, 1.0
	v_rcp_f32_e32 v2, v1
	v_div_scale_f32 v22, vcc, 1.0, v0, 1.0
	v_fma_f32 v23, -v1, v2, 1.0
	v_fmac_f32_e32 v2, v23, v2
	v_mul_f32_e32 v23, v22, v2
	v_fma_f32 v29, -v1, v23, v22
	v_fmac_f32_e32 v23, v29, v2
	v_fma_f32 v1, -v1, v23, v22
	v_div_fmas_f32 v1, v1, v2, v23
	v_div_fixup_f32 v0, v1, v0, 1.0
	ds_write_b32 v67, v0
.LBB15_19:
	s_or_b64 exec, exec, s[2:3]
	s_waitcnt lgkmcnt(0)
	s_barrier
	ds_read_b32 v2, v67
	v_cmp_lt_u32_e32 vcc, 3, v66
	s_and_saveexec_b64 s[2:3], vcc
	s_cbranch_execz .LBB15_21
; %bb.20:
	ds_read2_b64 v[4:7], v69 offset0:2 offset1:3
	s_waitcnt lgkmcnt(1)
	v_mul_f32_e32 v0, v3, v2
	v_mov_b32_e32 v43, v0
	v_mov_b64_e32 v[24:25], v[40:41]
	v_mov_b64_e32 v[28:29], v[44:45]
	s_waitcnt lgkmcnt(0)
	v_pk_fma_f32 v[4:5], v[0:1], v[4:5], v[12:13] op_sel_hi:[0,1,1] neg_lo:[1,0,0] neg_hi:[1,0,0]
	v_mov_b64_e32 v[26:27], v[42:43]
	v_mov_b64_e32 v[30:31], v[46:47]
	v_mov_b32_e32 v28, v4
	v_mov_b64_e32 v[16:17], v[24:25]
	v_mov_b64_e32 v[20:21], v[28:29]
	v_pk_fma_f32 v[6:7], v[0:1], v[6:7], v[14:15] op_sel_hi:[0,1,1] neg_lo:[1,0,0] neg_hi:[1,0,0]
	v_mov_b64_e32 v[18:19], v[26:27]
	v_mov_b64_e32 v[22:23], v[30:31]
	v_mov_b32_e32 v21, v5
	v_mov_b64_e32 v[8:9], v[16:17]
	v_mov_b64_e32 v[14:15], v[22:23]
	;; [unrolled: 1-line block ×5, first 2 shown]
	v_mov_b32_e32 v14, v6
	v_mov_b32_e32 v15, v7
	v_mov_b64_e32 v[34:35], v[42:43]
	v_mov_b64_e32 v[36:37], v[44:45]
	;; [unrolled: 1-line block ×3, first 2 shown]
.LBB15_21:
	s_or_b64 exec, exec, s[2:3]
	v_cmp_eq_u32_e32 vcc, 4, v66
	s_waitcnt lgkmcnt(0)
	s_barrier
	s_and_saveexec_b64 s[2:3], vcc
	s_cbranch_execz .LBB15_24
; %bb.22:
	ds_write_b32 v67, v4
	ds_write2_b32 v69, v13, v14 offset0:5 offset1:6
	ds_write_b32 v69, v7 offset:28
	ds_read_b32 v0, v67
	s_waitcnt lgkmcnt(0)
	v_cmp_neq_f32_e32 vcc, 0, v0
	s_and_b64 exec, exec, vcc
	s_cbranch_execz .LBB15_24
; %bb.23:
	v_div_scale_f32 v1, s[4:5], v0, v0, 1.0
	v_rcp_f32_e32 v3, v1
	v_div_scale_f32 v22, vcc, 1.0, v0, 1.0
	v_fma_f32 v23, -v1, v3, 1.0
	v_fmac_f32_e32 v3, v23, v3
	v_mul_f32_e32 v23, v22, v3
	v_fma_f32 v29, -v1, v23, v22
	v_fmac_f32_e32 v23, v29, v3
	v_fma_f32 v1, -v1, v23, v22
	v_div_fmas_f32 v1, v1, v3, v23
	v_div_fixup_f32 v0, v1, v0, 1.0
	ds_write_b32 v67, v0
.LBB15_24:
	s_or_b64 exec, exec, s[2:3]
	s_waitcnt lgkmcnt(0)
	s_barrier
	ds_read_b32 v3, v67
	v_cmp_lt_u32_e32 vcc, 4, v66
	s_and_saveexec_b64 s[2:3], vcc
	s_cbranch_execz .LBB15_26
; %bb.25:
	ds_read2_b32 v[0:1], v69 offset0:5 offset1:6
	ds_read_b32 v6, v69 offset:28
	s_waitcnt lgkmcnt(2)
	v_mul_f32_e32 v36, v4, v3
	v_mov_b32_e32 v4, v13
	v_mov_b32_e32 v5, v14
	v_mov_b64_e32 v[16:17], v[32:33]
	s_waitcnt lgkmcnt(1)
	v_pk_fma_f32 v[0:1], v[36:37], v[0:1], v[4:5] op_sel_hi:[0,1,1] neg_lo:[1,0,0] neg_hi:[1,0,0]
	v_mov_b64_e32 v[20:21], v[36:37]
	v_mov_b64_e32 v[18:19], v[34:35]
	v_mov_b64_e32 v[22:23], v[38:39]
	v_mov_b32_e32 v21, v0
	v_mov_b64_e32 v[8:9], v[16:17]
	s_waitcnt lgkmcnt(0)
	v_fma_f32 v7, -v36, v6, v7
	v_mov_b64_e32 v[14:15], v[22:23]
	v_mov_b64_e32 v[24:25], v[32:33]
	;; [unrolled: 1-line block ×4, first 2 shown]
	v_mov_b32_e32 v14, v1
	v_mov_b32_e32 v15, v7
	v_mov_b64_e32 v[26:27], v[34:35]
	v_mov_b64_e32 v[28:29], v[36:37]
	;; [unrolled: 1-line block ×3, first 2 shown]
	v_mov_b32_e32 v5, v0
	v_mov_b32_e32 v6, v1
.LBB15_26:
	s_or_b64 exec, exec, s[2:3]
	v_cmp_eq_u32_e32 vcc, 5, v66
	s_waitcnt lgkmcnt(0)
	s_barrier
	s_and_saveexec_b64 s[2:3], vcc
	s_cbranch_execz .LBB15_29
; %bb.27:
	ds_write_b32 v67, v5
	ds_write_b64 v69, v[14:15] offset:24
	ds_read_b32 v0, v67
	s_waitcnt lgkmcnt(0)
	v_cmp_neq_f32_e32 vcc, 0, v0
	s_and_b64 exec, exec, vcc
	s_cbranch_execz .LBB15_29
; %bb.28:
	v_div_scale_f32 v1, s[4:5], v0, v0, 1.0
	v_rcp_f32_e32 v4, v1
	v_div_scale_f32 v22, vcc, 1.0, v0, 1.0
	v_fma_f32 v23, -v1, v4, 1.0
	v_fmac_f32_e32 v4, v23, v4
	v_mul_f32_e32 v23, v22, v4
	v_fma_f32 v29, -v1, v23, v22
	v_fmac_f32_e32 v23, v29, v4
	v_fma_f32 v1, -v1, v23, v22
	v_div_fmas_f32 v1, v1, v4, v23
	v_div_fixup_f32 v0, v1, v0, 1.0
	ds_write_b32 v67, v0
.LBB15_29:
	s_or_b64 exec, exec, s[2:3]
	s_waitcnt lgkmcnt(0)
	s_barrier
	ds_read_b32 v4, v67
	v_cmp_lt_u32_e32 vcc, 5, v66
	s_and_saveexec_b64 s[2:3], vcc
	s_cbranch_execz .LBB15_31
; %bb.30:
	ds_read_b64 v[0:1], v69 offset:24
	s_waitcnt lgkmcnt(1)
	v_mul_f32_e32 v6, v5, v4
	v_mov_b32_e32 v29, v6
	v_mov_b64_e32 v[16:17], v[24:25]
	v_mov_b64_e32 v[18:19], v[26:27]
	s_waitcnt lgkmcnt(0)
	v_pk_fma_f32 v[6:7], v[6:7], v[0:1], v[14:15] op_sel_hi:[0,1,1] neg_lo:[1,0,0] neg_hi:[1,0,0]
	v_mov_b64_e32 v[8:9], v[24:25]
	v_mov_b64_e32 v[14:15], v[30:31]
	;; [unrolled: 1-line block ×4, first 2 shown]
	v_mov_b32_e32 v14, v6
	v_mov_b32_e32 v15, v7
	v_mov_b64_e32 v[20:21], v[28:29]
	v_mov_b64_e32 v[22:23], v[30:31]
.LBB15_31:
	s_or_b64 exec, exec, s[2:3]
	v_cmp_eq_u32_e32 vcc, 6, v66
	s_waitcnt lgkmcnt(0)
	s_barrier
	s_and_saveexec_b64 s[2:3], vcc
	s_cbranch_execz .LBB15_34
; %bb.32:
	ds_write_b32 v67, v6
	ds_write_b32 v69, v7 offset:28
	ds_read_b32 v0, v67
	s_waitcnt lgkmcnt(0)
	v_cmp_neq_f32_e32 vcc, 0, v0
	s_and_b64 exec, exec, vcc
	s_cbranch_execz .LBB15_34
; %bb.33:
	v_div_scale_f32 v1, s[4:5], v0, v0, 1.0
	v_rcp_f32_e32 v5, v1
	v_div_scale_f32 v22, vcc, 1.0, v0, 1.0
	v_fma_f32 v23, -v1, v5, 1.0
	v_fmac_f32_e32 v5, v23, v5
	v_mul_f32_e32 v23, v22, v5
	v_fma_f32 v24, -v1, v23, v22
	v_fmac_f32_e32 v23, v24, v5
	v_fma_f32 v1, -v1, v23, v22
	v_div_fmas_f32 v1, v1, v5, v23
	v_div_fixup_f32 v0, v1, v0, 1.0
	ds_write_b32 v67, v0
.LBB15_34:
	s_or_b64 exec, exec, s[2:3]
	s_waitcnt lgkmcnt(0)
	s_barrier
	ds_read_b32 v5, v67
	v_cmp_lt_u32_e32 vcc, 6, v66
	s_and_saveexec_b64 s[2:3], vcc
	s_cbranch_execz .LBB15_36
; %bb.35:
	ds_read_b32 v0, v69 offset:28
	s_waitcnt lgkmcnt(1)
	v_mul_f32_e32 v22, v6, v5
	s_waitcnt lgkmcnt(0)
	v_fma_f32 v23, -v22, v0, v7
	v_mov_b64_e32 v[8:9], v[16:17]
	v_mov_b64_e32 v[10:11], v[18:19]
	v_mov_b64_e32 v[12:13], v[20:21]
	v_mov_b64_e32 v[14:15], v[22:23]
	v_mov_b32_e32 v7, v23
.LBB15_36:
	s_or_b64 exec, exec, s[2:3]
	v_cmp_eq_u32_e32 vcc, 7, v66
	s_waitcnt lgkmcnt(0)
	s_barrier
	s_and_saveexec_b64 s[2:3], vcc
	s_cbranch_execz .LBB15_39
; %bb.37:
	v_cmp_neq_f32_e32 vcc, 0, v7
	ds_write_b32 v67, v7
	s_and_b64 exec, exec, vcc
	s_cbranch_execz .LBB15_39
; %bb.38:
	v_div_scale_f32 v0, s[4:5], v7, v7, 1.0
	v_rcp_f32_e32 v1, v0
	v_div_scale_f32 v6, vcc, 1.0, v7, 1.0
	v_fma_f32 v16, -v0, v1, 1.0
	v_fmac_f32_e32 v1, v16, v1
	v_mul_f32_e32 v16, v6, v1
	v_fma_f32 v17, -v0, v16, v6
	v_fmac_f32_e32 v16, v17, v1
	v_fma_f32 v0, -v0, v16, v6
	v_div_fmas_f32 v0, v0, v1, v16
	v_div_fixup_f32 v0, v0, v7, 1.0
	ds_write_b32 v67, v0
.LBB15_39:
	s_or_b64 exec, exec, s[2:3]
	s_waitcnt lgkmcnt(0)
	s_barrier
	ds_read_b32 v6, v67
	s_waitcnt lgkmcnt(0)
	s_barrier
	s_and_saveexec_b64 s[16:17], s[0:1]
	s_cbranch_execz .LBB15_42
; %bb.40:
	v_mov_b32_e32 v0, s6
	v_mov_b32_e32 v1, s7
	v_lshl_add_u64 v[0:1], v[54:55], 2, v[0:1]
	global_load_dword v16, v[0:1], off
	v_cmp_eq_f32_e32 vcc, 0, v68
	v_cmp_neq_f32_e64 s[0:1], 0, v70
	v_cmp_eq_f32_e64 s[4:5], 0, v2
	v_cndmask_b32_e64 v17, 0, 1, vcc
	s_or_b64 vcc, s[0:1], vcc
	v_cndmask_b32_e32 v2, 2, v17, vcc
	v_cmp_eq_f32_e64 s[2:3], 0, v71
	v_cmp_eq_u32_e32 vcc, 0, v2
	s_and_b64 s[0:1], s[2:3], vcc
	v_cndmask_b32_e64 v2, v2, 3, s[0:1]
	v_cmp_eq_u32_e32 vcc, 0, v2
	s_and_b64 s[0:1], s[4:5], vcc
	v_cndmask_b32_e64 v2, v2, 4, s[0:1]
	v_cmp_eq_f32_e64 s[6:7], 0, v3
	v_cmp_eq_u32_e32 vcc, 0, v2
	s_and_b64 s[0:1], s[6:7], vcc
	v_cndmask_b32_e64 v2, v2, 5, s[0:1]
	v_cmp_eq_f32_e64 s[8:9], 0, v4
	;; [unrolled: 4-line block ×4, first 2 shown]
	v_cmp_eq_u32_e32 vcc, 0, v2
	s_and_b64 s[0:1], s[12:13], vcc
	v_cndmask_b32_e64 v2, v2, 8, s[0:1]
	v_cmp_ne_u32_e64 s[0:1], 0, v2
	s_waitcnt vmcnt(0)
	v_cmp_eq_u32_e32 vcc, 0, v16
	s_and_b64 s[0:1], vcc, s[0:1]
	s_and_b64 exec, exec, s[0:1]
	s_cbranch_execz .LBB15_42
; %bb.41:
	v_add_u32_e32 v2, s15, v2
	global_store_dword v[0:1], v2, off
.LBB15_42:
	s_or_b64 exec, exec, s[16:17]
	v_mul_f32_e32 v0, v7, v6
	v_cmp_lt_u32_e32 vcc, 7, v66
	s_nop 1
	v_cndmask_b32_e32 v0, v15, v0, vcc
	global_store_dword v[48:49], v8, off
	global_store_dword v[50:51], v9, off
	;; [unrolled: 1-line block ×8, first 2 shown]
.LBB15_43:
	s_endpgm
	.section	.rodata,"a",@progbits
	.p2align	6, 0x0
	.amdhsa_kernel _ZN9rocsolver6v33100L23getf2_npvt_small_kernelILi8EfiiPfEEvT1_T3_lS3_lPT2_S3_S3_
		.amdhsa_group_segment_fixed_size 0
		.amdhsa_private_segment_fixed_size 0
		.amdhsa_kernarg_size 312
		.amdhsa_user_sgpr_count 2
		.amdhsa_user_sgpr_dispatch_ptr 0
		.amdhsa_user_sgpr_queue_ptr 0
		.amdhsa_user_sgpr_kernarg_segment_ptr 1
		.amdhsa_user_sgpr_dispatch_id 0
		.amdhsa_user_sgpr_kernarg_preload_length 0
		.amdhsa_user_sgpr_kernarg_preload_offset 0
		.amdhsa_user_sgpr_private_segment_size 0
		.amdhsa_uses_dynamic_stack 0
		.amdhsa_enable_private_segment 0
		.amdhsa_system_sgpr_workgroup_id_x 1
		.amdhsa_system_sgpr_workgroup_id_y 1
		.amdhsa_system_sgpr_workgroup_id_z 0
		.amdhsa_system_sgpr_workgroup_info 0
		.amdhsa_system_vgpr_workitem_id 1
		.amdhsa_next_free_vgpr 76
		.amdhsa_next_free_sgpr 18
		.amdhsa_accum_offset 76
		.amdhsa_reserve_vcc 1
		.amdhsa_float_round_mode_32 0
		.amdhsa_float_round_mode_16_64 0
		.amdhsa_float_denorm_mode_32 3
		.amdhsa_float_denorm_mode_16_64 3
		.amdhsa_dx10_clamp 1
		.amdhsa_ieee_mode 1
		.amdhsa_fp16_overflow 0
		.amdhsa_tg_split 0
		.amdhsa_exception_fp_ieee_invalid_op 0
		.amdhsa_exception_fp_denorm_src 0
		.amdhsa_exception_fp_ieee_div_zero 0
		.amdhsa_exception_fp_ieee_overflow 0
		.amdhsa_exception_fp_ieee_underflow 0
		.amdhsa_exception_fp_ieee_inexact 0
		.amdhsa_exception_int_div_zero 0
	.end_amdhsa_kernel
	.section	.text._ZN9rocsolver6v33100L23getf2_npvt_small_kernelILi8EfiiPfEEvT1_T3_lS3_lPT2_S3_S3_,"axG",@progbits,_ZN9rocsolver6v33100L23getf2_npvt_small_kernelILi8EfiiPfEEvT1_T3_lS3_lPT2_S3_S3_,comdat
.Lfunc_end15:
	.size	_ZN9rocsolver6v33100L23getf2_npvt_small_kernelILi8EfiiPfEEvT1_T3_lS3_lPT2_S3_S3_, .Lfunc_end15-_ZN9rocsolver6v33100L23getf2_npvt_small_kernelILi8EfiiPfEEvT1_T3_lS3_lPT2_S3_S3_
                                        ; -- End function
	.set _ZN9rocsolver6v33100L23getf2_npvt_small_kernelILi8EfiiPfEEvT1_T3_lS3_lPT2_S3_S3_.num_vgpr, 76
	.set _ZN9rocsolver6v33100L23getf2_npvt_small_kernelILi8EfiiPfEEvT1_T3_lS3_lPT2_S3_S3_.num_agpr, 0
	.set _ZN9rocsolver6v33100L23getf2_npvt_small_kernelILi8EfiiPfEEvT1_T3_lS3_lPT2_S3_S3_.numbered_sgpr, 18
	.set _ZN9rocsolver6v33100L23getf2_npvt_small_kernelILi8EfiiPfEEvT1_T3_lS3_lPT2_S3_S3_.num_named_barrier, 0
	.set _ZN9rocsolver6v33100L23getf2_npvt_small_kernelILi8EfiiPfEEvT1_T3_lS3_lPT2_S3_S3_.private_seg_size, 0
	.set _ZN9rocsolver6v33100L23getf2_npvt_small_kernelILi8EfiiPfEEvT1_T3_lS3_lPT2_S3_S3_.uses_vcc, 1
	.set _ZN9rocsolver6v33100L23getf2_npvt_small_kernelILi8EfiiPfEEvT1_T3_lS3_lPT2_S3_S3_.uses_flat_scratch, 0
	.set _ZN9rocsolver6v33100L23getf2_npvt_small_kernelILi8EfiiPfEEvT1_T3_lS3_lPT2_S3_S3_.has_dyn_sized_stack, 0
	.set _ZN9rocsolver6v33100L23getf2_npvt_small_kernelILi8EfiiPfEEvT1_T3_lS3_lPT2_S3_S3_.has_recursion, 0
	.set _ZN9rocsolver6v33100L23getf2_npvt_small_kernelILi8EfiiPfEEvT1_T3_lS3_lPT2_S3_S3_.has_indirect_call, 0
	.section	.AMDGPU.csdata,"",@progbits
; Kernel info:
; codeLenInByte = 3176
; TotalNumSgprs: 24
; NumVgprs: 76
; NumAgprs: 0
; TotalNumVgprs: 76
; ScratchSize: 0
; MemoryBound: 0
; FloatMode: 240
; IeeeMode: 1
; LDSByteSize: 0 bytes/workgroup (compile time only)
; SGPRBlocks: 2
; VGPRBlocks: 9
; NumSGPRsForWavesPerEU: 24
; NumVGPRsForWavesPerEU: 76
; AccumOffset: 76
; Occupancy: 6
; WaveLimiterHint : 0
; COMPUTE_PGM_RSRC2:SCRATCH_EN: 0
; COMPUTE_PGM_RSRC2:USER_SGPR: 2
; COMPUTE_PGM_RSRC2:TRAP_HANDLER: 0
; COMPUTE_PGM_RSRC2:TGID_X_EN: 1
; COMPUTE_PGM_RSRC2:TGID_Y_EN: 1
; COMPUTE_PGM_RSRC2:TGID_Z_EN: 0
; COMPUTE_PGM_RSRC2:TIDIG_COMP_CNT: 1
; COMPUTE_PGM_RSRC3_GFX90A:ACCUM_OFFSET: 18
; COMPUTE_PGM_RSRC3_GFX90A:TG_SPLIT: 0
	.section	.text._ZN9rocsolver6v33100L18getf2_small_kernelILi9EfiiPfEEvT1_T3_lS3_lPS3_llPT2_S3_S3_S5_l,"axG",@progbits,_ZN9rocsolver6v33100L18getf2_small_kernelILi9EfiiPfEEvT1_T3_lS3_lPS3_llPT2_S3_S3_S5_l,comdat
	.globl	_ZN9rocsolver6v33100L18getf2_small_kernelILi9EfiiPfEEvT1_T3_lS3_lPS3_llPT2_S3_S3_S5_l ; -- Begin function _ZN9rocsolver6v33100L18getf2_small_kernelILi9EfiiPfEEvT1_T3_lS3_lPS3_llPT2_S3_S3_S5_l
	.p2align	8
	.type	_ZN9rocsolver6v33100L18getf2_small_kernelILi9EfiiPfEEvT1_T3_lS3_lPS3_llPT2_S3_S3_S5_l,@function
_ZN9rocsolver6v33100L18getf2_small_kernelILi9EfiiPfEEvT1_T3_lS3_lPS3_llPT2_S3_S3_S5_l: ; @_ZN9rocsolver6v33100L18getf2_small_kernelILi9EfiiPfEEvT1_T3_lS3_lPS3_llPT2_S3_S3_S5_l
; %bb.0:
	s_load_dword s2, s[0:1], 0x6c
	s_load_dwordx2 s[14:15], s[0:1], 0x48
	v_bfe_u32 v9, v0, 10, 10
	s_waitcnt lgkmcnt(0)
	s_lshr_b32 s2, s2, 16
	s_mul_i32 s3, s3, s2
	v_add_u32_e32 v72, s3, v9
	v_cmp_gt_i32_e32 vcc, s14, v72
	s_and_saveexec_b64 s[2:3], vcc
	s_cbranch_execz .LBB16_150
; %bb.1:
	s_load_dwordx4 s[4:7], s[0:1], 0x50
	v_ashrrev_i32_e32 v73, 31, v72
	v_mov_b64_e32 v[74:75], 0
	s_waitcnt lgkmcnt(0)
	s_cmp_eq_u64 s[4:5], 0
	s_cselect_b64 s[16:17], -1, 0
	s_and_b64 vcc, exec, s[16:17]
	s_cbranch_vccnz .LBB16_3
; %bb.2:
	v_mul_lo_u32 v1, s7, v72
	v_mul_lo_u32 v4, s6, v73
	v_mad_u64_u32 v[2:3], s[2:3], s6, v72, 0
	v_add3_u32 v3, v3, v4, v1
	v_lshl_add_u64 v[74:75], v[2:3], 2, s[4:5]
.LBB16_3:
	s_load_dwordx4 s[20:23], s[0:1], 0x8
	s_load_dwordx8 s[4:11], s[0:1], 0x20
	s_load_dword s12, s[0:1], 0x18
	v_and_b32_e32 v12, 0x3ff, v0
	v_lshlrev_b32_e32 v10, 2, v12
	s_waitcnt lgkmcnt(0)
	v_mov_b32_e32 v2, s20
	v_mul_lo_u32 v1, s5, v72
	v_mul_lo_u32 v6, s4, v73
	v_mad_u64_u32 v[4:5], s[2:3], s4, v72, 0
	v_mov_b32_e32 v3, s21
	v_add3_u32 v5, v5, v6, v1
	s_add_i32 s14, s12, s12
	v_lshl_add_u64 v[2:3], v[4:5], 2, v[2:3]
	v_add_u32_e32 v0, s14, v12
	v_lshl_add_u64 v[70:71], s[22:23], 2, v[2:3]
	v_ashrrev_i32_e32 v1, 31, v0
	v_lshl_add_u64 v[18:19], v[0:1], 2, v[70:71]
	v_add_u32_e32 v0, s12, v0
	v_ashrrev_i32_e32 v1, 31, v0
	v_lshl_add_u64 v[20:21], v[0:1], 2, v[70:71]
	v_add_u32_e32 v0, s12, v0
	;; [unrolled: 3-line block ×4, first 2 shown]
	v_mov_b32_e32 v11, 0
	v_add_u32_e32 v28, s12, v0
	v_lshl_add_u64 v[14:15], v[70:71], 0, v[10:11]
	s_ashr_i32 s13, s12, 31
	v_ashrrev_i32_e32 v1, 31, v0
	v_ashrrev_i32_e32 v29, 31, v28
	v_lshl_add_u64 v[16:17], s[12:13], 2, v[14:15]
	v_lshl_add_u64 v[26:27], v[0:1], 2, v[70:71]
	;; [unrolled: 1-line block ×3, first 2 shown]
	global_load_dword v0, v[14:15], off
	global_load_dword v1, v[16:17], off
	;; [unrolled: 1-line block ×8, first 2 shown]
	v_add_u32_e32 v14, s12, v28
	v_ashrrev_i32_e32 v15, 31, v14
	v_lshl_add_u64 v[14:15], v[14:15], 2, v[70:71]
	global_load_dword v8, v[14:15], off
	s_load_dword s22, s[0:1], 0x0
	s_load_dwordx2 s[4:5], s[0:1], 0x40
	s_waitcnt lgkmcnt(0)
	s_max_i32 s0, s22, 9
	v_mul_lo_u32 v13, s0, v9
	v_lshl_add_u32 v9, v13, 2, 0
	v_add_u32_e32 v10, v9, v10
	s_cmp_lt_i32 s22, 2
	v_lshlrev_b32_e32 v19, 2, v13
	s_waitcnt vmcnt(8)
	ds_write_b32 v10, v0
	s_waitcnt lgkmcnt(0)
	s_barrier
	ds_read_b32 v49, v9
	s_cbranch_scc1 .LBB16_6
; %bb.4:
	v_add3_u32 v10, v19, 0, 4
	v_mov_b32_e32 v11, 0
	s_mov_b32 s0, 1
.LBB16_5:                               ; =>This Inner Loop Header: Depth=1
	ds_read_b32 v13, v10
	v_mov_b32_e32 v14, s0
	s_add_i32 s0, s0, 1
	v_add_u32_e32 v10, 4, v10
	s_cmp_eq_u32 s22, s0
	s_waitcnt lgkmcnt(0)
	v_cmp_lt_f32_e64 vcc, |v49|, |v13|
	s_nop 1
	v_cndmask_b32_e32 v49, v49, v13, vcc
	v_cndmask_b32_e32 v11, v11, v14, vcc
	s_cbranch_scc0 .LBB16_5
.LBB16_6:
	v_cmp_ne_u32_e32 vcc, v12, v11
                                        ; implicit-def: $vgpr39
	s_and_saveexec_b64 s[0:1], vcc
	s_xor_b64 s[0:1], exec, s[0:1]
	s_cbranch_execz .LBB16_12
; %bb.7:
	v_cmp_eq_u32_e32 vcc, 0, v12
	s_and_saveexec_b64 s[2:3], vcc
	s_cbranch_execz .LBB16_11
; %bb.8:
	v_cmp_ne_u32_e32 vcc, 0, v11
	s_xor_b64 s[18:19], s[16:17], -1
	s_and_b64 s[20:21], s[18:19], vcc
	s_and_saveexec_b64 s[18:19], s[20:21]
	s_cbranch_execz .LBB16_10
; %bb.9:
	v_ashrrev_i32_e32 v13, 31, v11
	v_mov_b32_e32 v12, v11
	v_lshl_add_u64 v[12:13], v[12:13], 2, v[74:75]
	global_load_dword v10, v[12:13], off
	global_load_dword v14, v[74:75], off
	s_waitcnt vmcnt(1)
	global_store_dword v[74:75], v10, off
	s_waitcnt vmcnt(1)
	global_store_dword v[12:13], v14, off
.LBB16_10:
	s_or_b64 exec, exec, s[18:19]
	v_mov_b32_e32 v12, v11
.LBB16_11:
	s_or_b64 exec, exec, s[2:3]
	v_mov_b32_e32 v39, v12
                                        ; implicit-def: $vgpr12
.LBB16_12:
	s_or_saveexec_b64 s[0:1], s[0:1]
	v_mov_b32_e32 v29, v39
	s_xor_b64 exec, exec, s[0:1]
	s_cbranch_execz .LBB16_14
; %bb.13:
	v_mov_b32_e32 v39, 0
	v_mov_b32_e32 v29, v12
	s_waitcnt vmcnt(6)
	ds_write2_b32 v9, v1, v2 offset0:1 offset1:2
	s_waitcnt vmcnt(4)
	ds_write2_b32 v9, v3, v4 offset0:3 offset1:4
	s_waitcnt vmcnt(2)
	ds_write2_b32 v9, v5, v6 offset0:5 offset1:6
	s_waitcnt vmcnt(0)
	ds_write2_b32 v9, v7, v8 offset0:7 offset1:8
.LBB16_14:
	s_or_b64 exec, exec, s[0:1]
	s_waitcnt vmcnt(0)
	v_mov_b32_e32 v18, v8
	v_mov_b32_e32 v28, v8
	;; [unrolled: 1-line block ×6, first 2 shown]
	s_waitcnt lgkmcnt(0)
	v_cmp_eq_f32_e64 s[0:1], 0, v49
	v_cmp_lt_i32_e32 vcc, 0, v39
	v_mov_b32_e32 v17, v7
	v_mov_b32_e32 v16, v6
	;; [unrolled: 1-line block ×44, first 2 shown]
	s_barrier
	v_mov_b32_e32 v27, v7
	v_mov_b32_e32 v36, v6
	;; [unrolled: 1-line block ×4, first 2 shown]
	s_and_saveexec_b64 s[2:3], vcc
	s_cbranch_execz .LBB16_16
; %bb.15:
	v_div_scale_f32 v10, s[18:19], v49, v49, 1.0
	v_rcp_f32_e32 v11, v10
	v_div_scale_f32 v12, vcc, 1.0, v49, 1.0
	v_fma_f32 v13, -v10, v11, 1.0
	v_fmac_f32_e32 v11, v13, v11
	v_mul_f32_e32 v13, v12, v11
	v_fma_f32 v14, -v10, v13, v12
	v_fmac_f32_e32 v13, v14, v11
	v_fma_f32 v10, -v10, v13, v12
	v_div_fmas_f32 v10, v10, v11, v13
	ds_read2_b32 v[12:13], v9 offset0:1 offset1:2
	v_div_fixup_f32 v10, v10, v49, 1.0
	v_cndmask_b32_e64 v10, v10, v49, s[0:1]
	ds_read2_b32 v[14:15], v9 offset0:3 offset1:4
	ds_read2_b32 v[16:17], v9 offset0:5 offset1:6
	;; [unrolled: 1-line block ×3, first 2 shown]
	v_mul_f32_e32 v10, v0, v10
	v_mov_b32_e32 v0, v1
	v_mov_b32_e32 v1, v2
	s_waitcnt lgkmcnt(3)
	v_pk_fma_f32 v[60:61], v[10:11], v[12:13], v[0:1] op_sel_hi:[0,1,1] neg_lo:[1,0,0] neg_hi:[1,0,0]
	v_mov_b32_e32 v0, v3
	v_mov_b32_e32 v1, v4
	s_waitcnt lgkmcnt(2)
	v_pk_fma_f32 v[62:63], v[10:11], v[14:15], v[0:1] op_sel_hi:[0,1,1] neg_lo:[1,0,0] neg_hi:[1,0,0]
	;; [unrolled: 4-line block ×4, first 2 shown]
	v_mov_b32_e32 v18, v79
	v_mov_b32_e32 v11, v60
	;; [unrolled: 1-line block ×61, first 2 shown]
.LBB16_16:
	s_or_b64 exec, exec, s[2:3]
	v_lshl_add_u32 v0, v39, 2, v9
	s_barrier
	ds_write_b32 v0, v1
	s_waitcnt lgkmcnt(0)
	s_barrier
	ds_read_b32 v0, v9 offset:4
	s_mov_b32 s2, 2
	s_cmp_lt_i32 s22, 3
	v_mov_b32_e32 v28, 1
	s_cbranch_scc1 .LBB16_19
; %bb.17:
	v_add3_u32 v27, v19, 0, 8
	v_mov_b32_e32 v28, 1
.LBB16_18:                              ; =>This Inner Loop Header: Depth=1
	ds_read_b32 v36, v27
	v_mov_b32_e32 v45, s2
	s_add_i32 s2, s2, 1
	v_add_u32_e32 v27, 4, v27
	s_cmp_lg_u32 s22, s2
	s_waitcnt lgkmcnt(0)
	v_cmp_lt_f32_e64 vcc, |v0|, |v36|
	s_nop 1
	v_cndmask_b32_e32 v0, v0, v36, vcc
	v_cndmask_b32_e32 v28, v28, v45, vcc
	s_cbranch_scc1 .LBB16_18
.LBB16_19:
	v_cmp_ne_u32_e32 vcc, v39, v28
	s_and_saveexec_b64 s[2:3], vcc
	s_xor_b64 s[2:3], exec, s[2:3]
	s_cbranch_execz .LBB16_25
; %bb.20:
	v_cmp_eq_u32_e32 vcc, 1, v39
	s_and_saveexec_b64 s[18:19], vcc
	s_cbranch_execz .LBB16_24
; %bb.21:
	v_cmp_ne_u32_e32 vcc, 1, v28
	s_xor_b64 s[20:21], s[16:17], -1
	s_and_b64 s[24:25], s[20:21], vcc
	s_and_saveexec_b64 s[20:21], s[24:25]
	s_cbranch_execz .LBB16_23
; %bb.22:
	v_ashrrev_i32_e32 v29, 31, v28
	v_lshl_add_u64 v[76:77], v[28:29], 2, v[74:75]
	global_load_dword v27, v[76:77], off
	global_load_dword v29, v[74:75], off offset:4
	s_waitcnt vmcnt(1)
	global_store_dword v[74:75], v27, off offset:4
	s_waitcnt vmcnt(1)
	global_store_dword v[76:77], v29, off
.LBB16_23:
	s_or_b64 exec, exec, s[20:21]
	v_mov_b32_e32 v29, v28
	v_mov_b32_e32 v39, v28
.LBB16_24:
	s_or_b64 exec, exec, s[18:19]
.LBB16_25:
	s_andn2_saveexec_b64 s[2:3], s[2:3]
	s_cbranch_execz .LBB16_27
; %bb.26:
	v_mov_b32_e32 v39, 1
	ds_write2_b32 v9, v12, v13 offset0:2 offset1:3
	ds_write2_b32 v9, v14, v15 offset0:4 offset1:5
	;; [unrolled: 1-line block ×3, first 2 shown]
	ds_write_b32 v9, v8 offset:32
.LBB16_27:
	s_or_b64 exec, exec, s[2:3]
	s_waitcnt lgkmcnt(0)
	v_cmp_neq_f32_e64 s[2:3], 0, v0
	v_cmp_lt_i32_e32 vcc, 1, v39
	s_barrier
	s_and_saveexec_b64 s[18:19], vcc
	s_cbranch_execz .LBB16_29
; %bb.28:
	v_div_scale_f32 v2, s[20:21], v0, v0, 1.0
	v_rcp_f32_e32 v3, v2
	v_div_scale_f32 v4, vcc, 1.0, v0, 1.0
	v_mov_b32_e32 v68, v18
	v_fma_f32 v5, -v2, v3, 1.0
	v_fmac_f32_e32 v3, v5, v3
	v_mul_f32_e32 v5, v4, v3
	v_fma_f32 v6, -v2, v5, v4
	v_fmac_f32_e32 v5, v6, v3
	v_fma_f32 v2, -v2, v5, v4
	v_div_fmas_f32 v2, v2, v3, v5
	v_div_fixup_f32 v2, v2, v0, 1.0
	v_cndmask_b32_e64 v0, v0, v2, s[2:3]
	ds_read2_b32 v[2:3], v9 offset0:2 offset1:3
	ds_read2_b32 v[4:5], v9 offset0:4 offset1:5
	;; [unrolled: 1-line block ×3, first 2 shown]
	ds_read_b32 v20, v9 offset:32
	v_mul_f32_e32 v0, v1, v0
	s_waitcnt lgkmcnt(3)
	v_pk_fma_f32 v[2:3], v[0:1], v[2:3], v[12:13] op_sel_hi:[0,1,1] neg_lo:[1,0,0] neg_hi:[1,0,0]
	v_mov_b32_e32 v62, v12
	v_mov_b32_e32 v61, v11
	v_mov_b32_e32 v60, v10
	v_mov_b32_e32 v67, v17
	v_mov_b32_e32 v66, v16
	v_mov_b32_e32 v65, v15
	v_mov_b32_e32 v64, v14
	v_mov_b32_e32 v63, v13
	v_mov_b32_e32 v61, v0
	v_mov_b32_e32 v62, v2
	v_mov_b32_e32 v50, v60
	v_mov_b32_e32 v53, v63
	v_mov_b32_e32 v51, v61
	v_mov_b32_e32 v52, v62
	v_mov_b32_e32 v54, v64
	v_mov_b32_e32 v55, v65
	v_mov_b32_e32 v56, v66
	v_mov_b32_e32 v57, v67
	v_mov_b32_e32 v58, v68
	v_mov_b32_e32 v53, v3
	v_mov_b32_e32 v40, v50
	s_waitcnt lgkmcnt(2)
	v_pk_fma_f32 v[4:5], v[0:1], v[4:5], v[14:15] op_sel_hi:[0,1,1] neg_lo:[1,0,0] neg_hi:[1,0,0]
	v_mov_b32_e32 v44, v54
	v_mov_b32_e32 v41, v51
	;; [unrolled: 1-line block ×11, first 2 shown]
	s_waitcnt lgkmcnt(0)
	v_fma_f32 v8, -v0, v20, v8
	v_mov_b32_e32 v31, v41
	v_mov_b32_e32 v32, v42
	;; [unrolled: 1-line block ×9, first 2 shown]
	v_pk_fma_f32 v[6:7], v[0:1], v[6:7], v[16:17] op_sel_hi:[0,1,1] neg_lo:[1,0,0] neg_hi:[1,0,0]
	v_mov_b32_e32 v26, v36
	v_mov_b32_e32 v21, v31
	;; [unrolled: 1-line block ×20, first 2 shown]
.LBB16_29:
	s_or_b64 exec, exec, s[18:19]
	v_lshl_add_u32 v0, v39, 2, v9
	s_barrier
	ds_write_b32 v0, v2
	s_waitcnt lgkmcnt(0)
	s_barrier
	ds_read_b32 v27, v9 offset:8
	s_cmp_lt_i32 s22, 4
	v_mov_b32_e32 v0, 2
	s_cbranch_scc1 .LBB16_32
; %bb.30:
	v_mov_b32_e32 v0, 2
	v_add3_u32 v1, v19, 0, 12
	s_mov_b32 s18, 3
.LBB16_31:                              ; =>This Inner Loop Header: Depth=1
	ds_read_b32 v28, v1
	v_mov_b32_e32 v36, s18
	s_add_i32 s18, s18, 1
	v_add_u32_e32 v1, 4, v1
	s_cmp_lg_u32 s22, s18
	s_waitcnt lgkmcnt(0)
	v_cmp_lt_f32_e64 vcc, |v27|, |v28|
	s_nop 1
	v_cndmask_b32_e32 v27, v27, v28, vcc
	v_cndmask_b32_e32 v0, v0, v36, vcc
	s_cbranch_scc1 .LBB16_31
.LBB16_32:
	v_cndmask_b32_e64 v1, 2, 1, s[0:1]
	v_cndmask_b32_e64 v28, 0, 1, s[0:1]
	;; [unrolled: 1-line block ×3, first 2 shown]
	s_waitcnt lgkmcnt(0)
	v_cmp_eq_f32_e32 vcc, 0, v27
	s_and_saveexec_b64 s[0:1], vcc
	s_xor_b64 s[0:1], exec, s[0:1]
; %bb.33:
	v_cmp_ne_u32_e32 vcc, 0, v49
	s_nop 1
	v_cndmask_b32_e32 v49, 3, v49, vcc
; %bb.34:
	s_andn2_saveexec_b64 s[0:1], s[0:1]
	s_cbranch_execz .LBB16_36
; %bb.35:
	v_div_scale_f32 v1, s[2:3], v27, v27, 1.0
	v_rcp_f32_e32 v28, v1
	v_div_scale_f32 v36, vcc, 1.0, v27, 1.0
	v_fma_f32 v45, -v1, v28, 1.0
	v_fmac_f32_e32 v28, v45, v28
	v_mul_f32_e32 v45, v36, v28
	v_fma_f32 v54, -v1, v45, v36
	v_fmac_f32_e32 v45, v54, v28
	v_fma_f32 v1, -v1, v45, v36
	v_div_fmas_f32 v1, v1, v28, v45
	v_div_fixup_f32 v27, v1, v27, 1.0
.LBB16_36:
	s_or_b64 exec, exec, s[0:1]
	v_cmp_ne_u32_e32 vcc, v39, v0
	s_and_saveexec_b64 s[0:1], vcc
	s_xor_b64 s[0:1], exec, s[0:1]
	s_cbranch_execz .LBB16_42
; %bb.37:
	v_cmp_eq_u32_e32 vcc, 2, v39
	s_and_saveexec_b64 s[2:3], vcc
	s_cbranch_execz .LBB16_41
; %bb.38:
	v_cmp_ne_u32_e32 vcc, 2, v0
	s_xor_b64 s[18:19], s[16:17], -1
	s_and_b64 s[20:21], s[18:19], vcc
	s_and_saveexec_b64 s[18:19], s[20:21]
	s_cbranch_execz .LBB16_40
; %bb.39:
	v_ashrrev_i32_e32 v1, 31, v0
	v_lshl_add_u64 v[28:29], v[0:1], 2, v[74:75]
	global_load_dword v1, v[28:29], off
	global_load_dword v36, v[74:75], off offset:8
	s_waitcnt vmcnt(1)
	global_store_dword v[74:75], v1, off offset:8
	s_waitcnt vmcnt(1)
	global_store_dword v[28:29], v36, off
.LBB16_40:
	s_or_b64 exec, exec, s[18:19]
	v_mov_b32_e32 v29, v0
	v_mov_b32_e32 v39, v0
.LBB16_41:
	s_or_b64 exec, exec, s[2:3]
.LBB16_42:
	s_andn2_saveexec_b64 s[0:1], s[0:1]
	s_cbranch_execz .LBB16_44
; %bb.43:
	v_mov_b32_e32 v39, 2
	ds_write2_b32 v9, v13, v14 offset0:3 offset1:4
	ds_write2_b32 v9, v15, v16 offset0:5 offset1:6
	ds_write2_b32 v9, v17, v18 offset0:7 offset1:8
.LBB16_44:
	s_or_b64 exec, exec, s[0:1]
	v_cmp_lt_i32_e32 vcc, 2, v39
	s_waitcnt lgkmcnt(0)
	s_barrier
	s_and_saveexec_b64 s[0:1], vcc
	s_cbranch_execz .LBB16_46
; %bb.45:
	ds_read2_b32 v[0:1], v9 offset0:3 offset1:4
	v_mul_f32_e32 v62, v2, v27
	v_mov_b32_e32 v2, v13
	v_mov_b32_e32 v3, v14
	;; [unrolled: 1-line block ×3, first 2 shown]
	ds_read2_b32 v[4:5], v9 offset0:5 offset1:6
	ds_read2_b32 v[6:7], v9 offset0:7 offset1:8
	s_waitcnt lgkmcnt(2)
	v_pk_fma_f32 v[0:1], v[62:63], v[0:1], v[2:3] op_sel_hi:[0,1,1] neg_lo:[1,0,0] neg_hi:[1,0,0]
	v_mov_b32_e32 v53, v63
	v_mov_b32_e32 v51, v61
	;; [unrolled: 1-line block ×22, first 2 shown]
	s_waitcnt lgkmcnt(1)
	v_pk_fma_f32 v[76:77], v[62:63], v[4:5], v[2:3] op_sel_hi:[0,1,1] neg_lo:[1,0,0] neg_hi:[1,0,0]
	v_mov_b32_e32 v35, v45
	v_mov_b32_e32 v31, v41
	;; [unrolled: 1-line block ×22, first 2 shown]
	s_waitcnt lgkmcnt(0)
	v_pk_fma_f32 v[78:79], v[62:63], v[6:7], v[2:3] op_sel_hi:[0,1,1] neg_lo:[1,0,0] neg_hi:[1,0,0]
	v_mov_b32_e32 v17, v27
	v_mov_b32_e32 v18, v28
	;; [unrolled: 1-line block ×16, first 2 shown]
.LBB16_46:
	s_or_b64 exec, exec, s[0:1]
	v_lshl_add_u32 v0, v39, 2, v9
	s_barrier
	ds_write_b32 v0, v3
	s_waitcnt lgkmcnt(0)
	s_barrier
	ds_read_b32 v2, v9 offset:12
	s_cmp_lt_i32 s22, 5
	v_mov_b32_e32 v0, 3
	s_cbranch_scc1 .LBB16_49
; %bb.47:
	v_add3_u32 v1, v19, 0, 16
	v_mov_b32_e32 v0, 3
	s_mov_b32 s0, 4
.LBB16_48:                              ; =>This Inner Loop Header: Depth=1
	ds_read_b32 v27, v1
	v_mov_b32_e32 v28, s0
	s_add_i32 s0, s0, 1
	v_add_u32_e32 v1, 4, v1
	s_cmp_lg_u32 s22, s0
	s_waitcnt lgkmcnt(0)
	v_cmp_lt_f32_e64 vcc, |v2|, |v27|
	s_nop 1
	v_cndmask_b32_e32 v2, v2, v27, vcc
	v_cndmask_b32_e32 v0, v0, v28, vcc
	s_cbranch_scc1 .LBB16_48
.LBB16_49:
	s_waitcnt lgkmcnt(0)
	v_cmp_eq_f32_e32 vcc, 0, v2
	s_and_saveexec_b64 s[0:1], vcc
	s_xor_b64 s[0:1], exec, s[0:1]
; %bb.50:
	v_cmp_ne_u32_e32 vcc, 0, v49
	s_nop 1
	v_cndmask_b32_e32 v49, 4, v49, vcc
; %bb.51:
	s_andn2_saveexec_b64 s[0:1], s[0:1]
	s_cbranch_execz .LBB16_53
; %bb.52:
	v_div_scale_f32 v1, s[2:3], v2, v2, 1.0
	v_rcp_f32_e32 v27, v1
	v_div_scale_f32 v28, vcc, 1.0, v2, 1.0
	v_fma_f32 v36, -v1, v27, 1.0
	v_fmac_f32_e32 v27, v36, v27
	v_mul_f32_e32 v36, v28, v27
	v_fma_f32 v45, -v1, v36, v28
	v_fmac_f32_e32 v36, v45, v27
	v_fma_f32 v1, -v1, v36, v28
	v_div_fmas_f32 v1, v1, v27, v36
	v_div_fixup_f32 v2, v1, v2, 1.0
.LBB16_53:
	s_or_b64 exec, exec, s[0:1]
	v_cmp_ne_u32_e32 vcc, v39, v0
	s_and_saveexec_b64 s[0:1], vcc
	s_xor_b64 s[0:1], exec, s[0:1]
	s_cbranch_execz .LBB16_59
; %bb.54:
	v_cmp_eq_u32_e32 vcc, 3, v39
	s_and_saveexec_b64 s[2:3], vcc
	s_cbranch_execz .LBB16_58
; %bb.55:
	v_cmp_ne_u32_e32 vcc, 3, v0
	s_xor_b64 s[18:19], s[16:17], -1
	s_and_b64 s[20:21], s[18:19], vcc
	s_and_saveexec_b64 s[18:19], s[20:21]
	s_cbranch_execz .LBB16_57
; %bb.56:
	v_ashrrev_i32_e32 v1, 31, v0
	v_lshl_add_u64 v[28:29], v[0:1], 2, v[74:75]
	global_load_dword v1, v[28:29], off
	global_load_dword v27, v[74:75], off offset:12
	s_waitcnt vmcnt(1)
	global_store_dword v[74:75], v1, off offset:12
	s_waitcnt vmcnt(1)
	global_store_dword v[28:29], v27, off
.LBB16_57:
	s_or_b64 exec, exec, s[18:19]
	v_mov_b32_e32 v29, v0
	v_mov_b32_e32 v39, v0
.LBB16_58:
	s_or_b64 exec, exec, s[2:3]
.LBB16_59:
	s_andn2_saveexec_b64 s[0:1], s[0:1]
	s_cbranch_execz .LBB16_61
; %bb.60:
	v_mov_b32_e32 v39, 3
	ds_write2_b32 v9, v14, v15 offset0:4 offset1:5
	ds_write2_b32 v9, v16, v17 offset0:6 offset1:7
	ds_write_b32 v9, v8 offset:32
.LBB16_61:
	s_or_b64 exec, exec, s[0:1]
	v_cmp_lt_i32_e32 vcc, 3, v39
	s_waitcnt lgkmcnt(0)
	s_barrier
	s_and_saveexec_b64 s[0:1], vcc
	s_cbranch_execz .LBB16_63
; %bb.62:
	ds_read2_b32 v[0:1], v9 offset0:4 offset1:5
	ds_read2_b32 v[6:7], v9 offset0:6 offset1:7
	ds_read_b32 v10, v9 offset:32
	v_mul_f32_e32 v2, v3, v2
	v_mov_b32_e32 v63, v2
	v_mov_b32_e32 v40, v60
	s_waitcnt lgkmcnt(2)
	v_pk_fma_f32 v[4:5], v[2:3], v[0:1], v[14:15] op_sel_hi:[0,1,1] neg_lo:[1,0,0] neg_hi:[1,0,0]
	v_mov_b32_e32 v44, v64
	v_mov_b32_e32 v41, v61
	;; [unrolled: 1-line block ×20, first 2 shown]
	s_waitcnt lgkmcnt(1)
	v_pk_fma_f32 v[6:7], v[2:3], v[6:7], v[16:17] op_sel_hi:[0,1,1] neg_lo:[1,0,0] neg_hi:[1,0,0]
	v_mov_b32_e32 v26, v36
	s_waitcnt lgkmcnt(0)
	v_fma_f32 v8, -v2, v10, v8
	v_mov_b32_e32 v21, v31
	v_mov_b32_e32 v22, v32
	;; [unrolled: 1-line block ×28, first 2 shown]
.LBB16_63:
	s_or_b64 exec, exec, s[0:1]
	v_lshl_add_u32 v0, v39, 2, v9
	s_barrier
	ds_write_b32 v0, v4
	s_waitcnt lgkmcnt(0)
	s_barrier
	ds_read_b32 v2, v9 offset:16
	s_cmp_lt_i32 s22, 6
	v_mov_b32_e32 v0, 4
	s_cbranch_scc1 .LBB16_66
; %bb.64:
	v_add3_u32 v1, v19, 0, 20
	v_mov_b32_e32 v0, 4
	s_mov_b32 s0, 5
.LBB16_65:                              ; =>This Inner Loop Header: Depth=1
	ds_read_b32 v3, v1
	v_mov_b32_e32 v27, s0
	s_add_i32 s0, s0, 1
	v_add_u32_e32 v1, 4, v1
	s_cmp_lg_u32 s22, s0
	s_waitcnt lgkmcnt(0)
	v_cmp_lt_f32_e64 vcc, |v2|, |v3|
	s_nop 1
	v_cndmask_b32_e32 v2, v2, v3, vcc
	v_cndmask_b32_e32 v0, v0, v27, vcc
	s_cbranch_scc1 .LBB16_65
.LBB16_66:
	s_waitcnt lgkmcnt(0)
	v_cmp_eq_f32_e32 vcc, 0, v2
	s_and_saveexec_b64 s[0:1], vcc
	s_xor_b64 s[0:1], exec, s[0:1]
; %bb.67:
	v_cmp_ne_u32_e32 vcc, 0, v49
	s_nop 1
	v_cndmask_b32_e32 v49, 5, v49, vcc
; %bb.68:
	s_andn2_saveexec_b64 s[0:1], s[0:1]
	s_cbranch_execz .LBB16_70
; %bb.69:
	v_div_scale_f32 v1, s[2:3], v2, v2, 1.0
	v_rcp_f32_e32 v3, v1
	v_div_scale_f32 v27, vcc, 1.0, v2, 1.0
	v_fma_f32 v28, -v1, v3, 1.0
	v_fmac_f32_e32 v3, v28, v3
	v_mul_f32_e32 v28, v27, v3
	v_fma_f32 v36, -v1, v28, v27
	v_fmac_f32_e32 v28, v36, v3
	v_fma_f32 v1, -v1, v28, v27
	v_div_fmas_f32 v1, v1, v3, v28
	v_div_fixup_f32 v2, v1, v2, 1.0
.LBB16_70:
	s_or_b64 exec, exec, s[0:1]
	v_cmp_ne_u32_e32 vcc, v39, v0
	s_and_saveexec_b64 s[0:1], vcc
	s_xor_b64 s[0:1], exec, s[0:1]
	s_cbranch_execz .LBB16_76
; %bb.71:
	v_cmp_eq_u32_e32 vcc, 4, v39
	s_and_saveexec_b64 s[2:3], vcc
	s_cbranch_execz .LBB16_75
; %bb.72:
	v_cmp_ne_u32_e32 vcc, 4, v0
	s_xor_b64 s[18:19], s[16:17], -1
	s_and_b64 s[20:21], s[18:19], vcc
	s_and_saveexec_b64 s[18:19], s[20:21]
	s_cbranch_execz .LBB16_74
; %bb.73:
	v_ashrrev_i32_e32 v1, 31, v0
	v_lshl_add_u64 v[28:29], v[0:1], 2, v[74:75]
	global_load_dword v1, v[28:29], off
	global_load_dword v3, v[74:75], off offset:16
	s_waitcnt vmcnt(1)
	global_store_dword v[74:75], v1, off offset:16
	s_waitcnt vmcnt(1)
	global_store_dword v[28:29], v3, off
.LBB16_74:
	s_or_b64 exec, exec, s[18:19]
	v_mov_b32_e32 v29, v0
	v_mov_b32_e32 v39, v0
.LBB16_75:
	s_or_b64 exec, exec, s[2:3]
.LBB16_76:
	s_andn2_saveexec_b64 s[0:1], s[0:1]
	s_cbranch_execz .LBB16_78
; %bb.77:
	v_mov_b32_e32 v39, 4
	ds_write2_b32 v9, v15, v16 offset0:5 offset1:6
	ds_write2_b32 v9, v17, v18 offset0:7 offset1:8
.LBB16_78:
	s_or_b64 exec, exec, s[0:1]
	v_cmp_lt_i32_e32 vcc, 4, v39
	s_waitcnt lgkmcnt(0)
	s_barrier
	s_and_saveexec_b64 s[0:1], vcc
	s_cbranch_execz .LBB16_80
; %bb.79:
	ds_read2_b32 v[0:1], v9 offset0:5 offset1:6
	v_mul_f32_e32 v54, v4, v2
	v_mov_b32_e32 v2, v15
	ds_read2_b32 v[4:5], v9 offset0:7 offset1:8
	v_mov_b32_e32 v3, v16
	v_mov_b32_e32 v30, v50
	s_waitcnt lgkmcnt(1)
	v_pk_fma_f32 v[0:1], v[54:55], v[0:1], v[2:3] op_sel_hi:[0,1,1] neg_lo:[1,0,0] neg_hi:[1,0,0]
	v_mov_b32_e32 v35, v55
	v_mov_b32_e32 v31, v51
	;; [unrolled: 1-line block ×22, first 2 shown]
	s_waitcnt lgkmcnt(0)
	v_pk_fma_f32 v[2:3], v[54:55], v[4:5], v[2:3] op_sel_hi:[0,1,1] neg_lo:[1,0,0] neg_hi:[1,0,0]
	v_mov_b32_e32 v17, v27
	v_mov_b32_e32 v18, v28
	;; [unrolled: 1-line block ×23, first 2 shown]
.LBB16_80:
	s_or_b64 exec, exec, s[0:1]
	v_lshl_add_u32 v0, v39, 2, v9
	s_barrier
	ds_write_b32 v0, v5
	s_waitcnt lgkmcnt(0)
	s_barrier
	ds_read_b32 v2, v9 offset:20
	s_cmp_lt_i32 s22, 7
	v_mov_b32_e32 v0, 5
	s_cbranch_scc1 .LBB16_83
; %bb.81:
	v_add3_u32 v1, v19, 0, 24
	v_mov_b32_e32 v0, 5
	s_mov_b32 s0, 6
.LBB16_82:                              ; =>This Inner Loop Header: Depth=1
	ds_read_b32 v3, v1
	v_mov_b32_e32 v4, s0
	s_add_i32 s0, s0, 1
	v_add_u32_e32 v1, 4, v1
	s_cmp_lg_u32 s22, s0
	s_waitcnt lgkmcnt(0)
	v_cmp_lt_f32_e64 vcc, |v2|, |v3|
	s_nop 1
	v_cndmask_b32_e32 v2, v2, v3, vcc
	v_cndmask_b32_e32 v0, v0, v4, vcc
	s_cbranch_scc1 .LBB16_82
.LBB16_83:
	s_waitcnt lgkmcnt(0)
	v_cmp_eq_f32_e32 vcc, 0, v2
	s_and_saveexec_b64 s[0:1], vcc
	s_xor_b64 s[0:1], exec, s[0:1]
; %bb.84:
	v_cmp_ne_u32_e32 vcc, 0, v49
	s_nop 1
	v_cndmask_b32_e32 v49, 6, v49, vcc
; %bb.85:
	s_andn2_saveexec_b64 s[0:1], s[0:1]
	s_cbranch_execz .LBB16_87
; %bb.86:
	v_div_scale_f32 v1, s[2:3], v2, v2, 1.0
	v_rcp_f32_e32 v3, v1
	v_div_scale_f32 v4, vcc, 1.0, v2, 1.0
	v_fma_f32 v27, -v1, v3, 1.0
	v_fmac_f32_e32 v3, v27, v3
	v_mul_f32_e32 v27, v4, v3
	v_fma_f32 v28, -v1, v27, v4
	v_fmac_f32_e32 v27, v28, v3
	v_fma_f32 v1, -v1, v27, v4
	v_div_fmas_f32 v1, v1, v3, v27
	v_div_fixup_f32 v2, v1, v2, 1.0
.LBB16_87:
	s_or_b64 exec, exec, s[0:1]
	v_cmp_ne_u32_e32 vcc, v39, v0
	s_and_saveexec_b64 s[0:1], vcc
	s_xor_b64 s[0:1], exec, s[0:1]
	s_cbranch_execz .LBB16_93
; %bb.88:
	v_cmp_eq_u32_e32 vcc, 5, v39
	s_and_saveexec_b64 s[2:3], vcc
	s_cbranch_execz .LBB16_92
; %bb.89:
	v_cmp_ne_u32_e32 vcc, 5, v0
	s_xor_b64 s[18:19], s[16:17], -1
	s_and_b64 s[20:21], s[18:19], vcc
	s_and_saveexec_b64 s[18:19], s[20:21]
	s_cbranch_execz .LBB16_91
; %bb.90:
	v_ashrrev_i32_e32 v1, 31, v0
	v_lshl_add_u64 v[28:29], v[0:1], 2, v[74:75]
	global_load_dword v1, v[28:29], off
	global_load_dword v3, v[74:75], off offset:20
	s_waitcnt vmcnt(1)
	global_store_dword v[74:75], v1, off offset:20
	s_waitcnt vmcnt(1)
	global_store_dword v[28:29], v3, off
.LBB16_91:
	s_or_b64 exec, exec, s[18:19]
	v_mov_b32_e32 v29, v0
	v_mov_b32_e32 v39, v0
.LBB16_92:
	s_or_b64 exec, exec, s[2:3]
.LBB16_93:
	s_andn2_saveexec_b64 s[0:1], s[0:1]
	s_cbranch_execz .LBB16_95
; %bb.94:
	v_mov_b32_e32 v39, 5
	ds_write2_b32 v9, v16, v17 offset0:6 offset1:7
	ds_write_b32 v9, v8 offset:32
.LBB16_95:
	s_or_b64 exec, exec, s[0:1]
	v_cmp_lt_i32_e32 vcc, 5, v39
	s_waitcnt lgkmcnt(0)
	s_barrier
	s_and_saveexec_b64 s[0:1], vcc
	s_cbranch_execz .LBB16_97
; %bb.96:
	ds_read2_b32 v[0:1], v9 offset0:6 offset1:7
	ds_read_b32 v3, v9 offset:32
	v_mul_f32_e32 v2, v5, v2
	v_mov_b32_e32 v45, v2
	v_mov_b32_e32 v20, v40
	;; [unrolled: 1-line block ×3, first 2 shown]
	s_waitcnt lgkmcnt(0)
	v_pk_fma_f32 v[6:7], v[2:3], v[0:1], v[16:17] op_sel_hi:[0,1,1] neg_lo:[1,0,0] neg_hi:[1,0,0]
	v_mov_b32_e32 v21, v41
	v_mov_b32_e32 v22, v42
	;; [unrolled: 1-line block ×9, first 2 shown]
	v_fma_f32 v8, -v2, v3, v8
	v_mov_b32_e32 v17, v27
	v_mov_b32_e32 v18, v28
	;; [unrolled: 1-line block ×19, first 2 shown]
.LBB16_97:
	s_or_b64 exec, exec, s[0:1]
	v_lshl_add_u32 v0, v39, 2, v9
	s_barrier
	ds_write_b32 v0, v6
	s_waitcnt lgkmcnt(0)
	s_barrier
	ds_read_b32 v2, v9 offset:24
	s_cmp_lt_i32 s22, 8
	v_mov_b32_e32 v0, 6
	s_cbranch_scc1 .LBB16_100
; %bb.98:
	v_add3_u32 v1, v19, 0, 28
	v_mov_b32_e32 v0, 6
	s_mov_b32 s0, 7
.LBB16_99:                              ; =>This Inner Loop Header: Depth=1
	ds_read_b32 v3, v1
	v_mov_b32_e32 v4, s0
	s_add_i32 s0, s0, 1
	v_add_u32_e32 v1, 4, v1
	s_cmp_lg_u32 s22, s0
	s_waitcnt lgkmcnt(0)
	v_cmp_lt_f32_e64 vcc, |v2|, |v3|
	s_nop 1
	v_cndmask_b32_e32 v2, v2, v3, vcc
	v_cndmask_b32_e32 v0, v0, v4, vcc
	s_cbranch_scc1 .LBB16_99
.LBB16_100:
	s_waitcnt lgkmcnt(0)
	v_cmp_eq_f32_e32 vcc, 0, v2
	s_and_saveexec_b64 s[0:1], vcc
	s_xor_b64 s[0:1], exec, s[0:1]
; %bb.101:
	v_cmp_ne_u32_e32 vcc, 0, v49
	s_nop 1
	v_cndmask_b32_e32 v49, 7, v49, vcc
; %bb.102:
	s_andn2_saveexec_b64 s[0:1], s[0:1]
	s_cbranch_execz .LBB16_104
; %bb.103:
	v_div_scale_f32 v1, s[2:3], v2, v2, 1.0
	v_rcp_f32_e32 v3, v1
	v_div_scale_f32 v4, vcc, 1.0, v2, 1.0
	v_fma_f32 v5, -v1, v3, 1.0
	v_fmac_f32_e32 v3, v5, v3
	v_mul_f32_e32 v5, v4, v3
	v_fma_f32 v27, -v1, v5, v4
	v_fmac_f32_e32 v5, v27, v3
	v_fma_f32 v1, -v1, v5, v4
	v_div_fmas_f32 v1, v1, v3, v5
	v_div_fixup_f32 v2, v1, v2, 1.0
.LBB16_104:
	s_or_b64 exec, exec, s[0:1]
	v_cmp_ne_u32_e32 vcc, v39, v0
	s_and_saveexec_b64 s[0:1], vcc
	s_xor_b64 s[0:1], exec, s[0:1]
	s_cbranch_execz .LBB16_110
; %bb.105:
	v_cmp_eq_u32_e32 vcc, 6, v39
	s_and_saveexec_b64 s[2:3], vcc
	s_cbranch_execz .LBB16_109
; %bb.106:
	v_cmp_ne_u32_e32 vcc, 6, v0
	s_xor_b64 s[18:19], s[16:17], -1
	s_and_b64 s[20:21], s[18:19], vcc
	s_and_saveexec_b64 s[18:19], s[20:21]
	s_cbranch_execz .LBB16_108
; %bb.107:
	v_ashrrev_i32_e32 v1, 31, v0
	v_lshl_add_u64 v[4:5], v[0:1], 2, v[74:75]
	global_load_dword v1, v[4:5], off
	global_load_dword v3, v[74:75], off offset:24
	s_waitcnt vmcnt(1)
	global_store_dword v[74:75], v1, off offset:24
	s_waitcnt vmcnt(1)
	global_store_dword v[4:5], v3, off
.LBB16_108:
	s_or_b64 exec, exec, s[18:19]
	v_mov_b32_e32 v29, v0
	v_mov_b32_e32 v39, v0
.LBB16_109:
	s_or_b64 exec, exec, s[2:3]
.LBB16_110:
	s_andn2_saveexec_b64 s[0:1], s[0:1]
; %bb.111:
	v_mov_b32_e32 v39, 6
	ds_write2_b32 v9, v17, v18 offset0:7 offset1:8
; %bb.112:
	s_or_b64 exec, exec, s[0:1]
	v_cmp_lt_i32_e32 vcc, 6, v39
	s_waitcnt lgkmcnt(0)
	s_barrier
	s_and_saveexec_b64 s[0:1], vcc
	s_cbranch_execz .LBB16_114
; %bb.113:
	ds_read2_b32 v[0:1], v9 offset0:7 offset1:8
	v_mul_f32_e32 v36, v6, v2
	v_mov_b32_e32 v2, v17
	v_mov_b32_e32 v3, v18
	;; [unrolled: 1-line block ×5, first 2 shown]
	s_waitcnt lgkmcnt(0)
	v_pk_fma_f32 v[0:1], v[36:37], v[0:1], v[2:3] op_sel_hi:[0,1,1] neg_lo:[1,0,0] neg_hi:[1,0,0]
	v_mov_b32_e32 v20, v30
	v_mov_b32_e32 v11, v31
	;; [unrolled: 1-line block ×19, first 2 shown]
.LBB16_114:
	s_or_b64 exec, exec, s[0:1]
	v_lshl_add_u32 v0, v39, 2, v9
	s_barrier
	ds_write_b32 v0, v7
	s_waitcnt lgkmcnt(0)
	s_barrier
	ds_read_b32 v2, v9 offset:28
	s_cmp_lt_i32 s22, 9
	v_mov_b32_e32 v0, 7
	s_cbranch_scc1 .LBB16_117
; %bb.115:
	v_add3_u32 v1, v19, 0, 32
	v_mov_b32_e32 v0, 7
	s_mov_b32 s0, 8
.LBB16_116:                             ; =>This Inner Loop Header: Depth=1
	ds_read_b32 v3, v1
	v_mov_b32_e32 v4, s0
	s_add_i32 s0, s0, 1
	v_add_u32_e32 v1, 4, v1
	s_cmp_lg_u32 s22, s0
	s_waitcnt lgkmcnt(0)
	v_cmp_lt_f32_e64 vcc, |v2|, |v3|
	s_nop 1
	v_cndmask_b32_e32 v2, v2, v3, vcc
	v_cndmask_b32_e32 v0, v0, v4, vcc
	s_cbranch_scc1 .LBB16_116
.LBB16_117:
	s_waitcnt lgkmcnt(0)
	v_cmp_eq_f32_e32 vcc, 0, v2
	s_and_saveexec_b64 s[0:1], vcc
	s_xor_b64 s[0:1], exec, s[0:1]
; %bb.118:
	v_cmp_ne_u32_e32 vcc, 0, v49
	s_nop 1
	v_cndmask_b32_e32 v49, 8, v49, vcc
; %bb.119:
	s_andn2_saveexec_b64 s[0:1], s[0:1]
	s_cbranch_execz .LBB16_121
; %bb.120:
	v_div_scale_f32 v1, s[2:3], v2, v2, 1.0
	v_rcp_f32_e32 v3, v1
	v_div_scale_f32 v4, vcc, 1.0, v2, 1.0
	v_fma_f32 v5, -v1, v3, 1.0
	v_fmac_f32_e32 v3, v5, v3
	v_mul_f32_e32 v5, v4, v3
	v_fma_f32 v6, -v1, v5, v4
	v_fmac_f32_e32 v5, v6, v3
	v_fma_f32 v1, -v1, v5, v4
	v_div_fmas_f32 v1, v1, v3, v5
	v_div_fixup_f32 v2, v1, v2, 1.0
.LBB16_121:
	s_or_b64 exec, exec, s[0:1]
	v_cmp_ne_u32_e32 vcc, v39, v0
	s_and_saveexec_b64 s[0:1], vcc
	s_xor_b64 s[0:1], exec, s[0:1]
	s_cbranch_execz .LBB16_127
; %bb.122:
	v_cmp_eq_u32_e32 vcc, 7, v39
	s_and_saveexec_b64 s[2:3], vcc
	s_cbranch_execz .LBB16_126
; %bb.123:
	v_cmp_ne_u32_e32 vcc, 7, v0
	s_xor_b64 s[18:19], s[16:17], -1
	s_and_b64 s[20:21], s[18:19], vcc
	s_and_saveexec_b64 s[18:19], s[20:21]
	s_cbranch_execz .LBB16_125
; %bb.124:
	v_ashrrev_i32_e32 v1, 31, v0
	v_lshl_add_u64 v[4:5], v[0:1], 2, v[74:75]
	global_load_dword v1, v[4:5], off
	global_load_dword v3, v[74:75], off offset:28
	s_waitcnt vmcnt(1)
	global_store_dword v[74:75], v1, off offset:28
	s_waitcnt vmcnt(1)
	global_store_dword v[4:5], v3, off
.LBB16_125:
	s_or_b64 exec, exec, s[18:19]
	v_mov_b32_e32 v29, v0
	v_mov_b32_e32 v39, v0
.LBB16_126:
	s_or_b64 exec, exec, s[2:3]
.LBB16_127:
	s_andn2_saveexec_b64 s[0:1], s[0:1]
; %bb.128:
	v_mov_b32_e32 v39, 7
	ds_write_b32 v9, v8 offset:32
; %bb.129:
	s_or_b64 exec, exec, s[0:1]
	v_cmp_lt_i32_e32 vcc, 7, v39
	s_waitcnt lgkmcnt(0)
	s_barrier
	s_and_saveexec_b64 s[0:1], vcc
	s_cbranch_execz .LBB16_131
; %bb.130:
	ds_read_b32 v0, v9 offset:32
	v_mul_f32_e32 v27, v7, v2
	s_waitcnt lgkmcnt(0)
	v_fma_f32 v28, -v27, v0, v8
	v_mov_b32_e32 v10, v20
	v_mov_b32_e32 v11, v21
	;; [unrolled: 1-line block ×10, first 2 shown]
.LBB16_131:
	s_or_b64 exec, exec, s[0:1]
	v_lshl_add_u32 v0, v39, 2, v9
	s_barrier
	ds_write_b32 v0, v8
	s_waitcnt lgkmcnt(0)
	s_barrier
	ds_read_b32 v4, v9 offset:32
	s_cmp_lt_i32 s22, 10
	v_mov_b32_e32 v0, 8
	s_cbranch_scc1 .LBB16_134
; %bb.132:
	v_add3_u32 v1, v19, 0, 36
	v_mov_b32_e32 v0, 8
	s_mov_b32 s0, 9
.LBB16_133:                             ; =>This Inner Loop Header: Depth=1
	ds_read_b32 v2, v1
	v_mov_b32_e32 v3, s0
	s_add_i32 s0, s0, 1
	v_add_u32_e32 v1, 4, v1
	s_cmp_lg_u32 s22, s0
	s_waitcnt lgkmcnt(0)
	v_cmp_lt_f32_e64 vcc, |v4|, |v2|
	s_nop 1
	v_cndmask_b32_e32 v4, v4, v2, vcc
	v_cndmask_b32_e32 v0, v0, v3, vcc
	s_cbranch_scc1 .LBB16_133
.LBB16_134:
	s_waitcnt lgkmcnt(0)
	v_cmp_eq_f32_e32 vcc, 0, v4
	s_and_saveexec_b64 s[0:1], vcc
	s_xor_b64 s[0:1], exec, s[0:1]
; %bb.135:
	v_cmp_ne_u32_e32 vcc, 0, v49
	s_nop 1
	v_cndmask_b32_e32 v49, 9, v49, vcc
; %bb.136:
	s_andn2_saveexec_b64 s[0:1], s[0:1]
	s_cbranch_execz .LBB16_138
; %bb.137:
	v_div_scale_f32 v1, s[2:3], v4, v4, 1.0
	v_rcp_f32_e32 v2, v1
	v_div_scale_f32 v3, vcc, 1.0, v4, 1.0
	v_fma_f32 v5, -v1, v2, 1.0
	v_fmac_f32_e32 v2, v5, v2
	v_mul_f32_e32 v5, v3, v2
	v_fma_f32 v6, -v1, v5, v3
	v_fmac_f32_e32 v5, v6, v2
	v_fma_f32 v1, -v1, v5, v3
	v_div_fmas_f32 v1, v1, v2, v5
	v_div_fixup_f32 v4, v1, v4, 1.0
.LBB16_138:
	s_or_b64 exec, exec, s[0:1]
	v_cmp_ne_u32_e32 vcc, v39, v0
	v_mov_b32_e32 v2, 8
	s_and_saveexec_b64 s[0:1], vcc
	s_cbranch_execz .LBB16_144
; %bb.139:
	v_cmp_eq_u32_e32 vcc, 8, v39
	s_and_saveexec_b64 s[2:3], vcc
	s_cbranch_execz .LBB16_143
; %bb.140:
	v_cmp_ne_u32_e32 vcc, 8, v0
	s_xor_b64 s[16:17], s[16:17], -1
	s_and_b64 s[18:19], s[16:17], vcc
	s_and_saveexec_b64 s[16:17], s[18:19]
	s_cbranch_execz .LBB16_142
; %bb.141:
	v_ashrrev_i32_e32 v1, 31, v0
	v_lshl_add_u64 v[2:3], v[0:1], 2, v[74:75]
	global_load_dword v1, v[2:3], off
	global_load_dword v5, v[74:75], off offset:32
	s_waitcnt vmcnt(1)
	global_store_dword v[74:75], v1, off offset:32
	s_waitcnt vmcnt(1)
	global_store_dword v[2:3], v5, off
.LBB16_142:
	s_or_b64 exec, exec, s[16:17]
	v_mov_b32_e32 v29, v0
	v_mov_b32_e32 v39, v0
.LBB16_143:
	s_or_b64 exec, exec, s[2:3]
	v_mov_b32_e32 v2, v39
.LBB16_144:
	s_or_b64 exec, exec, s[0:1]
	v_cmp_gt_i32_e32 vcc, 9, v2
	v_ashrrev_i32_e32 v3, 31, v2
	s_barrier
	s_barrier
	s_and_saveexec_b64 s[0:1], vcc
	s_cbranch_execz .LBB16_146
; %bb.145:
	v_mul_lo_u32 v5, s11, v72
	v_mul_lo_u32 v9, s10, v73
	v_mad_u64_u32 v[6:7], s[2:3], s10, v72, 0
	v_mov_b32_e32 v0, s6
	v_mov_b32_e32 v1, s7
	v_add3_u32 v7, v7, v9, v5
	v_lshl_add_u64 v[0:1], v[6:7], 2, v[0:1]
	v_lshl_add_u64 v[0:1], s[8:9], 2, v[0:1]
	;; [unrolled: 1-line block ×3, first 2 shown]
	v_add3_u32 v5, v29, s15, 1
	global_store_dword v[0:1], v5, off
.LBB16_146:
	s_or_b64 exec, exec, s[0:1]
	v_cmp_eq_u32_e32 vcc, 0, v2
	s_and_saveexec_b64 s[2:3], vcc
	s_cbranch_execz .LBB16_149
; %bb.147:
	v_mov_b32_e32 v0, s4
	v_mov_b32_e32 v1, s5
	v_lshl_add_u64 v[0:1], v[72:73], 2, v[0:1]
	global_load_dword v5, v[0:1], off
	v_cmp_ne_u32_e64 s[0:1], 0, v49
	s_waitcnt vmcnt(0)
	v_cmp_eq_u32_e32 vcc, 0, v5
	s_and_b64 s[0:1], vcc, s[0:1]
	s_and_b64 exec, exec, s[0:1]
	s_cbranch_execz .LBB16_149
; %bb.148:
	v_add_u32_e32 v5, s15, v49
	global_store_dword v[0:1], v5, off
.LBB16_149:
	s_or_b64 exec, exec, s[2:3]
	v_mul_f32_e32 v0, v8, v4
	v_cmp_lt_i32_e32 vcc, 8, v2
	s_nop 1
	v_cndmask_b32_e32 v4, v18, v0, vcc
	v_lshl_add_u64 v[0:1], v[2:3], 2, v[70:71]
	global_store_dword v[0:1], v10, off
	v_lshl_add_u64 v[0:1], s[12:13], 2, v[0:1]
	global_store_dword v[0:1], v11, off
	v_add_u32_e32 v0, s14, v2
	v_ashrrev_i32_e32 v1, 31, v0
	v_lshl_add_u64 v[2:3], v[0:1], 2, v[70:71]
	v_add_u32_e32 v0, s12, v0
	v_ashrrev_i32_e32 v1, 31, v0
	global_store_dword v[2:3], v12, off
	v_lshl_add_u64 v[2:3], v[0:1], 2, v[70:71]
	v_add_u32_e32 v0, s12, v0
	v_ashrrev_i32_e32 v1, 31, v0
	global_store_dword v[2:3], v13, off
	v_lshl_add_u64 v[2:3], v[0:1], 2, v[70:71]
	v_add_u32_e32 v0, s12, v0
	v_ashrrev_i32_e32 v1, 31, v0
	global_store_dword v[2:3], v14, off
	v_lshl_add_u64 v[2:3], v[0:1], 2, v[70:71]
	v_add_u32_e32 v0, s12, v0
	v_ashrrev_i32_e32 v1, 31, v0
	global_store_dword v[2:3], v15, off
	v_lshl_add_u64 v[2:3], v[0:1], 2, v[70:71]
	v_add_u32_e32 v0, s12, v0
	v_ashrrev_i32_e32 v1, 31, v0
	global_store_dword v[2:3], v16, off
	v_lshl_add_u64 v[2:3], v[0:1], 2, v[70:71]
	v_add_u32_e32 v0, s12, v0
	v_ashrrev_i32_e32 v1, 31, v0
	v_lshl_add_u64 v[0:1], v[0:1], 2, v[70:71]
	global_store_dword v[2:3], v17, off
	global_store_dword v[0:1], v4, off
.LBB16_150:
	s_endpgm
	.section	.rodata,"a",@progbits
	.p2align	6, 0x0
	.amdhsa_kernel _ZN9rocsolver6v33100L18getf2_small_kernelILi9EfiiPfEEvT1_T3_lS3_lPS3_llPT2_S3_S3_S5_l
		.amdhsa_group_segment_fixed_size 0
		.amdhsa_private_segment_fixed_size 0
		.amdhsa_kernarg_size 352
		.amdhsa_user_sgpr_count 2
		.amdhsa_user_sgpr_dispatch_ptr 0
		.amdhsa_user_sgpr_queue_ptr 0
		.amdhsa_user_sgpr_kernarg_segment_ptr 1
		.amdhsa_user_sgpr_dispatch_id 0
		.amdhsa_user_sgpr_kernarg_preload_length 0
		.amdhsa_user_sgpr_kernarg_preload_offset 0
		.amdhsa_user_sgpr_private_segment_size 0
		.amdhsa_uses_dynamic_stack 0
		.amdhsa_enable_private_segment 0
		.amdhsa_system_sgpr_workgroup_id_x 1
		.amdhsa_system_sgpr_workgroup_id_y 1
		.amdhsa_system_sgpr_workgroup_id_z 0
		.amdhsa_system_sgpr_workgroup_info 0
		.amdhsa_system_vgpr_workitem_id 1
		.amdhsa_next_free_vgpr 80
		.amdhsa_next_free_sgpr 26
		.amdhsa_accum_offset 80
		.amdhsa_reserve_vcc 1
		.amdhsa_float_round_mode_32 0
		.amdhsa_float_round_mode_16_64 0
		.amdhsa_float_denorm_mode_32 3
		.amdhsa_float_denorm_mode_16_64 3
		.amdhsa_dx10_clamp 1
		.amdhsa_ieee_mode 1
		.amdhsa_fp16_overflow 0
		.amdhsa_tg_split 0
		.amdhsa_exception_fp_ieee_invalid_op 0
		.amdhsa_exception_fp_denorm_src 0
		.amdhsa_exception_fp_ieee_div_zero 0
		.amdhsa_exception_fp_ieee_overflow 0
		.amdhsa_exception_fp_ieee_underflow 0
		.amdhsa_exception_fp_ieee_inexact 0
		.amdhsa_exception_int_div_zero 0
	.end_amdhsa_kernel
	.section	.text._ZN9rocsolver6v33100L18getf2_small_kernelILi9EfiiPfEEvT1_T3_lS3_lPS3_llPT2_S3_S3_S5_l,"axG",@progbits,_ZN9rocsolver6v33100L18getf2_small_kernelILi9EfiiPfEEvT1_T3_lS3_lPS3_llPT2_S3_S3_S5_l,comdat
.Lfunc_end16:
	.size	_ZN9rocsolver6v33100L18getf2_small_kernelILi9EfiiPfEEvT1_T3_lS3_lPS3_llPT2_S3_S3_S5_l, .Lfunc_end16-_ZN9rocsolver6v33100L18getf2_small_kernelILi9EfiiPfEEvT1_T3_lS3_lPS3_llPT2_S3_S3_S5_l
                                        ; -- End function
	.set _ZN9rocsolver6v33100L18getf2_small_kernelILi9EfiiPfEEvT1_T3_lS3_lPS3_llPT2_S3_S3_S5_l.num_vgpr, 80
	.set _ZN9rocsolver6v33100L18getf2_small_kernelILi9EfiiPfEEvT1_T3_lS3_lPS3_llPT2_S3_S3_S5_l.num_agpr, 0
	.set _ZN9rocsolver6v33100L18getf2_small_kernelILi9EfiiPfEEvT1_T3_lS3_lPS3_llPT2_S3_S3_S5_l.numbered_sgpr, 26
	.set _ZN9rocsolver6v33100L18getf2_small_kernelILi9EfiiPfEEvT1_T3_lS3_lPS3_llPT2_S3_S3_S5_l.num_named_barrier, 0
	.set _ZN9rocsolver6v33100L18getf2_small_kernelILi9EfiiPfEEvT1_T3_lS3_lPS3_llPT2_S3_S3_S5_l.private_seg_size, 0
	.set _ZN9rocsolver6v33100L18getf2_small_kernelILi9EfiiPfEEvT1_T3_lS3_lPS3_llPT2_S3_S3_S5_l.uses_vcc, 1
	.set _ZN9rocsolver6v33100L18getf2_small_kernelILi9EfiiPfEEvT1_T3_lS3_lPS3_llPT2_S3_S3_S5_l.uses_flat_scratch, 0
	.set _ZN9rocsolver6v33100L18getf2_small_kernelILi9EfiiPfEEvT1_T3_lS3_lPS3_llPT2_S3_S3_S5_l.has_dyn_sized_stack, 0
	.set _ZN9rocsolver6v33100L18getf2_small_kernelILi9EfiiPfEEvT1_T3_lS3_lPS3_llPT2_S3_S3_S5_l.has_recursion, 0
	.set _ZN9rocsolver6v33100L18getf2_small_kernelILi9EfiiPfEEvT1_T3_lS3_lPS3_llPT2_S3_S3_S5_l.has_indirect_call, 0
	.section	.AMDGPU.csdata,"",@progbits
; Kernel info:
; codeLenInByte = 6540
; TotalNumSgprs: 32
; NumVgprs: 80
; NumAgprs: 0
; TotalNumVgprs: 80
; ScratchSize: 0
; MemoryBound: 0
; FloatMode: 240
; IeeeMode: 1
; LDSByteSize: 0 bytes/workgroup (compile time only)
; SGPRBlocks: 3
; VGPRBlocks: 9
; NumSGPRsForWavesPerEU: 32
; NumVGPRsForWavesPerEU: 80
; AccumOffset: 80
; Occupancy: 6
; WaveLimiterHint : 0
; COMPUTE_PGM_RSRC2:SCRATCH_EN: 0
; COMPUTE_PGM_RSRC2:USER_SGPR: 2
; COMPUTE_PGM_RSRC2:TRAP_HANDLER: 0
; COMPUTE_PGM_RSRC2:TGID_X_EN: 1
; COMPUTE_PGM_RSRC2:TGID_Y_EN: 1
; COMPUTE_PGM_RSRC2:TGID_Z_EN: 0
; COMPUTE_PGM_RSRC2:TIDIG_COMP_CNT: 1
; COMPUTE_PGM_RSRC3_GFX90A:ACCUM_OFFSET: 19
; COMPUTE_PGM_RSRC3_GFX90A:TG_SPLIT: 0
	.section	.text._ZN9rocsolver6v33100L23getf2_npvt_small_kernelILi9EfiiPfEEvT1_T3_lS3_lPT2_S3_S3_,"axG",@progbits,_ZN9rocsolver6v33100L23getf2_npvt_small_kernelILi9EfiiPfEEvT1_T3_lS3_lPT2_S3_S3_,comdat
	.globl	_ZN9rocsolver6v33100L23getf2_npvt_small_kernelILi9EfiiPfEEvT1_T3_lS3_lPT2_S3_S3_ ; -- Begin function _ZN9rocsolver6v33100L23getf2_npvt_small_kernelILi9EfiiPfEEvT1_T3_lS3_lPT2_S3_S3_
	.p2align	8
	.type	_ZN9rocsolver6v33100L23getf2_npvt_small_kernelILi9EfiiPfEEvT1_T3_lS3_lPT2_S3_S3_,@function
_ZN9rocsolver6v33100L23getf2_npvt_small_kernelILi9EfiiPfEEvT1_T3_lS3_lPT2_S3_S3_: ; @_ZN9rocsolver6v33100L23getf2_npvt_small_kernelILi9EfiiPfEEvT1_T3_lS3_lPT2_S3_S3_
; %bb.0:
	s_load_dword s2, s[0:1], 0x44
	s_load_dwordx2 s[16:17], s[0:1], 0x30
	v_bfe_u32 v10, v0, 10, 10
	s_waitcnt lgkmcnt(0)
	s_lshr_b32 s2, s2, 16
	s_mul_i32 s3, s3, s2
	v_add_u32_e32 v78, s3, v10
	v_cmp_gt_i32_e32 vcc, s16, v78
	s_and_saveexec_b64 s[4:5], vcc
	s_cbranch_execz .LBB17_48
; %bb.1:
	s_load_dwordx4 s[8:11], s[0:1], 0x8
	s_load_dword s12, s[0:1], 0x18
	s_load_dwordx4 s[4:7], s[0:1], 0x20
	v_ashrrev_i32_e32 v79, 31, v78
	v_and_b32_e32 v9, 0x3ff, v0
	s_waitcnt lgkmcnt(0)
	v_mov_b32_e32 v2, s8
	v_mov_b32_e32 v3, s9
	v_mul_lo_u32 v4, s5, v78
	v_mul_lo_u32 v5, s4, v79
	v_mad_u64_u32 v[0:1], s[0:1], s4, v78, 0
	v_add3_u32 v1, v1, v5, v4
	v_lshl_add_u64 v[0:1], v[0:1], 2, v[2:3]
	v_lshl_add_u64 v[12:13], s[10:11], 2, v[0:1]
	v_lshlrev_b32_e32 v0, 2, v9
	v_mov_b32_e32 v1, 0
	s_add_i32 s0, s12, s12
	v_lshl_add_u64 v[70:71], v[12:13], 0, v[0:1]
	v_add_u32_e32 v0, s0, v9
	v_ashrrev_i32_e32 v1, 31, v0
	v_lshl_add_u64 v[74:75], v[0:1], 2, v[12:13]
	v_add_u32_e32 v0, s12, v0
	v_ashrrev_i32_e32 v1, 31, v0
	;; [unrolled: 3-line block ×4, first 2 shown]
	v_lshl_add_u64 v[82:83], v[0:1], 2, v[12:13]
	v_add_u32_e32 v0, s12, v0
	v_add_u32_e32 v14, s12, v0
	s_ashr_i32 s13, s12, 31
	v_ashrrev_i32_e32 v1, 31, v0
	v_ashrrev_i32_e32 v15, 31, v14
	v_lshl_add_u64 v[72:73], s[12:13], 2, v[70:71]
	v_lshl_add_u64 v[84:85], v[0:1], 2, v[12:13]
	;; [unrolled: 1-line block ×3, first 2 shown]
	global_load_dword v0, v[70:71], off
	global_load_dword v1, v[72:73], off
	;; [unrolled: 1-line block ×8, first 2 shown]
	v_add_u32_e32 v14, s12, v14
	v_ashrrev_i32_e32 v15, 31, v14
	v_lshl_add_u64 v[88:89], v[14:15], 2, v[12:13]
	global_load_dword v8, v[88:89], off
	s_mul_i32 s2, s2, 36
	v_mul_u32_u24_e32 v11, 36, v10
	s_add_i32 s0, s2, 0
	v_lshl_add_u32 v19, v10, 2, s0
	v_cmp_ne_u32_e64 s[2:3], 0, v9
	v_cmp_eq_u32_e64 s[0:1], 0, v9
	v_add_u32_e32 v39, 0, v11
	s_and_saveexec_b64 s[4:5], s[0:1]
	s_cbranch_execz .LBB17_4
; %bb.2:
	s_waitcnt vmcnt(8)
	ds_write_b32 v19, v0
	s_waitcnt vmcnt(6)
	ds_write2_b32 v39, v1, v2 offset0:1 offset1:2
	s_waitcnt vmcnt(4)
	ds_write2_b32 v39, v3, v4 offset0:3 offset1:4
	;; [unrolled: 2-line block ×4, first 2 shown]
	ds_read_b32 v10, v19
	s_waitcnt lgkmcnt(0)
	v_cmp_neq_f32_e32 vcc, 0, v10
	s_and_b64 exec, exec, vcc
	s_cbranch_execz .LBB17_4
; %bb.3:
	v_div_scale_f32 v11, s[8:9], v10, v10, 1.0
	v_rcp_f32_e32 v12, v11
	v_div_scale_f32 v13, vcc, 1.0, v10, 1.0
	v_fma_f32 v14, -v11, v12, 1.0
	v_fmac_f32_e32 v12, v14, v12
	v_mul_f32_e32 v14, v13, v12
	v_fma_f32 v15, -v11, v14, v13
	v_fmac_f32_e32 v14, v15, v12
	v_fma_f32 v11, -v11, v14, v13
	v_div_fmas_f32 v11, v11, v12, v14
	v_div_fixup_f32 v10, v11, v10, 1.0
	ds_write_b32 v19, v10
.LBB17_4:
	s_or_b64 exec, exec, s[4:5]
	s_waitcnt lgkmcnt(0)
	s_barrier
	ds_read_b32 v29, v19
	s_waitcnt vmcnt(0)
	v_mov_b32_e32 v18, v8
	v_mov_b32_e32 v28, v8
	;; [unrolled: 1-line block ×54, first 2 shown]
	s_and_saveexec_b64 s[4:5], s[2:3]
	s_cbranch_execz .LBB17_6
; %bb.5:
	ds_read2_b32 v[12:13], v39 offset0:1 offset1:2
	ds_read2_b32 v[14:15], v39 offset0:3 offset1:4
	;; [unrolled: 1-line block ×4, first 2 shown]
	s_waitcnt lgkmcnt(4)
	v_mul_f32_e32 v10, v0, v29
	v_mov_b32_e32 v0, v1
	v_mov_b32_e32 v1, v2
	s_waitcnt lgkmcnt(3)
	v_pk_fma_f32 v[90:91], v[10:11], v[12:13], v[0:1] op_sel_hi:[0,1,1] neg_lo:[1,0,0] neg_hi:[1,0,0]
	v_mov_b32_e32 v0, v3
	v_mov_b32_e32 v1, v4
	s_waitcnt lgkmcnt(2)
	v_pk_fma_f32 v[92:93], v[10:11], v[14:15], v[0:1] op_sel_hi:[0,1,1] neg_lo:[1,0,0] neg_hi:[1,0,0]
	;; [unrolled: 4-line block ×4, first 2 shown]
	v_mov_b32_e32 v18, v97
	v_mov_b32_e32 v11, v90
	;; [unrolled: 1-line block ×61, first 2 shown]
.LBB17_6:
	s_or_b64 exec, exec, s[4:5]
	v_cmp_eq_u32_e32 vcc, 1, v9
	s_waitcnt lgkmcnt(0)
	s_barrier
	s_and_saveexec_b64 s[2:3], vcc
	s_cbranch_execz .LBB17_9
; %bb.7:
	ds_write_b32 v19, v1
	ds_write2_b32 v39, v12, v13 offset0:2 offset1:3
	ds_write2_b32 v39, v14, v15 offset0:4 offset1:5
	;; [unrolled: 1-line block ×3, first 2 shown]
	ds_write_b32 v39, v8 offset:32
	ds_read_b32 v0, v19
	s_waitcnt lgkmcnt(0)
	v_cmp_neq_f32_e32 vcc, 0, v0
	s_and_b64 exec, exec, vcc
	s_cbranch_execz .LBB17_9
; %bb.8:
	v_div_scale_f32 v27, s[4:5], v0, v0, 1.0
	v_rcp_f32_e32 v28, v27
	v_div_scale_f32 v36, vcc, 1.0, v0, 1.0
	v_fma_f32 v45, -v27, v28, 1.0
	v_fmac_f32_e32 v28, v45, v28
	v_mul_f32_e32 v45, v36, v28
	v_fma_f32 v49, -v27, v45, v36
	v_fmac_f32_e32 v45, v49, v28
	v_fma_f32 v27, -v27, v45, v36
	v_div_fmas_f32 v27, v27, v28, v45
	v_div_fixup_f32 v0, v27, v0, 1.0
	ds_write_b32 v19, v0
.LBB17_9:
	s_or_b64 exec, exec, s[2:3]
	s_waitcnt lgkmcnt(0)
	s_barrier
	ds_read_b32 v49, v19
	v_cmp_lt_u32_e32 vcc, 1, v9
	s_and_saveexec_b64 s[2:3], vcc
	s_cbranch_execz .LBB17_11
; %bb.10:
	ds_read2_b32 v[2:3], v39 offset0:2 offset1:3
	ds_read2_b32 v[4:5], v39 offset0:4 offset1:5
	;; [unrolled: 1-line block ×3, first 2 shown]
	ds_read_b32 v20, v39 offset:32
	s_waitcnt lgkmcnt(4)
	v_mul_f32_e32 v0, v1, v49
	v_mov_b32_e32 v68, v18
	s_waitcnt lgkmcnt(3)
	v_pk_fma_f32 v[2:3], v[0:1], v[2:3], v[12:13] op_sel_hi:[0,1,1] neg_lo:[1,0,0] neg_hi:[1,0,0]
	v_mov_b32_e32 v62, v12
	v_mov_b32_e32 v61, v11
	;; [unrolled: 1-line block ×21, first 2 shown]
	s_waitcnt lgkmcnt(2)
	v_pk_fma_f32 v[4:5], v[0:1], v[4:5], v[14:15] op_sel_hi:[0,1,1] neg_lo:[1,0,0] neg_hi:[1,0,0]
	v_mov_b32_e32 v44, v54
	v_mov_b32_e32 v41, v51
	;; [unrolled: 1-line block ×11, first 2 shown]
	s_waitcnt lgkmcnt(0)
	v_fma_f32 v8, -v0, v20, v8
	v_mov_b32_e32 v31, v41
	v_mov_b32_e32 v32, v42
	v_mov_b32_e32 v33, v43
	v_mov_b32_e32 v34, v44
	v_mov_b32_e32 v36, v46
	v_mov_b32_e32 v37, v47
	v_mov_b32_e32 v38, v48
	v_mov_b32_e32 v35, v5
	v_mov_b32_e32 v20, v30
	v_pk_fma_f32 v[6:7], v[0:1], v[6:7], v[16:17] op_sel_hi:[0,1,1] neg_lo:[1,0,0] neg_hi:[1,0,0]
	v_mov_b32_e32 v26, v36
	v_mov_b32_e32 v21, v31
	;; [unrolled: 1-line block ×20, first 2 shown]
.LBB17_11:
	s_or_b64 exec, exec, s[2:3]
	v_cmp_eq_u32_e32 vcc, 2, v9
	s_waitcnt lgkmcnt(0)
	s_barrier
	s_and_saveexec_b64 s[2:3], vcc
	s_cbranch_execz .LBB17_14
; %bb.12:
	ds_write_b32 v19, v2
	ds_write2_b32 v39, v13, v14 offset0:3 offset1:4
	ds_write2_b32 v39, v15, v16 offset0:5 offset1:6
	;; [unrolled: 1-line block ×3, first 2 shown]
	ds_read_b32 v0, v19
	s_waitcnt lgkmcnt(0)
	v_cmp_neq_f32_e32 vcc, 0, v0
	s_and_b64 exec, exec, vcc
	s_cbranch_execz .LBB17_14
; %bb.13:
	v_div_scale_f32 v1, s[4:5], v0, v0, 1.0
	v_rcp_f32_e32 v27, v1
	v_div_scale_f32 v28, vcc, 1.0, v0, 1.0
	v_fma_f32 v36, -v1, v27, 1.0
	v_fmac_f32_e32 v27, v36, v27
	v_mul_f32_e32 v36, v28, v27
	v_fma_f32 v45, -v1, v36, v28
	v_fmac_f32_e32 v36, v45, v27
	v_fma_f32 v1, -v1, v36, v28
	v_div_fmas_f32 v1, v1, v27, v36
	v_div_fixup_f32 v0, v1, v0, 1.0
	ds_write_b32 v19, v0
.LBB17_14:
	s_or_b64 exec, exec, s[2:3]
	s_waitcnt lgkmcnt(0)
	s_barrier
	ds_read_b32 v59, v19
	v_cmp_lt_u32_e32 vcc, 2, v9
	s_and_saveexec_b64 s[2:3], vcc
	s_cbranch_execz .LBB17_16
; %bb.15:
	ds_read2_b32 v[0:1], v39 offset0:3 offset1:4
	s_waitcnt lgkmcnt(1)
	v_mul_f32_e32 v62, v2, v59
	v_mov_b32_e32 v2, v13
	v_mov_b32_e32 v3, v14
	;; [unrolled: 1-line block ×3, first 2 shown]
	ds_read2_b32 v[4:5], v39 offset0:5 offset1:6
	ds_read2_b32 v[6:7], v39 offset0:7 offset1:8
	s_waitcnt lgkmcnt(2)
	v_pk_fma_f32 v[0:1], v[62:63], v[0:1], v[2:3] op_sel_hi:[0,1,1] neg_lo:[1,0,0] neg_hi:[1,0,0]
	v_mov_b32_e32 v53, v63
	v_mov_b32_e32 v51, v61
	;; [unrolled: 1-line block ×22, first 2 shown]
	s_waitcnt lgkmcnt(1)
	v_pk_fma_f32 v[90:91], v[62:63], v[4:5], v[2:3] op_sel_hi:[0,1,1] neg_lo:[1,0,0] neg_hi:[1,0,0]
	v_mov_b32_e32 v35, v45
	v_mov_b32_e32 v31, v41
	;; [unrolled: 1-line block ×22, first 2 shown]
	s_waitcnt lgkmcnt(0)
	v_pk_fma_f32 v[92:93], v[62:63], v[6:7], v[2:3] op_sel_hi:[0,1,1] neg_lo:[1,0,0] neg_hi:[1,0,0]
	v_mov_b32_e32 v17, v27
	v_mov_b32_e32 v18, v28
	;; [unrolled: 1-line block ×16, first 2 shown]
.LBB17_16:
	s_or_b64 exec, exec, s[2:3]
	v_cmp_eq_u32_e32 vcc, 3, v9
	s_waitcnt lgkmcnt(0)
	s_barrier
	s_and_saveexec_b64 s[2:3], vcc
	s_cbranch_execz .LBB17_19
; %bb.17:
	ds_write_b32 v19, v3
	ds_write2_b32 v39, v14, v15 offset0:4 offset1:5
	ds_write2_b32 v39, v16, v17 offset0:6 offset1:7
	ds_write_b32 v39, v8 offset:32
	ds_read_b32 v0, v19
	s_waitcnt lgkmcnt(0)
	v_cmp_neq_f32_e32 vcc, 0, v0
	s_and_b64 exec, exec, vcc
	s_cbranch_execz .LBB17_19
; %bb.18:
	v_div_scale_f32 v1, s[4:5], v0, v0, 1.0
	v_rcp_f32_e32 v2, v1
	v_div_scale_f32 v27, vcc, 1.0, v0, 1.0
	v_fma_f32 v28, -v1, v2, 1.0
	v_fmac_f32_e32 v2, v28, v2
	v_mul_f32_e32 v28, v27, v2
	v_fma_f32 v36, -v1, v28, v27
	v_fmac_f32_e32 v28, v36, v2
	v_fma_f32 v1, -v1, v28, v27
	v_div_fmas_f32 v1, v1, v2, v28
	v_div_fixup_f32 v0, v1, v0, 1.0
	ds_write_b32 v19, v0
.LBB17_19:
	s_or_b64 exec, exec, s[2:3]
	s_waitcnt lgkmcnt(0)
	s_barrier
	ds_read_b32 v2, v19
	v_cmp_lt_u32_e32 vcc, 3, v9
	s_and_saveexec_b64 s[2:3], vcc
	s_cbranch_execz .LBB17_21
; %bb.20:
	ds_read2_b32 v[0:1], v39 offset0:4 offset1:5
	ds_read2_b32 v[6:7], v39 offset0:6 offset1:7
	ds_read_b32 v11, v39 offset:32
	s_waitcnt lgkmcnt(3)
	v_mul_f32_e32 v10, v3, v2
	v_mov_b32_e32 v63, v10
	v_mov_b32_e32 v40, v60
	;; [unrolled: 1-line block ×3, first 2 shown]
	s_waitcnt lgkmcnt(0)
	v_pk_fma_f32 v[4:5], v[10:11], v[0:1], v[14:15] op_sel_hi:[0,1,1] neg_lo:[1,0,0] neg_hi:[1,0,0]
	v_mov_b32_e32 v41, v61
	v_mov_b32_e32 v42, v62
	;; [unrolled: 1-line block ×19, first 2 shown]
	v_pk_fma_f32 v[6:7], v[10:11], v[6:7], v[16:17] op_sel_hi:[0,1,1] neg_lo:[1,0,0] neg_hi:[1,0,0]
	v_mov_b32_e32 v26, v36
	v_fma_f32 v8, -v10, v11, v8
	v_mov_b32_e32 v21, v31
	v_mov_b32_e32 v22, v32
	;; [unrolled: 1-line block ×28, first 2 shown]
.LBB17_21:
	s_or_b64 exec, exec, s[2:3]
	v_cmp_eq_u32_e32 vcc, 4, v9
	s_waitcnt lgkmcnt(0)
	s_barrier
	s_and_saveexec_b64 s[2:3], vcc
	s_cbranch_execz .LBB17_24
; %bb.22:
	ds_write_b32 v19, v4
	ds_write2_b32 v39, v15, v16 offset0:5 offset1:6
	ds_write2_b32 v39, v17, v18 offset0:7 offset1:8
	ds_read_b32 v0, v19
	s_waitcnt lgkmcnt(0)
	v_cmp_neq_f32_e32 vcc, 0, v0
	s_and_b64 exec, exec, vcc
	s_cbranch_execz .LBB17_24
; %bb.23:
	v_div_scale_f32 v1, s[4:5], v0, v0, 1.0
	v_rcp_f32_e32 v3, v1
	v_div_scale_f32 v27, vcc, 1.0, v0, 1.0
	v_fma_f32 v28, -v1, v3, 1.0
	v_fmac_f32_e32 v3, v28, v3
	v_mul_f32_e32 v28, v27, v3
	v_fma_f32 v36, -v1, v28, v27
	v_fmac_f32_e32 v28, v36, v3
	v_fma_f32 v1, -v1, v28, v27
	v_div_fmas_f32 v1, v1, v3, v28
	v_div_fixup_f32 v0, v1, v0, 1.0
	ds_write_b32 v19, v0
.LBB17_24:
	s_or_b64 exec, exec, s[2:3]
	s_waitcnt lgkmcnt(0)
	s_barrier
	ds_read_b32 v3, v19
	v_cmp_lt_u32_e32 vcc, 4, v9
	s_and_saveexec_b64 s[2:3], vcc
	s_cbranch_execz .LBB17_26
; %bb.25:
	ds_read2_b32 v[0:1], v39 offset0:5 offset1:6
	ds_read2_b32 v[6:7], v39 offset0:7 offset1:8
	s_waitcnt lgkmcnt(2)
	v_mul_f32_e32 v54, v4, v3
	v_mov_b32_e32 v4, v15
	v_mov_b32_e32 v5, v16
	;; [unrolled: 1-line block ×3, first 2 shown]
	s_waitcnt lgkmcnt(1)
	v_pk_fma_f32 v[0:1], v[54:55], v[0:1], v[4:5] op_sel_hi:[0,1,1] neg_lo:[1,0,0] neg_hi:[1,0,0]
	v_mov_b32_e32 v35, v55
	v_mov_b32_e32 v31, v51
	;; [unrolled: 1-line block ×22, first 2 shown]
	s_waitcnt lgkmcnt(0)
	v_pk_fma_f32 v[60:61], v[54:55], v[6:7], v[4:5] op_sel_hi:[0,1,1] neg_lo:[1,0,0] neg_hi:[1,0,0]
	v_mov_b32_e32 v17, v27
	v_mov_b32_e32 v18, v28
	;; [unrolled: 1-line block ×23, first 2 shown]
.LBB17_26:
	s_or_b64 exec, exec, s[2:3]
	v_cmp_eq_u32_e32 vcc, 5, v9
	s_waitcnt lgkmcnt(0)
	s_barrier
	s_and_saveexec_b64 s[2:3], vcc
	s_cbranch_execz .LBB17_29
; %bb.27:
	ds_write_b32 v19, v5
	ds_write2_b32 v39, v16, v17 offset0:6 offset1:7
	ds_write_b32 v39, v8 offset:32
	ds_read_b32 v0, v19
	s_waitcnt lgkmcnt(0)
	v_cmp_neq_f32_e32 vcc, 0, v0
	s_and_b64 exec, exec, vcc
	s_cbranch_execz .LBB17_29
; %bb.28:
	v_div_scale_f32 v1, s[4:5], v0, v0, 1.0
	v_rcp_f32_e32 v4, v1
	v_div_scale_f32 v27, vcc, 1.0, v0, 1.0
	v_fma_f32 v28, -v1, v4, 1.0
	v_fmac_f32_e32 v4, v28, v4
	v_mul_f32_e32 v28, v27, v4
	v_fma_f32 v36, -v1, v28, v27
	v_fmac_f32_e32 v28, v36, v4
	v_fma_f32 v1, -v1, v28, v27
	v_div_fmas_f32 v1, v1, v4, v28
	v_div_fixup_f32 v0, v1, v0, 1.0
	ds_write_b32 v19, v0
.LBB17_29:
	s_or_b64 exec, exec, s[2:3]
	s_waitcnt lgkmcnt(0)
	s_barrier
	ds_read_b32 v4, v19
	v_cmp_lt_u32_e32 vcc, 5, v9
	s_and_saveexec_b64 s[2:3], vcc
	s_cbranch_execz .LBB17_31
; %bb.30:
	ds_read2_b32 v[0:1], v39 offset0:6 offset1:7
	ds_read_b32 v11, v39 offset:32
	s_waitcnt lgkmcnt(2)
	v_mul_f32_e32 v10, v5, v4
	v_mov_b32_e32 v45, v10
	v_mov_b32_e32 v20, v40
	;; [unrolled: 1-line block ×3, first 2 shown]
	s_waitcnt lgkmcnt(0)
	v_pk_fma_f32 v[6:7], v[10:11], v[0:1], v[16:17] op_sel_hi:[0,1,1] neg_lo:[1,0,0] neg_hi:[1,0,0]
	v_fma_f32 v8, -v10, v11, v8
	v_mov_b32_e32 v21, v41
	v_mov_b32_e32 v22, v42
	v_mov_b32_e32 v23, v43
	v_mov_b32_e32 v24, v44
	v_mov_b32_e32 v25, v45
	v_mov_b32_e32 v27, v47
	v_mov_b32_e32 v28, v48
	v_mov_b32_e32 v26, v6
	v_mov_b32_e32 v10, v20
	v_mov_b32_e32 v17, v27
	v_mov_b32_e32 v18, v28
	v_mov_b32_e32 v30, v40
	v_mov_b32_e32 v11, v21
	v_mov_b32_e32 v12, v22
	v_mov_b32_e32 v13, v23
	v_mov_b32_e32 v14, v24
	v_mov_b32_e32 v15, v25
	v_mov_b32_e32 v16, v26
	v_mov_b32_e32 v17, v7
	v_mov_b32_e32 v18, v8
	v_mov_b32_e32 v31, v41
	v_mov_b32_e32 v32, v42
	v_mov_b32_e32 v33, v43
	v_mov_b32_e32 v34, v44
	v_mov_b32_e32 v35, v45
	v_mov_b32_e32 v37, v47
	v_mov_b32_e32 v38, v48
	v_mov_b32_e32 v36, v46
.LBB17_31:
	s_or_b64 exec, exec, s[2:3]
	v_cmp_eq_u32_e32 vcc, 6, v9
	s_waitcnt lgkmcnt(0)
	s_barrier
	s_and_saveexec_b64 s[2:3], vcc
	s_cbranch_execz .LBB17_34
; %bb.32:
	ds_write_b32 v19, v6
	ds_write2_b32 v39, v17, v18 offset0:7 offset1:8
	ds_read_b32 v0, v19
	s_waitcnt lgkmcnt(0)
	v_cmp_neq_f32_e32 vcc, 0, v0
	s_and_b64 exec, exec, vcc
	s_cbranch_execz .LBB17_34
; %bb.33:
	v_div_scale_f32 v1, s[4:5], v0, v0, 1.0
	v_rcp_f32_e32 v5, v1
	v_div_scale_f32 v27, vcc, 1.0, v0, 1.0
	v_fma_f32 v28, -v1, v5, 1.0
	v_fmac_f32_e32 v5, v28, v5
	v_mul_f32_e32 v28, v27, v5
	v_fma_f32 v36, -v1, v28, v27
	v_fmac_f32_e32 v28, v36, v5
	v_fma_f32 v1, -v1, v28, v27
	v_div_fmas_f32 v1, v1, v5, v28
	v_div_fixup_f32 v0, v1, v0, 1.0
	ds_write_b32 v19, v0
.LBB17_34:
	s_or_b64 exec, exec, s[2:3]
	s_waitcnt lgkmcnt(0)
	s_barrier
	ds_read_b32 v5, v19
	v_cmp_lt_u32_e32 vcc, 6, v9
	s_and_saveexec_b64 s[2:3], vcc
	s_cbranch_execz .LBB17_36
; %bb.35:
	ds_read2_b32 v[0:1], v39 offset0:7 offset1:8
	s_waitcnt lgkmcnt(1)
	v_mul_f32_e32 v36, v6, v5
	v_mov_b32_e32 v6, v17
	v_mov_b32_e32 v7, v18
	;; [unrolled: 1-line block ×5, first 2 shown]
	s_waitcnt lgkmcnt(0)
	v_pk_fma_f32 v[0:1], v[36:37], v[0:1], v[6:7] op_sel_hi:[0,1,1] neg_lo:[1,0,0] neg_hi:[1,0,0]
	v_mov_b32_e32 v20, v30
	v_mov_b32_e32 v11, v31
	;; [unrolled: 1-line block ×19, first 2 shown]
.LBB17_36:
	s_or_b64 exec, exec, s[2:3]
	v_cmp_eq_u32_e32 vcc, 7, v9
	s_waitcnt lgkmcnt(0)
	s_barrier
	s_and_saveexec_b64 s[2:3], vcc
	s_cbranch_execz .LBB17_39
; %bb.37:
	ds_write_b32 v19, v7
	ds_write_b32 v39, v8 offset:32
	ds_read_b32 v0, v19
	s_waitcnt lgkmcnt(0)
	v_cmp_neq_f32_e32 vcc, 0, v0
	s_and_b64 exec, exec, vcc
	s_cbranch_execz .LBB17_39
; %bb.38:
	v_div_scale_f32 v1, s[4:5], v0, v0, 1.0
	v_rcp_f32_e32 v6, v1
	v_div_scale_f32 v27, vcc, 1.0, v0, 1.0
	v_fma_f32 v28, -v1, v6, 1.0
	v_fmac_f32_e32 v6, v28, v6
	v_mul_f32_e32 v28, v27, v6
	v_fma_f32 v30, -v1, v28, v27
	v_fmac_f32_e32 v28, v30, v6
	v_fma_f32 v1, -v1, v28, v27
	v_div_fmas_f32 v1, v1, v6, v28
	v_div_fixup_f32 v0, v1, v0, 1.0
	ds_write_b32 v19, v0
.LBB17_39:
	s_or_b64 exec, exec, s[2:3]
	s_waitcnt lgkmcnt(0)
	s_barrier
	ds_read_b32 v6, v19
	v_cmp_lt_u32_e32 vcc, 7, v9
	s_and_saveexec_b64 s[2:3], vcc
	s_cbranch_execz .LBB17_41
; %bb.40:
	ds_read_b32 v0, v39 offset:32
	s_waitcnt lgkmcnt(1)
	v_mul_f32_e32 v27, v7, v6
	s_waitcnt lgkmcnt(0)
	v_fma_f32 v28, -v27, v0, v8
	v_mov_b32_e32 v10, v20
	v_mov_b32_e32 v11, v21
	;; [unrolled: 1-line block ×10, first 2 shown]
.LBB17_41:
	s_or_b64 exec, exec, s[2:3]
	v_cmp_eq_u32_e32 vcc, 8, v9
	s_waitcnt lgkmcnt(0)
	s_barrier
	s_and_saveexec_b64 s[2:3], vcc
	s_cbranch_execz .LBB17_44
; %bb.42:
	v_cmp_neq_f32_e32 vcc, 0, v8
	ds_write_b32 v19, v8
	s_and_b64 exec, exec, vcc
	s_cbranch_execz .LBB17_44
; %bb.43:
	v_div_scale_f32 v0, s[4:5], v8, v8, 1.0
	v_rcp_f32_e32 v1, v0
	v_div_scale_f32 v7, vcc, 1.0, v8, 1.0
	v_fma_f32 v20, -v0, v1, 1.0
	v_fmac_f32_e32 v1, v20, v1
	v_mul_f32_e32 v20, v7, v1
	v_fma_f32 v21, -v0, v20, v7
	v_fmac_f32_e32 v20, v21, v1
	v_fma_f32 v0, -v0, v20, v7
	v_div_fmas_f32 v0, v0, v1, v20
	v_div_fixup_f32 v0, v0, v8, 1.0
	ds_write_b32 v19, v0
.LBB17_44:
	s_or_b64 exec, exec, s[2:3]
	s_waitcnt lgkmcnt(0)
	s_barrier
	ds_read_b32 v7, v19
	s_waitcnt lgkmcnt(0)
	s_barrier
	s_and_saveexec_b64 s[18:19], s[0:1]
	s_cbranch_execz .LBB17_47
; %bb.45:
	v_mov_b32_e32 v0, s6
	v_mov_b32_e32 v1, s7
	v_lshl_add_u64 v[0:1], v[78:79], 2, v[0:1]
	global_load_dword v19, v[0:1], off
	v_cmp_eq_f32_e32 vcc, 0, v29
	v_cmp_neq_f32_e64 s[0:1], 0, v49
	v_cmp_eq_f32_e64 s[4:5], 0, v2
	v_cndmask_b32_e64 v20, 0, 1, vcc
	s_or_b64 vcc, s[0:1], vcc
	v_cndmask_b32_e32 v2, 2, v20, vcc
	v_cmp_eq_f32_e64 s[2:3], 0, v59
	v_cmp_eq_u32_e32 vcc, 0, v2
	s_and_b64 s[0:1], s[2:3], vcc
	v_cndmask_b32_e64 v2, v2, 3, s[0:1]
	v_cmp_eq_u32_e32 vcc, 0, v2
	s_and_b64 s[0:1], s[4:5], vcc
	v_cndmask_b32_e64 v2, v2, 4, s[0:1]
	v_cmp_eq_f32_e64 s[6:7], 0, v3
	v_cmp_eq_u32_e32 vcc, 0, v2
	s_and_b64 s[0:1], s[6:7], vcc
	v_cndmask_b32_e64 v2, v2, 5, s[0:1]
	v_cmp_eq_f32_e64 s[8:9], 0, v4
	;; [unrolled: 4-line block ×5, first 2 shown]
	v_cmp_eq_u32_e32 vcc, 0, v2
	s_and_b64 s[0:1], s[14:15], vcc
	v_cndmask_b32_e64 v2, v2, 9, s[0:1]
	v_cmp_ne_u32_e64 s[0:1], 0, v2
	s_waitcnt vmcnt(0)
	v_cmp_eq_u32_e32 vcc, 0, v19
	s_and_b64 s[0:1], vcc, s[0:1]
	s_and_b64 exec, exec, s[0:1]
	s_cbranch_execz .LBB17_47
; %bb.46:
	v_add_u32_e32 v2, s17, v2
	global_store_dword v[0:1], v2, off
.LBB17_47:
	s_or_b64 exec, exec, s[18:19]
	v_mul_f32_e32 v0, v8, v7
	v_cmp_lt_u32_e32 vcc, 8, v9
	s_nop 1
	v_cndmask_b32_e32 v0, v18, v0, vcc
	global_store_dword v[70:71], v10, off
	global_store_dword v[72:73], v11, off
	;; [unrolled: 1-line block ×9, first 2 shown]
.LBB17_48:
	s_endpgm
	.section	.rodata,"a",@progbits
	.p2align	6, 0x0
	.amdhsa_kernel _ZN9rocsolver6v33100L23getf2_npvt_small_kernelILi9EfiiPfEEvT1_T3_lS3_lPT2_S3_S3_
		.amdhsa_group_segment_fixed_size 0
		.amdhsa_private_segment_fixed_size 0
		.amdhsa_kernarg_size 312
		.amdhsa_user_sgpr_count 2
		.amdhsa_user_sgpr_dispatch_ptr 0
		.amdhsa_user_sgpr_queue_ptr 0
		.amdhsa_user_sgpr_kernarg_segment_ptr 1
		.amdhsa_user_sgpr_dispatch_id 0
		.amdhsa_user_sgpr_kernarg_preload_length 0
		.amdhsa_user_sgpr_kernarg_preload_offset 0
		.amdhsa_user_sgpr_private_segment_size 0
		.amdhsa_uses_dynamic_stack 0
		.amdhsa_enable_private_segment 0
		.amdhsa_system_sgpr_workgroup_id_x 1
		.amdhsa_system_sgpr_workgroup_id_y 1
		.amdhsa_system_sgpr_workgroup_id_z 0
		.amdhsa_system_sgpr_workgroup_info 0
		.amdhsa_system_vgpr_workitem_id 1
		.amdhsa_next_free_vgpr 98
		.amdhsa_next_free_sgpr 20
		.amdhsa_accum_offset 100
		.amdhsa_reserve_vcc 1
		.amdhsa_float_round_mode_32 0
		.amdhsa_float_round_mode_16_64 0
		.amdhsa_float_denorm_mode_32 3
		.amdhsa_float_denorm_mode_16_64 3
		.amdhsa_dx10_clamp 1
		.amdhsa_ieee_mode 1
		.amdhsa_fp16_overflow 0
		.amdhsa_tg_split 0
		.amdhsa_exception_fp_ieee_invalid_op 0
		.amdhsa_exception_fp_denorm_src 0
		.amdhsa_exception_fp_ieee_div_zero 0
		.amdhsa_exception_fp_ieee_overflow 0
		.amdhsa_exception_fp_ieee_underflow 0
		.amdhsa_exception_fp_ieee_inexact 0
		.amdhsa_exception_int_div_zero 0
	.end_amdhsa_kernel
	.section	.text._ZN9rocsolver6v33100L23getf2_npvt_small_kernelILi9EfiiPfEEvT1_T3_lS3_lPT2_S3_S3_,"axG",@progbits,_ZN9rocsolver6v33100L23getf2_npvt_small_kernelILi9EfiiPfEEvT1_T3_lS3_lPT2_S3_S3_,comdat
.Lfunc_end17:
	.size	_ZN9rocsolver6v33100L23getf2_npvt_small_kernelILi9EfiiPfEEvT1_T3_lS3_lPT2_S3_S3_, .Lfunc_end17-_ZN9rocsolver6v33100L23getf2_npvt_small_kernelILi9EfiiPfEEvT1_T3_lS3_lPT2_S3_S3_
                                        ; -- End function
	.set _ZN9rocsolver6v33100L23getf2_npvt_small_kernelILi9EfiiPfEEvT1_T3_lS3_lPT2_S3_S3_.num_vgpr, 98
	.set _ZN9rocsolver6v33100L23getf2_npvt_small_kernelILi9EfiiPfEEvT1_T3_lS3_lPT2_S3_S3_.num_agpr, 0
	.set _ZN9rocsolver6v33100L23getf2_npvt_small_kernelILi9EfiiPfEEvT1_T3_lS3_lPT2_S3_S3_.numbered_sgpr, 20
	.set _ZN9rocsolver6v33100L23getf2_npvt_small_kernelILi9EfiiPfEEvT1_T3_lS3_lPT2_S3_S3_.num_named_barrier, 0
	.set _ZN9rocsolver6v33100L23getf2_npvt_small_kernelILi9EfiiPfEEvT1_T3_lS3_lPT2_S3_S3_.private_seg_size, 0
	.set _ZN9rocsolver6v33100L23getf2_npvt_small_kernelILi9EfiiPfEEvT1_T3_lS3_lPT2_S3_S3_.uses_vcc, 1
	.set _ZN9rocsolver6v33100L23getf2_npvt_small_kernelILi9EfiiPfEEvT1_T3_lS3_lPT2_S3_S3_.uses_flat_scratch, 0
	.set _ZN9rocsolver6v33100L23getf2_npvt_small_kernelILi9EfiiPfEEvT1_T3_lS3_lPT2_S3_S3_.has_dyn_sized_stack, 0
	.set _ZN9rocsolver6v33100L23getf2_npvt_small_kernelILi9EfiiPfEEvT1_T3_lS3_lPT2_S3_S3_.has_recursion, 0
	.set _ZN9rocsolver6v33100L23getf2_npvt_small_kernelILi9EfiiPfEEvT1_T3_lS3_lPT2_S3_S3_.has_indirect_call, 0
	.section	.AMDGPU.csdata,"",@progbits
; Kernel info:
; codeLenInByte = 4524
; TotalNumSgprs: 26
; NumVgprs: 98
; NumAgprs: 0
; TotalNumVgprs: 98
; ScratchSize: 0
; MemoryBound: 0
; FloatMode: 240
; IeeeMode: 1
; LDSByteSize: 0 bytes/workgroup (compile time only)
; SGPRBlocks: 3
; VGPRBlocks: 12
; NumSGPRsForWavesPerEU: 26
; NumVGPRsForWavesPerEU: 98
; AccumOffset: 100
; Occupancy: 4
; WaveLimiterHint : 0
; COMPUTE_PGM_RSRC2:SCRATCH_EN: 0
; COMPUTE_PGM_RSRC2:USER_SGPR: 2
; COMPUTE_PGM_RSRC2:TRAP_HANDLER: 0
; COMPUTE_PGM_RSRC2:TGID_X_EN: 1
; COMPUTE_PGM_RSRC2:TGID_Y_EN: 1
; COMPUTE_PGM_RSRC2:TGID_Z_EN: 0
; COMPUTE_PGM_RSRC2:TIDIG_COMP_CNT: 1
; COMPUTE_PGM_RSRC3_GFX90A:ACCUM_OFFSET: 24
; COMPUTE_PGM_RSRC3_GFX90A:TG_SPLIT: 0
	.section	.text._ZN9rocsolver6v33100L18getf2_small_kernelILi10EfiiPfEEvT1_T3_lS3_lPS3_llPT2_S3_S3_S5_l,"axG",@progbits,_ZN9rocsolver6v33100L18getf2_small_kernelILi10EfiiPfEEvT1_T3_lS3_lPS3_llPT2_S3_S3_S5_l,comdat
	.globl	_ZN9rocsolver6v33100L18getf2_small_kernelILi10EfiiPfEEvT1_T3_lS3_lPS3_llPT2_S3_S3_S5_l ; -- Begin function _ZN9rocsolver6v33100L18getf2_small_kernelILi10EfiiPfEEvT1_T3_lS3_lPS3_llPT2_S3_S3_S5_l
	.p2align	8
	.type	_ZN9rocsolver6v33100L18getf2_small_kernelILi10EfiiPfEEvT1_T3_lS3_lPS3_llPT2_S3_S3_S5_l,@function
_ZN9rocsolver6v33100L18getf2_small_kernelILi10EfiiPfEEvT1_T3_lS3_lPS3_llPT2_S3_S3_S5_l: ; @_ZN9rocsolver6v33100L18getf2_small_kernelILi10EfiiPfEEvT1_T3_lS3_lPS3_llPT2_S3_S3_S5_l
; %bb.0:
	s_load_dword s2, s[0:1], 0x6c
	s_load_dwordx2 s[14:15], s[0:1], 0x48
	v_bfe_u32 v13, v0, 10, 10
	s_waitcnt lgkmcnt(0)
	s_lshr_b32 s2, s2, 16
	s_mul_i32 s3, s3, s2
	v_add_u32_e32 v82, s3, v13
	v_cmp_gt_i32_e32 vcc, s14, v82
	s_and_saveexec_b64 s[2:3], vcc
	s_cbranch_execz .LBB18_167
; %bb.1:
	s_load_dwordx4 s[4:7], s[0:1], 0x50
	v_ashrrev_i32_e32 v83, 31, v82
	v_mov_b64_e32 v[84:85], 0
	s_waitcnt lgkmcnt(0)
	s_cmp_eq_u64 s[4:5], 0
	s_cselect_b64 s[16:17], -1, 0
	s_and_b64 vcc, exec, s[16:17]
	s_cbranch_vccnz .LBB18_3
; %bb.2:
	v_mul_lo_u32 v1, s7, v82
	v_mul_lo_u32 v4, s6, v83
	v_mad_u64_u32 v[2:3], s[2:3], s6, v82, 0
	v_add3_u32 v3, v3, v4, v1
	v_lshl_add_u64 v[84:85], v[2:3], 2, s[4:5]
.LBB18_3:
	s_load_dwordx4 s[20:23], s[0:1], 0x8
	s_load_dwordx8 s[4:11], s[0:1], 0x20
	s_load_dword s12, s[0:1], 0x18
	v_and_b32_e32 v12, 0x3ff, v0
	v_lshlrev_b32_e32 v10, 2, v12
	s_waitcnt lgkmcnt(0)
	v_mov_b32_e32 v2, s20
	v_mul_lo_u32 v1, s5, v82
	v_mul_lo_u32 v6, s4, v83
	v_mad_u64_u32 v[4:5], s[2:3], s4, v82, 0
	v_mov_b32_e32 v3, s21
	v_add3_u32 v5, v5, v6, v1
	s_add_i32 s14, s12, s12
	v_lshl_add_u64 v[2:3], v[4:5], 2, v[2:3]
	v_add_u32_e32 v0, s14, v12
	v_lshl_add_u64 v[80:81], s[22:23], 2, v[2:3]
	v_ashrrev_i32_e32 v1, 31, v0
	v_lshl_add_u64 v[16:17], v[0:1], 2, v[80:81]
	v_add_u32_e32 v0, s12, v0
	v_ashrrev_i32_e32 v1, 31, v0
	v_lshl_add_u64 v[18:19], v[0:1], 2, v[80:81]
	v_add_u32_e32 v0, s12, v0
	;; [unrolled: 3-line block ×4, first 2 shown]
	v_mov_b32_e32 v11, 0
	v_add_u32_e32 v26, s12, v0
	v_lshl_add_u64 v[8:9], v[80:81], 0, v[10:11]
	s_ashr_i32 s13, s12, 31
	v_ashrrev_i32_e32 v1, 31, v0
	v_ashrrev_i32_e32 v27, 31, v26
	v_lshl_add_u64 v[14:15], s[12:13], 2, v[8:9]
	v_lshl_add_u64 v[24:25], v[0:1], 2, v[80:81]
	;; [unrolled: 1-line block ×3, first 2 shown]
	global_load_dword v0, v[8:9], off
	global_load_dword v1, v[14:15], off
	;; [unrolled: 1-line block ×8, first 2 shown]
	v_add_u32_e32 v8, s12, v26
	v_ashrrev_i32_e32 v9, 31, v8
	v_lshl_add_u64 v[14:15], v[8:9], 2, v[80:81]
	v_add_u32_e32 v8, s12, v8
	v_ashrrev_i32_e32 v9, 31, v8
	v_lshl_add_u64 v[16:17], v[8:9], 2, v[80:81]
	global_load_dword v8, v[14:15], off
	global_load_dword v9, v[16:17], off
	s_load_dword s22, s[0:1], 0x0
	s_load_dwordx2 s[4:5], s[0:1], 0x40
	s_waitcnt lgkmcnt(0)
	s_max_i32 s0, s22, 10
	v_mul_lo_u32 v13, s0, v13
	v_lshl_add_u32 v86, v13, 2, 0
	v_add_u32_e32 v10, v86, v10
	s_cmp_lt_i32 s22, 2
	v_lshlrev_b32_e32 v87, 2, v13
	s_waitcnt vmcnt(9)
	ds_write_b32 v10, v0
	s_waitcnt lgkmcnt(0)
	s_barrier
	ds_read_b32 v90, v86
	s_cbranch_scc1 .LBB18_6
; %bb.4:
	v_add3_u32 v10, v87, 0, 4
	v_mov_b32_e32 v11, 0
	s_mov_b32 s0, 1
.LBB18_5:                               ; =>This Inner Loop Header: Depth=1
	ds_read_b32 v13, v10
	v_mov_b32_e32 v14, s0
	s_add_i32 s0, s0, 1
	v_add_u32_e32 v10, 4, v10
	s_cmp_eq_u32 s22, s0
	s_waitcnt lgkmcnt(0)
	v_cmp_lt_f32_e64 vcc, |v90|, |v13|
	s_nop 1
	v_cndmask_b32_e32 v90, v90, v13, vcc
	v_cndmask_b32_e32 v11, v11, v14, vcc
	s_cbranch_scc0 .LBB18_5
.LBB18_6:
	v_cmp_ne_u32_e32 vcc, v12, v11
                                        ; implicit-def: $vgpr89
	s_and_saveexec_b64 s[0:1], vcc
	s_xor_b64 s[0:1], exec, s[0:1]
	s_cbranch_execz .LBB18_12
; %bb.7:
	v_cmp_eq_u32_e32 vcc, 0, v12
	s_and_saveexec_b64 s[2:3], vcc
	s_cbranch_execz .LBB18_11
; %bb.8:
	v_cmp_ne_u32_e32 vcc, 0, v11
	s_xor_b64 s[18:19], s[16:17], -1
	s_and_b64 s[20:21], s[18:19], vcc
	s_and_saveexec_b64 s[18:19], s[20:21]
	s_cbranch_execz .LBB18_10
; %bb.9:
	v_ashrrev_i32_e32 v13, 31, v11
	v_mov_b32_e32 v12, v11
	v_lshl_add_u64 v[12:13], v[12:13], 2, v[84:85]
	global_load_dword v10, v[12:13], off
	global_load_dword v14, v[84:85], off
	s_waitcnt vmcnt(1)
	global_store_dword v[84:85], v10, off
	s_waitcnt vmcnt(1)
	global_store_dword v[12:13], v14, off
.LBB18_10:
	s_or_b64 exec, exec, s[18:19]
	v_mov_b32_e32 v12, v11
.LBB18_11:
	s_or_b64 exec, exec, s[2:3]
	v_mov_b32_e32 v89, v12
                                        ; implicit-def: $vgpr12
.LBB18_12:
	s_or_saveexec_b64 s[0:1], s[0:1]
	v_mov_b32_e32 v88, v89
	s_xor_b64 exec, exec, s[0:1]
	s_cbranch_execz .LBB18_14
; %bb.13:
	v_mov_b32_e32 v89, 0
	v_mov_b32_e32 v88, v12
	s_waitcnt vmcnt(7)
	ds_write2_b32 v86, v1, v2 offset0:1 offset1:2
	s_waitcnt vmcnt(5)
	ds_write2_b32 v86, v3, v4 offset0:3 offset1:4
	;; [unrolled: 2-line block ×4, first 2 shown]
	s_waitcnt vmcnt(0)
	ds_write_b32 v86, v9 offset:36
.LBB18_14:
	s_or_b64 exec, exec, s[0:1]
	s_waitcnt vmcnt(0)
	v_mov_b64_e32 v[18:19], v[8:9]
	v_mov_b64_e32 v[28:29], v[8:9]
	;; [unrolled: 1-line block ×7, first 2 shown]
	s_waitcnt lgkmcnt(0)
	v_cmp_eq_f32_e64 s[0:1], 0, v90
	v_cmp_lt_i32_e32 vcc, 0, v89
	v_mov_b64_e32 v[16:17], v[6:7]
	v_mov_b64_e32 v[14:15], v[4:5]
	;; [unrolled: 1-line block ×28, first 2 shown]
	s_barrier
	s_and_saveexec_b64 s[2:3], vcc
	s_cbranch_execz .LBB18_16
; %bb.15:
	v_div_scale_f32 v10, s[18:19], v90, v90, 1.0
	v_rcp_f32_e32 v11, v10
	v_div_scale_f32 v12, vcc, 1.0, v90, 1.0
	v_fma_f32 v13, -v10, v11, 1.0
	v_fmac_f32_e32 v11, v13, v11
	v_mul_f32_e32 v13, v12, v11
	v_fma_f32 v14, -v10, v13, v12
	v_fmac_f32_e32 v13, v14, v11
	v_fma_f32 v10, -v10, v13, v12
	v_div_fmas_f32 v10, v10, v11, v13
	ds_read2_b32 v[12:13], v86 offset0:1 offset1:2
	v_div_fixup_f32 v10, v10, v90, 1.0
	v_cndmask_b32_e64 v10, v10, v90, s[0:1]
	ds_read2_b32 v[14:15], v86 offset0:3 offset1:4
	ds_read2_b32 v[16:17], v86 offset0:5 offset1:6
	;; [unrolled: 1-line block ×3, first 2 shown]
	v_mul_f32_e32 v10, v0, v10
	v_mov_b32_e32 v0, v1
	v_mov_b32_e32 v1, v2
	ds_read_b32 v2, v86 offset:36
	s_waitcnt lgkmcnt(4)
	v_pk_fma_f32 v[90:91], v[10:11], v[12:13], v[0:1] op_sel_hi:[0,1,1] neg_lo:[1,0,0] neg_hi:[1,0,0]
	v_mov_b32_e32 v0, v3
	v_mov_b32_e32 v1, v4
	s_waitcnt lgkmcnt(3)
	v_pk_fma_f32 v[92:93], v[10:11], v[14:15], v[0:1] op_sel_hi:[0,1,1] neg_lo:[1,0,0] neg_hi:[1,0,0]
	v_mov_b32_e32 v0, v5
	v_mov_b32_e32 v1, v6
	;; [unrolled: 4-line block ×3, first 2 shown]
	s_waitcnt lgkmcnt(1)
	v_pk_fma_f32 v[96:97], v[10:11], v[18:19], v[0:1] op_sel_hi:[0,1,1] neg_lo:[1,0,0] neg_hi:[1,0,0]
	s_waitcnt lgkmcnt(0)
	v_fma_f32 v19, -v10, v2, v9
	v_mov_b32_e32 v18, v97
	v_mov_b32_e32 v11, v90
	v_mov_b32_e32 v12, v91
	v_mov_b32_e32 v13, v92
	v_mov_b32_e32 v14, v93
	v_mov_b32_e32 v15, v94
	v_mov_b32_e32 v16, v95
	v_mov_b32_e32 v17, v96
	v_mov_b64_e32 v[28:29], v[18:19]
	v_mov_b64_e32 v[38:39], v[18:19]
	;; [unrolled: 1-line block ×30, first 2 shown]
	v_mov_b32_e32 v1, v90
	v_mov_b32_e32 v2, v91
	;; [unrolled: 1-line block ×9, first 2 shown]
.LBB18_16:
	s_or_b64 exec, exec, s[2:3]
	v_lshl_add_u32 v0, v89, 2, v86
	s_barrier
	ds_write_b32 v0, v1
	s_waitcnt lgkmcnt(0)
	s_barrier
	ds_read_b32 v0, v86 offset:4
	s_mov_b32 s2, 2
	s_cmp_lt_i32 s22, 3
	v_mov_b32_e32 v28, 1
	s_cbranch_scc1 .LBB18_19
; %bb.17:
	v_add3_u32 v29, v87, 0, 8
	v_mov_b32_e32 v28, 1
.LBB18_18:                              ; =>This Inner Loop Header: Depth=1
	ds_read_b32 v37, v29
	v_mov_b32_e32 v46, s2
	s_add_i32 s2, s2, 1
	v_add_u32_e32 v29, 4, v29
	s_cmp_lg_u32 s22, s2
	s_waitcnt lgkmcnt(0)
	v_cmp_lt_f32_e64 vcc, |v0|, |v37|
	s_nop 1
	v_cndmask_b32_e32 v0, v0, v37, vcc
	v_cndmask_b32_e32 v28, v28, v46, vcc
	s_cbranch_scc1 .LBB18_18
.LBB18_19:
	v_cmp_ne_u32_e32 vcc, v89, v28
	s_and_saveexec_b64 s[2:3], vcc
	s_xor_b64 s[2:3], exec, s[2:3]
	s_cbranch_execz .LBB18_25
; %bb.20:
	v_cmp_eq_u32_e32 vcc, 1, v89
	s_and_saveexec_b64 s[18:19], vcc
	s_cbranch_execz .LBB18_24
; %bb.21:
	v_cmp_ne_u32_e32 vcc, 1, v28
	s_xor_b64 s[20:21], s[16:17], -1
	s_and_b64 s[24:25], s[20:21], vcc
	s_and_saveexec_b64 s[20:21], s[24:25]
	s_cbranch_execz .LBB18_23
; %bb.22:
	v_ashrrev_i32_e32 v29, 31, v28
	v_lshl_add_u64 v[88:89], v[28:29], 2, v[84:85]
	global_load_dword v29, v[88:89], off
	global_load_dword v37, v[84:85], off offset:4
	s_waitcnt vmcnt(1)
	global_store_dword v[84:85], v29, off offset:4
	s_waitcnt vmcnt(1)
	global_store_dword v[88:89], v37, off
.LBB18_23:
	s_or_b64 exec, exec, s[20:21]
	v_mov_b32_e32 v88, v28
	v_mov_b32_e32 v89, v28
.LBB18_24:
	s_or_b64 exec, exec, s[18:19]
.LBB18_25:
	s_andn2_saveexec_b64 s[2:3], s[2:3]
	s_cbranch_execz .LBB18_27
; %bb.26:
	v_mov_b32_e32 v89, 1
	ds_write2_b32 v86, v12, v13 offset0:2 offset1:3
	ds_write2_b32 v86, v14, v15 offset0:4 offset1:5
	;; [unrolled: 1-line block ×4, first 2 shown]
.LBB18_27:
	s_or_b64 exec, exec, s[2:3]
	s_waitcnt lgkmcnt(0)
	v_cmp_neq_f32_e64 s[2:3], 0, v0
	v_cmp_lt_i32_e32 vcc, 1, v89
	s_barrier
	s_and_saveexec_b64 s[18:19], vcc
	s_cbranch_execz .LBB18_29
; %bb.28:
	v_div_scale_f32 v2, s[20:21], v0, v0, 1.0
	v_rcp_f32_e32 v3, v2
	v_div_scale_f32 v4, vcc, 1.0, v0, 1.0
	v_mov_b64_e32 v[78:79], v[18:19]
	v_fma_f32 v5, -v2, v3, 1.0
	v_fmac_f32_e32 v3, v5, v3
	v_mul_f32_e32 v5, v4, v3
	v_fma_f32 v6, -v2, v5, v4
	v_fmac_f32_e32 v5, v6, v3
	v_fma_f32 v2, -v2, v5, v4
	v_div_fmas_f32 v2, v2, v3, v5
	v_div_fixup_f32 v2, v2, v0, 1.0
	v_cndmask_b32_e64 v0, v0, v2, s[2:3]
	ds_read2_b32 v[2:3], v86 offset0:2 offset1:3
	ds_read2_b32 v[4:5], v86 offset0:4 offset1:5
	;; [unrolled: 1-line block ×4, first 2 shown]
	v_mul_f32_e32 v0, v1, v0
	v_mov_b64_e32 v[70:71], v[10:11]
	s_waitcnt lgkmcnt(3)
	v_pk_fma_f32 v[2:3], v[0:1], v[2:3], v[12:13] op_sel_hi:[0,1,1] neg_lo:[1,0,0] neg_hi:[1,0,0]
	v_mov_b64_e32 v[72:73], v[12:13]
	v_mov_b32_e32 v71, v0
	v_mov_b64_e32 v[76:77], v[16:17]
	v_mov_b64_e32 v[74:75], v[14:15]
	v_mov_b32_e32 v72, v2
	v_mov_b64_e32 v[60:61], v[70:71]
	v_mov_b64_e32 v[62:63], v[72:73]
	;; [unrolled: 1-line block ×5, first 2 shown]
	v_mov_b32_e32 v63, v3
	v_mov_b64_e32 v[50:51], v[60:61]
	s_waitcnt lgkmcnt(2)
	v_pk_fma_f32 v[4:5], v[0:1], v[4:5], v[14:15] op_sel_hi:[0,1,1] neg_lo:[1,0,0] neg_hi:[1,0,0]
	v_mov_b64_e32 v[54:55], v[64:65]
	v_mov_b64_e32 v[52:53], v[62:63]
	;; [unrolled: 1-line block ×4, first 2 shown]
	v_mov_b32_e32 v54, v4
	v_mov_b64_e32 v[40:41], v[50:51]
	v_mov_b64_e32 v[44:45], v[54:55]
	;; [unrolled: 1-line block ×5, first 2 shown]
	v_mov_b32_e32 v45, v5
	v_mov_b64_e32 v[30:31], v[40:41]
	s_waitcnt lgkmcnt(1)
	v_pk_fma_f32 v[6:7], v[0:1], v[6:7], v[16:17] op_sel_hi:[0,1,1] neg_lo:[1,0,0] neg_hi:[1,0,0]
	v_mov_b64_e32 v[36:37], v[46:47]
	v_mov_b64_e32 v[32:33], v[42:43]
	v_mov_b64_e32 v[34:35], v[44:45]
	v_mov_b64_e32 v[38:39], v[48:49]
	v_mov_b32_e32 v36, v6
	v_mov_b64_e32 v[20:21], v[30:31]
	v_mov_b64_e32 v[26:27], v[36:37]
	s_waitcnt lgkmcnt(0)
	v_pk_fma_f32 v[8:9], v[0:1], v[8:9], v[18:19] op_sel_hi:[0,1,1] neg_lo:[1,0,0] neg_hi:[1,0,0]
	v_mov_b64_e32 v[22:23], v[32:33]
	v_mov_b64_e32 v[24:25], v[34:35]
	;; [unrolled: 1-line block ×3, first 2 shown]
	v_mov_b32_e32 v27, v7
	v_mov_b64_e32 v[10:11], v[20:21]
	v_mov_b64_e32 v[18:19], v[28:29]
	;; [unrolled: 1-line block ×5, first 2 shown]
	v_mov_b32_e32 v18, v8
	v_mov_b32_e32 v19, v9
.LBB18_29:
	s_or_b64 exec, exec, s[18:19]
	v_lshl_add_u32 v0, v89, 2, v86
	s_barrier
	ds_write_b32 v0, v2
	s_waitcnt lgkmcnt(0)
	s_barrier
	ds_read_b32 v28, v86 offset:8
	s_cmp_lt_i32 s22, 4
	v_mov_b32_e32 v0, 2
	s_cbranch_scc1 .LBB18_32
; %bb.30:
	v_mov_b32_e32 v0, 2
	v_add3_u32 v1, v87, 0, 12
	s_mov_b32 s18, 3
.LBB18_31:                              ; =>This Inner Loop Header: Depth=1
	ds_read_b32 v29, v1
	v_mov_b32_e32 v37, s18
	s_add_i32 s18, s18, 1
	v_add_u32_e32 v1, 4, v1
	s_cmp_lg_u32 s22, s18
	s_waitcnt lgkmcnt(0)
	v_cmp_lt_f32_e64 vcc, |v28|, |v29|
	s_nop 1
	v_cndmask_b32_e32 v28, v28, v29, vcc
	v_cndmask_b32_e32 v0, v0, v37, vcc
	s_cbranch_scc1 .LBB18_31
.LBB18_32:
	v_cndmask_b32_e64 v1, 2, 1, s[0:1]
	v_cndmask_b32_e64 v29, 0, 1, s[0:1]
	;; [unrolled: 1-line block ×3, first 2 shown]
	s_waitcnt lgkmcnt(0)
	v_cmp_eq_f32_e32 vcc, 0, v28
	s_and_saveexec_b64 s[0:1], vcc
	s_xor_b64 s[0:1], exec, s[0:1]
; %bb.33:
	v_cmp_ne_u32_e32 vcc, 0, v90
	s_nop 1
	v_cndmask_b32_e32 v90, 3, v90, vcc
; %bb.34:
	s_andn2_saveexec_b64 s[0:1], s[0:1]
	s_cbranch_execz .LBB18_36
; %bb.35:
	v_div_scale_f32 v1, s[2:3], v28, v28, 1.0
	v_rcp_f32_e32 v29, v1
	v_div_scale_f32 v37, vcc, 1.0, v28, 1.0
	v_fma_f32 v46, -v1, v29, 1.0
	v_fmac_f32_e32 v29, v46, v29
	v_mul_f32_e32 v46, v37, v29
	v_fma_f32 v55, -v1, v46, v37
	v_fmac_f32_e32 v46, v55, v29
	v_fma_f32 v1, -v1, v46, v37
	v_div_fmas_f32 v1, v1, v29, v46
	v_div_fixup_f32 v28, v1, v28, 1.0
.LBB18_36:
	s_or_b64 exec, exec, s[0:1]
	v_cmp_ne_u32_e32 vcc, v89, v0
	s_and_saveexec_b64 s[0:1], vcc
	s_xor_b64 s[0:1], exec, s[0:1]
	s_cbranch_execz .LBB18_42
; %bb.37:
	v_cmp_eq_u32_e32 vcc, 2, v89
	s_and_saveexec_b64 s[2:3], vcc
	s_cbranch_execz .LBB18_41
; %bb.38:
	v_cmp_ne_u32_e32 vcc, 2, v0
	s_xor_b64 s[18:19], s[16:17], -1
	s_and_b64 s[20:21], s[18:19], vcc
	s_and_saveexec_b64 s[18:19], s[20:21]
	s_cbranch_execz .LBB18_40
; %bb.39:
	v_ashrrev_i32_e32 v1, 31, v0
	v_lshl_add_u64 v[88:89], v[0:1], 2, v[84:85]
	global_load_dword v1, v[88:89], off
	global_load_dword v29, v[84:85], off offset:8
	s_waitcnt vmcnt(1)
	global_store_dword v[84:85], v1, off offset:8
	s_waitcnt vmcnt(1)
	global_store_dword v[88:89], v29, off
.LBB18_40:
	s_or_b64 exec, exec, s[18:19]
	v_mov_b32_e32 v88, v0
	v_mov_b32_e32 v89, v0
.LBB18_41:
	s_or_b64 exec, exec, s[2:3]
.LBB18_42:
	s_andn2_saveexec_b64 s[0:1], s[0:1]
	s_cbranch_execz .LBB18_44
; %bb.43:
	v_mov_b32_e32 v89, 2
	ds_write2_b32 v86, v13, v14 offset0:3 offset1:4
	ds_write2_b32 v86, v15, v16 offset0:5 offset1:6
	;; [unrolled: 1-line block ×3, first 2 shown]
	ds_write_b32 v86, v9 offset:36
.LBB18_44:
	s_or_b64 exec, exec, s[0:1]
	v_cmp_lt_i32_e32 vcc, 2, v89
	s_waitcnt lgkmcnt(0)
	s_barrier
	s_and_saveexec_b64 s[0:1], vcc
	s_cbranch_execz .LBB18_46
; %bb.45:
	ds_read2_b32 v[0:1], v86 offset0:3 offset1:4
	v_mul_f32_e32 v72, v2, v28
	v_mov_b32_e32 v2, v13
	v_mov_b32_e32 v3, v14
	v_mov_b64_e32 v[60:61], v[70:71]
	s_waitcnt lgkmcnt(0)
	v_pk_fma_f32 v[0:1], v[72:73], v[0:1], v[2:3] op_sel_hi:[0,1,1] neg_lo:[1,0,0] neg_hi:[1,0,0]
	v_mov_b64_e32 v[62:63], v[72:73]
	ds_read2_b32 v[4:5], v86 offset0:5 offset1:6
	ds_read2_b32 v[6:7], v86 offset0:7 offset1:8
	ds_read_b32 v8, v86 offset:36
	v_mov_b64_e32 v[64:65], v[74:75]
	v_mov_b64_e32 v[66:67], v[76:77]
	;; [unrolled: 1-line block ×3, first 2 shown]
	v_mov_b32_e32 v63, v0
	v_mov_b64_e32 v[50:51], v[60:61]
	v_mov_b64_e32 v[54:55], v[64:65]
	v_mov_b32_e32 v2, v15
	v_mov_b32_e32 v3, v16
	v_mov_b64_e32 v[52:53], v[62:63]
	v_mov_b64_e32 v[56:57], v[66:67]
	;; [unrolled: 1-line block ×3, first 2 shown]
	v_mov_b32_e32 v54, v1
	v_mov_b64_e32 v[40:41], v[50:51]
	s_waitcnt lgkmcnt(2)
	v_pk_fma_f32 v[92:93], v[72:73], v[4:5], v[2:3] op_sel_hi:[0,1,1] neg_lo:[1,0,0] neg_hi:[1,0,0]
	v_mov_b64_e32 v[44:45], v[54:55]
	v_mov_b64_e32 v[42:43], v[52:53]
	;; [unrolled: 1-line block ×4, first 2 shown]
	v_mov_b32_e32 v45, v92
	v_mov_b64_e32 v[30:31], v[40:41]
	v_mov_b64_e32 v[36:37], v[46:47]
	v_mov_b32_e32 v2, v17
	v_mov_b32_e32 v3, v18
	v_mov_b64_e32 v[32:33], v[42:43]
	v_mov_b64_e32 v[34:35], v[44:45]
	;; [unrolled: 1-line block ×3, first 2 shown]
	v_mov_b32_e32 v36, v93
	v_mov_b64_e32 v[20:21], v[30:31]
	s_waitcnt lgkmcnt(1)
	v_pk_fma_f32 v[94:95], v[72:73], v[6:7], v[2:3] op_sel_hi:[0,1,1] neg_lo:[1,0,0] neg_hi:[1,0,0]
	v_mov_b64_e32 v[26:27], v[36:37]
	v_mov_b64_e32 v[22:23], v[32:33]
	;; [unrolled: 1-line block ×4, first 2 shown]
	v_mov_b32_e32 v27, v94
	v_mov_b64_e32 v[10:11], v[20:21]
	s_waitcnt lgkmcnt(0)
	v_fma_f32 v9, -v72, v8, v9
	v_mov_b64_e32 v[18:19], v[28:29]
	v_mov_b64_e32 v[12:13], v[22:23]
	;; [unrolled: 1-line block ×4, first 2 shown]
	v_mov_b32_e32 v18, v95
	v_mov_b32_e32 v19, v9
	;; [unrolled: 1-line block ×8, first 2 shown]
.LBB18_46:
	s_or_b64 exec, exec, s[0:1]
	v_lshl_add_u32 v0, v89, 2, v86
	s_barrier
	ds_write_b32 v0, v3
	s_waitcnt lgkmcnt(0)
	s_barrier
	ds_read_b32 v2, v86 offset:12
	s_cmp_lt_i32 s22, 5
	v_mov_b32_e32 v0, 3
	s_cbranch_scc1 .LBB18_49
; %bb.47:
	v_add3_u32 v1, v87, 0, 16
	v_mov_b32_e32 v0, 3
	s_mov_b32 s0, 4
.LBB18_48:                              ; =>This Inner Loop Header: Depth=1
	ds_read_b32 v28, v1
	v_mov_b32_e32 v29, s0
	s_add_i32 s0, s0, 1
	v_add_u32_e32 v1, 4, v1
	s_cmp_lg_u32 s22, s0
	s_waitcnt lgkmcnt(0)
	v_cmp_lt_f32_e64 vcc, |v2|, |v28|
	s_nop 1
	v_cndmask_b32_e32 v2, v2, v28, vcc
	v_cndmask_b32_e32 v0, v0, v29, vcc
	s_cbranch_scc1 .LBB18_48
.LBB18_49:
	s_waitcnt lgkmcnt(0)
	v_cmp_eq_f32_e32 vcc, 0, v2
	s_and_saveexec_b64 s[0:1], vcc
	s_xor_b64 s[0:1], exec, s[0:1]
; %bb.50:
	v_cmp_ne_u32_e32 vcc, 0, v90
	s_nop 1
	v_cndmask_b32_e32 v90, 4, v90, vcc
; %bb.51:
	s_andn2_saveexec_b64 s[0:1], s[0:1]
	s_cbranch_execz .LBB18_53
; %bb.52:
	v_div_scale_f32 v1, s[2:3], v2, v2, 1.0
	v_rcp_f32_e32 v28, v1
	v_div_scale_f32 v29, vcc, 1.0, v2, 1.0
	v_fma_f32 v37, -v1, v28, 1.0
	v_fmac_f32_e32 v28, v37, v28
	v_mul_f32_e32 v37, v29, v28
	v_fma_f32 v46, -v1, v37, v29
	v_fmac_f32_e32 v37, v46, v28
	v_fma_f32 v1, -v1, v37, v29
	v_div_fmas_f32 v1, v1, v28, v37
	v_div_fixup_f32 v2, v1, v2, 1.0
.LBB18_53:
	s_or_b64 exec, exec, s[0:1]
	v_cmp_ne_u32_e32 vcc, v89, v0
	s_and_saveexec_b64 s[0:1], vcc
	s_xor_b64 s[0:1], exec, s[0:1]
	s_cbranch_execz .LBB18_59
; %bb.54:
	v_cmp_eq_u32_e32 vcc, 3, v89
	s_and_saveexec_b64 s[2:3], vcc
	s_cbranch_execz .LBB18_58
; %bb.55:
	v_cmp_ne_u32_e32 vcc, 3, v0
	s_xor_b64 s[18:19], s[16:17], -1
	s_and_b64 s[20:21], s[18:19], vcc
	s_and_saveexec_b64 s[18:19], s[20:21]
	s_cbranch_execz .LBB18_57
; %bb.56:
	v_ashrrev_i32_e32 v1, 31, v0
	v_lshl_add_u64 v[28:29], v[0:1], 2, v[84:85]
	global_load_dword v1, v[28:29], off
	global_load_dword v37, v[84:85], off offset:12
	s_waitcnt vmcnt(1)
	global_store_dword v[84:85], v1, off offset:12
	s_waitcnt vmcnt(1)
	global_store_dword v[28:29], v37, off
.LBB18_57:
	s_or_b64 exec, exec, s[18:19]
	v_mov_b32_e32 v88, v0
	v_mov_b32_e32 v89, v0
.LBB18_58:
	s_or_b64 exec, exec, s[2:3]
.LBB18_59:
	s_andn2_saveexec_b64 s[0:1], s[0:1]
	s_cbranch_execz .LBB18_61
; %bb.60:
	v_mov_b32_e32 v89, 3
	ds_write2_b32 v86, v14, v15 offset0:4 offset1:5
	ds_write2_b32 v86, v16, v17 offset0:6 offset1:7
	;; [unrolled: 1-line block ×3, first 2 shown]
.LBB18_61:
	s_or_b64 exec, exec, s[0:1]
	v_cmp_lt_i32_e32 vcc, 3, v89
	s_waitcnt lgkmcnt(0)
	s_barrier
	s_and_saveexec_b64 s[0:1], vcc
	s_cbranch_execz .LBB18_63
; %bb.62:
	ds_read2_b32 v[0:1], v86 offset0:4 offset1:5
	ds_read2_b32 v[6:7], v86 offset0:6 offset1:7
	;; [unrolled: 1-line block ×3, first 2 shown]
	v_mul_f32_e32 v2, v3, v2
	v_mov_b32_e32 v73, v2
	v_mov_b64_e32 v[50:51], v[70:71]
	s_waitcnt lgkmcnt(2)
	v_pk_fma_f32 v[4:5], v[2:3], v[0:1], v[14:15] op_sel_hi:[0,1,1] neg_lo:[1,0,0] neg_hi:[1,0,0]
	v_mov_b64_e32 v[54:55], v[74:75]
	v_mov_b64_e32 v[52:53], v[72:73]
	;; [unrolled: 1-line block ×4, first 2 shown]
	v_mov_b32_e32 v54, v4
	v_mov_b64_e32 v[40:41], v[50:51]
	v_mov_b64_e32 v[44:45], v[54:55]
	;; [unrolled: 1-line block ×5, first 2 shown]
	v_mov_b32_e32 v45, v5
	v_mov_b64_e32 v[30:31], v[40:41]
	s_waitcnt lgkmcnt(1)
	v_pk_fma_f32 v[6:7], v[2:3], v[6:7], v[16:17] op_sel_hi:[0,1,1] neg_lo:[1,0,0] neg_hi:[1,0,0]
	v_mov_b64_e32 v[36:37], v[46:47]
	v_mov_b64_e32 v[32:33], v[42:43]
	;; [unrolled: 1-line block ×4, first 2 shown]
	v_mov_b32_e32 v36, v6
	v_mov_b64_e32 v[20:21], v[30:31]
	v_mov_b64_e32 v[26:27], v[36:37]
	s_waitcnt lgkmcnt(0)
	v_pk_fma_f32 v[8:9], v[2:3], v[8:9], v[18:19] op_sel_hi:[0,1,1] neg_lo:[1,0,0] neg_hi:[1,0,0]
	v_mov_b64_e32 v[22:23], v[32:33]
	v_mov_b64_e32 v[24:25], v[34:35]
	;; [unrolled: 1-line block ×3, first 2 shown]
	v_mov_b32_e32 v27, v7
	v_mov_b64_e32 v[10:11], v[20:21]
	v_mov_b64_e32 v[18:19], v[28:29]
	;; [unrolled: 1-line block ×6, first 2 shown]
	v_mov_b32_e32 v18, v8
	v_mov_b32_e32 v19, v9
	v_mov_b64_e32 v[62:63], v[72:73]
	v_mov_b64_e32 v[64:65], v[74:75]
	;; [unrolled: 1-line block ×4, first 2 shown]
.LBB18_63:
	s_or_b64 exec, exec, s[0:1]
	v_lshl_add_u32 v0, v89, 2, v86
	s_barrier
	ds_write_b32 v0, v4
	s_waitcnt lgkmcnt(0)
	s_barrier
	ds_read_b32 v2, v86 offset:16
	s_cmp_lt_i32 s22, 6
	v_mov_b32_e32 v0, 4
	s_cbranch_scc1 .LBB18_66
; %bb.64:
	v_add3_u32 v1, v87, 0, 20
	v_mov_b32_e32 v0, 4
	s_mov_b32 s0, 5
.LBB18_65:                              ; =>This Inner Loop Header: Depth=1
	ds_read_b32 v3, v1
	v_mov_b32_e32 v28, s0
	s_add_i32 s0, s0, 1
	v_add_u32_e32 v1, 4, v1
	s_cmp_lg_u32 s22, s0
	s_waitcnt lgkmcnt(0)
	v_cmp_lt_f32_e64 vcc, |v2|, |v3|
	s_nop 1
	v_cndmask_b32_e32 v2, v2, v3, vcc
	v_cndmask_b32_e32 v0, v0, v28, vcc
	s_cbranch_scc1 .LBB18_65
.LBB18_66:
	s_waitcnt lgkmcnt(0)
	v_cmp_eq_f32_e32 vcc, 0, v2
	s_and_saveexec_b64 s[0:1], vcc
	s_xor_b64 s[0:1], exec, s[0:1]
; %bb.67:
	v_cmp_ne_u32_e32 vcc, 0, v90
	s_nop 1
	v_cndmask_b32_e32 v90, 5, v90, vcc
; %bb.68:
	s_andn2_saveexec_b64 s[0:1], s[0:1]
	s_cbranch_execz .LBB18_70
; %bb.69:
	v_div_scale_f32 v1, s[2:3], v2, v2, 1.0
	v_rcp_f32_e32 v3, v1
	v_div_scale_f32 v28, vcc, 1.0, v2, 1.0
	v_fma_f32 v29, -v1, v3, 1.0
	v_fmac_f32_e32 v3, v29, v3
	v_mul_f32_e32 v29, v28, v3
	v_fma_f32 v37, -v1, v29, v28
	v_fmac_f32_e32 v29, v37, v3
	v_fma_f32 v1, -v1, v29, v28
	v_div_fmas_f32 v1, v1, v3, v29
	v_div_fixup_f32 v2, v1, v2, 1.0
.LBB18_70:
	s_or_b64 exec, exec, s[0:1]
	v_cmp_ne_u32_e32 vcc, v89, v0
	s_and_saveexec_b64 s[0:1], vcc
	s_xor_b64 s[0:1], exec, s[0:1]
	s_cbranch_execz .LBB18_76
; %bb.71:
	v_cmp_eq_u32_e32 vcc, 4, v89
	s_and_saveexec_b64 s[2:3], vcc
	s_cbranch_execz .LBB18_75
; %bb.72:
	v_cmp_ne_u32_e32 vcc, 4, v0
	s_xor_b64 s[18:19], s[16:17], -1
	s_and_b64 s[20:21], s[18:19], vcc
	s_and_saveexec_b64 s[18:19], s[20:21]
	s_cbranch_execz .LBB18_74
; %bb.73:
	v_ashrrev_i32_e32 v1, 31, v0
	v_lshl_add_u64 v[28:29], v[0:1], 2, v[84:85]
	global_load_dword v1, v[28:29], off
	global_load_dword v3, v[84:85], off offset:16
	s_waitcnt vmcnt(1)
	global_store_dword v[84:85], v1, off offset:16
	s_waitcnt vmcnt(1)
	global_store_dword v[28:29], v3, off
.LBB18_74:
	s_or_b64 exec, exec, s[18:19]
	v_mov_b32_e32 v88, v0
	v_mov_b32_e32 v89, v0
.LBB18_75:
	s_or_b64 exec, exec, s[2:3]
.LBB18_76:
	s_andn2_saveexec_b64 s[0:1], s[0:1]
	s_cbranch_execz .LBB18_78
; %bb.77:
	v_mov_b32_e32 v89, 4
	ds_write2_b32 v86, v15, v16 offset0:5 offset1:6
	ds_write2_b32 v86, v17, v18 offset0:7 offset1:8
	ds_write_b32 v86, v9 offset:36
.LBB18_78:
	s_or_b64 exec, exec, s[0:1]
	v_cmp_lt_i32_e32 vcc, 4, v89
	s_waitcnt lgkmcnt(0)
	s_barrier
	s_and_saveexec_b64 s[0:1], vcc
	s_cbranch_execz .LBB18_80
; %bb.79:
	ds_read2_b32 v[0:1], v86 offset0:5 offset1:6
	v_mul_f32_e32 v64, v4, v2
	v_mov_b32_e32 v2, v15
	v_mov_b32_e32 v3, v16
	v_mov_b64_e32 v[40:41], v[60:61]
	ds_read2_b32 v[4:5], v86 offset0:7 offset1:8
	ds_read_b32 v6, v86 offset:36
	s_waitcnt lgkmcnt(2)
	v_pk_fma_f32 v[0:1], v[64:65], v[0:1], v[2:3] op_sel_hi:[0,1,1] neg_lo:[1,0,0] neg_hi:[1,0,0]
	v_mov_b64_e32 v[44:45], v[64:65]
	v_mov_b64_e32 v[42:43], v[62:63]
	;; [unrolled: 1-line block ×4, first 2 shown]
	v_mov_b32_e32 v45, v0
	v_mov_b64_e32 v[30:31], v[40:41]
	v_mov_b64_e32 v[36:37], v[46:47]
	v_mov_b32_e32 v2, v17
	v_mov_b32_e32 v3, v18
	v_mov_b64_e32 v[32:33], v[42:43]
	v_mov_b64_e32 v[34:35], v[44:45]
	;; [unrolled: 1-line block ×3, first 2 shown]
	v_mov_b32_e32 v36, v1
	v_mov_b64_e32 v[20:21], v[30:31]
	s_waitcnt lgkmcnt(1)
	v_pk_fma_f32 v[2:3], v[64:65], v[4:5], v[2:3] op_sel_hi:[0,1,1] neg_lo:[1,0,0] neg_hi:[1,0,0]
	v_mov_b64_e32 v[26:27], v[36:37]
	v_mov_b64_e32 v[22:23], v[32:33]
	;; [unrolled: 1-line block ×4, first 2 shown]
	v_mov_b32_e32 v27, v2
	v_mov_b64_e32 v[10:11], v[20:21]
	s_waitcnt lgkmcnt(0)
	v_fma_f32 v9, -v64, v6, v9
	v_mov_b64_e32 v[18:19], v[28:29]
	v_mov_b64_e32 v[50:51], v[60:61]
	;; [unrolled: 1-line block ×5, first 2 shown]
	v_mov_b32_e32 v18, v3
	v_mov_b32_e32 v19, v9
	v_mov_b64_e32 v[52:53], v[62:63]
	v_mov_b64_e32 v[54:55], v[64:65]
	;; [unrolled: 1-line block ×4, first 2 shown]
	v_mov_b32_e32 v5, v0
	v_mov_b32_e32 v6, v1
	;; [unrolled: 1-line block ×4, first 2 shown]
.LBB18_80:
	s_or_b64 exec, exec, s[0:1]
	v_lshl_add_u32 v0, v89, 2, v86
	s_barrier
	ds_write_b32 v0, v5
	s_waitcnt lgkmcnt(0)
	s_barrier
	ds_read_b32 v2, v86 offset:20
	s_cmp_lt_i32 s22, 7
	v_mov_b32_e32 v0, 5
	s_cbranch_scc1 .LBB18_83
; %bb.81:
	v_add3_u32 v1, v87, 0, 24
	v_mov_b32_e32 v0, 5
	s_mov_b32 s0, 6
.LBB18_82:                              ; =>This Inner Loop Header: Depth=1
	ds_read_b32 v3, v1
	v_mov_b32_e32 v4, s0
	s_add_i32 s0, s0, 1
	v_add_u32_e32 v1, 4, v1
	s_cmp_lg_u32 s22, s0
	s_waitcnt lgkmcnt(0)
	v_cmp_lt_f32_e64 vcc, |v2|, |v3|
	s_nop 1
	v_cndmask_b32_e32 v2, v2, v3, vcc
	v_cndmask_b32_e32 v0, v0, v4, vcc
	s_cbranch_scc1 .LBB18_82
.LBB18_83:
	s_waitcnt lgkmcnt(0)
	v_cmp_eq_f32_e32 vcc, 0, v2
	s_and_saveexec_b64 s[0:1], vcc
	s_xor_b64 s[0:1], exec, s[0:1]
; %bb.84:
	v_cmp_ne_u32_e32 vcc, 0, v90
	s_nop 1
	v_cndmask_b32_e32 v90, 6, v90, vcc
; %bb.85:
	s_andn2_saveexec_b64 s[0:1], s[0:1]
	s_cbranch_execz .LBB18_87
; %bb.86:
	v_div_scale_f32 v1, s[2:3], v2, v2, 1.0
	v_rcp_f32_e32 v3, v1
	v_div_scale_f32 v4, vcc, 1.0, v2, 1.0
	v_fma_f32 v28, -v1, v3, 1.0
	v_fmac_f32_e32 v3, v28, v3
	v_mul_f32_e32 v28, v4, v3
	v_fma_f32 v29, -v1, v28, v4
	v_fmac_f32_e32 v28, v29, v3
	v_fma_f32 v1, -v1, v28, v4
	v_div_fmas_f32 v1, v1, v3, v28
	v_div_fixup_f32 v2, v1, v2, 1.0
.LBB18_87:
	s_or_b64 exec, exec, s[0:1]
	v_cmp_ne_u32_e32 vcc, v89, v0
	s_and_saveexec_b64 s[0:1], vcc
	s_xor_b64 s[0:1], exec, s[0:1]
	s_cbranch_execz .LBB18_93
; %bb.88:
	v_cmp_eq_u32_e32 vcc, 5, v89
	s_and_saveexec_b64 s[2:3], vcc
	s_cbranch_execz .LBB18_92
; %bb.89:
	v_cmp_ne_u32_e32 vcc, 5, v0
	s_xor_b64 s[18:19], s[16:17], -1
	s_and_b64 s[20:21], s[18:19], vcc
	s_and_saveexec_b64 s[18:19], s[20:21]
	s_cbranch_execz .LBB18_91
; %bb.90:
	v_ashrrev_i32_e32 v1, 31, v0
	v_lshl_add_u64 v[28:29], v[0:1], 2, v[84:85]
	global_load_dword v1, v[28:29], off
	global_load_dword v3, v[84:85], off offset:20
	s_waitcnt vmcnt(1)
	global_store_dword v[84:85], v1, off offset:20
	s_waitcnt vmcnt(1)
	global_store_dword v[28:29], v3, off
.LBB18_91:
	s_or_b64 exec, exec, s[18:19]
	v_mov_b32_e32 v88, v0
	v_mov_b32_e32 v89, v0
.LBB18_92:
	s_or_b64 exec, exec, s[2:3]
.LBB18_93:
	s_andn2_saveexec_b64 s[0:1], s[0:1]
	s_cbranch_execz .LBB18_95
; %bb.94:
	v_mov_b32_e32 v89, 5
	ds_write2_b32 v86, v16, v17 offset0:6 offset1:7
	ds_write2_b32 v86, v18, v19 offset0:8 offset1:9
.LBB18_95:
	s_or_b64 exec, exec, s[0:1]
	v_cmp_lt_i32_e32 vcc, 5, v89
	s_waitcnt lgkmcnt(0)
	s_barrier
	s_and_saveexec_b64 s[0:1], vcc
	s_cbranch_execz .LBB18_97
; %bb.96:
	ds_read2_b32 v[0:1], v86 offset0:6 offset1:7
	ds_read2_b32 v[8:9], v86 offset0:8 offset1:9
	v_mul_f32_e32 v2, v5, v2
	v_mov_b32_e32 v55, v2
	v_mov_b64_e32 v[30:31], v[50:51]
	s_waitcnt lgkmcnt(1)
	v_pk_fma_f32 v[6:7], v[2:3], v[0:1], v[16:17] op_sel_hi:[0,1,1] neg_lo:[1,0,0] neg_hi:[1,0,0]
	v_mov_b64_e32 v[36:37], v[56:57]
	v_mov_b64_e32 v[32:33], v[52:53]
	;; [unrolled: 1-line block ×4, first 2 shown]
	v_mov_b32_e32 v36, v6
	v_mov_b64_e32 v[20:21], v[30:31]
	v_mov_b64_e32 v[26:27], v[36:37]
	s_waitcnt lgkmcnt(0)
	v_pk_fma_f32 v[8:9], v[2:3], v[8:9], v[18:19] op_sel_hi:[0,1,1] neg_lo:[1,0,0] neg_hi:[1,0,0]
	v_mov_b64_e32 v[22:23], v[32:33]
	v_mov_b64_e32 v[24:25], v[34:35]
	v_mov_b64_e32 v[28:29], v[38:39]
	v_mov_b32_e32 v27, v7
	v_mov_b64_e32 v[10:11], v[20:21]
	v_mov_b64_e32 v[18:19], v[28:29]
	;; [unrolled: 1-line block ×6, first 2 shown]
	v_mov_b32_e32 v18, v8
	v_mov_b32_e32 v19, v9
	v_mov_b64_e32 v[42:43], v[52:53]
	v_mov_b64_e32 v[44:45], v[54:55]
	;; [unrolled: 1-line block ×4, first 2 shown]
.LBB18_97:
	s_or_b64 exec, exec, s[0:1]
	v_lshl_add_u32 v0, v89, 2, v86
	s_barrier
	ds_write_b32 v0, v6
	s_waitcnt lgkmcnt(0)
	s_barrier
	ds_read_b32 v2, v86 offset:24
	s_cmp_lt_i32 s22, 8
	v_mov_b32_e32 v0, 6
	s_cbranch_scc1 .LBB18_100
; %bb.98:
	v_add3_u32 v1, v87, 0, 28
	v_mov_b32_e32 v0, 6
	s_mov_b32 s0, 7
.LBB18_99:                              ; =>This Inner Loop Header: Depth=1
	ds_read_b32 v3, v1
	v_mov_b32_e32 v4, s0
	s_add_i32 s0, s0, 1
	v_add_u32_e32 v1, 4, v1
	s_cmp_lg_u32 s22, s0
	s_waitcnt lgkmcnt(0)
	v_cmp_lt_f32_e64 vcc, |v2|, |v3|
	s_nop 1
	v_cndmask_b32_e32 v2, v2, v3, vcc
	v_cndmask_b32_e32 v0, v0, v4, vcc
	s_cbranch_scc1 .LBB18_99
.LBB18_100:
	s_waitcnt lgkmcnt(0)
	v_cmp_eq_f32_e32 vcc, 0, v2
	s_and_saveexec_b64 s[0:1], vcc
	s_xor_b64 s[0:1], exec, s[0:1]
; %bb.101:
	v_cmp_ne_u32_e32 vcc, 0, v90
	s_nop 1
	v_cndmask_b32_e32 v90, 7, v90, vcc
; %bb.102:
	s_andn2_saveexec_b64 s[0:1], s[0:1]
	s_cbranch_execz .LBB18_104
; %bb.103:
	v_div_scale_f32 v1, s[2:3], v2, v2, 1.0
	v_rcp_f32_e32 v3, v1
	v_div_scale_f32 v4, vcc, 1.0, v2, 1.0
	v_fma_f32 v5, -v1, v3, 1.0
	v_fmac_f32_e32 v3, v5, v3
	v_mul_f32_e32 v5, v4, v3
	v_fma_f32 v28, -v1, v5, v4
	v_fmac_f32_e32 v5, v28, v3
	v_fma_f32 v1, -v1, v5, v4
	v_div_fmas_f32 v1, v1, v3, v5
	v_div_fixup_f32 v2, v1, v2, 1.0
.LBB18_104:
	s_or_b64 exec, exec, s[0:1]
	v_cmp_ne_u32_e32 vcc, v89, v0
	s_and_saveexec_b64 s[0:1], vcc
	s_xor_b64 s[0:1], exec, s[0:1]
	s_cbranch_execz .LBB18_110
; %bb.105:
	v_cmp_eq_u32_e32 vcc, 6, v89
	s_and_saveexec_b64 s[2:3], vcc
	s_cbranch_execz .LBB18_109
; %bb.106:
	v_cmp_ne_u32_e32 vcc, 6, v0
	s_xor_b64 s[18:19], s[16:17], -1
	s_and_b64 s[20:21], s[18:19], vcc
	s_and_saveexec_b64 s[18:19], s[20:21]
	s_cbranch_execz .LBB18_108
; %bb.107:
	v_ashrrev_i32_e32 v1, 31, v0
	v_lshl_add_u64 v[4:5], v[0:1], 2, v[84:85]
	global_load_dword v1, v[4:5], off
	global_load_dword v3, v[84:85], off offset:24
	s_waitcnt vmcnt(1)
	global_store_dword v[84:85], v1, off offset:24
	s_waitcnt vmcnt(1)
	global_store_dword v[4:5], v3, off
.LBB18_108:
	s_or_b64 exec, exec, s[18:19]
	v_mov_b32_e32 v88, v0
	v_mov_b32_e32 v89, v0
.LBB18_109:
	s_or_b64 exec, exec, s[2:3]
.LBB18_110:
	s_andn2_saveexec_b64 s[0:1], s[0:1]
	s_cbranch_execz .LBB18_112
; %bb.111:
	v_mov_b32_e32 v89, 6
	ds_write2_b32 v86, v17, v18 offset0:7 offset1:8
	ds_write_b32 v86, v9 offset:36
.LBB18_112:
	s_or_b64 exec, exec, s[0:1]
	v_cmp_lt_i32_e32 vcc, 6, v89
	s_waitcnt lgkmcnt(0)
	s_barrier
	s_and_saveexec_b64 s[0:1], vcc
	s_cbranch_execz .LBB18_114
; %bb.113:
	ds_read2_b32 v[0:1], v86 offset0:7 offset1:8
	ds_read_b32 v4, v86 offset:36
	v_mul_f32_e32 v46, v6, v2
	v_mov_b32_e32 v2, v17
	v_mov_b32_e32 v3, v18
	v_mov_b64_e32 v[20:21], v[40:41]
	s_waitcnt lgkmcnt(1)
	v_pk_fma_f32 v[0:1], v[46:47], v[0:1], v[2:3] op_sel_hi:[0,1,1] neg_lo:[1,0,0] neg_hi:[1,0,0]
	v_mov_b64_e32 v[26:27], v[46:47]
	v_mov_b64_e32 v[22:23], v[42:43]
	;; [unrolled: 1-line block ×4, first 2 shown]
	v_mov_b32_e32 v27, v0
	v_mov_b64_e32 v[10:11], v[20:21]
	s_waitcnt lgkmcnt(0)
	v_fma_f32 v9, -v46, v4, v9
	v_mov_b64_e32 v[18:19], v[28:29]
	v_mov_b64_e32 v[30:31], v[40:41]
	;; [unrolled: 1-line block ×5, first 2 shown]
	v_mov_b32_e32 v18, v1
	v_mov_b32_e32 v19, v9
	v_mov_b64_e32 v[32:33], v[42:43]
	v_mov_b64_e32 v[34:35], v[44:45]
	;; [unrolled: 1-line block ×4, first 2 shown]
	v_mov_b32_e32 v7, v0
	v_mov_b32_e32 v8, v1
.LBB18_114:
	s_or_b64 exec, exec, s[0:1]
	v_lshl_add_u32 v0, v89, 2, v86
	s_barrier
	ds_write_b32 v0, v7
	s_waitcnt lgkmcnt(0)
	s_barrier
	ds_read_b32 v2, v86 offset:28
	s_cmp_lt_i32 s22, 9
	v_mov_b32_e32 v0, 7
	s_cbranch_scc1 .LBB18_117
; %bb.115:
	v_add3_u32 v1, v87, 0, 32
	v_mov_b32_e32 v0, 7
	s_mov_b32 s0, 8
.LBB18_116:                             ; =>This Inner Loop Header: Depth=1
	ds_read_b32 v3, v1
	v_mov_b32_e32 v4, s0
	s_add_i32 s0, s0, 1
	v_add_u32_e32 v1, 4, v1
	s_cmp_lg_u32 s22, s0
	s_waitcnt lgkmcnt(0)
	v_cmp_lt_f32_e64 vcc, |v2|, |v3|
	s_nop 1
	v_cndmask_b32_e32 v2, v2, v3, vcc
	v_cndmask_b32_e32 v0, v0, v4, vcc
	s_cbranch_scc1 .LBB18_116
.LBB18_117:
	s_waitcnt lgkmcnt(0)
	v_cmp_eq_f32_e32 vcc, 0, v2
	s_and_saveexec_b64 s[0:1], vcc
	s_xor_b64 s[0:1], exec, s[0:1]
; %bb.118:
	v_cmp_ne_u32_e32 vcc, 0, v90
	s_nop 1
	v_cndmask_b32_e32 v90, 8, v90, vcc
; %bb.119:
	s_andn2_saveexec_b64 s[0:1], s[0:1]
	s_cbranch_execz .LBB18_121
; %bb.120:
	v_div_scale_f32 v1, s[2:3], v2, v2, 1.0
	v_rcp_f32_e32 v3, v1
	v_div_scale_f32 v4, vcc, 1.0, v2, 1.0
	v_fma_f32 v5, -v1, v3, 1.0
	v_fmac_f32_e32 v3, v5, v3
	v_mul_f32_e32 v5, v4, v3
	v_fma_f32 v6, -v1, v5, v4
	v_fmac_f32_e32 v5, v6, v3
	v_fma_f32 v1, -v1, v5, v4
	v_div_fmas_f32 v1, v1, v3, v5
	v_div_fixup_f32 v2, v1, v2, 1.0
.LBB18_121:
	s_or_b64 exec, exec, s[0:1]
	v_cmp_ne_u32_e32 vcc, v89, v0
	s_and_saveexec_b64 s[0:1], vcc
	s_xor_b64 s[0:1], exec, s[0:1]
	s_cbranch_execz .LBB18_127
; %bb.122:
	v_cmp_eq_u32_e32 vcc, 7, v89
	s_and_saveexec_b64 s[2:3], vcc
	s_cbranch_execz .LBB18_126
; %bb.123:
	v_cmp_ne_u32_e32 vcc, 7, v0
	s_xor_b64 s[18:19], s[16:17], -1
	s_and_b64 s[20:21], s[18:19], vcc
	s_and_saveexec_b64 s[18:19], s[20:21]
	s_cbranch_execz .LBB18_125
; %bb.124:
	v_ashrrev_i32_e32 v1, 31, v0
	v_lshl_add_u64 v[4:5], v[0:1], 2, v[84:85]
	global_load_dword v1, v[4:5], off
	global_load_dword v3, v[84:85], off offset:28
	s_waitcnt vmcnt(1)
	global_store_dword v[84:85], v1, off offset:28
	s_waitcnt vmcnt(1)
	global_store_dword v[4:5], v3, off
.LBB18_125:
	s_or_b64 exec, exec, s[18:19]
	v_mov_b32_e32 v88, v0
	v_mov_b32_e32 v89, v0
.LBB18_126:
	s_or_b64 exec, exec, s[2:3]
.LBB18_127:
	s_andn2_saveexec_b64 s[0:1], s[0:1]
; %bb.128:
	v_mov_b32_e32 v89, 7
	ds_write2_b32 v86, v18, v19 offset0:8 offset1:9
; %bb.129:
	s_or_b64 exec, exec, s[0:1]
	v_cmp_lt_i32_e32 vcc, 7, v89
	s_waitcnt lgkmcnt(0)
	s_barrier
	s_and_saveexec_b64 s[0:1], vcc
	s_cbranch_execz .LBB18_131
; %bb.130:
	ds_read2_b32 v[0:1], v86 offset0:8 offset1:9
	v_mul_f32_e32 v2, v7, v2
	v_mov_b32_e32 v37, v2
	v_mov_b64_e32 v[20:21], v[30:31]
	v_mov_b64_e32 v[22:23], v[32:33]
	s_waitcnt lgkmcnt(0)
	v_pk_fma_f32 v[8:9], v[2:3], v[0:1], v[18:19] op_sel_hi:[0,1,1] neg_lo:[1,0,0] neg_hi:[1,0,0]
	v_mov_b64_e32 v[10:11], v[30:31]
	v_mov_b64_e32 v[18:19], v[38:39]
	;; [unrolled: 1-line block ×5, first 2 shown]
	v_mov_b32_e32 v18, v8
	v_mov_b32_e32 v19, v9
	v_mov_b64_e32 v[24:25], v[34:35]
	v_mov_b64_e32 v[26:27], v[36:37]
	;; [unrolled: 1-line block ×3, first 2 shown]
.LBB18_131:
	s_or_b64 exec, exec, s[0:1]
	v_lshl_add_u32 v0, v89, 2, v86
	s_barrier
	ds_write_b32 v0, v8
	s_waitcnt lgkmcnt(0)
	s_barrier
	ds_read_b32 v2, v86 offset:32
	s_cmp_lt_i32 s22, 10
	v_mov_b32_e32 v0, 8
	s_cbranch_scc1 .LBB18_134
; %bb.132:
	v_add3_u32 v1, v87, 0, 36
	v_mov_b32_e32 v0, 8
	s_mov_b32 s0, 9
.LBB18_133:                             ; =>This Inner Loop Header: Depth=1
	ds_read_b32 v3, v1
	v_mov_b32_e32 v4, s0
	s_add_i32 s0, s0, 1
	v_add_u32_e32 v1, 4, v1
	s_cmp_lg_u32 s22, s0
	s_waitcnt lgkmcnt(0)
	v_cmp_lt_f32_e64 vcc, |v2|, |v3|
	s_nop 1
	v_cndmask_b32_e32 v2, v2, v3, vcc
	v_cndmask_b32_e32 v0, v0, v4, vcc
	s_cbranch_scc1 .LBB18_133
.LBB18_134:
	s_waitcnt lgkmcnt(0)
	v_cmp_eq_f32_e32 vcc, 0, v2
	s_and_saveexec_b64 s[0:1], vcc
	s_xor_b64 s[0:1], exec, s[0:1]
; %bb.135:
	v_cmp_ne_u32_e32 vcc, 0, v90
	s_nop 1
	v_cndmask_b32_e32 v90, 9, v90, vcc
; %bb.136:
	s_andn2_saveexec_b64 s[0:1], s[0:1]
	s_cbranch_execz .LBB18_138
; %bb.137:
	v_div_scale_f32 v1, s[2:3], v2, v2, 1.0
	v_rcp_f32_e32 v3, v1
	v_div_scale_f32 v4, vcc, 1.0, v2, 1.0
	v_fma_f32 v5, -v1, v3, 1.0
	v_fmac_f32_e32 v3, v5, v3
	v_mul_f32_e32 v5, v4, v3
	v_fma_f32 v6, -v1, v5, v4
	v_fmac_f32_e32 v5, v6, v3
	v_fma_f32 v1, -v1, v5, v4
	v_div_fmas_f32 v1, v1, v3, v5
	v_div_fixup_f32 v2, v1, v2, 1.0
.LBB18_138:
	s_or_b64 exec, exec, s[0:1]
	v_cmp_ne_u32_e32 vcc, v89, v0
	s_and_saveexec_b64 s[0:1], vcc
	s_xor_b64 s[0:1], exec, s[0:1]
	s_cbranch_execz .LBB18_144
; %bb.139:
	v_cmp_eq_u32_e32 vcc, 8, v89
	s_and_saveexec_b64 s[2:3], vcc
	s_cbranch_execz .LBB18_143
; %bb.140:
	v_cmp_ne_u32_e32 vcc, 8, v0
	s_xor_b64 s[18:19], s[16:17], -1
	s_and_b64 s[20:21], s[18:19], vcc
	s_and_saveexec_b64 s[18:19], s[20:21]
	s_cbranch_execz .LBB18_142
; %bb.141:
	v_ashrrev_i32_e32 v1, 31, v0
	v_lshl_add_u64 v[4:5], v[0:1], 2, v[84:85]
	global_load_dword v1, v[4:5], off
	global_load_dword v3, v[84:85], off offset:32
	s_waitcnt vmcnt(1)
	global_store_dword v[84:85], v1, off offset:32
	s_waitcnt vmcnt(1)
	global_store_dword v[4:5], v3, off
.LBB18_142:
	s_or_b64 exec, exec, s[18:19]
	v_mov_b32_e32 v88, v0
	v_mov_b32_e32 v89, v0
.LBB18_143:
	s_or_b64 exec, exec, s[2:3]
.LBB18_144:
	s_andn2_saveexec_b64 s[0:1], s[0:1]
; %bb.145:
	v_mov_b32_e32 v89, 8
	ds_write_b32 v86, v9 offset:36
; %bb.146:
	s_or_b64 exec, exec, s[0:1]
	v_cmp_lt_i32_e32 vcc, 8, v89
	s_waitcnt lgkmcnt(0)
	s_barrier
	s_and_saveexec_b64 s[0:1], vcc
	s_cbranch_execz .LBB18_148
; %bb.147:
	ds_read_b32 v0, v86 offset:36
	v_mul_f32_e32 v28, v8, v2
	s_waitcnt lgkmcnt(0)
	v_fma_f32 v29, -v28, v0, v9
	v_mov_b64_e32 v[10:11], v[20:21]
	v_mov_b64_e32 v[12:13], v[22:23]
	;; [unrolled: 1-line block ×5, first 2 shown]
	v_mov_b32_e32 v9, v29
.LBB18_148:
	s_or_b64 exec, exec, s[0:1]
	v_lshl_add_u32 v0, v89, 2, v86
	s_barrier
	ds_write_b32 v0, v9
	s_waitcnt lgkmcnt(0)
	s_barrier
	ds_read_b32 v4, v86 offset:36
	s_cmp_lt_i32 s22, 11
	v_mov_b32_e32 v0, 9
	s_cbranch_scc1 .LBB18_151
; %bb.149:
	v_add3_u32 v1, v87, 0, 40
	v_mov_b32_e32 v0, 9
	s_mov_b32 s0, 10
.LBB18_150:                             ; =>This Inner Loop Header: Depth=1
	ds_read_b32 v2, v1
	v_mov_b32_e32 v3, s0
	s_add_i32 s0, s0, 1
	v_add_u32_e32 v1, 4, v1
	s_cmp_lg_u32 s22, s0
	s_waitcnt lgkmcnt(0)
	v_cmp_lt_f32_e64 vcc, |v4|, |v2|
	s_nop 1
	v_cndmask_b32_e32 v4, v4, v2, vcc
	v_cndmask_b32_e32 v0, v0, v3, vcc
	s_cbranch_scc1 .LBB18_150
.LBB18_151:
	s_waitcnt lgkmcnt(0)
	v_cmp_eq_f32_e32 vcc, 0, v4
	s_and_saveexec_b64 s[0:1], vcc
	s_xor_b64 s[0:1], exec, s[0:1]
; %bb.152:
	v_cmp_ne_u32_e32 vcc, 0, v90
	s_nop 1
	v_cndmask_b32_e32 v90, 10, v90, vcc
; %bb.153:
	s_andn2_saveexec_b64 s[0:1], s[0:1]
	s_cbranch_execz .LBB18_155
; %bb.154:
	v_div_scale_f32 v1, s[2:3], v4, v4, 1.0
	v_rcp_f32_e32 v2, v1
	v_div_scale_f32 v3, vcc, 1.0, v4, 1.0
	v_fma_f32 v5, -v1, v2, 1.0
	v_fmac_f32_e32 v2, v5, v2
	v_mul_f32_e32 v5, v3, v2
	v_fma_f32 v6, -v1, v5, v3
	v_fmac_f32_e32 v5, v6, v2
	v_fma_f32 v1, -v1, v5, v3
	v_div_fmas_f32 v1, v1, v2, v5
	v_div_fixup_f32 v4, v1, v4, 1.0
.LBB18_155:
	s_or_b64 exec, exec, s[0:1]
	v_cmp_ne_u32_e32 vcc, v89, v0
	v_mov_b32_e32 v2, 9
	s_and_saveexec_b64 s[0:1], vcc
	s_cbranch_execz .LBB18_161
; %bb.156:
	v_cmp_eq_u32_e32 vcc, 9, v89
	s_and_saveexec_b64 s[2:3], vcc
	s_cbranch_execz .LBB18_160
; %bb.157:
	v_cmp_ne_u32_e32 vcc, 9, v0
	s_xor_b64 s[16:17], s[16:17], -1
	s_and_b64 s[18:19], s[16:17], vcc
	s_and_saveexec_b64 s[16:17], s[18:19]
	s_cbranch_execz .LBB18_159
; %bb.158:
	v_ashrrev_i32_e32 v1, 31, v0
	v_lshl_add_u64 v[2:3], v[0:1], 2, v[84:85]
	global_load_dword v1, v[2:3], off
	global_load_dword v5, v[84:85], off offset:36
	s_waitcnt vmcnt(1)
	global_store_dword v[84:85], v1, off offset:36
	s_waitcnt vmcnt(1)
	global_store_dword v[2:3], v5, off
.LBB18_159:
	s_or_b64 exec, exec, s[16:17]
	v_mov_b32_e32 v88, v0
	v_mov_b32_e32 v89, v0
.LBB18_160:
	s_or_b64 exec, exec, s[2:3]
	v_mov_b32_e32 v2, v89
.LBB18_161:
	s_or_b64 exec, exec, s[0:1]
	v_cmp_gt_i32_e32 vcc, 10, v2
	v_ashrrev_i32_e32 v3, 31, v2
	s_barrier
	s_barrier
	s_and_saveexec_b64 s[0:1], vcc
	s_cbranch_execz .LBB18_163
; %bb.162:
	v_mul_lo_u32 v5, s11, v82
	v_mul_lo_u32 v8, s10, v83
	v_mad_u64_u32 v[6:7], s[2:3], s10, v82, 0
	v_mov_b32_e32 v0, s6
	v_mov_b32_e32 v1, s7
	v_add3_u32 v7, v7, v8, v5
	v_lshl_add_u64 v[0:1], v[6:7], 2, v[0:1]
	v_lshl_add_u64 v[0:1], s[8:9], 2, v[0:1]
	;; [unrolled: 1-line block ×3, first 2 shown]
	v_add3_u32 v5, v88, s15, 1
	global_store_dword v[0:1], v5, off
.LBB18_163:
	s_or_b64 exec, exec, s[0:1]
	v_cmp_eq_u32_e32 vcc, 0, v2
	s_and_saveexec_b64 s[2:3], vcc
	s_cbranch_execz .LBB18_166
; %bb.164:
	v_mov_b32_e32 v0, s4
	v_mov_b32_e32 v1, s5
	v_lshl_add_u64 v[0:1], v[82:83], 2, v[0:1]
	global_load_dword v5, v[0:1], off
	v_cmp_ne_u32_e64 s[0:1], 0, v90
	s_waitcnt vmcnt(0)
	v_cmp_eq_u32_e32 vcc, 0, v5
	s_and_b64 s[0:1], vcc, s[0:1]
	s_and_b64 exec, exec, s[0:1]
	s_cbranch_execz .LBB18_166
; %bb.165:
	v_add_u32_e32 v5, s15, v90
	global_store_dword v[0:1], v5, off
.LBB18_166:
	s_or_b64 exec, exec, s[2:3]
	v_mul_f32_e32 v0, v9, v4
	v_cmp_lt_i32_e32 vcc, 9, v2
	s_nop 1
	v_cndmask_b32_e32 v4, v19, v0, vcc
	v_lshl_add_u64 v[0:1], v[2:3], 2, v[80:81]
	global_store_dword v[0:1], v10, off
	v_lshl_add_u64 v[0:1], s[12:13], 2, v[0:1]
	global_store_dword v[0:1], v11, off
	v_add_u32_e32 v0, s14, v2
	v_ashrrev_i32_e32 v1, 31, v0
	v_lshl_add_u64 v[2:3], v[0:1], 2, v[80:81]
	v_add_u32_e32 v0, s12, v0
	v_ashrrev_i32_e32 v1, 31, v0
	global_store_dword v[2:3], v12, off
	v_lshl_add_u64 v[2:3], v[0:1], 2, v[80:81]
	v_add_u32_e32 v0, s12, v0
	v_ashrrev_i32_e32 v1, 31, v0
	global_store_dword v[2:3], v13, off
	;; [unrolled: 4-line block ×6, first 2 shown]
	v_lshl_add_u64 v[2:3], v[0:1], 2, v[80:81]
	v_add_u32_e32 v0, s12, v0
	v_ashrrev_i32_e32 v1, 31, v0
	v_lshl_add_u64 v[0:1], v[0:1], 2, v[80:81]
	global_store_dword v[2:3], v18, off
	global_store_dword v[0:1], v4, off
.LBB18_167:
	s_endpgm
	.section	.rodata,"a",@progbits
	.p2align	6, 0x0
	.amdhsa_kernel _ZN9rocsolver6v33100L18getf2_small_kernelILi10EfiiPfEEvT1_T3_lS3_lPS3_llPT2_S3_S3_S5_l
		.amdhsa_group_segment_fixed_size 0
		.amdhsa_private_segment_fixed_size 0
		.amdhsa_kernarg_size 352
		.amdhsa_user_sgpr_count 2
		.amdhsa_user_sgpr_dispatch_ptr 0
		.amdhsa_user_sgpr_queue_ptr 0
		.amdhsa_user_sgpr_kernarg_segment_ptr 1
		.amdhsa_user_sgpr_dispatch_id 0
		.amdhsa_user_sgpr_kernarg_preload_length 0
		.amdhsa_user_sgpr_kernarg_preload_offset 0
		.amdhsa_user_sgpr_private_segment_size 0
		.amdhsa_uses_dynamic_stack 0
		.amdhsa_enable_private_segment 0
		.amdhsa_system_sgpr_workgroup_id_x 1
		.amdhsa_system_sgpr_workgroup_id_y 1
		.amdhsa_system_sgpr_workgroup_id_z 0
		.amdhsa_system_sgpr_workgroup_info 0
		.amdhsa_system_vgpr_workitem_id 1
		.amdhsa_next_free_vgpr 98
		.amdhsa_next_free_sgpr 26
		.amdhsa_accum_offset 100
		.amdhsa_reserve_vcc 1
		.amdhsa_float_round_mode_32 0
		.amdhsa_float_round_mode_16_64 0
		.amdhsa_float_denorm_mode_32 3
		.amdhsa_float_denorm_mode_16_64 3
		.amdhsa_dx10_clamp 1
		.amdhsa_ieee_mode 1
		.amdhsa_fp16_overflow 0
		.amdhsa_tg_split 0
		.amdhsa_exception_fp_ieee_invalid_op 0
		.amdhsa_exception_fp_denorm_src 0
		.amdhsa_exception_fp_ieee_div_zero 0
		.amdhsa_exception_fp_ieee_overflow 0
		.amdhsa_exception_fp_ieee_underflow 0
		.amdhsa_exception_fp_ieee_inexact 0
		.amdhsa_exception_int_div_zero 0
	.end_amdhsa_kernel
	.section	.text._ZN9rocsolver6v33100L18getf2_small_kernelILi10EfiiPfEEvT1_T3_lS3_lPS3_llPT2_S3_S3_S5_l,"axG",@progbits,_ZN9rocsolver6v33100L18getf2_small_kernelILi10EfiiPfEEvT1_T3_lS3_lPS3_llPT2_S3_S3_S5_l,comdat
.Lfunc_end18:
	.size	_ZN9rocsolver6v33100L18getf2_small_kernelILi10EfiiPfEEvT1_T3_lS3_lPS3_llPT2_S3_S3_S5_l, .Lfunc_end18-_ZN9rocsolver6v33100L18getf2_small_kernelILi10EfiiPfEEvT1_T3_lS3_lPS3_llPT2_S3_S3_S5_l
                                        ; -- End function
	.set _ZN9rocsolver6v33100L18getf2_small_kernelILi10EfiiPfEEvT1_T3_lS3_lPS3_llPT2_S3_S3_S5_l.num_vgpr, 98
	.set _ZN9rocsolver6v33100L18getf2_small_kernelILi10EfiiPfEEvT1_T3_lS3_lPS3_llPT2_S3_S3_S5_l.num_agpr, 0
	.set _ZN9rocsolver6v33100L18getf2_small_kernelILi10EfiiPfEEvT1_T3_lS3_lPS3_llPT2_S3_S3_S5_l.numbered_sgpr, 26
	.set _ZN9rocsolver6v33100L18getf2_small_kernelILi10EfiiPfEEvT1_T3_lS3_lPS3_llPT2_S3_S3_S5_l.num_named_barrier, 0
	.set _ZN9rocsolver6v33100L18getf2_small_kernelILi10EfiiPfEEvT1_T3_lS3_lPS3_llPT2_S3_S3_S5_l.private_seg_size, 0
	.set _ZN9rocsolver6v33100L18getf2_small_kernelILi10EfiiPfEEvT1_T3_lS3_lPS3_llPT2_S3_S3_S5_l.uses_vcc, 1
	.set _ZN9rocsolver6v33100L18getf2_small_kernelILi10EfiiPfEEvT1_T3_lS3_lPS3_llPT2_S3_S3_S5_l.uses_flat_scratch, 0
	.set _ZN9rocsolver6v33100L18getf2_small_kernelILi10EfiiPfEEvT1_T3_lS3_lPS3_llPT2_S3_S3_S5_l.has_dyn_sized_stack, 0
	.set _ZN9rocsolver6v33100L18getf2_small_kernelILi10EfiiPfEEvT1_T3_lS3_lPS3_llPT2_S3_S3_S5_l.has_recursion, 0
	.set _ZN9rocsolver6v33100L18getf2_small_kernelILi10EfiiPfEEvT1_T3_lS3_lPS3_llPT2_S3_S3_S5_l.has_indirect_call, 0
	.section	.AMDGPU.csdata,"",@progbits
; Kernel info:
; codeLenInByte = 6776
; TotalNumSgprs: 32
; NumVgprs: 98
; NumAgprs: 0
; TotalNumVgprs: 98
; ScratchSize: 0
; MemoryBound: 0
; FloatMode: 240
; IeeeMode: 1
; LDSByteSize: 0 bytes/workgroup (compile time only)
; SGPRBlocks: 3
; VGPRBlocks: 12
; NumSGPRsForWavesPerEU: 32
; NumVGPRsForWavesPerEU: 98
; AccumOffset: 100
; Occupancy: 4
; WaveLimiterHint : 0
; COMPUTE_PGM_RSRC2:SCRATCH_EN: 0
; COMPUTE_PGM_RSRC2:USER_SGPR: 2
; COMPUTE_PGM_RSRC2:TRAP_HANDLER: 0
; COMPUTE_PGM_RSRC2:TGID_X_EN: 1
; COMPUTE_PGM_RSRC2:TGID_Y_EN: 1
; COMPUTE_PGM_RSRC2:TGID_Z_EN: 0
; COMPUTE_PGM_RSRC2:TIDIG_COMP_CNT: 1
; COMPUTE_PGM_RSRC3_GFX90A:ACCUM_OFFSET: 24
; COMPUTE_PGM_RSRC3_GFX90A:TG_SPLIT: 0
	.section	.text._ZN9rocsolver6v33100L23getf2_npvt_small_kernelILi10EfiiPfEEvT1_T3_lS3_lPT2_S3_S3_,"axG",@progbits,_ZN9rocsolver6v33100L23getf2_npvt_small_kernelILi10EfiiPfEEvT1_T3_lS3_lPT2_S3_S3_,comdat
	.globl	_ZN9rocsolver6v33100L23getf2_npvt_small_kernelILi10EfiiPfEEvT1_T3_lS3_lPT2_S3_S3_ ; -- Begin function _ZN9rocsolver6v33100L23getf2_npvt_small_kernelILi10EfiiPfEEvT1_T3_lS3_lPT2_S3_S3_
	.p2align	8
	.type	_ZN9rocsolver6v33100L23getf2_npvt_small_kernelILi10EfiiPfEEvT1_T3_lS3_lPT2_S3_S3_,@function
_ZN9rocsolver6v33100L23getf2_npvt_small_kernelILi10EfiiPfEEvT1_T3_lS3_lPT2_S3_S3_: ; @_ZN9rocsolver6v33100L23getf2_npvt_small_kernelILi10EfiiPfEEvT1_T3_lS3_lPT2_S3_S3_
; %bb.0:
	s_load_dword s2, s[0:1], 0x44
	s_load_dwordx2 s[18:19], s[0:1], 0x30
	v_bfe_u32 v10, v0, 10, 10
	s_waitcnt lgkmcnt(0)
	s_lshr_b32 s2, s2, 16
	s_mul_i32 s3, s3, s2
	v_add_u32_e32 v90, s3, v10
	v_cmp_gt_i32_e32 vcc, s18, v90
	s_and_saveexec_b64 s[4:5], vcc
	s_cbranch_execz .LBB19_53
; %bb.1:
	s_load_dwordx4 s[8:11], s[0:1], 0x8
	s_load_dword s12, s[0:1], 0x18
	s_load_dwordx4 s[4:7], s[0:1], 0x20
	v_ashrrev_i32_e32 v91, 31, v90
	v_and_b32_e32 v102, 0x3ff, v0
	s_waitcnt lgkmcnt(0)
	v_mov_b32_e32 v2, s8
	v_mov_b32_e32 v3, s9
	v_mul_lo_u32 v4, s5, v90
	v_mul_lo_u32 v5, s4, v91
	v_mad_u64_u32 v[0:1], s[0:1], s4, v90, 0
	v_add3_u32 v1, v1, v5, v4
	v_lshl_add_u64 v[0:1], v[0:1], 2, v[2:3]
	v_lshl_add_u64 v[8:9], s[10:11], 2, v[0:1]
	v_lshlrev_b32_e32 v0, 2, v102
	v_mov_b32_e32 v1, 0
	s_add_i32 s0, s12, s12
	v_lshl_add_u64 v[80:81], v[8:9], 0, v[0:1]
	v_add_u32_e32 v0, s0, v102
	v_ashrrev_i32_e32 v1, 31, v0
	v_lshl_add_u64 v[84:85], v[0:1], 2, v[8:9]
	v_add_u32_e32 v0, s12, v0
	v_ashrrev_i32_e32 v1, 31, v0
	;; [unrolled: 3-line block ×4, first 2 shown]
	v_lshl_add_u64 v[92:93], v[0:1], 2, v[8:9]
	v_add_u32_e32 v0, s12, v0
	v_add_u32_e32 v12, s12, v0
	s_ashr_i32 s13, s12, 31
	v_ashrrev_i32_e32 v1, 31, v0
	v_ashrrev_i32_e32 v13, 31, v12
	v_lshl_add_u64 v[82:83], s[12:13], 2, v[80:81]
	v_lshl_add_u64 v[94:95], v[0:1], 2, v[8:9]
	;; [unrolled: 1-line block ×3, first 2 shown]
	global_load_dword v0, v[80:81], off
	global_load_dword v1, v[82:83], off
	;; [unrolled: 1-line block ×8, first 2 shown]
	v_add_u32_e32 v12, s12, v12
	v_ashrrev_i32_e32 v13, 31, v12
	v_lshl_add_u64 v[98:99], v[12:13], 2, v[8:9]
	v_add_u32_e32 v12, s12, v12
	v_ashrrev_i32_e32 v13, 31, v12
	v_lshl_add_u64 v[100:101], v[12:13], 2, v[8:9]
	global_load_dword v8, v[98:99], off
	global_load_dword v9, v[100:101], off
	s_mul_i32 s2, s2, 40
	v_mul_u32_u24_e32 v11, 40, v10
	s_add_i32 s0, s2, 0
	v_lshl_add_u32 v103, v10, 2, s0
	v_cmp_ne_u32_e64 s[2:3], 0, v102
	v_cmp_eq_u32_e64 s[0:1], 0, v102
	v_add_u32_e32 v105, 0, v11
	s_and_saveexec_b64 s[4:5], s[0:1]
	s_cbranch_execz .LBB19_4
; %bb.2:
	s_waitcnt vmcnt(9)
	ds_write_b32 v103, v0
	s_waitcnt vmcnt(7)
	ds_write2_b32 v105, v1, v2 offset0:1 offset1:2
	s_waitcnt vmcnt(5)
	ds_write2_b32 v105, v3, v4 offset0:3 offset1:4
	;; [unrolled: 2-line block ×4, first 2 shown]
	s_waitcnt vmcnt(0)
	ds_write_b32 v105, v9 offset:36
	ds_read_b32 v10, v103
	s_waitcnt lgkmcnt(0)
	v_cmp_neq_f32_e32 vcc, 0, v10
	s_and_b64 exec, exec, vcc
	s_cbranch_execz .LBB19_4
; %bb.3:
	v_div_scale_f32 v11, s[8:9], v10, v10, 1.0
	v_rcp_f32_e32 v12, v11
	v_div_scale_f32 v13, vcc, 1.0, v10, 1.0
	v_fma_f32 v14, -v11, v12, 1.0
	v_fmac_f32_e32 v12, v14, v12
	v_mul_f32_e32 v14, v13, v12
	v_fma_f32 v15, -v11, v14, v13
	v_fmac_f32_e32 v14, v15, v12
	v_fma_f32 v11, -v11, v14, v13
	v_div_fmas_f32 v11, v11, v12, v14
	v_div_fixup_f32 v10, v11, v10, 1.0
	ds_write_b32 v103, v10
.LBB19_4:
	s_or_b64 exec, exec, s[4:5]
	s_waitcnt lgkmcnt(0)
	s_barrier
	ds_read_b32 v104, v103
	s_waitcnt vmcnt(0)
	v_mov_b64_e32 v[18:19], v[8:9]
	v_mov_b64_e32 v[28:29], v[8:9]
	;; [unrolled: 1-line block ×35, first 2 shown]
	s_and_saveexec_b64 s[4:5], s[2:3]
	s_cbranch_execz .LBB19_6
; %bb.5:
	ds_read2_b32 v[12:13], v105 offset0:1 offset1:2
	ds_read2_b32 v[14:15], v105 offset0:3 offset1:4
	;; [unrolled: 1-line block ×4, first 2 shown]
	s_waitcnt lgkmcnt(4)
	v_mul_f32_e32 v10, v0, v104
	v_mov_b32_e32 v0, v1
	v_mov_b32_e32 v1, v2
	ds_read_b32 v2, v105 offset:36
	s_waitcnt lgkmcnt(4)
	v_pk_fma_f32 v[106:107], v[10:11], v[12:13], v[0:1] op_sel_hi:[0,1,1] neg_lo:[1,0,0] neg_hi:[1,0,0]
	v_mov_b32_e32 v0, v3
	v_mov_b32_e32 v1, v4
	s_waitcnt lgkmcnt(3)
	v_pk_fma_f32 v[108:109], v[10:11], v[14:15], v[0:1] op_sel_hi:[0,1,1] neg_lo:[1,0,0] neg_hi:[1,0,0]
	v_mov_b32_e32 v0, v5
	v_mov_b32_e32 v1, v6
	;; [unrolled: 4-line block ×3, first 2 shown]
	s_waitcnt lgkmcnt(1)
	v_pk_fma_f32 v[112:113], v[10:11], v[18:19], v[0:1] op_sel_hi:[0,1,1] neg_lo:[1,0,0] neg_hi:[1,0,0]
	s_waitcnt lgkmcnt(0)
	v_fma_f32 v19, -v10, v2, v9
	v_mov_b32_e32 v18, v113
	v_mov_b32_e32 v11, v106
	;; [unrolled: 1-line block ×8, first 2 shown]
	v_mov_b64_e32 v[28:29], v[18:19]
	v_mov_b64_e32 v[38:39], v[18:19]
	;; [unrolled: 1-line block ×30, first 2 shown]
	v_mov_b32_e32 v1, v106
	v_mov_b32_e32 v2, v107
	;; [unrolled: 1-line block ×9, first 2 shown]
.LBB19_6:
	s_or_b64 exec, exec, s[4:5]
	v_cmp_eq_u32_e32 vcc, 1, v102
	s_waitcnt lgkmcnt(0)
	s_barrier
	s_and_saveexec_b64 s[2:3], vcc
	s_cbranch_execz .LBB19_9
; %bb.7:
	ds_write_b32 v103, v1
	ds_write2_b64 v105, v[12:13], v[14:15] offset0:1 offset1:2
	ds_write2_b64 v105, v[16:17], v[18:19] offset0:3 offset1:4
	ds_read_b32 v0, v103
	s_waitcnt lgkmcnt(0)
	v_cmp_neq_f32_e32 vcc, 0, v0
	s_and_b64 exec, exec, vcc
	s_cbranch_execz .LBB19_9
; %bb.8:
	v_div_scale_f32 v28, s[4:5], v0, v0, 1.0
	v_rcp_f32_e32 v29, v28
	v_div_scale_f32 v37, vcc, 1.0, v0, 1.0
	v_fma_f32 v46, -v28, v29, 1.0
	v_fmac_f32_e32 v29, v46, v29
	v_mul_f32_e32 v46, v37, v29
	v_fma_f32 v55, -v28, v46, v37
	v_fmac_f32_e32 v46, v55, v29
	v_fma_f32 v28, -v28, v46, v37
	v_div_fmas_f32 v28, v28, v29, v46
	v_div_fixup_f32 v0, v28, v0, 1.0
	ds_write_b32 v103, v0
.LBB19_9:
	s_or_b64 exec, exec, s[2:3]
	s_waitcnt lgkmcnt(0)
	s_barrier
	ds_read_b32 v106, v103
	v_cmp_lt_u32_e32 vcc, 1, v102
	s_and_saveexec_b64 s[2:3], vcc
	s_cbranch_execz .LBB19_11
; %bb.10:
	ds_read2_b64 v[2:5], v105 offset0:1 offset1:2
	ds_read2_b64 v[6:9], v105 offset0:3 offset1:4
	v_mov_b64_e32 v[78:79], v[18:19]
	s_waitcnt lgkmcnt(2)
	v_mul_f32_e32 v0, v1, v106
	v_mov_b64_e32 v[70:71], v[10:11]
	s_waitcnt lgkmcnt(1)
	v_pk_fma_f32 v[2:3], v[0:1], v[2:3], v[12:13] op_sel_hi:[0,1,1] neg_lo:[1,0,0] neg_hi:[1,0,0]
	v_mov_b64_e32 v[72:73], v[12:13]
	v_mov_b32_e32 v71, v0
	v_mov_b64_e32 v[76:77], v[16:17]
	v_mov_b64_e32 v[74:75], v[14:15]
	v_mov_b32_e32 v72, v2
	v_mov_b64_e32 v[60:61], v[70:71]
	v_mov_b64_e32 v[62:63], v[72:73]
	;; [unrolled: 1-line block ×5, first 2 shown]
	v_mov_b32_e32 v63, v3
	v_mov_b64_e32 v[50:51], v[60:61]
	v_pk_fma_f32 v[4:5], v[0:1], v[4:5], v[14:15] op_sel_hi:[0,1,1] neg_lo:[1,0,0] neg_hi:[1,0,0]
	v_mov_b64_e32 v[54:55], v[64:65]
	v_mov_b64_e32 v[52:53], v[62:63]
	;; [unrolled: 1-line block ×4, first 2 shown]
	v_mov_b32_e32 v54, v4
	v_mov_b64_e32 v[40:41], v[50:51]
	v_mov_b64_e32 v[44:45], v[54:55]
	;; [unrolled: 1-line block ×5, first 2 shown]
	v_mov_b32_e32 v45, v5
	v_mov_b64_e32 v[30:31], v[40:41]
	s_waitcnt lgkmcnt(0)
	v_pk_fma_f32 v[6:7], v[0:1], v[6:7], v[16:17] op_sel_hi:[0,1,1] neg_lo:[1,0,0] neg_hi:[1,0,0]
	v_mov_b64_e32 v[36:37], v[46:47]
	v_mov_b64_e32 v[32:33], v[42:43]
	;; [unrolled: 1-line block ×4, first 2 shown]
	v_mov_b32_e32 v36, v6
	v_mov_b64_e32 v[20:21], v[30:31]
	v_mov_b64_e32 v[26:27], v[36:37]
	v_pk_fma_f32 v[8:9], v[0:1], v[8:9], v[18:19] op_sel_hi:[0,1,1] neg_lo:[1,0,0] neg_hi:[1,0,0]
	v_mov_b64_e32 v[22:23], v[32:33]
	v_mov_b64_e32 v[24:25], v[34:35]
	;; [unrolled: 1-line block ×3, first 2 shown]
	v_mov_b32_e32 v27, v7
	v_mov_b64_e32 v[10:11], v[20:21]
	v_mov_b64_e32 v[18:19], v[28:29]
	;; [unrolled: 1-line block ×5, first 2 shown]
	v_mov_b32_e32 v18, v8
	v_mov_b32_e32 v19, v9
.LBB19_11:
	s_or_b64 exec, exec, s[2:3]
	v_cmp_eq_u32_e32 vcc, 2, v102
	s_waitcnt lgkmcnt(0)
	s_barrier
	s_and_saveexec_b64 s[2:3], vcc
	s_cbranch_execz .LBB19_14
; %bb.12:
	ds_write_b32 v103, v2
	ds_write2_b32 v105, v13, v14 offset0:3 offset1:4
	ds_write2_b32 v105, v15, v16 offset0:5 offset1:6
	;; [unrolled: 1-line block ×3, first 2 shown]
	ds_write_b32 v105, v9 offset:36
	ds_read_b32 v0, v103
	s_waitcnt lgkmcnt(0)
	v_cmp_neq_f32_e32 vcc, 0, v0
	s_and_b64 exec, exec, vcc
	s_cbranch_execz .LBB19_14
; %bb.13:
	v_div_scale_f32 v1, s[4:5], v0, v0, 1.0
	v_rcp_f32_e32 v28, v1
	v_div_scale_f32 v29, vcc, 1.0, v0, 1.0
	v_fma_f32 v37, -v1, v28, 1.0
	v_fmac_f32_e32 v28, v37, v28
	v_mul_f32_e32 v37, v29, v28
	v_fma_f32 v46, -v1, v37, v29
	v_fmac_f32_e32 v37, v46, v28
	v_fma_f32 v1, -v1, v37, v29
	v_div_fmas_f32 v1, v1, v28, v37
	v_div_fixup_f32 v0, v1, v0, 1.0
	ds_write_b32 v103, v0
.LBB19_14:
	s_or_b64 exec, exec, s[2:3]
	s_waitcnt lgkmcnt(0)
	s_barrier
	ds_read_b32 v107, v103
	v_cmp_lt_u32_e32 vcc, 2, v102
	s_and_saveexec_b64 s[2:3], vcc
	s_cbranch_execz .LBB19_16
; %bb.15:
	ds_read2_b32 v[0:1], v105 offset0:3 offset1:4
	s_waitcnt lgkmcnt(1)
	v_mul_f32_e32 v72, v2, v107
	v_mov_b32_e32 v2, v13
	v_mov_b32_e32 v3, v14
	v_mov_b64_e32 v[60:61], v[70:71]
	s_waitcnt lgkmcnt(0)
	v_pk_fma_f32 v[0:1], v[72:73], v[0:1], v[2:3] op_sel_hi:[0,1,1] neg_lo:[1,0,0] neg_hi:[1,0,0]
	v_mov_b64_e32 v[62:63], v[72:73]
	ds_read2_b32 v[4:5], v105 offset0:5 offset1:6
	ds_read2_b32 v[6:7], v105 offset0:7 offset1:8
	ds_read_b32 v8, v105 offset:36
	v_mov_b64_e32 v[64:65], v[74:75]
	v_mov_b64_e32 v[66:67], v[76:77]
	;; [unrolled: 1-line block ×3, first 2 shown]
	v_mov_b32_e32 v63, v0
	v_mov_b64_e32 v[50:51], v[60:61]
	v_mov_b64_e32 v[54:55], v[64:65]
	v_mov_b32_e32 v2, v15
	v_mov_b32_e32 v3, v16
	v_mov_b64_e32 v[52:53], v[62:63]
	v_mov_b64_e32 v[56:57], v[66:67]
	;; [unrolled: 1-line block ×3, first 2 shown]
	v_mov_b32_e32 v54, v1
	v_mov_b64_e32 v[40:41], v[50:51]
	s_waitcnt lgkmcnt(2)
	v_pk_fma_f32 v[108:109], v[72:73], v[4:5], v[2:3] op_sel_hi:[0,1,1] neg_lo:[1,0,0] neg_hi:[1,0,0]
	v_mov_b64_e32 v[44:45], v[54:55]
	v_mov_b64_e32 v[42:43], v[52:53]
	v_mov_b64_e32 v[46:47], v[56:57]
	v_mov_b64_e32 v[48:49], v[58:59]
	v_mov_b32_e32 v45, v108
	v_mov_b64_e32 v[30:31], v[40:41]
	v_mov_b64_e32 v[36:37], v[46:47]
	v_mov_b32_e32 v2, v17
	v_mov_b32_e32 v3, v18
	v_mov_b64_e32 v[32:33], v[42:43]
	v_mov_b64_e32 v[34:35], v[44:45]
	;; [unrolled: 1-line block ×3, first 2 shown]
	v_mov_b32_e32 v36, v109
	v_mov_b64_e32 v[20:21], v[30:31]
	s_waitcnt lgkmcnt(1)
	v_pk_fma_f32 v[110:111], v[72:73], v[6:7], v[2:3] op_sel_hi:[0,1,1] neg_lo:[1,0,0] neg_hi:[1,0,0]
	v_mov_b64_e32 v[26:27], v[36:37]
	v_mov_b64_e32 v[22:23], v[32:33]
	;; [unrolled: 1-line block ×4, first 2 shown]
	v_mov_b32_e32 v27, v110
	v_mov_b64_e32 v[10:11], v[20:21]
	s_waitcnt lgkmcnt(0)
	v_fma_f32 v9, -v72, v8, v9
	v_mov_b64_e32 v[18:19], v[28:29]
	v_mov_b64_e32 v[12:13], v[22:23]
	;; [unrolled: 1-line block ×4, first 2 shown]
	v_mov_b32_e32 v18, v111
	v_mov_b32_e32 v19, v9
	;; [unrolled: 1-line block ×8, first 2 shown]
.LBB19_16:
	s_or_b64 exec, exec, s[2:3]
	v_cmp_eq_u32_e32 vcc, 3, v102
	s_waitcnt lgkmcnt(0)
	s_barrier
	s_and_saveexec_b64 s[2:3], vcc
	s_cbranch_execz .LBB19_19
; %bb.17:
	ds_write_b32 v103, v3
	ds_write2_b64 v105, v[14:15], v[16:17] offset0:2 offset1:3
	ds_write_b64 v105, v[18:19] offset:32
	ds_read_b32 v0, v103
	s_waitcnt lgkmcnt(0)
	v_cmp_neq_f32_e32 vcc, 0, v0
	s_and_b64 exec, exec, vcc
	s_cbranch_execz .LBB19_19
; %bb.18:
	v_div_scale_f32 v1, s[4:5], v0, v0, 1.0
	v_rcp_f32_e32 v2, v1
	v_div_scale_f32 v28, vcc, 1.0, v0, 1.0
	v_fma_f32 v29, -v1, v2, 1.0
	v_fmac_f32_e32 v2, v29, v2
	v_mul_f32_e32 v29, v28, v2
	v_fma_f32 v37, -v1, v29, v28
	v_fmac_f32_e32 v29, v37, v2
	v_fma_f32 v1, -v1, v29, v28
	v_div_fmas_f32 v1, v1, v2, v29
	v_div_fixup_f32 v0, v1, v0, 1.0
	ds_write_b32 v103, v0
.LBB19_19:
	s_or_b64 exec, exec, s[2:3]
	s_waitcnt lgkmcnt(0)
	s_barrier
	ds_read_b32 v2, v103
	v_cmp_lt_u32_e32 vcc, 3, v102
	s_and_saveexec_b64 s[2:3], vcc
	s_cbranch_execz .LBB19_21
; %bb.20:
	ds_read2_b64 v[4:7], v105 offset0:2 offset1:3
	ds_read_b64 v[0:1], v105 offset:32
	s_waitcnt lgkmcnt(2)
	v_mul_f32_e32 v10, v3, v2
	v_mov_b32_e32 v73, v10
	v_mov_b64_e32 v[50:51], v[70:71]
	s_waitcnt lgkmcnt(1)
	v_pk_fma_f32 v[4:5], v[10:11], v[4:5], v[14:15] op_sel_hi:[0,1,1] neg_lo:[1,0,0] neg_hi:[1,0,0]
	v_mov_b64_e32 v[54:55], v[74:75]
	v_mov_b64_e32 v[52:53], v[72:73]
	;; [unrolled: 1-line block ×4, first 2 shown]
	v_mov_b32_e32 v54, v4
	v_mov_b64_e32 v[40:41], v[50:51]
	v_mov_b64_e32 v[44:45], v[54:55]
	;; [unrolled: 1-line block ×5, first 2 shown]
	v_mov_b32_e32 v45, v5
	v_mov_b64_e32 v[30:31], v[40:41]
	v_pk_fma_f32 v[6:7], v[10:11], v[6:7], v[16:17] op_sel_hi:[0,1,1] neg_lo:[1,0,0] neg_hi:[1,0,0]
	v_mov_b64_e32 v[36:37], v[46:47]
	v_mov_b64_e32 v[32:33], v[42:43]
	;; [unrolled: 1-line block ×4, first 2 shown]
	v_mov_b32_e32 v36, v6
	v_mov_b64_e32 v[20:21], v[30:31]
	v_mov_b64_e32 v[26:27], v[36:37]
	s_waitcnt lgkmcnt(0)
	v_pk_fma_f32 v[8:9], v[10:11], v[0:1], v[18:19] op_sel_hi:[0,1,1] neg_lo:[1,0,0] neg_hi:[1,0,0]
	v_mov_b64_e32 v[22:23], v[32:33]
	v_mov_b64_e32 v[24:25], v[34:35]
	v_mov_b64_e32 v[28:29], v[38:39]
	v_mov_b32_e32 v27, v7
	v_mov_b64_e32 v[10:11], v[20:21]
	v_mov_b64_e32 v[18:19], v[28:29]
	;; [unrolled: 1-line block ×6, first 2 shown]
	v_mov_b32_e32 v18, v8
	v_mov_b32_e32 v19, v9
	v_mov_b64_e32 v[62:63], v[72:73]
	v_mov_b64_e32 v[64:65], v[74:75]
	;; [unrolled: 1-line block ×4, first 2 shown]
.LBB19_21:
	s_or_b64 exec, exec, s[2:3]
	v_cmp_eq_u32_e32 vcc, 4, v102
	s_waitcnt lgkmcnt(0)
	s_barrier
	s_and_saveexec_b64 s[2:3], vcc
	s_cbranch_execz .LBB19_24
; %bb.22:
	ds_write_b32 v103, v4
	ds_write2_b32 v105, v15, v16 offset0:5 offset1:6
	ds_write2_b32 v105, v17, v18 offset0:7 offset1:8
	ds_write_b32 v105, v9 offset:36
	ds_read_b32 v0, v103
	s_waitcnt lgkmcnt(0)
	v_cmp_neq_f32_e32 vcc, 0, v0
	s_and_b64 exec, exec, vcc
	s_cbranch_execz .LBB19_24
; %bb.23:
	v_div_scale_f32 v1, s[4:5], v0, v0, 1.0
	v_rcp_f32_e32 v3, v1
	v_div_scale_f32 v28, vcc, 1.0, v0, 1.0
	v_fma_f32 v29, -v1, v3, 1.0
	v_fmac_f32_e32 v3, v29, v3
	v_mul_f32_e32 v29, v28, v3
	v_fma_f32 v37, -v1, v29, v28
	v_fmac_f32_e32 v29, v37, v3
	v_fma_f32 v1, -v1, v29, v28
	v_div_fmas_f32 v1, v1, v3, v29
	v_div_fixup_f32 v0, v1, v0, 1.0
	ds_write_b32 v103, v0
.LBB19_24:
	s_or_b64 exec, exec, s[2:3]
	s_waitcnt lgkmcnt(0)
	s_barrier
	ds_read_b32 v3, v103
	v_cmp_lt_u32_e32 vcc, 4, v102
	s_and_saveexec_b64 s[2:3], vcc
	s_cbranch_execz .LBB19_26
; %bb.25:
	ds_read2_b32 v[0:1], v105 offset0:5 offset1:6
	s_waitcnt lgkmcnt(1)
	v_mul_f32_e32 v64, v4, v3
	v_mov_b32_e32 v4, v15
	v_mov_b32_e32 v5, v16
	v_mov_b64_e32 v[40:41], v[60:61]
	ds_read2_b32 v[6:7], v105 offset0:7 offset1:8
	ds_read_b32 v8, v105 offset:36
	s_waitcnt lgkmcnt(2)
	v_pk_fma_f32 v[0:1], v[64:65], v[0:1], v[4:5] op_sel_hi:[0,1,1] neg_lo:[1,0,0] neg_hi:[1,0,0]
	v_mov_b64_e32 v[44:45], v[64:65]
	v_mov_b64_e32 v[42:43], v[62:63]
	;; [unrolled: 1-line block ×4, first 2 shown]
	v_mov_b32_e32 v45, v0
	v_mov_b64_e32 v[30:31], v[40:41]
	v_mov_b64_e32 v[36:37], v[46:47]
	v_mov_b32_e32 v4, v17
	v_mov_b32_e32 v5, v18
	v_mov_b64_e32 v[32:33], v[42:43]
	v_mov_b64_e32 v[34:35], v[44:45]
	;; [unrolled: 1-line block ×3, first 2 shown]
	v_mov_b32_e32 v36, v1
	v_mov_b64_e32 v[20:21], v[30:31]
	s_waitcnt lgkmcnt(1)
	v_pk_fma_f32 v[70:71], v[64:65], v[6:7], v[4:5] op_sel_hi:[0,1,1] neg_lo:[1,0,0] neg_hi:[1,0,0]
	v_mov_b64_e32 v[26:27], v[36:37]
	v_mov_b64_e32 v[22:23], v[32:33]
	v_mov_b64_e32 v[24:25], v[34:35]
	v_mov_b64_e32 v[28:29], v[38:39]
	v_mov_b32_e32 v27, v70
	v_mov_b64_e32 v[10:11], v[20:21]
	s_waitcnt lgkmcnt(0)
	v_fma_f32 v9, -v64, v8, v9
	v_mov_b64_e32 v[18:19], v[28:29]
	v_mov_b64_e32 v[50:51], v[60:61]
	;; [unrolled: 1-line block ×5, first 2 shown]
	v_mov_b32_e32 v18, v71
	v_mov_b32_e32 v19, v9
	v_mov_b64_e32 v[52:53], v[62:63]
	v_mov_b64_e32 v[54:55], v[64:65]
	;; [unrolled: 1-line block ×4, first 2 shown]
	v_mov_b32_e32 v5, v0
	v_mov_b32_e32 v6, v1
	;; [unrolled: 1-line block ×4, first 2 shown]
.LBB19_26:
	s_or_b64 exec, exec, s[2:3]
	v_cmp_eq_u32_e32 vcc, 5, v102
	s_waitcnt lgkmcnt(0)
	s_barrier
	s_and_saveexec_b64 s[2:3], vcc
	s_cbranch_execz .LBB19_29
; %bb.27:
	ds_write_b32 v103, v5
	ds_write2_b64 v105, v[16:17], v[18:19] offset0:3 offset1:4
	ds_read_b32 v0, v103
	s_waitcnt lgkmcnt(0)
	v_cmp_neq_f32_e32 vcc, 0, v0
	s_and_b64 exec, exec, vcc
	s_cbranch_execz .LBB19_29
; %bb.28:
	v_div_scale_f32 v1, s[4:5], v0, v0, 1.0
	v_rcp_f32_e32 v4, v1
	v_div_scale_f32 v28, vcc, 1.0, v0, 1.0
	v_fma_f32 v29, -v1, v4, 1.0
	v_fmac_f32_e32 v4, v29, v4
	v_mul_f32_e32 v29, v28, v4
	v_fma_f32 v37, -v1, v29, v28
	v_fmac_f32_e32 v29, v37, v4
	v_fma_f32 v1, -v1, v29, v28
	v_div_fmas_f32 v1, v1, v4, v29
	v_div_fixup_f32 v0, v1, v0, 1.0
	ds_write_b32 v103, v0
.LBB19_29:
	s_or_b64 exec, exec, s[2:3]
	s_waitcnt lgkmcnt(0)
	s_barrier
	ds_read_b32 v4, v103
	v_cmp_lt_u32_e32 vcc, 5, v102
	s_and_saveexec_b64 s[2:3], vcc
	s_cbranch_execz .LBB19_31
; %bb.30:
	ds_read2_b64 v[6:9], v105 offset0:3 offset1:4
	s_waitcnt lgkmcnt(1)
	v_mul_f32_e32 v0, v5, v4
	v_mov_b32_e32 v55, v0
	v_mov_b64_e32 v[30:31], v[50:51]
	v_mov_b64_e32 v[36:37], v[56:57]
	s_waitcnt lgkmcnt(0)
	v_pk_fma_f32 v[6:7], v[0:1], v[6:7], v[16:17] op_sel_hi:[0,1,1] neg_lo:[1,0,0] neg_hi:[1,0,0]
	v_mov_b64_e32 v[32:33], v[52:53]
	v_mov_b64_e32 v[34:35], v[54:55]
	;; [unrolled: 1-line block ×3, first 2 shown]
	v_mov_b32_e32 v36, v6
	v_mov_b64_e32 v[20:21], v[30:31]
	v_mov_b64_e32 v[26:27], v[36:37]
	v_pk_fma_f32 v[8:9], v[0:1], v[8:9], v[18:19] op_sel_hi:[0,1,1] neg_lo:[1,0,0] neg_hi:[1,0,0]
	v_mov_b64_e32 v[22:23], v[32:33]
	v_mov_b64_e32 v[24:25], v[34:35]
	;; [unrolled: 1-line block ×3, first 2 shown]
	v_mov_b32_e32 v27, v7
	v_mov_b64_e32 v[10:11], v[20:21]
	v_mov_b64_e32 v[18:19], v[28:29]
	;; [unrolled: 1-line block ×6, first 2 shown]
	v_mov_b32_e32 v18, v8
	v_mov_b32_e32 v19, v9
	v_mov_b64_e32 v[42:43], v[52:53]
	v_mov_b64_e32 v[44:45], v[54:55]
	;; [unrolled: 1-line block ×4, first 2 shown]
.LBB19_31:
	s_or_b64 exec, exec, s[2:3]
	v_cmp_eq_u32_e32 vcc, 6, v102
	s_waitcnt lgkmcnt(0)
	s_barrier
	s_and_saveexec_b64 s[2:3], vcc
	s_cbranch_execz .LBB19_34
; %bb.32:
	ds_write_b32 v103, v6
	ds_write2_b32 v105, v17, v18 offset0:7 offset1:8
	ds_write_b32 v105, v9 offset:36
	ds_read_b32 v0, v103
	s_waitcnt lgkmcnt(0)
	v_cmp_neq_f32_e32 vcc, 0, v0
	s_and_b64 exec, exec, vcc
	s_cbranch_execz .LBB19_34
; %bb.33:
	v_div_scale_f32 v1, s[4:5], v0, v0, 1.0
	v_rcp_f32_e32 v5, v1
	v_div_scale_f32 v28, vcc, 1.0, v0, 1.0
	v_fma_f32 v29, -v1, v5, 1.0
	v_fmac_f32_e32 v5, v29, v5
	v_mul_f32_e32 v29, v28, v5
	v_fma_f32 v37, -v1, v29, v28
	v_fmac_f32_e32 v29, v37, v5
	v_fma_f32 v1, -v1, v29, v28
	v_div_fmas_f32 v1, v1, v5, v29
	v_div_fixup_f32 v0, v1, v0, 1.0
	ds_write_b32 v103, v0
.LBB19_34:
	s_or_b64 exec, exec, s[2:3]
	s_waitcnt lgkmcnt(0)
	s_barrier
	ds_read_b32 v5, v103
	v_cmp_lt_u32_e32 vcc, 6, v102
	s_and_saveexec_b64 s[2:3], vcc
	s_cbranch_execz .LBB19_36
; %bb.35:
	ds_read2_b32 v[0:1], v105 offset0:7 offset1:8
	ds_read_b32 v8, v105 offset:36
	s_waitcnt lgkmcnt(2)
	v_mul_f32_e32 v46, v6, v5
	v_mov_b32_e32 v6, v17
	v_mov_b32_e32 v7, v18
	v_mov_b64_e32 v[20:21], v[40:41]
	s_waitcnt lgkmcnt(1)
	v_pk_fma_f32 v[0:1], v[46:47], v[0:1], v[6:7] op_sel_hi:[0,1,1] neg_lo:[1,0,0] neg_hi:[1,0,0]
	v_mov_b64_e32 v[26:27], v[46:47]
	v_mov_b64_e32 v[22:23], v[42:43]
	v_mov_b64_e32 v[24:25], v[44:45]
	v_mov_b64_e32 v[28:29], v[48:49]
	v_mov_b32_e32 v27, v0
	v_mov_b64_e32 v[10:11], v[20:21]
	s_waitcnt lgkmcnt(0)
	v_fma_f32 v9, -v46, v8, v9
	v_mov_b64_e32 v[18:19], v[28:29]
	v_mov_b64_e32 v[30:31], v[40:41]
	;; [unrolled: 1-line block ×5, first 2 shown]
	v_mov_b32_e32 v18, v1
	v_mov_b32_e32 v19, v9
	v_mov_b64_e32 v[32:33], v[42:43]
	v_mov_b64_e32 v[34:35], v[44:45]
	;; [unrolled: 1-line block ×4, first 2 shown]
	v_mov_b32_e32 v7, v0
	v_mov_b32_e32 v8, v1
.LBB19_36:
	s_or_b64 exec, exec, s[2:3]
	v_cmp_eq_u32_e32 vcc, 7, v102
	s_waitcnt lgkmcnt(0)
	s_barrier
	s_and_saveexec_b64 s[2:3], vcc
	s_cbranch_execz .LBB19_39
; %bb.37:
	ds_write_b32 v103, v7
	ds_write_b64 v105, v[18:19] offset:32
	ds_read_b32 v0, v103
	s_waitcnt lgkmcnt(0)
	v_cmp_neq_f32_e32 vcc, 0, v0
	s_and_b64 exec, exec, vcc
	s_cbranch_execz .LBB19_39
; %bb.38:
	v_div_scale_f32 v1, s[4:5], v0, v0, 1.0
	v_rcp_f32_e32 v6, v1
	v_div_scale_f32 v28, vcc, 1.0, v0, 1.0
	v_fma_f32 v29, -v1, v6, 1.0
	v_fmac_f32_e32 v6, v29, v6
	v_mul_f32_e32 v29, v28, v6
	v_fma_f32 v37, -v1, v29, v28
	v_fmac_f32_e32 v29, v37, v6
	v_fma_f32 v1, -v1, v29, v28
	v_div_fmas_f32 v1, v1, v6, v29
	v_div_fixup_f32 v0, v1, v0, 1.0
	ds_write_b32 v103, v0
.LBB19_39:
	s_or_b64 exec, exec, s[2:3]
	s_waitcnt lgkmcnt(0)
	s_barrier
	ds_read_b32 v6, v103
	v_cmp_lt_u32_e32 vcc, 7, v102
	s_and_saveexec_b64 s[2:3], vcc
	s_cbranch_execz .LBB19_41
; %bb.40:
	ds_read_b64 v[0:1], v105 offset:32
	s_waitcnt lgkmcnt(1)
	v_mul_f32_e32 v8, v7, v6
	v_mov_b32_e32 v37, v8
	v_mov_b64_e32 v[20:21], v[30:31]
	v_mov_b64_e32 v[22:23], v[32:33]
	s_waitcnt lgkmcnt(0)
	v_pk_fma_f32 v[8:9], v[8:9], v[0:1], v[18:19] op_sel_hi:[0,1,1] neg_lo:[1,0,0] neg_hi:[1,0,0]
	v_mov_b64_e32 v[10:11], v[30:31]
	v_mov_b64_e32 v[18:19], v[38:39]
	;; [unrolled: 1-line block ×5, first 2 shown]
	v_mov_b32_e32 v18, v8
	v_mov_b32_e32 v19, v9
	v_mov_b64_e32 v[24:25], v[34:35]
	v_mov_b64_e32 v[26:27], v[36:37]
	;; [unrolled: 1-line block ×3, first 2 shown]
.LBB19_41:
	s_or_b64 exec, exec, s[2:3]
	v_cmp_eq_u32_e32 vcc, 8, v102
	s_waitcnt lgkmcnt(0)
	s_barrier
	s_and_saveexec_b64 s[2:3], vcc
	s_cbranch_execz .LBB19_44
; %bb.42:
	ds_write_b32 v103, v8
	ds_write_b32 v105, v9 offset:36
	ds_read_b32 v0, v103
	s_waitcnt lgkmcnt(0)
	v_cmp_neq_f32_e32 vcc, 0, v0
	s_and_b64 exec, exec, vcc
	s_cbranch_execz .LBB19_44
; %bb.43:
	v_div_scale_f32 v1, s[4:5], v0, v0, 1.0
	v_rcp_f32_e32 v7, v1
	v_div_scale_f32 v28, vcc, 1.0, v0, 1.0
	v_fma_f32 v29, -v1, v7, 1.0
	v_fmac_f32_e32 v7, v29, v7
	v_mul_f32_e32 v29, v28, v7
	v_fma_f32 v30, -v1, v29, v28
	v_fmac_f32_e32 v29, v30, v7
	v_fma_f32 v1, -v1, v29, v28
	v_div_fmas_f32 v1, v1, v7, v29
	v_div_fixup_f32 v0, v1, v0, 1.0
	ds_write_b32 v103, v0
.LBB19_44:
	s_or_b64 exec, exec, s[2:3]
	s_waitcnt lgkmcnt(0)
	s_barrier
	ds_read_b32 v7, v103
	v_cmp_lt_u32_e32 vcc, 8, v102
	s_and_saveexec_b64 s[2:3], vcc
	s_cbranch_execz .LBB19_46
; %bb.45:
	ds_read_b32 v0, v105 offset:36
	s_waitcnt lgkmcnt(1)
	v_mul_f32_e32 v28, v8, v7
	s_waitcnt lgkmcnt(0)
	v_fma_f32 v29, -v28, v0, v9
	v_mov_b64_e32 v[10:11], v[20:21]
	v_mov_b64_e32 v[12:13], v[22:23]
	;; [unrolled: 1-line block ×5, first 2 shown]
	v_mov_b32_e32 v9, v29
.LBB19_46:
	s_or_b64 exec, exec, s[2:3]
	v_cmp_eq_u32_e32 vcc, 9, v102
	s_waitcnt lgkmcnt(0)
	s_barrier
	s_and_saveexec_b64 s[2:3], vcc
	s_cbranch_execz .LBB19_49
; %bb.47:
	v_cmp_neq_f32_e32 vcc, 0, v9
	ds_write_b32 v103, v9
	s_and_b64 exec, exec, vcc
	s_cbranch_execz .LBB19_49
; %bb.48:
	v_div_scale_f32 v0, s[4:5], v9, v9, 1.0
	v_rcp_f32_e32 v1, v0
	v_div_scale_f32 v8, vcc, 1.0, v9, 1.0
	v_fma_f32 v20, -v0, v1, 1.0
	v_fmac_f32_e32 v1, v20, v1
	v_mul_f32_e32 v20, v8, v1
	v_fma_f32 v21, -v0, v20, v8
	v_fmac_f32_e32 v20, v21, v1
	v_fma_f32 v0, -v0, v20, v8
	v_div_fmas_f32 v0, v0, v1, v20
	v_div_fixup_f32 v0, v0, v9, 1.0
	ds_write_b32 v103, v0
.LBB19_49:
	s_or_b64 exec, exec, s[2:3]
	s_waitcnt lgkmcnt(0)
	s_barrier
	ds_read_b32 v8, v103
	s_waitcnt lgkmcnt(0)
	s_barrier
	s_and_saveexec_b64 s[20:21], s[0:1]
	s_cbranch_execz .LBB19_52
; %bb.50:
	v_mov_b32_e32 v0, s6
	v_mov_b32_e32 v1, s7
	v_lshl_add_u64 v[0:1], v[90:91], 2, v[0:1]
	global_load_dword v20, v[0:1], off
	v_cmp_eq_f32_e32 vcc, 0, v104
	v_cmp_neq_f32_e64 s[0:1], 0, v106
	v_cmp_eq_f32_e64 s[4:5], 0, v2
	v_cndmask_b32_e64 v21, 0, 1, vcc
	s_or_b64 vcc, s[0:1], vcc
	v_cndmask_b32_e32 v2, 2, v21, vcc
	v_cmp_eq_f32_e64 s[2:3], 0, v107
	v_cmp_eq_u32_e32 vcc, 0, v2
	s_and_b64 s[0:1], s[2:3], vcc
	v_cndmask_b32_e64 v2, v2, 3, s[0:1]
	v_cmp_eq_u32_e32 vcc, 0, v2
	s_and_b64 s[0:1], s[4:5], vcc
	v_cndmask_b32_e64 v2, v2, 4, s[0:1]
	v_cmp_eq_f32_e64 s[6:7], 0, v3
	v_cmp_eq_u32_e32 vcc, 0, v2
	s_and_b64 s[0:1], s[6:7], vcc
	v_cndmask_b32_e64 v2, v2, 5, s[0:1]
	v_cmp_eq_f32_e64 s[8:9], 0, v4
	v_cmp_eq_u32_e32 vcc, 0, v2
	s_and_b64 s[0:1], s[8:9], vcc
	v_cndmask_b32_e64 v2, v2, 6, s[0:1]
	v_cmp_eq_f32_e64 s[10:11], 0, v5
	v_cmp_eq_u32_e32 vcc, 0, v2
	s_and_b64 s[0:1], s[10:11], vcc
	v_cndmask_b32_e64 v2, v2, 7, s[0:1]
	v_cmp_eq_f32_e64 s[12:13], 0, v6
	v_cmp_eq_u32_e32 vcc, 0, v2
	s_and_b64 s[0:1], s[12:13], vcc
	v_cndmask_b32_e64 v2, v2, 8, s[0:1]
	v_cmp_eq_f32_e64 s[14:15], 0, v7
	v_cmp_eq_u32_e32 vcc, 0, v2
	s_and_b64 s[0:1], s[14:15], vcc
	v_cndmask_b32_e64 v2, v2, 9, s[0:1]
	v_cmp_eq_f32_e64 s[16:17], 0, v8
	v_cmp_eq_u32_e32 vcc, 0, v2
	s_and_b64 s[0:1], s[16:17], vcc
	v_cndmask_b32_e64 v2, v2, 10, s[0:1]
	v_cmp_ne_u32_e64 s[0:1], 0, v2
	s_waitcnt vmcnt(0)
	v_cmp_eq_u32_e32 vcc, 0, v20
	s_and_b64 s[0:1], vcc, s[0:1]
	s_and_b64 exec, exec, s[0:1]
	s_cbranch_execz .LBB19_52
; %bb.51:
	v_add_u32_e32 v2, s19, v2
	global_store_dword v[0:1], v2, off
.LBB19_52:
	s_or_b64 exec, exec, s[20:21]
	v_mul_f32_e32 v0, v9, v8
	v_cmp_lt_u32_e32 vcc, 9, v102
	s_nop 1
	v_cndmask_b32_e32 v0, v19, v0, vcc
	global_store_dword v[80:81], v10, off
	global_store_dword v[82:83], v11, off
	;; [unrolled: 1-line block ×10, first 2 shown]
.LBB19_53:
	s_endpgm
	.section	.rodata,"a",@progbits
	.p2align	6, 0x0
	.amdhsa_kernel _ZN9rocsolver6v33100L23getf2_npvt_small_kernelILi10EfiiPfEEvT1_T3_lS3_lPT2_S3_S3_
		.amdhsa_group_segment_fixed_size 0
		.amdhsa_private_segment_fixed_size 0
		.amdhsa_kernarg_size 312
		.amdhsa_user_sgpr_count 2
		.amdhsa_user_sgpr_dispatch_ptr 0
		.amdhsa_user_sgpr_queue_ptr 0
		.amdhsa_user_sgpr_kernarg_segment_ptr 1
		.amdhsa_user_sgpr_dispatch_id 0
		.amdhsa_user_sgpr_kernarg_preload_length 0
		.amdhsa_user_sgpr_kernarg_preload_offset 0
		.amdhsa_user_sgpr_private_segment_size 0
		.amdhsa_uses_dynamic_stack 0
		.amdhsa_enable_private_segment 0
		.amdhsa_system_sgpr_workgroup_id_x 1
		.amdhsa_system_sgpr_workgroup_id_y 1
		.amdhsa_system_sgpr_workgroup_id_z 0
		.amdhsa_system_sgpr_workgroup_info 0
		.amdhsa_system_vgpr_workitem_id 1
		.amdhsa_next_free_vgpr 114
		.amdhsa_next_free_sgpr 22
		.amdhsa_accum_offset 116
		.amdhsa_reserve_vcc 1
		.amdhsa_float_round_mode_32 0
		.amdhsa_float_round_mode_16_64 0
		.amdhsa_float_denorm_mode_32 3
		.amdhsa_float_denorm_mode_16_64 3
		.amdhsa_dx10_clamp 1
		.amdhsa_ieee_mode 1
		.amdhsa_fp16_overflow 0
		.amdhsa_tg_split 0
		.amdhsa_exception_fp_ieee_invalid_op 0
		.amdhsa_exception_fp_denorm_src 0
		.amdhsa_exception_fp_ieee_div_zero 0
		.amdhsa_exception_fp_ieee_overflow 0
		.amdhsa_exception_fp_ieee_underflow 0
		.amdhsa_exception_fp_ieee_inexact 0
		.amdhsa_exception_int_div_zero 0
	.end_amdhsa_kernel
	.section	.text._ZN9rocsolver6v33100L23getf2_npvt_small_kernelILi10EfiiPfEEvT1_T3_lS3_lPT2_S3_S3_,"axG",@progbits,_ZN9rocsolver6v33100L23getf2_npvt_small_kernelILi10EfiiPfEEvT1_T3_lS3_lPT2_S3_S3_,comdat
.Lfunc_end19:
	.size	_ZN9rocsolver6v33100L23getf2_npvt_small_kernelILi10EfiiPfEEvT1_T3_lS3_lPT2_S3_S3_, .Lfunc_end19-_ZN9rocsolver6v33100L23getf2_npvt_small_kernelILi10EfiiPfEEvT1_T3_lS3_lPT2_S3_S3_
                                        ; -- End function
	.set _ZN9rocsolver6v33100L23getf2_npvt_small_kernelILi10EfiiPfEEvT1_T3_lS3_lPT2_S3_S3_.num_vgpr, 114
	.set _ZN9rocsolver6v33100L23getf2_npvt_small_kernelILi10EfiiPfEEvT1_T3_lS3_lPT2_S3_S3_.num_agpr, 0
	.set _ZN9rocsolver6v33100L23getf2_npvt_small_kernelILi10EfiiPfEEvT1_T3_lS3_lPT2_S3_S3_.numbered_sgpr, 22
	.set _ZN9rocsolver6v33100L23getf2_npvt_small_kernelILi10EfiiPfEEvT1_T3_lS3_lPT2_S3_S3_.num_named_barrier, 0
	.set _ZN9rocsolver6v33100L23getf2_npvt_small_kernelILi10EfiiPfEEvT1_T3_lS3_lPT2_S3_S3_.private_seg_size, 0
	.set _ZN9rocsolver6v33100L23getf2_npvt_small_kernelILi10EfiiPfEEvT1_T3_lS3_lPT2_S3_S3_.uses_vcc, 1
	.set _ZN9rocsolver6v33100L23getf2_npvt_small_kernelILi10EfiiPfEEvT1_T3_lS3_lPT2_S3_S3_.uses_flat_scratch, 0
	.set _ZN9rocsolver6v33100L23getf2_npvt_small_kernelILi10EfiiPfEEvT1_T3_lS3_lPT2_S3_S3_.has_dyn_sized_stack, 0
	.set _ZN9rocsolver6v33100L23getf2_npvt_small_kernelILi10EfiiPfEEvT1_T3_lS3_lPT2_S3_S3_.has_recursion, 0
	.set _ZN9rocsolver6v33100L23getf2_npvt_small_kernelILi10EfiiPfEEvT1_T3_lS3_lPT2_S3_S3_.has_indirect_call, 0
	.section	.AMDGPU.csdata,"",@progbits
; Kernel info:
; codeLenInByte = 4484
; TotalNumSgprs: 28
; NumVgprs: 114
; NumAgprs: 0
; TotalNumVgprs: 114
; ScratchSize: 0
; MemoryBound: 0
; FloatMode: 240
; IeeeMode: 1
; LDSByteSize: 0 bytes/workgroup (compile time only)
; SGPRBlocks: 3
; VGPRBlocks: 14
; NumSGPRsForWavesPerEU: 28
; NumVGPRsForWavesPerEU: 114
; AccumOffset: 116
; Occupancy: 4
; WaveLimiterHint : 0
; COMPUTE_PGM_RSRC2:SCRATCH_EN: 0
; COMPUTE_PGM_RSRC2:USER_SGPR: 2
; COMPUTE_PGM_RSRC2:TRAP_HANDLER: 0
; COMPUTE_PGM_RSRC2:TGID_X_EN: 1
; COMPUTE_PGM_RSRC2:TGID_Y_EN: 1
; COMPUTE_PGM_RSRC2:TGID_Z_EN: 0
; COMPUTE_PGM_RSRC2:TIDIG_COMP_CNT: 1
; COMPUTE_PGM_RSRC3_GFX90A:ACCUM_OFFSET: 28
; COMPUTE_PGM_RSRC3_GFX90A:TG_SPLIT: 0
	.section	.text._ZN9rocsolver6v33100L18getf2_small_kernelILi11EfiiPfEEvT1_T3_lS3_lPS3_llPT2_S3_S3_S5_l,"axG",@progbits,_ZN9rocsolver6v33100L18getf2_small_kernelILi11EfiiPfEEvT1_T3_lS3_lPS3_llPT2_S3_S3_S5_l,comdat
	.globl	_ZN9rocsolver6v33100L18getf2_small_kernelILi11EfiiPfEEvT1_T3_lS3_lPS3_llPT2_S3_S3_S5_l ; -- Begin function _ZN9rocsolver6v33100L18getf2_small_kernelILi11EfiiPfEEvT1_T3_lS3_lPS3_llPT2_S3_S3_S5_l
	.p2align	8
	.type	_ZN9rocsolver6v33100L18getf2_small_kernelILi11EfiiPfEEvT1_T3_lS3_lPS3_llPT2_S3_S3_S5_l,@function
_ZN9rocsolver6v33100L18getf2_small_kernelILi11EfiiPfEEvT1_T3_lS3_lPS3_llPT2_S3_S3_S5_l: ; @_ZN9rocsolver6v33100L18getf2_small_kernelILi11EfiiPfEEvT1_T3_lS3_lPS3_llPT2_S3_S3_S5_l
; %bb.0:
	s_load_dword s2, s[0:1], 0x6c
	s_load_dwordx2 s[14:15], s[0:1], 0x48
	v_bfe_u32 v3, v0, 10, 10
	s_waitcnt lgkmcnt(0)
	s_lshr_b32 s2, s2, 16
	s_mul_i32 s3, s3, s2
	v_add_u32_e32 v100, s3, v3
	v_cmp_gt_i32_e32 vcc, s14, v100
	s_and_saveexec_b64 s[2:3], vcc
	s_cbranch_execz .LBB20_186
; %bb.1:
	s_load_dwordx4 s[4:7], s[0:1], 0x50
	v_ashrrev_i32_e32 v101, 31, v100
	v_mov_b64_e32 v[102:103], 0
	s_waitcnt lgkmcnt(0)
	s_cmp_eq_u64 s[4:5], 0
	s_cselect_b64 s[16:17], -1, 0
	s_and_b64 vcc, exec, s[16:17]
	s_cbranch_vccnz .LBB20_3
; %bb.2:
	v_mul_lo_u32 v1, s7, v100
	v_mul_lo_u32 v2, s6, v101
	v_mad_u64_u32 v[4:5], s[2:3], s6, v100, 0
	v_add3_u32 v5, v5, v2, v1
	v_lshl_add_u64 v[102:103], v[4:5], 2, s[4:5]
.LBB20_3:
	s_load_dwordx4 s[20:23], s[0:1], 0x8
	s_load_dwordx8 s[4:11], s[0:1], 0x20
	s_load_dword s12, s[0:1], 0x18
	s_waitcnt lgkmcnt(0)
	v_mov_b32_e32 v4, s20
	v_mul_lo_u32 v1, s5, v100
	v_mul_lo_u32 v2, s4, v101
	v_mad_u64_u32 v[6:7], s[2:3], s4, v100, 0
	v_mov_b32_e32 v5, s21
	v_add3_u32 v7, v7, v2, v1
	v_and_b32_e32 v2, 0x3ff, v0
	s_add_i32 s14, s12, s12
	v_lshl_add_u64 v[4:5], v[6:7], 2, v[4:5]
	v_add_u32_e32 v8, s14, v2
	v_lshl_add_u64 v[98:99], s[22:23], 2, v[4:5]
	v_ashrrev_i32_e32 v9, 31, v8
	v_lshl_add_u64 v[10:11], v[8:9], 2, v[98:99]
	v_add_u32_e32 v8, s12, v8
	v_ashrrev_i32_e32 v9, 31, v8
	v_lshl_add_u64 v[12:13], v[8:9], 2, v[98:99]
	v_add_u32_e32 v8, s12, v8
	;; [unrolled: 3-line block ×4, first 2 shown]
	v_ashrrev_i32_e32 v9, 31, v8
	v_lshlrev_b32_e32 v0, 2, v2
	v_mov_b32_e32 v1, 0
	v_lshl_add_u64 v[18:19], v[8:9], 2, v[98:99]
	v_add_u32_e32 v8, s12, v8
	v_lshl_add_u64 v[4:5], v[98:99], 0, v[0:1]
	s_ashr_i32 s13, s12, 31
	v_ashrrev_i32_e32 v9, 31, v8
	v_lshl_add_u64 v[6:7], s[12:13], 2, v[4:5]
	v_lshl_add_u64 v[20:21], v[8:9], 2, v[98:99]
	global_load_dword v84, v[4:5], off
	global_load_dword v112, v[6:7], off
	;; [unrolled: 1-line block ×8, first 2 shown]
	v_add_u32_e32 v4, s12, v8
	v_ashrrev_i32_e32 v5, 31, v4
	v_lshl_add_u64 v[6:7], v[4:5], 2, v[98:99]
	v_add_u32_e32 v4, s12, v4
	v_ashrrev_i32_e32 v5, 31, v4
	v_lshl_add_u64 v[8:9], v[4:5], 2, v[98:99]
	;; [unrolled: 3-line block ×3, first 2 shown]
	global_load_dword v107, v[6:7], off
	global_load_dword v104, v[8:9], off
	;; [unrolled: 1-line block ×3, first 2 shown]
	s_load_dword s22, s[0:1], 0x0
	s_load_dwordx2 s[4:5], s[0:1], 0x40
	s_waitcnt lgkmcnt(0)
	s_max_i32 s0, s22, 11
	v_mul_lo_u32 v3, s0, v3
	v_lshl_add_u32 v11, v3, 2, 0
	v_add_u32_e32 v0, v11, v0
	s_cmp_lt_i32 s22, 2
	v_lshlrev_b32_e32 v35, 2, v3
	s_waitcnt vmcnt(10)
	ds_write_b32 v0, v84
	s_waitcnt lgkmcnt(0)
	s_barrier
	ds_read_b32 v0, v11
	s_cbranch_scc1 .LBB20_6
; %bb.4:
	v_add3_u32 v3, v35, 0, 4
	v_mov_b32_e32 v1, 0
	s_mov_b32 s0, 1
.LBB20_5:                               ; =>This Inner Loop Header: Depth=1
	ds_read_b32 v4, v3
	v_mov_b32_e32 v5, s0
	s_add_i32 s0, s0, 1
	v_add_u32_e32 v3, 4, v3
	s_cmp_eq_u32 s22, s0
	s_waitcnt lgkmcnt(0)
	v_cmp_lt_f32_e64 vcc, |v0|, |v4|
	s_nop 1
	v_cndmask_b32_e32 v0, v0, v4, vcc
	v_cndmask_b32_e32 v1, v1, v5, vcc
	s_cbranch_scc0 .LBB20_5
.LBB20_6:
	v_cmp_ne_u32_e32 vcc, v2, v1
                                        ; implicit-def: $vgpr47
	s_and_saveexec_b64 s[0:1], vcc
	s_xor_b64 s[0:1], exec, s[0:1]
	s_cbranch_execz .LBB20_12
; %bb.7:
	v_cmp_eq_u32_e32 vcc, 0, v2
	s_and_saveexec_b64 s[2:3], vcc
	s_cbranch_execz .LBB20_11
; %bb.8:
	v_cmp_ne_u32_e32 vcc, 0, v1
	s_xor_b64 s[18:19], s[16:17], -1
	s_and_b64 s[20:21], s[18:19], vcc
	s_and_saveexec_b64 s[18:19], s[20:21]
	s_cbranch_execz .LBB20_10
; %bb.9:
	v_ashrrev_i32_e32 v3, 31, v1
	v_mov_b32_e32 v2, v1
	v_lshl_add_u64 v[2:3], v[2:3], 2, v[102:103]
	global_load_dword v4, v[2:3], off
	global_load_dword v5, v[102:103], off
	s_waitcnt vmcnt(1)
	global_store_dword v[102:103], v4, off
	s_waitcnt vmcnt(1)
	global_store_dword v[2:3], v5, off
.LBB20_10:
	s_or_b64 exec, exec, s[18:19]
	v_mov_b32_e32 v2, v1
.LBB20_11:
	s_or_b64 exec, exec, s[2:3]
	v_mov_b32_e32 v47, v2
                                        ; implicit-def: $vgpr2
.LBB20_12:
	s_or_saveexec_b64 s[0:1], s[0:1]
	v_mov_b32_e32 v23, v47
	s_xor_b64 exec, exec, s[0:1]
	s_cbranch_execz .LBB20_14
; %bb.13:
	v_mov_b32_e32 v47, 0
	v_mov_b32_e32 v23, v2
	s_waitcnt vmcnt(8)
	ds_write2_b32 v11, v112, v113 offset0:1 offset1:2
	s_waitcnt vmcnt(6)
	ds_write2_b32 v11, v110, v111 offset0:3 offset1:4
	;; [unrolled: 2-line block ×5, first 2 shown]
.LBB20_14:
	s_or_b64 exec, exec, s[0:1]
	s_waitcnt lgkmcnt(0)
	v_cmp_eq_f32_e64 s[0:1], 0, v0
	v_cmp_gt_i32_e32 vcc, 1, v47
	s_barrier
	s_and_saveexec_b64 s[2:3], vcc
	s_xor_b64 s[2:3], exec, s[2:3]
; %bb.15:
                                        ; implicit-def: $vgpr0
; %bb.16:
	s_andn2_saveexec_b64 s[2:3], s[2:3]
	s_cbranch_execz .LBB20_18
; %bb.17:
	v_div_scale_f32 v1, s[18:19], v0, v0, 1.0
	v_rcp_f32_e32 v2, v1
	v_div_scale_f32 v3, vcc, 1.0, v0, 1.0
	v_fma_f32 v4, -v1, v2, 1.0
	v_fmac_f32_e32 v2, v4, v2
	v_mul_f32_e32 v4, v3, v2
	v_fma_f32 v5, -v1, v4, v3
	v_fmac_f32_e32 v4, v5, v2
	v_fma_f32 v1, -v1, v4, v3
	v_div_fmas_f32 v1, v1, v2, v4
	v_div_fixup_f32 v1, v1, v0, 1.0
	v_cndmask_b32_e64 v0, v1, v0, s[0:1]
	v_mul_f32_e32 v84, v84, v0
	ds_read2_b32 v[0:1], v11 offset0:1 offset1:2
	ds_read2_b32 v[2:3], v11 offset0:3 offset1:4
	;; [unrolled: 1-line block ×5, first 2 shown]
	s_waitcnt vmcnt(8) lgkmcnt(4)
	v_pk_fma_f32 v[112:113], v[84:85], v[0:1], v[112:113] op_sel_hi:[0,1,1] neg_lo:[1,0,0] neg_hi:[1,0,0]
	s_waitcnt vmcnt(6) lgkmcnt(3)
	v_pk_fma_f32 v[110:111], v[84:85], v[2:3], v[110:111] op_sel_hi:[0,1,1] neg_lo:[1,0,0] neg_hi:[1,0,0]
	;; [unrolled: 2-line block ×5, first 2 shown]
.LBB20_18:
	s_or_b64 exec, exec, s[2:3]
	v_lshl_add_u32 v0, v47, 2, v11
	s_barrier
	s_waitcnt vmcnt(9)
	ds_write_b32 v0, v112
	s_waitcnt lgkmcnt(0)
	s_barrier
	ds_read_b32 v59, v11 offset:4
	s_mov_b32 s2, 2
	s_cmp_lt_i32 s22, 3
	v_mov_b32_e32 v114, 1
	s_cbranch_scc1 .LBB20_21
; %bb.19:
	v_add3_u32 v0, v35, 0, 8
	v_mov_b32_e32 v114, 1
.LBB20_20:                              ; =>This Inner Loop Header: Depth=1
	ds_read_b32 v1, v0
	v_mov_b32_e32 v2, s2
	s_add_i32 s2, s2, 1
	v_add_u32_e32 v0, 4, v0
	s_cmp_lg_u32 s22, s2
	s_waitcnt lgkmcnt(0)
	v_cmp_lt_f32_e64 vcc, |v59|, |v1|
	s_nop 1
	v_cndmask_b32_e32 v59, v59, v1, vcc
	v_cndmask_b32_e32 v114, v114, v2, vcc
	s_cbranch_scc1 .LBB20_20
.LBB20_21:
	v_mov_b32_e32 v85, v112
	v_mov_b32_e32 v96, v94
	v_mov_b32_e32 v95, v93
	v_mov_b32_e32 v94, v92
	v_mov_b32_e32 v93, v91
	v_mov_b32_e32 v92, v90
	v_mov_b32_e32 v91, v89
	v_mov_b32_e32 v90, v88
	v_mov_b32_e32 v89, v87
	v_mov_b32_e32 v88, v86
	v_mov_b32_e32 v87, v85
	v_mov_b32_e32 v86, v84
	s_waitcnt vmcnt(8)
	v_mov_b32_e32 v88, v113
	v_mov_b32_e32 v72, v86
	v_mov_b32_e32 v75, v89
	v_mov_b32_e32 v73, v87
	v_mov_b32_e32 v74, v88
	v_mov_b32_e32 v76, v90
	v_mov_b32_e32 v77, v91
	v_mov_b32_e32 v78, v92
	v_mov_b32_e32 v79, v93
	v_mov_b32_e32 v80, v94
	v_mov_b32_e32 v81, v95
	v_mov_b32_e32 v82, v96
	s_waitcnt vmcnt(7)
	;; [unrolled: 13-line block ×7, first 2 shown]
	v_mov_b32_e32 v20, v107
	v_mov_b32_e32 v0, v12
	v_mov_b32_e32 v9, v21
	v_mov_b32_e32 v1, v13
	v_mov_b32_e32 v2, v14
	v_mov_b32_e32 v3, v15
	v_mov_b32_e32 v4, v16
	v_mov_b32_e32 v5, v17
	v_mov_b32_e32 v6, v18
	v_mov_b32_e32 v7, v19
	v_mov_b32_e32 v8, v20
	s_waitcnt vmcnt(1)
	v_mov_b32_e32 v9, v104
	v_cmp_ne_u32_e32 vcc, v47, v114
	v_mov_b32_e32 v10, v22
	s_and_saveexec_b64 s[2:3], vcc
	s_xor_b64 s[2:3], exec, s[2:3]
	s_cbranch_execz .LBB20_27
; %bb.22:
	v_cmp_eq_u32_e32 vcc, 1, v47
	s_and_saveexec_b64 s[18:19], vcc
	s_cbranch_execz .LBB20_26
; %bb.23:
	v_cmp_ne_u32_e32 vcc, 1, v114
	s_xor_b64 s[20:21], s[16:17], -1
	s_and_b64 s[24:25], s[20:21], vcc
	s_and_saveexec_b64 s[20:21], s[24:25]
	s_cbranch_execz .LBB20_25
; %bb.24:
	v_ashrrev_i32_e32 v115, 31, v114
	v_lshl_add_u64 v[22:23], v[114:115], 2, v[102:103]
	global_load_dword v10, v[22:23], off
	global_load_dword v21, v[102:103], off offset:4
	s_waitcnt vmcnt(1)
	global_store_dword v[102:103], v10, off offset:4
	s_waitcnt vmcnt(1)
	global_store_dword v[22:23], v21, off
.LBB20_25:
	s_or_b64 exec, exec, s[20:21]
	v_mov_b32_e32 v23, v114
	v_mov_b32_e32 v47, v114
.LBB20_26:
	s_or_b64 exec, exec, s[18:19]
.LBB20_27:
	s_or_saveexec_b64 s[2:3], s[2:3]
	s_waitcnt vmcnt(0)
	v_mov_b32_e32 v10, v105
	s_xor_b64 exec, exec, s[2:3]
	s_cbranch_execz .LBB20_29
; %bb.28:
	v_mov_b32_e32 v47, 1
	ds_write2_b32 v11, v2, v3 offset0:2 offset1:3
	ds_write2_b32 v11, v4, v5 offset0:4 offset1:5
	;; [unrolled: 1-line block ×4, first 2 shown]
	ds_write_b32 v11, v105 offset:40
.LBB20_29:
	s_or_b64 exec, exec, s[2:3]
	s_waitcnt lgkmcnt(0)
	v_cmp_neq_f32_e64 s[2:3], 0, v59
	v_cmp_lt_i32_e32 vcc, 1, v47
	s_barrier
	s_and_saveexec_b64 s[18:19], vcc
	s_cbranch_execz .LBB20_31
; %bb.30:
	v_div_scale_f32 v0, s[20:21], v59, v59, 1.0
	v_rcp_f32_e32 v1, v0
	v_div_scale_f32 v10, vcc, 1.0, v59, 1.0
	v_fma_f32 v12, -v0, v1, 1.0
	v_fmac_f32_e32 v1, v12, v1
	v_mul_f32_e32 v12, v10, v1
	v_fma_f32 v13, -v0, v12, v10
	v_fmac_f32_e32 v12, v13, v1
	v_fma_f32 v0, -v0, v12, v10
	v_div_fmas_f32 v0, v0, v1, v12
	ds_read2_b32 v[12:13], v11 offset0:2 offset1:3
	ds_read2_b32 v[14:15], v11 offset0:4 offset1:5
	;; [unrolled: 1-line block ×4, first 2 shown]
	ds_read_b32 v1, v11 offset:40
	v_div_fixup_f32 v0, v0, v59, 1.0
	v_cndmask_b32_e64 v0, v59, v0, s[2:3]
	v_mul_f32_e32 v0, v112, v0
	v_mov_b32_e32 v85, v0
	v_mov_b32_e32 v96, v94
	s_waitcnt lgkmcnt(0)
	v_pk_fma_f32 v[106:107], v[0:1], v[12:13], v[2:3] op_sel_hi:[0,1,1] neg_lo:[1,0,0] neg_hi:[1,0,0]
	v_mov_b32_e32 v95, v93
	v_mov_b32_e32 v94, v92
	;; [unrolled: 1-line block ×24, first 2 shown]
	v_pk_fma_f32 v[108:109], v[0:1], v[14:15], v[4:5] op_sel_hi:[0,1,1] neg_lo:[1,0,0] neg_hi:[1,0,0]
	v_mov_b32_e32 v64, v76
	v_mov_b32_e32 v61, v73
	;; [unrolled: 1-line block ×24, first 2 shown]
	v_pk_fma_f32 v[114:115], v[0:1], v[16:17], v[6:7] op_sel_hi:[0,1,1] neg_lo:[1,0,0] neg_hi:[1,0,0]
	v_mov_b32_e32 v42, v54
	v_mov_b32_e32 v37, v49
	;; [unrolled: 1-line block ×13, first 2 shown]
	v_pk_fma_f32 v[116:117], v[0:1], v[18:19], v[8:9] op_sel_hi:[0,1,1] neg_lo:[1,0,0] neg_hi:[1,0,0]
	v_mov_b32_e32 v25, v37
	v_mov_b32_e32 v26, v38
	;; [unrolled: 1-line block ×12, first 2 shown]
	v_fma_f32 v105, -v0, v1, v105
	v_mov_b32_e32 v13, v25
	v_mov_b32_e32 v14, v26
	v_mov_b32_e32 v15, v27
	v_mov_b32_e32 v16, v28
	v_mov_b32_e32 v17, v29
	v_mov_b32_e32 v18, v30
	v_mov_b32_e32 v19, v31
	v_mov_b32_e32 v21, v33
	v_mov_b32_e32 v22, v34
	v_mov_b32_e32 v20, v116
	v_mov_b32_e32 v0, v12
	v_mov_b32_e32 v9, v21
	v_mov_b32_e32 v10, v22
	v_mov_b32_e32 v1, v13
	v_mov_b32_e32 v2, v14
	v_mov_b32_e32 v3, v15
	v_mov_b32_e32 v4, v16
	v_mov_b32_e32 v5, v17
	v_mov_b32_e32 v6, v18
	v_mov_b32_e32 v7, v19
	v_mov_b32_e32 v8, v20
	v_mov_b32_e32 v9, v117
	v_mov_b32_e32 v10, v105
	v_mov_b32_e32 v113, v106
	v_mov_b32_e32 v110, v107
	v_mov_b32_e32 v111, v108
	v_mov_b32_e32 v108, v109
	v_mov_b32_e32 v109, v114
	v_mov_b32_e32 v106, v115
	v_mov_b32_e32 v107, v116
	v_mov_b32_e32 v104, v117
.LBB20_31:
	s_or_b64 exec, exec, s[18:19]
	v_lshl_add_u32 v21, v47, 2, v11
	s_barrier
	ds_write_b32 v21, v113
	s_waitcnt lgkmcnt(0)
	s_barrier
	ds_read_b32 v21, v11 offset:8
	s_cmp_lt_i32 s22, 4
	v_mov_b32_e32 v22, 2
	s_cbranch_scc1 .LBB20_34
; %bb.32:
	v_mov_b32_e32 v22, 2
	v_add3_u32 v32, v35, 0, 12
	s_mov_b32 s18, 3
.LBB20_33:                              ; =>This Inner Loop Header: Depth=1
	ds_read_b32 v43, v32
	v_mov_b32_e32 v54, s18
	s_add_i32 s18, s18, 1
	v_add_u32_e32 v32, 4, v32
	s_cmp_lg_u32 s22, s18
	s_waitcnt lgkmcnt(0)
	v_cmp_lt_f32_e64 vcc, |v21|, |v43|
	s_nop 1
	v_cndmask_b32_e32 v21, v21, v43, vcc
	v_cndmask_b32_e32 v22, v22, v54, vcc
	s_cbranch_scc1 .LBB20_33
.LBB20_34:
	v_cndmask_b32_e64 v32, 2, 1, s[0:1]
	v_cndmask_b32_e64 v43, 0, 1, s[0:1]
	;; [unrolled: 1-line block ×3, first 2 shown]
	s_waitcnt lgkmcnt(0)
	v_cmp_eq_f32_e32 vcc, 0, v21
	s_and_saveexec_b64 s[0:1], vcc
	s_xor_b64 s[0:1], exec, s[0:1]
; %bb.35:
	v_cmp_ne_u32_e32 vcc, 0, v59
	s_nop 1
	v_cndmask_b32_e32 v59, 3, v59, vcc
; %bb.36:
	s_andn2_saveexec_b64 s[0:1], s[0:1]
	s_cbranch_execz .LBB20_38
; %bb.37:
	v_div_scale_f32 v32, s[2:3], v21, v21, 1.0
	v_rcp_f32_e32 v43, v32
	v_div_scale_f32 v54, vcc, 1.0, v21, 1.0
	v_fma_f32 v65, -v32, v43, 1.0
	v_fmac_f32_e32 v43, v65, v43
	v_mul_f32_e32 v65, v54, v43
	v_fma_f32 v71, -v32, v65, v54
	v_fmac_f32_e32 v65, v71, v43
	v_fma_f32 v32, -v32, v65, v54
	v_div_fmas_f32 v32, v32, v43, v65
	v_div_fixup_f32 v21, v32, v21, 1.0
.LBB20_38:
	s_or_b64 exec, exec, s[0:1]
	v_cmp_ne_u32_e32 vcc, v47, v22
	s_and_saveexec_b64 s[0:1], vcc
	s_xor_b64 s[0:1], exec, s[0:1]
	s_cbranch_execz .LBB20_44
; %bb.39:
	v_cmp_eq_u32_e32 vcc, 2, v47
	s_and_saveexec_b64 s[2:3], vcc
	s_cbranch_execz .LBB20_43
; %bb.40:
	v_cmp_ne_u32_e32 vcc, 2, v22
	s_xor_b64 s[18:19], s[16:17], -1
	s_and_b64 s[20:21], s[18:19], vcc
	s_and_saveexec_b64 s[18:19], s[20:21]
	s_cbranch_execz .LBB20_42
; %bb.41:
	v_ashrrev_i32_e32 v23, 31, v22
	v_lshl_add_u64 v[114:115], v[22:23], 2, v[102:103]
	global_load_dword v23, v[114:115], off
	global_load_dword v32, v[102:103], off offset:8
	s_waitcnt vmcnt(1)
	global_store_dword v[102:103], v23, off offset:8
	s_waitcnt vmcnt(1)
	global_store_dword v[114:115], v32, off
.LBB20_42:
	s_or_b64 exec, exec, s[18:19]
	v_mov_b32_e32 v23, v22
	v_mov_b32_e32 v47, v22
.LBB20_43:
	s_or_b64 exec, exec, s[2:3]
.LBB20_44:
	s_andn2_saveexec_b64 s[0:1], s[0:1]
	s_cbranch_execz .LBB20_46
; %bb.45:
	v_mov_b32_e32 v47, 2
	ds_write2_b32 v11, v3, v4 offset0:3 offset1:4
	ds_write2_b32 v11, v5, v6 offset0:5 offset1:6
	;; [unrolled: 1-line block ×4, first 2 shown]
.LBB20_46:
	s_or_b64 exec, exec, s[0:1]
	v_cmp_lt_i32_e32 vcc, 2, v47
	s_waitcnt lgkmcnt(0)
	s_barrier
	s_and_saveexec_b64 s[0:1], vcc
	s_cbranch_execz .LBB20_48
; %bb.47:
	ds_read2_b32 v[0:1], v11 offset0:3 offset1:4
	v_mul_f32_e32 v86, v113, v21
	v_mov_b32_e32 v2, v3
	v_mov_b32_e32 v3, v4
	;; [unrolled: 1-line block ×3, first 2 shown]
	s_waitcnt lgkmcnt(0)
	v_pk_fma_f32 v[110:111], v[86:87], v[0:1], v[2:3] op_sel_hi:[0,1,1] neg_lo:[1,0,0] neg_hi:[1,0,0]
	v_mov_b32_e32 v75, v87
	ds_read2_b32 v[12:13], v11 offset0:5 offset1:6
	ds_read2_b32 v[14:15], v11 offset0:7 offset1:8
	;; [unrolled: 1-line block ×3, first 2 shown]
	v_mov_b32_e32 v73, v85
	v_mov_b32_e32 v74, v86
	;; [unrolled: 1-line block ×25, first 2 shown]
	s_waitcnt lgkmcnt(2)
	v_pk_fma_f32 v[108:109], v[86:87], v[12:13], v[0:1] op_sel_hi:[0,1,1] neg_lo:[1,0,0] neg_hi:[1,0,0]
	v_mov_b32_e32 v53, v65
	v_mov_b32_e32 v49, v61
	;; [unrolled: 1-line block ×26, first 2 shown]
	s_waitcnt lgkmcnt(1)
	v_pk_fma_f32 v[106:107], v[86:87], v[14:15], v[0:1] op_sel_hi:[0,1,1] neg_lo:[1,0,0] neg_hi:[1,0,0]
	v_mov_b32_e32 v0, v9
	v_mov_b32_e32 v1, v10
	v_mov_b32_e32 v31, v43
	s_waitcnt lgkmcnt(0)
	v_pk_fma_f32 v[104:105], v[86:87], v[16:17], v[0:1] op_sel_hi:[0,1,1] neg_lo:[1,0,0] neg_hi:[1,0,0]
	v_mov_b32_e32 v25, v37
	v_mov_b32_e32 v26, v38
	v_mov_b32_e32 v27, v39
	v_mov_b32_e32 v28, v40
	v_mov_b32_e32 v29, v41
	v_mov_b32_e32 v30, v42
	v_mov_b32_e32 v32, v44
	v_mov_b32_e32 v33, v45
	v_mov_b32_e32 v34, v46
	v_mov_b32_e32 v31, v106
	v_mov_b32_e32 v12, v24
	v_mov_b32_e32 v20, v32
	v_mov_b32_e32 v13, v25
	v_mov_b32_e32 v14, v26
	v_mov_b32_e32 v15, v27
	v_mov_b32_e32 v16, v28
	v_mov_b32_e32 v17, v29
	v_mov_b32_e32 v18, v30
	v_mov_b32_e32 v19, v31
	v_mov_b32_e32 v21, v33
	v_mov_b32_e32 v22, v34
	v_mov_b32_e32 v20, v107
	v_mov_b32_e32 v0, v12
	v_mov_b32_e32 v9, v21
	v_mov_b32_e32 v10, v22
	v_mov_b32_e32 v96, v94
	v_mov_b32_e32 v1, v13
	v_mov_b32_e32 v2, v14
	v_mov_b32_e32 v3, v15
	v_mov_b32_e32 v4, v16
	v_mov_b32_e32 v5, v17
	v_mov_b32_e32 v6, v18
	v_mov_b32_e32 v7, v19
	v_mov_b32_e32 v8, v20
	v_mov_b32_e32 v9, v104
	v_mov_b32_e32 v10, v105
	v_mov_b32_e32 v95, v93
	v_mov_b32_e32 v94, v92
	v_mov_b32_e32 v93, v91
	v_mov_b32_e32 v92, v90
	v_mov_b32_e32 v91, v89
	v_mov_b32_e32 v90, v88
	v_mov_b32_e32 v89, v87
	v_mov_b32_e32 v88, v86
	v_mov_b32_e32 v87, v85
	v_mov_b32_e32 v86, v84
.LBB20_48:
	s_or_b64 exec, exec, s[0:1]
	v_lshl_add_u32 v21, v47, 2, v11
	s_barrier
	ds_write_b32 v21, v110
	s_waitcnt lgkmcnt(0)
	s_barrier
	ds_read_b32 v21, v11 offset:12
	s_cmp_lt_i32 s22, 5
	v_mov_b32_e32 v22, 3
	s_cbranch_scc1 .LBB20_51
; %bb.49:
	v_add3_u32 v32, v35, 0, 16
	v_mov_b32_e32 v22, 3
	s_mov_b32 s0, 4
.LBB20_50:                              ; =>This Inner Loop Header: Depth=1
	ds_read_b32 v43, v32
	v_mov_b32_e32 v54, s0
	s_add_i32 s0, s0, 1
	v_add_u32_e32 v32, 4, v32
	s_cmp_lg_u32 s22, s0
	s_waitcnt lgkmcnt(0)
	v_cmp_lt_f32_e64 vcc, |v21|, |v43|
	s_nop 1
	v_cndmask_b32_e32 v21, v21, v43, vcc
	v_cndmask_b32_e32 v22, v22, v54, vcc
	s_cbranch_scc1 .LBB20_50
.LBB20_51:
	s_waitcnt lgkmcnt(0)
	v_cmp_eq_f32_e32 vcc, 0, v21
	s_and_saveexec_b64 s[0:1], vcc
	s_xor_b64 s[0:1], exec, s[0:1]
; %bb.52:
	v_cmp_ne_u32_e32 vcc, 0, v59
	s_nop 1
	v_cndmask_b32_e32 v59, 4, v59, vcc
; %bb.53:
	s_andn2_saveexec_b64 s[0:1], s[0:1]
	s_cbranch_execz .LBB20_55
; %bb.54:
	v_div_scale_f32 v32, s[2:3], v21, v21, 1.0
	v_rcp_f32_e32 v43, v32
	v_div_scale_f32 v54, vcc, 1.0, v21, 1.0
	v_fma_f32 v65, -v32, v43, 1.0
	v_fmac_f32_e32 v43, v65, v43
	v_mul_f32_e32 v65, v54, v43
	v_fma_f32 v71, -v32, v65, v54
	v_fmac_f32_e32 v65, v71, v43
	v_fma_f32 v32, -v32, v65, v54
	v_div_fmas_f32 v32, v32, v43, v65
	v_div_fixup_f32 v21, v32, v21, 1.0
.LBB20_55:
	s_or_b64 exec, exec, s[0:1]
	v_cmp_ne_u32_e32 vcc, v47, v22
	s_and_saveexec_b64 s[0:1], vcc
	s_xor_b64 s[0:1], exec, s[0:1]
	s_cbranch_execz .LBB20_61
; %bb.56:
	v_cmp_eq_u32_e32 vcc, 3, v47
	s_and_saveexec_b64 s[2:3], vcc
	s_cbranch_execz .LBB20_60
; %bb.57:
	v_cmp_ne_u32_e32 vcc, 3, v22
	s_xor_b64 s[18:19], s[16:17], -1
	s_and_b64 s[20:21], s[18:19], vcc
	s_and_saveexec_b64 s[18:19], s[20:21]
	s_cbranch_execz .LBB20_59
; %bb.58:
	v_ashrrev_i32_e32 v23, 31, v22
	v_lshl_add_u64 v[84:85], v[22:23], 2, v[102:103]
	global_load_dword v23, v[84:85], off
	global_load_dword v32, v[102:103], off offset:12
	s_waitcnt vmcnt(1)
	global_store_dword v[102:103], v23, off offset:12
	s_waitcnt vmcnt(1)
	global_store_dword v[84:85], v32, off
.LBB20_59:
	s_or_b64 exec, exec, s[18:19]
	v_mov_b32_e32 v23, v22
	v_mov_b32_e32 v47, v22
.LBB20_60:
	s_or_b64 exec, exec, s[2:3]
.LBB20_61:
	s_andn2_saveexec_b64 s[0:1], s[0:1]
	s_cbranch_execz .LBB20_63
; %bb.62:
	v_mov_b32_e32 v47, 3
	ds_write2_b32 v11, v4, v5 offset0:4 offset1:5
	ds_write2_b32 v11, v6, v7 offset0:6 offset1:7
	;; [unrolled: 1-line block ×3, first 2 shown]
	ds_write_b32 v11, v105 offset:40
.LBB20_63:
	s_or_b64 exec, exec, s[0:1]
	v_cmp_lt_i32_e32 vcc, 3, v47
	s_waitcnt lgkmcnt(0)
	s_barrier
	s_and_saveexec_b64 s[0:1], vcc
	s_cbranch_execz .LBB20_65
; %bb.64:
	ds_read2_b32 v[0:1], v11 offset0:4 offset1:5
	ds_read2_b32 v[2:3], v11 offset0:6 offset1:7
	;; [unrolled: 1-line block ×3, first 2 shown]
	ds_read_b32 v14, v11 offset:40
	v_mul_f32_e32 v10, v110, v21
	v_mov_b32_e32 v89, v10
	v_mov_b32_e32 v60, v86
	s_waitcnt lgkmcnt(3)
	v_pk_fma_f32 v[84:85], v[10:11], v[0:1], v[4:5] op_sel_hi:[0,1,1] neg_lo:[1,0,0] neg_hi:[1,0,0]
	v_mov_b32_e32 v64, v90
	v_mov_b32_e32 v61, v87
	;; [unrolled: 1-line block ×24, first 2 shown]
	s_waitcnt lgkmcnt(2)
	v_pk_fma_f32 v[106:107], v[10:11], v[2:3], v[6:7] op_sel_hi:[0,1,1] neg_lo:[1,0,0] neg_hi:[1,0,0]
	v_mov_b32_e32 v42, v54
	v_mov_b32_e32 v37, v49
	;; [unrolled: 1-line block ×13, first 2 shown]
	s_waitcnt lgkmcnt(1)
	v_pk_fma_f32 v[112:113], v[10:11], v[12:13], v[8:9] op_sel_hi:[0,1,1] neg_lo:[1,0,0] neg_hi:[1,0,0]
	s_waitcnt lgkmcnt(0)
	v_fma_f32 v105, -v10, v14, v105
	v_mov_b32_e32 v25, v37
	v_mov_b32_e32 v26, v38
	v_mov_b32_e32 v27, v39
	v_mov_b32_e32 v28, v40
	v_mov_b32_e32 v29, v41
	v_mov_b32_e32 v30, v42
	v_mov_b32_e32 v32, v44
	v_mov_b32_e32 v33, v45
	v_mov_b32_e32 v34, v46
	v_mov_b32_e32 v31, v107
	v_mov_b32_e32 v12, v24
	v_mov_b32_e32 v20, v32
	v_mov_b32_e32 v13, v25
	v_mov_b32_e32 v14, v26
	v_mov_b32_e32 v15, v27
	v_mov_b32_e32 v16, v28
	v_mov_b32_e32 v17, v29
	v_mov_b32_e32 v18, v30
	v_mov_b32_e32 v19, v31
	v_mov_b32_e32 v21, v33
	v_mov_b32_e32 v22, v34
	v_mov_b32_e32 v20, v112
	v_mov_b32_e32 v0, v12
	v_mov_b32_e32 v9, v21
	v_mov_b32_e32 v10, v22
	v_mov_b32_e32 v72, v86
	v_mov_b32_e32 v1, v13
	v_mov_b32_e32 v2, v14
	v_mov_b32_e32 v3, v15
	v_mov_b32_e32 v4, v16
	v_mov_b32_e32 v5, v17
	v_mov_b32_e32 v6, v18
	v_mov_b32_e32 v7, v19
	v_mov_b32_e32 v8, v20
	v_mov_b32_e32 v9, v113
	v_mov_b32_e32 v10, v105
	v_mov_b32_e32 v73, v87
	v_mov_b32_e32 v74, v88
	v_mov_b32_e32 v75, v89
	v_mov_b32_e32 v77, v91
	v_mov_b32_e32 v78, v92
	v_mov_b32_e32 v79, v93
	v_mov_b32_e32 v80, v94
	v_mov_b32_e32 v81, v95
	v_mov_b32_e32 v82, v96
	v_mov_b32_e32 v111, v84
	v_mov_b32_e32 v108, v85
	v_mov_b32_e32 v109, v106
	v_mov_b32_e32 v106, v107
	v_mov_b32_e32 v107, v112
	v_mov_b32_e32 v104, v113
	v_mov_b32_e32 v76, v90
.LBB20_65:
	s_or_b64 exec, exec, s[0:1]
	v_lshl_add_u32 v21, v47, 2, v11
	s_barrier
	ds_write_b32 v21, v111
	s_waitcnt lgkmcnt(0)
	s_barrier
	ds_read_b32 v21, v11 offset:16
	s_cmp_lt_i32 s22, 6
	v_mov_b32_e32 v22, 4
	s_cbranch_scc1 .LBB20_68
; %bb.66:
	v_add3_u32 v32, v35, 0, 20
	v_mov_b32_e32 v22, 4
	s_mov_b32 s0, 5
.LBB20_67:                              ; =>This Inner Loop Header: Depth=1
	ds_read_b32 v43, v32
	v_mov_b32_e32 v54, s0
	s_add_i32 s0, s0, 1
	v_add_u32_e32 v32, 4, v32
	s_cmp_lg_u32 s22, s0
	s_waitcnt lgkmcnt(0)
	v_cmp_lt_f32_e64 vcc, |v21|, |v43|
	s_nop 1
	v_cndmask_b32_e32 v21, v21, v43, vcc
	v_cndmask_b32_e32 v22, v22, v54, vcc
	s_cbranch_scc1 .LBB20_67
.LBB20_68:
	s_waitcnt lgkmcnt(0)
	v_cmp_eq_f32_e32 vcc, 0, v21
	s_and_saveexec_b64 s[0:1], vcc
	s_xor_b64 s[0:1], exec, s[0:1]
; %bb.69:
	v_cmp_ne_u32_e32 vcc, 0, v59
	s_nop 1
	v_cndmask_b32_e32 v59, 5, v59, vcc
; %bb.70:
	s_andn2_saveexec_b64 s[0:1], s[0:1]
	s_cbranch_execz .LBB20_72
; %bb.71:
	v_div_scale_f32 v32, s[2:3], v21, v21, 1.0
	v_rcp_f32_e32 v43, v32
	v_div_scale_f32 v54, vcc, 1.0, v21, 1.0
	v_fma_f32 v65, -v32, v43, 1.0
	v_fmac_f32_e32 v43, v65, v43
	v_mul_f32_e32 v65, v54, v43
	v_fma_f32 v71, -v32, v65, v54
	v_fmac_f32_e32 v65, v71, v43
	v_fma_f32 v32, -v32, v65, v54
	v_div_fmas_f32 v32, v32, v43, v65
	v_div_fixup_f32 v21, v32, v21, 1.0
.LBB20_72:
	s_or_b64 exec, exec, s[0:1]
	v_cmp_ne_u32_e32 vcc, v47, v22
	s_and_saveexec_b64 s[0:1], vcc
	s_xor_b64 s[0:1], exec, s[0:1]
	s_cbranch_execz .LBB20_78
; %bb.73:
	v_cmp_eq_u32_e32 vcc, 4, v47
	s_and_saveexec_b64 s[2:3], vcc
	s_cbranch_execz .LBB20_77
; %bb.74:
	v_cmp_ne_u32_e32 vcc, 4, v22
	s_xor_b64 s[18:19], s[16:17], -1
	s_and_b64 s[20:21], s[18:19], vcc
	s_and_saveexec_b64 s[18:19], s[20:21]
	s_cbranch_execz .LBB20_76
; %bb.75:
	v_ashrrev_i32_e32 v23, 31, v22
	v_lshl_add_u64 v[84:85], v[22:23], 2, v[102:103]
	global_load_dword v23, v[84:85], off
	global_load_dword v32, v[102:103], off offset:16
	s_waitcnt vmcnt(1)
	global_store_dword v[102:103], v23, off offset:16
	s_waitcnt vmcnt(1)
	global_store_dword v[84:85], v32, off
.LBB20_76:
	s_or_b64 exec, exec, s[18:19]
	v_mov_b32_e32 v23, v22
	v_mov_b32_e32 v47, v22
.LBB20_77:
	s_or_b64 exec, exec, s[2:3]
.LBB20_78:
	s_andn2_saveexec_b64 s[0:1], s[0:1]
	s_cbranch_execz .LBB20_80
; %bb.79:
	v_mov_b32_e32 v47, 4
	ds_write2_b32 v11, v5, v6 offset0:5 offset1:6
	ds_write2_b32 v11, v7, v8 offset0:7 offset1:8
	ds_write2_b32 v11, v9, v10 offset0:9 offset1:10
.LBB20_80:
	s_or_b64 exec, exec, s[0:1]
	v_cmp_lt_i32_e32 vcc, 4, v47
	s_waitcnt lgkmcnt(0)
	s_barrier
	s_and_saveexec_b64 s[0:1], vcc
	s_cbranch_execz .LBB20_82
; %bb.81:
	ds_read2_b32 v[0:1], v11 offset0:5 offset1:6
	v_mul_f32_e32 v76, v111, v21
	v_mov_b32_e32 v2, v5
	v_mov_b32_e32 v3, v6
	;; [unrolled: 1-line block ×3, first 2 shown]
	ds_read2_b32 v[4:5], v11 offset0:7 offset1:8
	ds_read2_b32 v[12:13], v11 offset0:9 offset1:10
	s_waitcnt lgkmcnt(2)
	v_pk_fma_f32 v[108:109], v[76:77], v[0:1], v[2:3] op_sel_hi:[0,1,1] neg_lo:[1,0,0] neg_hi:[1,0,0]
	v_mov_b32_e32 v53, v77
	v_mov_b32_e32 v49, v73
	;; [unrolled: 1-line block ×26, first 2 shown]
	s_waitcnt lgkmcnt(1)
	v_pk_fma_f32 v[106:107], v[76:77], v[4:5], v[0:1] op_sel_hi:[0,1,1] neg_lo:[1,0,0] neg_hi:[1,0,0]
	v_mov_b32_e32 v0, v9
	v_mov_b32_e32 v1, v10
	;; [unrolled: 1-line block ×3, first 2 shown]
	s_waitcnt lgkmcnt(0)
	v_pk_fma_f32 v[104:105], v[76:77], v[12:13], v[0:1] op_sel_hi:[0,1,1] neg_lo:[1,0,0] neg_hi:[1,0,0]
	v_mov_b32_e32 v25, v37
	v_mov_b32_e32 v26, v38
	;; [unrolled: 1-line block ×46, first 2 shown]
.LBB20_82:
	s_or_b64 exec, exec, s[0:1]
	v_lshl_add_u32 v21, v47, 2, v11
	s_barrier
	ds_write_b32 v21, v108
	s_waitcnt lgkmcnt(0)
	s_barrier
	ds_read_b32 v21, v11 offset:20
	s_cmp_lt_i32 s22, 7
	v_mov_b32_e32 v22, 5
	s_cbranch_scc1 .LBB20_85
; %bb.83:
	v_add3_u32 v32, v35, 0, 24
	v_mov_b32_e32 v22, 5
	s_mov_b32 s0, 6
.LBB20_84:                              ; =>This Inner Loop Header: Depth=1
	ds_read_b32 v43, v32
	v_mov_b32_e32 v54, s0
	s_add_i32 s0, s0, 1
	v_add_u32_e32 v32, 4, v32
	s_cmp_lg_u32 s22, s0
	s_waitcnt lgkmcnt(0)
	v_cmp_lt_f32_e64 vcc, |v21|, |v43|
	s_nop 1
	v_cndmask_b32_e32 v21, v21, v43, vcc
	v_cndmask_b32_e32 v22, v22, v54, vcc
	s_cbranch_scc1 .LBB20_84
.LBB20_85:
	s_waitcnt lgkmcnt(0)
	v_cmp_eq_f32_e32 vcc, 0, v21
	s_and_saveexec_b64 s[0:1], vcc
	s_xor_b64 s[0:1], exec, s[0:1]
; %bb.86:
	v_cmp_ne_u32_e32 vcc, 0, v59
	s_nop 1
	v_cndmask_b32_e32 v59, 6, v59, vcc
; %bb.87:
	s_andn2_saveexec_b64 s[0:1], s[0:1]
	s_cbranch_execz .LBB20_89
; %bb.88:
	v_div_scale_f32 v32, s[2:3], v21, v21, 1.0
	v_rcp_f32_e32 v43, v32
	v_div_scale_f32 v54, vcc, 1.0, v21, 1.0
	v_fma_f32 v65, -v32, v43, 1.0
	v_fmac_f32_e32 v43, v65, v43
	v_mul_f32_e32 v65, v54, v43
	v_fma_f32 v71, -v32, v65, v54
	v_fmac_f32_e32 v65, v71, v43
	v_fma_f32 v32, -v32, v65, v54
	v_div_fmas_f32 v32, v32, v43, v65
	v_div_fixup_f32 v21, v32, v21, 1.0
.LBB20_89:
	s_or_b64 exec, exec, s[0:1]
	v_cmp_ne_u32_e32 vcc, v47, v22
	s_and_saveexec_b64 s[0:1], vcc
	s_xor_b64 s[0:1], exec, s[0:1]
	s_cbranch_execz .LBB20_95
; %bb.90:
	v_cmp_eq_u32_e32 vcc, 5, v47
	s_and_saveexec_b64 s[2:3], vcc
	s_cbranch_execz .LBB20_94
; %bb.91:
	v_cmp_ne_u32_e32 vcc, 5, v22
	s_xor_b64 s[18:19], s[16:17], -1
	s_and_b64 s[20:21], s[18:19], vcc
	s_and_saveexec_b64 s[18:19], s[20:21]
	s_cbranch_execz .LBB20_93
; %bb.92:
	v_ashrrev_i32_e32 v23, 31, v22
	v_lshl_add_u64 v[72:73], v[22:23], 2, v[102:103]
	global_load_dword v23, v[72:73], off
	global_load_dword v32, v[102:103], off offset:20
	s_waitcnt vmcnt(1)
	global_store_dword v[102:103], v23, off offset:20
	s_waitcnt vmcnt(1)
	global_store_dword v[72:73], v32, off
.LBB20_93:
	s_or_b64 exec, exec, s[18:19]
	v_mov_b32_e32 v23, v22
	v_mov_b32_e32 v47, v22
.LBB20_94:
	s_or_b64 exec, exec, s[2:3]
.LBB20_95:
	s_andn2_saveexec_b64 s[0:1], s[0:1]
	s_cbranch_execz .LBB20_97
; %bb.96:
	v_mov_b32_e32 v47, 5
	ds_write2_b32 v11, v6, v7 offset0:6 offset1:7
	ds_write2_b32 v11, v8, v9 offset0:8 offset1:9
	ds_write_b32 v11, v105 offset:40
.LBB20_97:
	s_or_b64 exec, exec, s[0:1]
	v_cmp_lt_i32_e32 vcc, 5, v47
	s_waitcnt lgkmcnt(0)
	s_barrier
	s_and_saveexec_b64 s[0:1], vcc
	s_cbranch_execz .LBB20_99
; %bb.98:
	ds_read2_b32 v[0:1], v11 offset0:6 offset1:7
	ds_read2_b32 v[2:3], v11 offset0:8 offset1:9
	ds_read_b32 v5, v11 offset:40
	v_mul_f32_e32 v4, v108, v21
	v_mov_b32_e32 v65, v4
	v_mov_b32_e32 v36, v60
	;; [unrolled: 1-line block ×3, first 2 shown]
	s_waitcnt lgkmcnt(0)
	v_pk_fma_f32 v[72:73], v[4:5], v[0:1], v[6:7] op_sel_hi:[0,1,1] neg_lo:[1,0,0] neg_hi:[1,0,0]
	v_mov_b32_e32 v37, v61
	v_mov_b32_e32 v38, v62
	;; [unrolled: 1-line block ×23, first 2 shown]
	v_pk_fma_f32 v[74:75], v[4:5], v[2:3], v[8:9] op_sel_hi:[0,1,1] neg_lo:[1,0,0] neg_hi:[1,0,0]
	v_mov_b32_e32 v20, v32
	v_fma_f32 v105, -v4, v5, v105
	v_mov_b32_e32 v13, v25
	v_mov_b32_e32 v14, v26
	;; [unrolled: 1-line block ×38, first 2 shown]
.LBB20_99:
	s_or_b64 exec, exec, s[0:1]
	v_lshl_add_u32 v21, v47, 2, v11
	s_barrier
	ds_write_b32 v21, v109
	s_waitcnt lgkmcnt(0)
	s_barrier
	ds_read_b32 v21, v11 offset:24
	s_cmp_lt_i32 s22, 8
	v_mov_b32_e32 v22, 6
	s_cbranch_scc1 .LBB20_102
; %bb.100:
	v_add3_u32 v32, v35, 0, 28
	v_mov_b32_e32 v22, 6
	s_mov_b32 s0, 7
.LBB20_101:                             ; =>This Inner Loop Header: Depth=1
	ds_read_b32 v43, v32
	v_mov_b32_e32 v54, s0
	s_add_i32 s0, s0, 1
	v_add_u32_e32 v32, 4, v32
	s_cmp_lg_u32 s22, s0
	s_waitcnt lgkmcnt(0)
	v_cmp_lt_f32_e64 vcc, |v21|, |v43|
	s_nop 1
	v_cndmask_b32_e32 v21, v21, v43, vcc
	v_cndmask_b32_e32 v22, v22, v54, vcc
	s_cbranch_scc1 .LBB20_101
.LBB20_102:
	s_waitcnt lgkmcnt(0)
	v_cmp_eq_f32_e32 vcc, 0, v21
	s_and_saveexec_b64 s[0:1], vcc
	s_xor_b64 s[0:1], exec, s[0:1]
; %bb.103:
	v_cmp_ne_u32_e32 vcc, 0, v59
	s_nop 1
	v_cndmask_b32_e32 v59, 7, v59, vcc
; %bb.104:
	s_andn2_saveexec_b64 s[0:1], s[0:1]
	s_cbranch_execz .LBB20_106
; %bb.105:
	v_div_scale_f32 v32, s[2:3], v21, v21, 1.0
	v_rcp_f32_e32 v43, v32
	v_div_scale_f32 v54, vcc, 1.0, v21, 1.0
	v_fma_f32 v60, -v32, v43, 1.0
	v_fmac_f32_e32 v43, v60, v43
	v_mul_f32_e32 v60, v54, v43
	v_fma_f32 v61, -v32, v60, v54
	v_fmac_f32_e32 v60, v61, v43
	v_fma_f32 v32, -v32, v60, v54
	v_div_fmas_f32 v32, v32, v43, v60
	v_div_fixup_f32 v21, v32, v21, 1.0
.LBB20_106:
	s_or_b64 exec, exec, s[0:1]
	v_cmp_ne_u32_e32 vcc, v47, v22
	s_and_saveexec_b64 s[0:1], vcc
	s_xor_b64 s[0:1], exec, s[0:1]
	s_cbranch_execz .LBB20_112
; %bb.107:
	v_cmp_eq_u32_e32 vcc, 6, v47
	s_and_saveexec_b64 s[2:3], vcc
	s_cbranch_execz .LBB20_111
; %bb.108:
	v_cmp_ne_u32_e32 vcc, 6, v22
	s_xor_b64 s[18:19], s[16:17], -1
	s_and_b64 s[20:21], s[18:19], vcc
	s_and_saveexec_b64 s[18:19], s[20:21]
	s_cbranch_execz .LBB20_110
; %bb.109:
	v_ashrrev_i32_e32 v23, 31, v22
	v_lshl_add_u64 v[60:61], v[22:23], 2, v[102:103]
	global_load_dword v23, v[60:61], off
	global_load_dword v32, v[102:103], off offset:24
	s_waitcnt vmcnt(1)
	global_store_dword v[102:103], v23, off offset:24
	s_waitcnt vmcnt(1)
	global_store_dword v[60:61], v32, off
.LBB20_110:
	s_or_b64 exec, exec, s[18:19]
	v_mov_b32_e32 v23, v22
	v_mov_b32_e32 v47, v22
.LBB20_111:
	s_or_b64 exec, exec, s[2:3]
.LBB20_112:
	s_andn2_saveexec_b64 s[0:1], s[0:1]
	s_cbranch_execz .LBB20_114
; %bb.113:
	v_mov_b32_e32 v47, 6
	ds_write2_b32 v11, v7, v8 offset0:7 offset1:8
	ds_write2_b32 v11, v9, v10 offset0:9 offset1:10
.LBB20_114:
	s_or_b64 exec, exec, s[0:1]
	v_cmp_lt_i32_e32 vcc, 6, v47
	s_waitcnt lgkmcnt(0)
	s_barrier
	s_and_saveexec_b64 s[0:1], vcc
	s_cbranch_execz .LBB20_116
; %bb.115:
	ds_read2_b32 v[0:1], v11 offset0:7 offset1:8
	ds_read2_b32 v[4:5], v11 offset0:9 offset1:10
	v_mul_f32_e32 v54, v109, v21
	v_mov_b32_e32 v2, v7
	v_mov_b32_e32 v3, v8
	;; [unrolled: 1-line block ×3, first 2 shown]
	s_waitcnt lgkmcnt(1)
	v_pk_fma_f32 v[106:107], v[54:55], v[0:1], v[2:3] op_sel_hi:[0,1,1] neg_lo:[1,0,0] neg_hi:[1,0,0]
	v_mov_b32_e32 v31, v55
	v_mov_b32_e32 v25, v49
	;; [unrolled: 1-line block ×15, first 2 shown]
	s_waitcnt lgkmcnt(0)
	v_pk_fma_f32 v[104:105], v[54:55], v[4:5], v[0:1] op_sel_hi:[0,1,1] neg_lo:[1,0,0] neg_hi:[1,0,0]
	v_mov_b32_e32 v13, v25
	v_mov_b32_e32 v14, v26
	;; [unrolled: 1-line block ×34, first 2 shown]
.LBB20_116:
	s_or_b64 exec, exec, s[0:1]
	v_lshl_add_u32 v21, v47, 2, v11
	s_barrier
	ds_write_b32 v21, v106
	s_waitcnt lgkmcnt(0)
	s_barrier
	ds_read_b32 v21, v11 offset:28
	s_cmp_lt_i32 s22, 9
	v_mov_b32_e32 v22, 7
	s_cbranch_scc1 .LBB20_119
; %bb.117:
	v_add3_u32 v32, v35, 0, 32
	v_mov_b32_e32 v22, 7
	s_mov_b32 s0, 8
.LBB20_118:                             ; =>This Inner Loop Header: Depth=1
	ds_read_b32 v43, v32
	v_mov_b32_e32 v48, s0
	s_add_i32 s0, s0, 1
	v_add_u32_e32 v32, 4, v32
	s_cmp_lg_u32 s22, s0
	s_waitcnt lgkmcnt(0)
	v_cmp_lt_f32_e64 vcc, |v21|, |v43|
	s_nop 1
	v_cndmask_b32_e32 v21, v21, v43, vcc
	v_cndmask_b32_e32 v22, v22, v48, vcc
	s_cbranch_scc1 .LBB20_118
.LBB20_119:
	s_waitcnt lgkmcnt(0)
	v_cmp_eq_f32_e32 vcc, 0, v21
	s_and_saveexec_b64 s[0:1], vcc
	s_xor_b64 s[0:1], exec, s[0:1]
; %bb.120:
	v_cmp_ne_u32_e32 vcc, 0, v59
	s_nop 1
	v_cndmask_b32_e32 v59, 8, v59, vcc
; %bb.121:
	s_andn2_saveexec_b64 s[0:1], s[0:1]
	s_cbranch_execz .LBB20_123
; %bb.122:
	v_div_scale_f32 v32, s[2:3], v21, v21, 1.0
	v_rcp_f32_e32 v43, v32
	v_div_scale_f32 v48, vcc, 1.0, v21, 1.0
	v_fma_f32 v49, -v32, v43, 1.0
	v_fmac_f32_e32 v43, v49, v43
	v_mul_f32_e32 v49, v48, v43
	v_fma_f32 v50, -v32, v49, v48
	v_fmac_f32_e32 v49, v50, v43
	v_fma_f32 v32, -v32, v49, v48
	v_div_fmas_f32 v32, v32, v43, v49
	v_div_fixup_f32 v21, v32, v21, 1.0
.LBB20_123:
	s_or_b64 exec, exec, s[0:1]
	v_cmp_ne_u32_e32 vcc, v47, v22
	s_and_saveexec_b64 s[0:1], vcc
	s_xor_b64 s[0:1], exec, s[0:1]
	s_cbranch_execz .LBB20_129
; %bb.124:
	v_cmp_eq_u32_e32 vcc, 7, v47
	s_and_saveexec_b64 s[2:3], vcc
	s_cbranch_execz .LBB20_128
; %bb.125:
	v_cmp_ne_u32_e32 vcc, 7, v22
	s_xor_b64 s[18:19], s[16:17], -1
	s_and_b64 s[20:21], s[18:19], vcc
	s_and_saveexec_b64 s[18:19], s[20:21]
	s_cbranch_execz .LBB20_127
; %bb.126:
	v_ashrrev_i32_e32 v23, 31, v22
	v_lshl_add_u64 v[48:49], v[22:23], 2, v[102:103]
	global_load_dword v23, v[48:49], off
	global_load_dword v32, v[102:103], off offset:28
	s_waitcnt vmcnt(1)
	global_store_dword v[102:103], v23, off offset:28
	s_waitcnt vmcnt(1)
	global_store_dword v[48:49], v32, off
.LBB20_127:
	s_or_b64 exec, exec, s[18:19]
	v_mov_b32_e32 v23, v22
	v_mov_b32_e32 v47, v22
.LBB20_128:
	s_or_b64 exec, exec, s[2:3]
.LBB20_129:
	s_andn2_saveexec_b64 s[0:1], s[0:1]
	s_cbranch_execz .LBB20_131
; %bb.130:
	v_mov_b32_e32 v47, 7
	ds_write2_b32 v11, v8, v9 offset0:8 offset1:9
	ds_write_b32 v11, v105 offset:40
.LBB20_131:
	s_or_b64 exec, exec, s[0:1]
	v_cmp_lt_i32_e32 vcc, 7, v47
	s_waitcnt lgkmcnt(0)
	s_barrier
	s_and_saveexec_b64 s[0:1], vcc
	s_cbranch_execz .LBB20_133
; %bb.132:
	ds_read2_b32 v[0:1], v11 offset0:8 offset1:9
	ds_read_b32 v3, v11 offset:40
	v_mul_f32_e32 v2, v106, v21
	v_mov_b32_e32 v43, v2
	v_mov_b32_e32 v12, v36
	;; [unrolled: 1-line block ×3, first 2 shown]
	s_waitcnt lgkmcnt(0)
	v_pk_fma_f32 v[48:49], v[2:3], v[0:1], v[8:9] op_sel_hi:[0,1,1] neg_lo:[1,0,0] neg_hi:[1,0,0]
	v_fma_f32 v105, -v2, v3, v105
	v_mov_b32_e32 v13, v37
	v_mov_b32_e32 v14, v38
	;; [unrolled: 1-line block ×36, first 2 shown]
.LBB20_133:
	s_or_b64 exec, exec, s[0:1]
	v_lshl_add_u32 v21, v47, 2, v11
	s_barrier
	ds_write_b32 v21, v107
	s_waitcnt lgkmcnt(0)
	s_barrier
	ds_read_b32 v21, v11 offset:32
	s_cmp_lt_i32 s22, 10
	v_mov_b32_e32 v22, 8
	s_cbranch_scc1 .LBB20_136
; %bb.134:
	v_add3_u32 v32, v35, 0, 36
	v_mov_b32_e32 v22, 8
	s_mov_b32 s0, 9
.LBB20_135:                             ; =>This Inner Loop Header: Depth=1
	ds_read_b32 v36, v32
	v_mov_b32_e32 v37, s0
	s_add_i32 s0, s0, 1
	v_add_u32_e32 v32, 4, v32
	s_cmp_lg_u32 s22, s0
	s_waitcnt lgkmcnt(0)
	v_cmp_lt_f32_e64 vcc, |v21|, |v36|
	s_nop 1
	v_cndmask_b32_e32 v21, v21, v36, vcc
	v_cndmask_b32_e32 v22, v22, v37, vcc
	s_cbranch_scc1 .LBB20_135
.LBB20_136:
	s_waitcnt lgkmcnt(0)
	v_cmp_eq_f32_e32 vcc, 0, v21
	s_and_saveexec_b64 s[0:1], vcc
	s_xor_b64 s[0:1], exec, s[0:1]
; %bb.137:
	v_cmp_ne_u32_e32 vcc, 0, v59
	s_nop 1
	v_cndmask_b32_e32 v59, 9, v59, vcc
; %bb.138:
	s_andn2_saveexec_b64 s[0:1], s[0:1]
	s_cbranch_execz .LBB20_140
; %bb.139:
	v_div_scale_f32 v32, s[2:3], v21, v21, 1.0
	v_rcp_f32_e32 v36, v32
	v_div_scale_f32 v37, vcc, 1.0, v21, 1.0
	v_fma_f32 v38, -v32, v36, 1.0
	v_fmac_f32_e32 v36, v38, v36
	v_mul_f32_e32 v38, v37, v36
	v_fma_f32 v39, -v32, v38, v37
	v_fmac_f32_e32 v38, v39, v36
	v_fma_f32 v32, -v32, v38, v37
	v_div_fmas_f32 v32, v32, v36, v38
	v_div_fixup_f32 v21, v32, v21, 1.0
.LBB20_140:
	s_or_b64 exec, exec, s[0:1]
	v_cmp_ne_u32_e32 vcc, v47, v22
	s_and_saveexec_b64 s[0:1], vcc
	s_xor_b64 s[0:1], exec, s[0:1]
	s_cbranch_execz .LBB20_146
; %bb.141:
	v_cmp_eq_u32_e32 vcc, 8, v47
	s_and_saveexec_b64 s[2:3], vcc
	s_cbranch_execz .LBB20_145
; %bb.142:
	v_cmp_ne_u32_e32 vcc, 8, v22
	s_xor_b64 s[18:19], s[16:17], -1
	s_and_b64 s[20:21], s[18:19], vcc
	s_and_saveexec_b64 s[18:19], s[20:21]
	s_cbranch_execz .LBB20_144
; %bb.143:
	v_ashrrev_i32_e32 v23, 31, v22
	v_lshl_add_u64 v[36:37], v[22:23], 2, v[102:103]
	global_load_dword v23, v[36:37], off
	global_load_dword v32, v[102:103], off offset:32
	s_waitcnt vmcnt(1)
	global_store_dword v[102:103], v23, off offset:32
	s_waitcnt vmcnt(1)
	global_store_dword v[36:37], v32, off
.LBB20_144:
	s_or_b64 exec, exec, s[18:19]
	v_mov_b32_e32 v23, v22
	v_mov_b32_e32 v47, v22
.LBB20_145:
	s_or_b64 exec, exec, s[2:3]
.LBB20_146:
	s_andn2_saveexec_b64 s[0:1], s[0:1]
; %bb.147:
	v_mov_b32_e32 v47, 8
	ds_write2_b32 v11, v9, v10 offset0:9 offset1:10
; %bb.148:
	s_or_b64 exec, exec, s[0:1]
	v_cmp_lt_i32_e32 vcc, 8, v47
	s_waitcnt lgkmcnt(0)
	s_barrier
	s_and_saveexec_b64 s[0:1], vcc
	s_cbranch_execz .LBB20_150
; %bb.149:
	ds_read2_b32 v[12:13], v11 offset0:9 offset1:10
	v_mul_f32_e32 v32, v107, v21
	v_mov_b32_e32 v14, v9
	v_mov_b32_e32 v15, v10
	;; [unrolled: 1-line block ×5, first 2 shown]
	s_waitcnt lgkmcnt(0)
	v_pk_fma_f32 v[104:105], v[32:33], v[12:13], v[14:15] op_sel_hi:[0,1,1] neg_lo:[1,0,0] neg_hi:[1,0,0]
	v_mov_b32_e32 v12, v24
	v_mov_b32_e32 v1, v25
	;; [unrolled: 1-line block ×21, first 2 shown]
.LBB20_150:
	s_or_b64 exec, exec, s[0:1]
	v_lshl_add_u32 v21, v47, 2, v11
	s_barrier
	ds_write_b32 v21, v104
	s_waitcnt lgkmcnt(0)
	s_barrier
	ds_read_b32 v21, v11 offset:36
	s_cmp_lt_i32 s22, 11
	v_mov_b32_e32 v22, 9
	s_cbranch_scc1 .LBB20_153
; %bb.151:
	v_add3_u32 v24, v35, 0, 40
	v_mov_b32_e32 v22, 9
	s_mov_b32 s0, 10
.LBB20_152:                             ; =>This Inner Loop Header: Depth=1
	ds_read_b32 v25, v24
	v_mov_b32_e32 v26, s0
	s_add_i32 s0, s0, 1
	v_add_u32_e32 v24, 4, v24
	s_cmp_lg_u32 s22, s0
	s_waitcnt lgkmcnt(0)
	v_cmp_lt_f32_e64 vcc, |v21|, |v25|
	s_nop 1
	v_cndmask_b32_e32 v21, v21, v25, vcc
	v_cndmask_b32_e32 v22, v22, v26, vcc
	s_cbranch_scc1 .LBB20_152
.LBB20_153:
	s_waitcnt lgkmcnt(0)
	v_cmp_eq_f32_e32 vcc, 0, v21
	s_and_saveexec_b64 s[0:1], vcc
	s_xor_b64 s[0:1], exec, s[0:1]
; %bb.154:
	v_cmp_ne_u32_e32 vcc, 0, v59
	s_nop 1
	v_cndmask_b32_e32 v59, 10, v59, vcc
; %bb.155:
	s_andn2_saveexec_b64 s[0:1], s[0:1]
	s_cbranch_execz .LBB20_157
; %bb.156:
	v_div_scale_f32 v24, s[2:3], v21, v21, 1.0
	v_rcp_f32_e32 v25, v24
	v_div_scale_f32 v26, vcc, 1.0, v21, 1.0
	v_fma_f32 v27, -v24, v25, 1.0
	v_fmac_f32_e32 v25, v27, v25
	v_mul_f32_e32 v27, v26, v25
	v_fma_f32 v28, -v24, v27, v26
	v_fmac_f32_e32 v27, v28, v25
	v_fma_f32 v24, -v24, v27, v26
	v_div_fmas_f32 v24, v24, v25, v27
	v_div_fixup_f32 v21, v24, v21, 1.0
.LBB20_157:
	s_or_b64 exec, exec, s[0:1]
	v_cmp_ne_u32_e32 vcc, v47, v22
	s_and_saveexec_b64 s[0:1], vcc
	s_xor_b64 s[0:1], exec, s[0:1]
	s_cbranch_execz .LBB20_163
; %bb.158:
	v_cmp_eq_u32_e32 vcc, 9, v47
	s_and_saveexec_b64 s[2:3], vcc
	s_cbranch_execz .LBB20_162
; %bb.159:
	v_cmp_ne_u32_e32 vcc, 9, v22
	s_xor_b64 s[18:19], s[16:17], -1
	s_and_b64 s[20:21], s[18:19], vcc
	s_and_saveexec_b64 s[18:19], s[20:21]
	s_cbranch_execz .LBB20_161
; %bb.160:
	v_ashrrev_i32_e32 v23, 31, v22
	v_lshl_add_u64 v[24:25], v[22:23], 2, v[102:103]
	global_load_dword v23, v[24:25], off
	global_load_dword v26, v[102:103], off offset:36
	s_waitcnt vmcnt(1)
	global_store_dword v[102:103], v23, off offset:36
	s_waitcnt vmcnt(1)
	global_store_dword v[24:25], v26, off
.LBB20_161:
	s_or_b64 exec, exec, s[18:19]
	v_mov_b32_e32 v23, v22
	v_mov_b32_e32 v47, v22
.LBB20_162:
	s_or_b64 exec, exec, s[2:3]
.LBB20_163:
	s_andn2_saveexec_b64 s[0:1], s[0:1]
; %bb.164:
	v_mov_b32_e32 v47, 9
	ds_write_b32 v11, v105 offset:40
; %bb.165:
	s_or_b64 exec, exec, s[0:1]
	v_cmp_lt_i32_e32 vcc, 9, v47
	s_waitcnt lgkmcnt(0)
	s_barrier
	s_and_saveexec_b64 s[0:1], vcc
	s_cbranch_execz .LBB20_167
; %bb.166:
	ds_read_b32 v0, v11 offset:40
	v_mul_f32_e32 v21, v104, v21
	s_waitcnt lgkmcnt(0)
	v_fma_f32 v22, -v21, v0, v105
	v_mov_b32_e32 v0, v12
	v_mov_b32_e32 v1, v13
	;; [unrolled: 1-line block ×12, first 2 shown]
.LBB20_167:
	s_or_b64 exec, exec, s[0:1]
	v_lshl_add_u32 v12, v47, 2, v11
	s_barrier
	ds_write_b32 v12, v105
	s_waitcnt lgkmcnt(0)
	s_barrier
	ds_read_b32 v11, v11 offset:40
	s_cmp_lt_i32 s22, 12
	v_mov_b32_e32 v12, 10
	s_cbranch_scc1 .LBB20_170
; %bb.168:
	v_add3_u32 v13, v35, 0, 44
	v_mov_b32_e32 v12, 10
	s_mov_b32 s0, 11
.LBB20_169:                             ; =>This Inner Loop Header: Depth=1
	ds_read_b32 v14, v13
	v_mov_b32_e32 v15, s0
	s_add_i32 s0, s0, 1
	v_add_u32_e32 v13, 4, v13
	s_cmp_lg_u32 s22, s0
	s_waitcnt lgkmcnt(0)
	v_cmp_lt_f32_e64 vcc, |v11|, |v14|
	s_nop 1
	v_cndmask_b32_e32 v11, v11, v14, vcc
	v_cndmask_b32_e32 v12, v12, v15, vcc
	s_cbranch_scc1 .LBB20_169
.LBB20_170:
	s_waitcnt lgkmcnt(0)
	v_cmp_eq_f32_e32 vcc, 0, v11
	s_and_saveexec_b64 s[0:1], vcc
	s_xor_b64 s[0:1], exec, s[0:1]
; %bb.171:
	v_cmp_ne_u32_e32 vcc, 0, v59
	s_nop 1
	v_cndmask_b32_e32 v59, 11, v59, vcc
; %bb.172:
	s_andn2_saveexec_b64 s[0:1], s[0:1]
	s_cbranch_execz .LBB20_174
; %bb.173:
	v_div_scale_f32 v13, s[2:3], v11, v11, 1.0
	v_rcp_f32_e32 v14, v13
	v_div_scale_f32 v15, vcc, 1.0, v11, 1.0
	v_fma_f32 v16, -v13, v14, 1.0
	v_fmac_f32_e32 v14, v16, v14
	v_mul_f32_e32 v16, v15, v14
	v_fma_f32 v17, -v13, v16, v15
	v_fmac_f32_e32 v16, v17, v14
	v_fma_f32 v13, -v13, v16, v15
	v_div_fmas_f32 v13, v13, v14, v16
	v_div_fixup_f32 v11, v13, v11, 1.0
.LBB20_174:
	s_or_b64 exec, exec, s[0:1]
	v_cmp_ne_u32_e32 vcc, v47, v12
	v_mov_b32_e32 v14, 10
	s_and_saveexec_b64 s[0:1], vcc
	s_cbranch_execz .LBB20_180
; %bb.175:
	v_cmp_eq_u32_e32 vcc, 10, v47
	s_and_saveexec_b64 s[2:3], vcc
	s_cbranch_execz .LBB20_179
; %bb.176:
	v_cmp_ne_u32_e32 vcc, 10, v12
	s_xor_b64 s[16:17], s[16:17], -1
	s_and_b64 s[18:19], s[16:17], vcc
	s_and_saveexec_b64 s[16:17], s[18:19]
	s_cbranch_execz .LBB20_178
; %bb.177:
	v_ashrrev_i32_e32 v13, 31, v12
	v_lshl_add_u64 v[14:15], v[12:13], 2, v[102:103]
	global_load_dword v13, v[14:15], off
	global_load_dword v16, v[102:103], off offset:40
	s_waitcnt vmcnt(1)
	global_store_dword v[102:103], v13, off offset:40
	s_waitcnt vmcnt(1)
	global_store_dword v[14:15], v16, off
.LBB20_178:
	s_or_b64 exec, exec, s[16:17]
	v_mov_b32_e32 v23, v12
	v_mov_b32_e32 v47, v12
.LBB20_179:
	s_or_b64 exec, exec, s[2:3]
	v_mov_b32_e32 v14, v47
.LBB20_180:
	s_or_b64 exec, exec, s[0:1]
	v_cmp_gt_i32_e32 vcc, 11, v14
	v_ashrrev_i32_e32 v15, 31, v14
	s_barrier
	s_barrier
	s_and_saveexec_b64 s[0:1], vcc
	s_cbranch_execz .LBB20_182
; %bb.181:
	v_mul_lo_u32 v18, s11, v100
	v_mul_lo_u32 v19, s10, v101
	v_mad_u64_u32 v[16:17], s[2:3], s10, v100, 0
	v_mov_b32_e32 v12, s6
	v_mov_b32_e32 v13, s7
	v_add3_u32 v17, v17, v19, v18
	v_lshl_add_u64 v[12:13], v[16:17], 2, v[12:13]
	v_lshl_add_u64 v[12:13], s[8:9], 2, v[12:13]
	v_lshl_add_u64 v[12:13], v[14:15], 2, v[12:13]
	v_add3_u32 v16, v23, s15, 1
	global_store_dword v[12:13], v16, off
.LBB20_182:
	s_or_b64 exec, exec, s[0:1]
	v_cmp_eq_u32_e32 vcc, 0, v14
	s_and_saveexec_b64 s[2:3], vcc
	s_cbranch_execz .LBB20_185
; %bb.183:
	v_mov_b32_e32 v12, s4
	v_mov_b32_e32 v13, s5
	v_lshl_add_u64 v[12:13], v[100:101], 2, v[12:13]
	global_load_dword v16, v[12:13], off
	v_cmp_ne_u32_e64 s[0:1], 0, v59
	s_waitcnt vmcnt(0)
	v_cmp_eq_u32_e32 vcc, 0, v16
	s_and_b64 s[0:1], vcc, s[0:1]
	s_and_b64 exec, exec, s[0:1]
	s_cbranch_execz .LBB20_185
; %bb.184:
	v_add_u32_e32 v16, s15, v59
	global_store_dword v[12:13], v16, off
.LBB20_185:
	s_or_b64 exec, exec, s[2:3]
	v_mul_f32_e32 v11, v105, v11
	v_cmp_lt_i32_e32 vcc, 10, v14
	s_nop 1
	v_cndmask_b32_e32 v12, v10, v11, vcc
	v_lshl_add_u64 v[10:11], v[14:15], 2, v[98:99]
	global_store_dword v[10:11], v0, off
	v_lshl_add_u64 v[10:11], s[12:13], 2, v[10:11]
	v_add_u32_e32 v0, s14, v14
	global_store_dword v[10:11], v1, off
	v_ashrrev_i32_e32 v1, 31, v0
	v_lshl_add_u64 v[10:11], v[0:1], 2, v[98:99]
	v_add_u32_e32 v0, s12, v0
	v_ashrrev_i32_e32 v1, 31, v0
	global_store_dword v[10:11], v2, off
	v_lshl_add_u64 v[10:11], v[0:1], 2, v[98:99]
	v_add_u32_e32 v0, s12, v0
	v_ashrrev_i32_e32 v1, 31, v0
	global_store_dword v[10:11], v3, off
	;; [unrolled: 4-line block ×7, first 2 shown]
	v_lshl_add_u64 v[2:3], v[0:1], 2, v[98:99]
	v_add_u32_e32 v0, s12, v0
	v_ashrrev_i32_e32 v1, 31, v0
	v_lshl_add_u64 v[0:1], v[0:1], 2, v[98:99]
	global_store_dword v[2:3], v9, off
	global_store_dword v[0:1], v12, off
.LBB20_186:
	s_endpgm
	.section	.rodata,"a",@progbits
	.p2align	6, 0x0
	.amdhsa_kernel _ZN9rocsolver6v33100L18getf2_small_kernelILi11EfiiPfEEvT1_T3_lS3_lPS3_llPT2_S3_S3_S5_l
		.amdhsa_group_segment_fixed_size 0
		.amdhsa_private_segment_fixed_size 0
		.amdhsa_kernarg_size 352
		.amdhsa_user_sgpr_count 2
		.amdhsa_user_sgpr_dispatch_ptr 0
		.amdhsa_user_sgpr_queue_ptr 0
		.amdhsa_user_sgpr_kernarg_segment_ptr 1
		.amdhsa_user_sgpr_dispatch_id 0
		.amdhsa_user_sgpr_kernarg_preload_length 0
		.amdhsa_user_sgpr_kernarg_preload_offset 0
		.amdhsa_user_sgpr_private_segment_size 0
		.amdhsa_uses_dynamic_stack 0
		.amdhsa_enable_private_segment 0
		.amdhsa_system_sgpr_workgroup_id_x 1
		.amdhsa_system_sgpr_workgroup_id_y 1
		.amdhsa_system_sgpr_workgroup_id_z 0
		.amdhsa_system_sgpr_workgroup_info 0
		.amdhsa_system_vgpr_workitem_id 1
		.amdhsa_next_free_vgpr 118
		.amdhsa_next_free_sgpr 26
		.amdhsa_accum_offset 120
		.amdhsa_reserve_vcc 1
		.amdhsa_float_round_mode_32 0
		.amdhsa_float_round_mode_16_64 0
		.amdhsa_float_denorm_mode_32 3
		.amdhsa_float_denorm_mode_16_64 3
		.amdhsa_dx10_clamp 1
		.amdhsa_ieee_mode 1
		.amdhsa_fp16_overflow 0
		.amdhsa_tg_split 0
		.amdhsa_exception_fp_ieee_invalid_op 0
		.amdhsa_exception_fp_denorm_src 0
		.amdhsa_exception_fp_ieee_div_zero 0
		.amdhsa_exception_fp_ieee_overflow 0
		.amdhsa_exception_fp_ieee_underflow 0
		.amdhsa_exception_fp_ieee_inexact 0
		.amdhsa_exception_int_div_zero 0
	.end_amdhsa_kernel
	.section	.text._ZN9rocsolver6v33100L18getf2_small_kernelILi11EfiiPfEEvT1_T3_lS3_lPS3_llPT2_S3_S3_S5_l,"axG",@progbits,_ZN9rocsolver6v33100L18getf2_small_kernelILi11EfiiPfEEvT1_T3_lS3_lPS3_llPT2_S3_S3_S5_l,comdat
.Lfunc_end20:
	.size	_ZN9rocsolver6v33100L18getf2_small_kernelILi11EfiiPfEEvT1_T3_lS3_lPS3_llPT2_S3_S3_S5_l, .Lfunc_end20-_ZN9rocsolver6v33100L18getf2_small_kernelILi11EfiiPfEEvT1_T3_lS3_lPS3_llPT2_S3_S3_S5_l
                                        ; -- End function
	.set _ZN9rocsolver6v33100L18getf2_small_kernelILi11EfiiPfEEvT1_T3_lS3_lPS3_llPT2_S3_S3_S5_l.num_vgpr, 118
	.set _ZN9rocsolver6v33100L18getf2_small_kernelILi11EfiiPfEEvT1_T3_lS3_lPS3_llPT2_S3_S3_S5_l.num_agpr, 0
	.set _ZN9rocsolver6v33100L18getf2_small_kernelILi11EfiiPfEEvT1_T3_lS3_lPS3_llPT2_S3_S3_S5_l.numbered_sgpr, 26
	.set _ZN9rocsolver6v33100L18getf2_small_kernelILi11EfiiPfEEvT1_T3_lS3_lPS3_llPT2_S3_S3_S5_l.num_named_barrier, 0
	.set _ZN9rocsolver6v33100L18getf2_small_kernelILi11EfiiPfEEvT1_T3_lS3_lPS3_llPT2_S3_S3_S5_l.private_seg_size, 0
	.set _ZN9rocsolver6v33100L18getf2_small_kernelILi11EfiiPfEEvT1_T3_lS3_lPS3_llPT2_S3_S3_S5_l.uses_vcc, 1
	.set _ZN9rocsolver6v33100L18getf2_small_kernelILi11EfiiPfEEvT1_T3_lS3_lPS3_llPT2_S3_S3_S5_l.uses_flat_scratch, 0
	.set _ZN9rocsolver6v33100L18getf2_small_kernelILi11EfiiPfEEvT1_T3_lS3_lPS3_llPT2_S3_S3_S5_l.has_dyn_sized_stack, 0
	.set _ZN9rocsolver6v33100L18getf2_small_kernelILi11EfiiPfEEvT1_T3_lS3_lPS3_llPT2_S3_S3_S5_l.has_recursion, 0
	.set _ZN9rocsolver6v33100L18getf2_small_kernelILi11EfiiPfEEvT1_T3_lS3_lPS3_llPT2_S3_S3_S5_l.has_indirect_call, 0
	.section	.AMDGPU.csdata,"",@progbits
; Kernel info:
; codeLenInByte = 8760
; TotalNumSgprs: 32
; NumVgprs: 118
; NumAgprs: 0
; TotalNumVgprs: 118
; ScratchSize: 0
; MemoryBound: 0
; FloatMode: 240
; IeeeMode: 1
; LDSByteSize: 0 bytes/workgroup (compile time only)
; SGPRBlocks: 3
; VGPRBlocks: 14
; NumSGPRsForWavesPerEU: 32
; NumVGPRsForWavesPerEU: 118
; AccumOffset: 120
; Occupancy: 4
; WaveLimiterHint : 0
; COMPUTE_PGM_RSRC2:SCRATCH_EN: 0
; COMPUTE_PGM_RSRC2:USER_SGPR: 2
; COMPUTE_PGM_RSRC2:TRAP_HANDLER: 0
; COMPUTE_PGM_RSRC2:TGID_X_EN: 1
; COMPUTE_PGM_RSRC2:TGID_Y_EN: 1
; COMPUTE_PGM_RSRC2:TGID_Z_EN: 0
; COMPUTE_PGM_RSRC2:TIDIG_COMP_CNT: 1
; COMPUTE_PGM_RSRC3_GFX90A:ACCUM_OFFSET: 29
; COMPUTE_PGM_RSRC3_GFX90A:TG_SPLIT: 0
	.section	.text._ZN9rocsolver6v33100L23getf2_npvt_small_kernelILi11EfiiPfEEvT1_T3_lS3_lPT2_S3_S3_,"axG",@progbits,_ZN9rocsolver6v33100L23getf2_npvt_small_kernelILi11EfiiPfEEvT1_T3_lS3_lPT2_S3_S3_,comdat
	.globl	_ZN9rocsolver6v33100L23getf2_npvt_small_kernelILi11EfiiPfEEvT1_T3_lS3_lPT2_S3_S3_ ; -- Begin function _ZN9rocsolver6v33100L23getf2_npvt_small_kernelILi11EfiiPfEEvT1_T3_lS3_lPT2_S3_S3_
	.p2align	8
	.type	_ZN9rocsolver6v33100L23getf2_npvt_small_kernelILi11EfiiPfEEvT1_T3_lS3_lPT2_S3_S3_,@function
_ZN9rocsolver6v33100L23getf2_npvt_small_kernelILi11EfiiPfEEvT1_T3_lS3_lPT2_S3_S3_: ; @_ZN9rocsolver6v33100L23getf2_npvt_small_kernelILi11EfiiPfEEvT1_T3_lS3_lPT2_S3_S3_
; %bb.0:
	s_load_dword s2, s[0:1], 0x44
	s_load_dwordx2 s[20:21], s[0:1], 0x30
	v_bfe_u32 v1, v0, 10, 10
	s_waitcnt lgkmcnt(0)
	s_lshr_b32 s2, s2, 16
	s_mul_i32 s3, s3, s2
	v_add_u32_e32 v120, s3, v1
	v_cmp_gt_i32_e32 vcc, s20, v120
	s_and_saveexec_b64 s[4:5], vcc
	s_cbranch_execz .LBB21_58
; %bb.1:
	s_load_dwordx4 s[8:11], s[0:1], 0x8
	s_load_dword s12, s[0:1], 0x18
	s_load_dwordx4 s[4:7], s[0:1], 0x20
	v_ashrrev_i32_e32 v121, 31, v120
	v_and_b32_e32 v11, 0x3ff, v0
	s_waitcnt lgkmcnt(0)
	v_mov_b32_e32 v2, s8
	v_mov_b32_e32 v3, s9
	v_mul_lo_u32 v0, s5, v120
	v_mul_lo_u32 v6, s4, v121
	v_mad_u64_u32 v[4:5], s[0:1], s4, v120, 0
	v_add3_u32 v5, v5, v6, v0
	v_lshl_add_u64 v[2:3], v[4:5], 2, v[2:3]
	v_lshl_add_u64 v[2:3], s[10:11], 2, v[2:3]
	v_lshlrev_b32_e32 v4, 2, v11
	v_mov_b32_e32 v5, 0
	s_add_i32 s0, s12, s12
	v_lshl_add_u64 v[108:109], v[2:3], 0, v[4:5]
	v_add_u32_e32 v4, s0, v11
	v_ashrrev_i32_e32 v5, 31, v4
	v_lshl_add_u64 v[112:113], v[4:5], 2, v[2:3]
	v_add_u32_e32 v4, s12, v4
	v_ashrrev_i32_e32 v5, 31, v4
	;; [unrolled: 3-line block ×6, first 2 shown]
	s_ashr_i32 s13, s12, 31
	v_lshl_add_u64 v[124:125], v[4:5], 2, v[2:3]
	v_add_u32_e32 v4, s12, v4
	v_lshl_add_u64 v[110:111], s[12:13], 2, v[108:109]
	global_load_dword v60, v[108:109], off
	global_load_dword v140, v[110:111], off
	;; [unrolled: 1-line block ×8, first 2 shown]
	v_ashrrev_i32_e32 v5, 31, v4
	v_lshl_add_u64 v[126:127], v[4:5], 2, v[2:3]
	v_add_u32_e32 v4, s12, v4
	v_ashrrev_i32_e32 v5, 31, v4
	v_lshl_add_u64 v[128:129], v[4:5], 2, v[2:3]
	v_add_u32_e32 v4, s12, v4
	v_ashrrev_i32_e32 v5, 31, v4
	v_lshl_add_u64 v[130:131], v[4:5], 2, v[2:3]
	global_load_dword v135, v[126:127], off
	global_load_dword v132, v[128:129], off
	;; [unrolled: 1-line block ×3, first 2 shown]
	s_mul_i32 s2, s2, 44
	s_add_i32 s0, s2, 0
	v_mad_u32_u24 v47, v1, 44, 0
	v_lshl_add_u32 v35, v1, 2, s0
	v_cmp_ne_u32_e64 s[2:3], 0, v11
	v_cmp_eq_u32_e64 s[0:1], 0, v11
	s_and_saveexec_b64 s[4:5], s[0:1]
	s_cbranch_execz .LBB21_4
; %bb.2:
	s_waitcnt vmcnt(10)
	ds_write_b32 v35, v60
	s_waitcnt vmcnt(8)
	ds_write2_b32 v47, v140, v141 offset0:1 offset1:2
	s_waitcnt vmcnt(6)
	ds_write2_b32 v47, v138, v139 offset0:3 offset1:4
	;; [unrolled: 2-line block ×5, first 2 shown]
	ds_read_b32 v0, v35
	s_waitcnt lgkmcnt(0)
	v_cmp_neq_f32_e32 vcc, 0, v0
	s_and_b64 exec, exec, vcc
	s_cbranch_execz .LBB21_4
; %bb.3:
	v_div_scale_f32 v1, s[8:9], v0, v0, 1.0
	v_rcp_f32_e32 v2, v1
	v_div_scale_f32 v3, vcc, 1.0, v0, 1.0
	v_fma_f32 v4, -v1, v2, 1.0
	v_fmac_f32_e32 v2, v4, v2
	v_mul_f32_e32 v4, v3, v2
	v_fma_f32 v5, -v1, v4, v3
	v_fmac_f32_e32 v4, v5, v2
	v_fma_f32 v1, -v1, v4, v3
	v_div_fmas_f32 v1, v1, v2, v4
	v_div_fixup_f32 v0, v1, v0, 1.0
	ds_write_b32 v35, v0
.LBB21_4:
	s_or_b64 exec, exec, s[4:5]
	s_waitcnt lgkmcnt(0)
	s_barrier
	ds_read_b32 v23, v35
	s_and_saveexec_b64 s[4:5], s[2:3]
	s_xor_b64 s[2:3], exec, s[4:5]
	s_cbranch_execz .LBB21_6
; %bb.5:
	ds_read2_b32 v[0:1], v47 offset0:1 offset1:2
	ds_read2_b32 v[2:3], v47 offset0:3 offset1:4
	;; [unrolled: 1-line block ×5, first 2 shown]
	s_waitcnt vmcnt(10) lgkmcnt(5)
	v_mul_f32_e32 v60, v60, v23
	s_waitcnt vmcnt(8) lgkmcnt(4)
	v_pk_fma_f32 v[140:141], v[60:61], v[0:1], v[140:141] op_sel_hi:[0,1,1] neg_lo:[1,0,0] neg_hi:[1,0,0]
	s_waitcnt vmcnt(6) lgkmcnt(3)
	v_pk_fma_f32 v[138:139], v[60:61], v[2:3], v[138:139] op_sel_hi:[0,1,1] neg_lo:[1,0,0] neg_hi:[1,0,0]
	;; [unrolled: 2-line block ×5, first 2 shown]
.LBB21_6:
	s_andn2_saveexec_b64 s[2:3], s[2:3]
	s_or_b64 exec, exec, s[2:3]
	s_waitcnt vmcnt(9)
	v_mov_b32_e32 v61, v140
	v_mov_b32_e32 v106, v70
	v_mov_b32_e32 v98, v62
	v_mov_b32_e32 v96, v60
	v_mov_b32_e32 v105, v69
	v_mov_b32_e32 v104, v68
	v_mov_b32_e32 v103, v67
	v_mov_b32_e32 v102, v66
	v_mov_b32_e32 v101, v65
	v_mov_b32_e32 v100, v64
	v_mov_b32_e32 v99, v63
	v_mov_b32_e32 v97, v61
	s_waitcnt vmcnt(8)
	v_mov_b32_e32 v98, v141
	v_mov_b32_e32 v84, v96
	v_mov_b32_e32 v87, v99
	v_mov_b32_e32 v85, v97
	v_mov_b32_e32 v86, v98
	v_mov_b32_e32 v88, v100
	v_mov_b32_e32 v89, v101
	v_mov_b32_e32 v90, v102
	v_mov_b32_e32 v91, v103
	v_mov_b32_e32 v92, v104
	v_mov_b32_e32 v93, v105
	v_mov_b32_e32 v94, v106
	;; [unrolled: 13-line block ×8, first 2 shown]
	s_waitcnt vmcnt(1)
	v_mov_b32_e32 v9, v132
	s_waitcnt vmcnt(0)
	v_mov_b32_e32 v10, v133
	v_cmp_eq_u32_e32 vcc, 1, v11
	s_waitcnt lgkmcnt(0)
	s_barrier
	s_and_saveexec_b64 s[2:3], vcc
	s_cbranch_execz .LBB21_9
; %bb.7:
	ds_write_b32 v35, v140
	ds_write2_b32 v47, v2, v3 offset0:2 offset1:3
	ds_write2_b32 v47, v4, v5 offset0:4 offset1:5
	;; [unrolled: 1-line block ×4, first 2 shown]
	ds_write_b32 v47, v133 offset:40
	ds_read_b32 v21, v35
	s_waitcnt lgkmcnt(0)
	v_cmp_neq_f32_e32 vcc, 0, v21
	s_and_b64 exec, exec, vcc
	s_cbranch_execz .LBB21_9
; %bb.8:
	v_div_scale_f32 v22, s[4:5], v21, v21, 1.0
	v_rcp_f32_e32 v32, v22
	v_div_scale_f32 v43, vcc, 1.0, v21, 1.0
	v_fma_f32 v54, -v22, v32, 1.0
	v_fmac_f32_e32 v32, v54, v32
	v_mul_f32_e32 v54, v43, v32
	v_fma_f32 v59, -v22, v54, v43
	v_fmac_f32_e32 v54, v59, v32
	v_fma_f32 v22, -v22, v54, v43
	v_div_fmas_f32 v22, v22, v32, v54
	v_div_fixup_f32 v21, v22, v21, 1.0
	ds_write_b32 v35, v21
.LBB21_9:
	s_or_b64 exec, exec, s[2:3]
	s_waitcnt lgkmcnt(0)
	s_barrier
	ds_read_b32 v59, v35
	v_cmp_lt_u32_e32 vcc, 1, v11
	s_and_saveexec_b64 s[2:3], vcc
	s_cbranch_execz .LBB21_11
; %bb.10:
	ds_read2_b32 v[12:13], v47 offset0:2 offset1:3
	ds_read2_b32 v[14:15], v47 offset0:4 offset1:5
	;; [unrolled: 1-line block ×4, first 2 shown]
	ds_read_b32 v1, v47 offset:40
	s_waitcnt lgkmcnt(5)
	v_mul_f32_e32 v0, v140, v59
	v_mov_b32_e32 v61, v0
	v_mov_b32_e32 v106, v70
	;; [unrolled: 1-line block ×3, first 2 shown]
	s_waitcnt lgkmcnt(0)
	v_pk_fma_f32 v[134:135], v[0:1], v[12:13], v[2:3] op_sel_hi:[0,1,1] neg_lo:[1,0,0] neg_hi:[1,0,0]
	v_mov_b32_e32 v96, v60
	v_mov_b32_e32 v105, v69
	;; [unrolled: 1-line block ×23, first 2 shown]
	v_pk_fma_f32 v[136:137], v[0:1], v[14:15], v[4:5] op_sel_hi:[0,1,1] neg_lo:[1,0,0] neg_hi:[1,0,0]
	v_mov_b32_e32 v76, v88
	v_mov_b32_e32 v73, v85
	;; [unrolled: 1-line block ×24, first 2 shown]
	v_pk_fma_f32 v[142:143], v[0:1], v[16:17], v[6:7] op_sel_hi:[0,1,1] neg_lo:[1,0,0] neg_hi:[1,0,0]
	v_mov_b32_e32 v42, v54
	v_mov_b32_e32 v37, v49
	;; [unrolled: 1-line block ×13, first 2 shown]
	v_pk_fma_f32 v[144:145], v[0:1], v[18:19], v[8:9] op_sel_hi:[0,1,1] neg_lo:[1,0,0] neg_hi:[1,0,0]
	v_mov_b32_e32 v25, v37
	v_mov_b32_e32 v26, v38
	;; [unrolled: 1-line block ×12, first 2 shown]
	v_fma_f32 v133, -v0, v1, v133
	v_mov_b32_e32 v13, v25
	v_mov_b32_e32 v14, v26
	;; [unrolled: 1-line block ×31, first 2 shown]
.LBB21_11:
	s_or_b64 exec, exec, s[2:3]
	v_cmp_eq_u32_e32 vcc, 2, v11
	s_waitcnt lgkmcnt(0)
	s_barrier
	s_and_saveexec_b64 s[2:3], vcc
	s_cbranch_execz .LBB21_14
; %bb.12:
	ds_write_b32 v35, v141
	ds_write2_b32 v47, v3, v4 offset0:3 offset1:4
	ds_write2_b32 v47, v5, v6 offset0:5 offset1:6
	;; [unrolled: 1-line block ×4, first 2 shown]
	ds_read_b32 v21, v35
	s_waitcnt lgkmcnt(0)
	v_cmp_neq_f32_e32 vcc, 0, v21
	s_and_b64 exec, exec, vcc
	s_cbranch_execz .LBB21_14
; %bb.13:
	v_div_scale_f32 v22, s[4:5], v21, v21, 1.0
	v_rcp_f32_e32 v32, v22
	v_div_scale_f32 v43, vcc, 1.0, v21, 1.0
	v_fma_f32 v54, -v22, v32, 1.0
	v_fmac_f32_e32 v32, v54, v32
	v_mul_f32_e32 v54, v43, v32
	v_fma_f32 v62, -v22, v54, v43
	v_fmac_f32_e32 v54, v62, v32
	v_fma_f32 v22, -v22, v54, v43
	v_div_fmas_f32 v22, v22, v32, v54
	v_div_fixup_f32 v21, v22, v21, 1.0
	ds_write_b32 v35, v21
.LBB21_14:
	s_or_b64 exec, exec, s[2:3]
	s_waitcnt lgkmcnt(0)
	s_barrier
	ds_read_b32 v71, v35
	v_cmp_lt_u32_e32 vcc, 2, v11
	s_and_saveexec_b64 s[2:3], vcc
	s_cbranch_execz .LBB21_16
; %bb.15:
	ds_read2_b32 v[0:1], v47 offset0:3 offset1:4
	s_waitcnt lgkmcnt(1)
	v_mul_f32_e32 v62, v141, v71
	v_mov_b32_e32 v2, v3
	v_mov_b32_e32 v3, v4
	;; [unrolled: 1-line block ×3, first 2 shown]
	s_waitcnt lgkmcnt(0)
	v_pk_fma_f32 v[138:139], v[62:63], v[0:1], v[2:3] op_sel_hi:[0,1,1] neg_lo:[1,0,0] neg_hi:[1,0,0]
	v_mov_b32_e32 v87, v63
	v_mov_b32_e32 v84, v60
	ds_read2_b32 v[12:13], v47 offset0:5 offset1:6
	ds_read2_b32 v[14:15], v47 offset0:7 offset1:8
	;; [unrolled: 1-line block ×3, first 2 shown]
	v_mov_b32_e32 v93, v69
	v_mov_b32_e32 v92, v68
	v_mov_b32_e32 v91, v67
	v_mov_b32_e32 v90, v66
	v_mov_b32_e32 v89, v65
	v_mov_b32_e32 v88, v64
	v_mov_b32_e32 v86, v62
	v_mov_b32_e32 v85, v61
	v_mov_b32_e32 v87, v138
	v_mov_b32_e32 v72, v84
	v_mov_b32_e32 v76, v88
	v_mov_b32_e32 v0, v5
	v_mov_b32_e32 v1, v6
	v_mov_b32_e32 v73, v85
	v_mov_b32_e32 v74, v86
	v_mov_b32_e32 v75, v87
	v_mov_b32_e32 v77, v89
	v_mov_b32_e32 v78, v90
	v_mov_b32_e32 v79, v91
	v_mov_b32_e32 v80, v92
	v_mov_b32_e32 v81, v93
	v_mov_b32_e32 v82, v94
	v_mov_b32_e32 v76, v139
	v_mov_b32_e32 v48, v72
	s_waitcnt lgkmcnt(2)
	v_pk_fma_f32 v[136:137], v[62:63], v[12:13], v[0:1] op_sel_hi:[0,1,1] neg_lo:[1,0,0] neg_hi:[1,0,0]
	v_mov_b32_e32 v53, v77
	v_mov_b32_e32 v49, v73
	;; [unrolled: 1-line block ×26, first 2 shown]
	s_waitcnt lgkmcnt(1)
	v_pk_fma_f32 v[134:135], v[62:63], v[14:15], v[0:1] op_sel_hi:[0,1,1] neg_lo:[1,0,0] neg_hi:[1,0,0]
	v_mov_b32_e32 v0, v9
	v_mov_b32_e32 v1, v10
	;; [unrolled: 1-line block ×3, first 2 shown]
	s_waitcnt lgkmcnt(0)
	v_pk_fma_f32 v[132:133], v[62:63], v[16:17], v[0:1] op_sel_hi:[0,1,1] neg_lo:[1,0,0] neg_hi:[1,0,0]
	v_mov_b32_e32 v25, v37
	v_mov_b32_e32 v26, v38
	;; [unrolled: 1-line block ×46, first 2 shown]
.LBB21_16:
	s_or_b64 exec, exec, s[2:3]
	v_cmp_eq_u32_e32 vcc, 3, v11
	s_waitcnt lgkmcnt(0)
	s_barrier
	s_and_saveexec_b64 s[2:3], vcc
	s_cbranch_execz .LBB21_19
; %bb.17:
	ds_write_b32 v35, v138
	ds_write2_b32 v47, v4, v5 offset0:4 offset1:5
	ds_write2_b32 v47, v6, v7 offset0:6 offset1:7
	ds_write2_b32 v47, v8, v9 offset0:8 offset1:9
	ds_write_b32 v47, v133 offset:40
	ds_read_b32 v21, v35
	s_waitcnt lgkmcnt(0)
	v_cmp_neq_f32_e32 vcc, 0, v21
	s_and_b64 exec, exec, vcc
	s_cbranch_execz .LBB21_19
; %bb.18:
	v_div_scale_f32 v22, s[4:5], v21, v21, 1.0
	v_rcp_f32_e32 v32, v22
	v_div_scale_f32 v43, vcc, 1.0, v21, 1.0
	v_fma_f32 v54, -v22, v32, 1.0
	v_fmac_f32_e32 v32, v54, v32
	v_mul_f32_e32 v54, v43, v32
	v_fma_f32 v60, -v22, v54, v43
	v_fmac_f32_e32 v54, v60, v32
	v_fma_f32 v22, -v22, v54, v43
	v_div_fmas_f32 v22, v22, v32, v54
	v_div_fixup_f32 v21, v22, v21, 1.0
	ds_write_b32 v35, v21
.LBB21_19:
	s_or_b64 exec, exec, s[2:3]
	s_waitcnt lgkmcnt(0)
	s_barrier
	ds_read_b32 v60, v35
	v_cmp_lt_u32_e32 vcc, 3, v11
	s_and_saveexec_b64 s[2:3], vcc
	s_cbranch_execz .LBB21_21
; %bb.20:
	ds_read2_b32 v[0:1], v47 offset0:4 offset1:5
	ds_read2_b32 v[2:3], v47 offset0:6 offset1:7
	;; [unrolled: 1-line block ×3, first 2 shown]
	ds_read_b32 v14, v47 offset:40
	s_waitcnt lgkmcnt(4)
	v_mul_f32_e32 v10, v138, v60
	v_mov_b32_e32 v99, v10
	v_mov_b32_e32 v72, v96
	s_waitcnt lgkmcnt(3)
	v_pk_fma_f32 v[62:63], v[10:11], v[0:1], v[4:5] op_sel_hi:[0,1,1] neg_lo:[1,0,0] neg_hi:[1,0,0]
	v_mov_b32_e32 v76, v100
	v_mov_b32_e32 v73, v97
	;; [unrolled: 1-line block ×24, first 2 shown]
	s_waitcnt lgkmcnt(2)
	v_pk_fma_f32 v[64:65], v[10:11], v[2:3], v[6:7] op_sel_hi:[0,1,1] neg_lo:[1,0,0] neg_hi:[1,0,0]
	v_mov_b32_e32 v42, v54
	v_mov_b32_e32 v37, v49
	;; [unrolled: 1-line block ×13, first 2 shown]
	s_waitcnt lgkmcnt(1)
	v_pk_fma_f32 v[66:67], v[10:11], v[12:13], v[8:9] op_sel_hi:[0,1,1] neg_lo:[1,0,0] neg_hi:[1,0,0]
	s_waitcnt lgkmcnt(0)
	v_fma_f32 v133, -v10, v14, v133
	v_mov_b32_e32 v25, v37
	v_mov_b32_e32 v26, v38
	;; [unrolled: 1-line block ×52, first 2 shown]
.LBB21_21:
	s_or_b64 exec, exec, s[2:3]
	v_cmp_eq_u32_e32 vcc, 4, v11
	s_waitcnt lgkmcnt(0)
	s_barrier
	s_and_saveexec_b64 s[2:3], vcc
	s_cbranch_execz .LBB21_24
; %bb.22:
	ds_write_b32 v35, v139
	ds_write2_b32 v47, v5, v6 offset0:5 offset1:6
	ds_write2_b32 v47, v7, v8 offset0:7 offset1:8
	;; [unrolled: 1-line block ×3, first 2 shown]
	ds_read_b32 v21, v35
	s_waitcnt lgkmcnt(0)
	v_cmp_neq_f32_e32 vcc, 0, v21
	s_and_b64 exec, exec, vcc
	s_cbranch_execz .LBB21_24
; %bb.23:
	v_div_scale_f32 v22, s[4:5], v21, v21, 1.0
	v_rcp_f32_e32 v32, v22
	v_div_scale_f32 v43, vcc, 1.0, v21, 1.0
	v_fma_f32 v54, -v22, v32, 1.0
	v_fmac_f32_e32 v32, v54, v32
	v_mul_f32_e32 v54, v43, v32
	v_fma_f32 v61, -v22, v54, v43
	v_fmac_f32_e32 v54, v61, v32
	v_fma_f32 v22, -v22, v54, v43
	v_div_fmas_f32 v22, v22, v32, v54
	v_div_fixup_f32 v21, v22, v21, 1.0
	ds_write_b32 v35, v21
.LBB21_24:
	s_or_b64 exec, exec, s[2:3]
	s_waitcnt lgkmcnt(0)
	s_barrier
	ds_read_b32 v61, v35
	v_cmp_lt_u32_e32 vcc, 4, v11
	s_and_saveexec_b64 s[2:3], vcc
	s_cbranch_execz .LBB21_26
; %bb.25:
	ds_read2_b32 v[0:1], v47 offset0:5 offset1:6
	s_waitcnt lgkmcnt(1)
	v_mul_f32_e32 v88, v139, v61
	v_mov_b32_e32 v2, v5
	v_mov_b32_e32 v3, v6
	;; [unrolled: 1-line block ×3, first 2 shown]
	ds_read2_b32 v[4:5], v47 offset0:7 offset1:8
	ds_read2_b32 v[12:13], v47 offset0:9 offset1:10
	s_waitcnt lgkmcnt(2)
	v_pk_fma_f32 v[136:137], v[88:89], v[0:1], v[2:3] op_sel_hi:[0,1,1] neg_lo:[1,0,0] neg_hi:[1,0,0]
	v_mov_b32_e32 v53, v89
	v_mov_b32_e32 v49, v85
	;; [unrolled: 1-line block ×26, first 2 shown]
	s_waitcnt lgkmcnt(1)
	v_pk_fma_f32 v[134:135], v[88:89], v[4:5], v[0:1] op_sel_hi:[0,1,1] neg_lo:[1,0,0] neg_hi:[1,0,0]
	v_mov_b32_e32 v0, v9
	v_mov_b32_e32 v1, v10
	;; [unrolled: 1-line block ×3, first 2 shown]
	s_waitcnt lgkmcnt(0)
	v_pk_fma_f32 v[132:133], v[88:89], v[12:13], v[0:1] op_sel_hi:[0,1,1] neg_lo:[1,0,0] neg_hi:[1,0,0]
	v_mov_b32_e32 v25, v37
	v_mov_b32_e32 v26, v38
	;; [unrolled: 1-line block ×46, first 2 shown]
.LBB21_26:
	s_or_b64 exec, exec, s[2:3]
	v_cmp_eq_u32_e32 vcc, 5, v11
	s_waitcnt lgkmcnt(0)
	s_barrier
	s_and_saveexec_b64 s[2:3], vcc
	s_cbranch_execz .LBB21_29
; %bb.27:
	ds_write_b32 v35, v136
	ds_write2_b32 v47, v6, v7 offset0:6 offset1:7
	ds_write2_b32 v47, v8, v9 offset0:8 offset1:9
	ds_write_b32 v47, v133 offset:40
	ds_read_b32 v21, v35
	s_waitcnt lgkmcnt(0)
	v_cmp_neq_f32_e32 vcc, 0, v21
	s_and_b64 exec, exec, vcc
	s_cbranch_execz .LBB21_29
; %bb.28:
	v_div_scale_f32 v22, s[4:5], v21, v21, 1.0
	v_rcp_f32_e32 v32, v22
	v_div_scale_f32 v43, vcc, 1.0, v21, 1.0
	v_fma_f32 v54, -v22, v32, 1.0
	v_fmac_f32_e32 v32, v54, v32
	v_mul_f32_e32 v54, v43, v32
	v_fma_f32 v62, -v22, v54, v43
	v_fmac_f32_e32 v54, v62, v32
	v_fma_f32 v22, -v22, v54, v43
	v_div_fmas_f32 v22, v22, v32, v54
	v_div_fixup_f32 v21, v22, v21, 1.0
	ds_write_b32 v35, v21
.LBB21_29:
	s_or_b64 exec, exec, s[2:3]
	s_waitcnt lgkmcnt(0)
	s_barrier
	ds_read_b32 v62, v35
	v_cmp_lt_u32_e32 vcc, 5, v11
	s_and_saveexec_b64 s[2:3], vcc
	s_cbranch_execz .LBB21_31
; %bb.30:
	ds_read2_b32 v[0:1], v47 offset0:6 offset1:7
	ds_read2_b32 v[2:3], v47 offset0:8 offset1:9
	ds_read_b32 v5, v47 offset:40
	s_waitcnt lgkmcnt(3)
	v_mul_f32_e32 v4, v136, v62
	v_mov_b32_e32 v77, v4
	v_mov_b32_e32 v36, v72
	;; [unrolled: 1-line block ×3, first 2 shown]
	s_waitcnt lgkmcnt(0)
	v_pk_fma_f32 v[64:65], v[4:5], v[0:1], v[6:7] op_sel_hi:[0,1,1] neg_lo:[1,0,0] neg_hi:[1,0,0]
	v_mov_b32_e32 v37, v73
	v_mov_b32_e32 v38, v74
	v_mov_b32_e32 v39, v75
	v_mov_b32_e32 v40, v76
	v_mov_b32_e32 v41, v77
	v_mov_b32_e32 v43, v79
	v_mov_b32_e32 v44, v80
	v_mov_b32_e32 v45, v81
	v_mov_b32_e32 v46, v82
	v_mov_b32_e32 v42, v64
	v_mov_b32_e32 v24, v36
	v_mov_b32_e32 v31, v43
	v_mov_b32_e32 v25, v37
	v_mov_b32_e32 v26, v38
	v_mov_b32_e32 v27, v39
	v_mov_b32_e32 v28, v40
	v_mov_b32_e32 v29, v41
	v_mov_b32_e32 v30, v42
	v_mov_b32_e32 v32, v44
	v_mov_b32_e32 v33, v45
	v_mov_b32_e32 v34, v46
	v_mov_b32_e32 v31, v65
	v_mov_b32_e32 v12, v24
	v_pk_fma_f32 v[66:67], v[4:5], v[2:3], v[8:9] op_sel_hi:[0,1,1] neg_lo:[1,0,0] neg_hi:[1,0,0]
	v_mov_b32_e32 v20, v32
	v_fma_f32 v133, -v4, v5, v133
	v_mov_b32_e32 v13, v25
	v_mov_b32_e32 v14, v26
	;; [unrolled: 1-line block ×38, first 2 shown]
.LBB21_31:
	s_or_b64 exec, exec, s[2:3]
	v_cmp_eq_u32_e32 vcc, 6, v11
	s_waitcnt lgkmcnt(0)
	s_barrier
	s_and_saveexec_b64 s[2:3], vcc
	s_cbranch_execz .LBB21_34
; %bb.32:
	ds_write_b32 v35, v137
	ds_write2_b32 v47, v7, v8 offset0:7 offset1:8
	ds_write2_b32 v47, v9, v10 offset0:9 offset1:10
	ds_read_b32 v21, v35
	s_waitcnt lgkmcnt(0)
	v_cmp_neq_f32_e32 vcc, 0, v21
	s_and_b64 exec, exec, vcc
	s_cbranch_execz .LBB21_34
; %bb.33:
	v_div_scale_f32 v22, s[4:5], v21, v21, 1.0
	v_rcp_f32_e32 v32, v22
	v_div_scale_f32 v43, vcc, 1.0, v21, 1.0
	v_fma_f32 v54, -v22, v32, 1.0
	v_fmac_f32_e32 v32, v54, v32
	v_mul_f32_e32 v54, v43, v32
	v_fma_f32 v63, -v22, v54, v43
	v_fmac_f32_e32 v54, v63, v32
	v_fma_f32 v22, -v22, v54, v43
	v_div_fmas_f32 v22, v22, v32, v54
	v_div_fixup_f32 v21, v22, v21, 1.0
	ds_write_b32 v35, v21
.LBB21_34:
	s_or_b64 exec, exec, s[2:3]
	s_waitcnt lgkmcnt(0)
	s_barrier
	ds_read_b32 v63, v35
	v_cmp_lt_u32_e32 vcc, 6, v11
	s_and_saveexec_b64 s[2:3], vcc
	s_cbranch_execz .LBB21_36
; %bb.35:
	ds_read2_b32 v[0:1], v47 offset0:7 offset1:8
	ds_read2_b32 v[4:5], v47 offset0:9 offset1:10
	s_waitcnt lgkmcnt(2)
	v_mul_f32_e32 v54, v137, v63
	v_mov_b32_e32 v2, v7
	v_mov_b32_e32 v3, v8
	;; [unrolled: 1-line block ×3, first 2 shown]
	s_waitcnt lgkmcnt(1)
	v_pk_fma_f32 v[134:135], v[54:55], v[0:1], v[2:3] op_sel_hi:[0,1,1] neg_lo:[1,0,0] neg_hi:[1,0,0]
	v_mov_b32_e32 v31, v55
	v_mov_b32_e32 v25, v49
	;; [unrolled: 1-line block ×15, first 2 shown]
	s_waitcnt lgkmcnt(0)
	v_pk_fma_f32 v[132:133], v[54:55], v[4:5], v[0:1] op_sel_hi:[0,1,1] neg_lo:[1,0,0] neg_hi:[1,0,0]
	v_mov_b32_e32 v13, v25
	v_mov_b32_e32 v14, v26
	;; [unrolled: 1-line block ×34, first 2 shown]
.LBB21_36:
	s_or_b64 exec, exec, s[2:3]
	v_cmp_eq_u32_e32 vcc, 7, v11
	s_waitcnt lgkmcnt(0)
	s_barrier
	s_and_saveexec_b64 s[2:3], vcc
	s_cbranch_execz .LBB21_39
; %bb.37:
	ds_write_b32 v35, v134
	ds_write2_b32 v47, v8, v9 offset0:8 offset1:9
	ds_write_b32 v47, v133 offset:40
	ds_read_b32 v21, v35
	s_waitcnt lgkmcnt(0)
	v_cmp_neq_f32_e32 vcc, 0, v21
	s_and_b64 exec, exec, vcc
	s_cbranch_execz .LBB21_39
; %bb.38:
	v_div_scale_f32 v22, s[4:5], v21, v21, 1.0
	v_rcp_f32_e32 v32, v22
	v_div_scale_f32 v43, vcc, 1.0, v21, 1.0
	v_fma_f32 v48, -v22, v32, 1.0
	v_fmac_f32_e32 v32, v48, v32
	v_mul_f32_e32 v48, v43, v32
	v_fma_f32 v49, -v22, v48, v43
	v_fmac_f32_e32 v48, v49, v32
	v_fma_f32 v22, -v22, v48, v43
	v_div_fmas_f32 v22, v22, v32, v48
	v_div_fixup_f32 v21, v22, v21, 1.0
	ds_write_b32 v35, v21
.LBB21_39:
	s_or_b64 exec, exec, s[2:3]
	s_waitcnt lgkmcnt(0)
	s_barrier
	ds_read_b32 v48, v35
	v_cmp_lt_u32_e32 vcc, 7, v11
	s_and_saveexec_b64 s[2:3], vcc
	s_cbranch_execz .LBB21_41
; %bb.40:
	ds_read2_b32 v[0:1], v47 offset0:8 offset1:9
	ds_read_b32 v3, v47 offset:40
	s_waitcnt lgkmcnt(2)
	v_mul_f32_e32 v2, v134, v48
	v_mov_b32_e32 v43, v2
	v_mov_b32_e32 v12, v36
	;; [unrolled: 1-line block ×3, first 2 shown]
	s_waitcnt lgkmcnt(0)
	v_pk_fma_f32 v[50:51], v[2:3], v[0:1], v[8:9] op_sel_hi:[0,1,1] neg_lo:[1,0,0] neg_hi:[1,0,0]
	v_fma_f32 v133, -v2, v3, v133
	v_mov_b32_e32 v13, v37
	v_mov_b32_e32 v14, v38
	;; [unrolled: 1-line block ×36, first 2 shown]
.LBB21_41:
	s_or_b64 exec, exec, s[2:3]
	v_cmp_eq_u32_e32 vcc, 8, v11
	s_waitcnt lgkmcnt(0)
	s_barrier
	s_and_saveexec_b64 s[2:3], vcc
	s_cbranch_execz .LBB21_44
; %bb.42:
	ds_write_b32 v35, v135
	ds_write2_b32 v47, v9, v10 offset0:9 offset1:10
	ds_read_b32 v21, v35
	s_waitcnt lgkmcnt(0)
	v_cmp_neq_f32_e32 vcc, 0, v21
	s_and_b64 exec, exec, vcc
	s_cbranch_execz .LBB21_44
; %bb.43:
	v_div_scale_f32 v22, s[4:5], v21, v21, 1.0
	v_rcp_f32_e32 v32, v22
	v_div_scale_f32 v36, vcc, 1.0, v21, 1.0
	v_fma_f32 v37, -v22, v32, 1.0
	v_fmac_f32_e32 v32, v37, v32
	v_mul_f32_e32 v37, v36, v32
	v_fma_f32 v38, -v22, v37, v36
	v_fmac_f32_e32 v37, v38, v32
	v_fma_f32 v22, -v22, v37, v36
	v_div_fmas_f32 v22, v22, v32, v37
	v_div_fixup_f32 v21, v22, v21, 1.0
	ds_write_b32 v35, v21
.LBB21_44:
	s_or_b64 exec, exec, s[2:3]
	s_waitcnt lgkmcnt(0)
	s_barrier
	ds_read_b32 v36, v35
	v_cmp_lt_u32_e32 vcc, 8, v11
	s_and_saveexec_b64 s[2:3], vcc
	s_cbranch_execz .LBB21_46
; %bb.45:
	ds_read2_b32 v[12:13], v47 offset0:9 offset1:10
	s_waitcnt lgkmcnt(1)
	v_mul_f32_e32 v32, v135, v36
	v_mov_b32_e32 v14, v9
	v_mov_b32_e32 v15, v10
	;; [unrolled: 1-line block ×5, first 2 shown]
	s_waitcnt lgkmcnt(0)
	v_pk_fma_f32 v[132:133], v[32:33], v[12:13], v[14:15] op_sel_hi:[0,1,1] neg_lo:[1,0,0] neg_hi:[1,0,0]
	v_mov_b32_e32 v12, v24
	v_mov_b32_e32 v1, v25
	;; [unrolled: 1-line block ×21, first 2 shown]
.LBB21_46:
	s_or_b64 exec, exec, s[2:3]
	v_cmp_eq_u32_e32 vcc, 9, v11
	s_waitcnt lgkmcnt(0)
	s_barrier
	s_and_saveexec_b64 s[2:3], vcc
	s_cbranch_execz .LBB21_49
; %bb.47:
	ds_write_b32 v35, v132
	ds_write_b32 v47, v133 offset:40
	ds_read_b32 v21, v35
	s_waitcnt lgkmcnt(0)
	v_cmp_neq_f32_e32 vcc, 0, v21
	s_and_b64 exec, exec, vcc
	s_cbranch_execz .LBB21_49
; %bb.48:
	v_div_scale_f32 v22, s[4:5], v21, v21, 1.0
	v_rcp_f32_e32 v24, v22
	v_div_scale_f32 v25, vcc, 1.0, v21, 1.0
	v_fma_f32 v26, -v22, v24, 1.0
	v_fmac_f32_e32 v24, v26, v24
	v_mul_f32_e32 v26, v25, v24
	v_fma_f32 v27, -v22, v26, v25
	v_fmac_f32_e32 v26, v27, v24
	v_fma_f32 v22, -v22, v26, v25
	v_div_fmas_f32 v22, v22, v24, v26
	v_div_fixup_f32 v21, v22, v21, 1.0
	ds_write_b32 v35, v21
.LBB21_49:
	s_or_b64 exec, exec, s[2:3]
	s_waitcnt lgkmcnt(0)
	s_barrier
	ds_read_b32 v24, v35
	v_cmp_lt_u32_e32 vcc, 9, v11
	s_and_saveexec_b64 s[2:3], vcc
	s_cbranch_execz .LBB21_51
; %bb.50:
	ds_read_b32 v0, v47 offset:40
	s_waitcnt lgkmcnt(1)
	v_mul_f32_e32 v21, v132, v24
	s_waitcnt lgkmcnt(0)
	v_fma_f32 v22, -v21, v0, v133
	v_mov_b32_e32 v0, v12
	v_mov_b32_e32 v1, v13
	v_mov_b32_e32 v2, v14
	v_mov_b32_e32 v3, v15
	v_mov_b32_e32 v4, v16
	v_mov_b32_e32 v5, v17
	v_mov_b32_e32 v6, v18
	v_mov_b32_e32 v7, v19
	v_mov_b32_e32 v8, v20
	v_mov_b32_e32 v9, v21
	v_mov_b32_e32 v10, v22
	v_mov_b32_e32 v133, v22
.LBB21_51:
	s_or_b64 exec, exec, s[2:3]
	v_cmp_eq_u32_e32 vcc, 10, v11
	s_waitcnt lgkmcnt(0)
	s_barrier
	s_and_saveexec_b64 s[2:3], vcc
	s_cbranch_execz .LBB21_54
; %bb.52:
	v_cmp_neq_f32_e32 vcc, 0, v133
	ds_write_b32 v35, v133
	s_and_b64 exec, exec, vcc
	s_cbranch_execz .LBB21_54
; %bb.53:
	v_div_scale_f32 v12, s[4:5], v133, v133, 1.0
	v_rcp_f32_e32 v13, v12
	v_div_scale_f32 v14, vcc, 1.0, v133, 1.0
	v_fma_f32 v15, -v12, v13, 1.0
	v_fmac_f32_e32 v13, v15, v13
	v_mul_f32_e32 v15, v14, v13
	v_fma_f32 v16, -v12, v15, v14
	v_fmac_f32_e32 v15, v16, v13
	v_fma_f32 v12, -v12, v15, v14
	v_div_fmas_f32 v12, v12, v13, v15
	v_div_fixup_f32 v12, v12, v133, 1.0
	ds_write_b32 v35, v12
.LBB21_54:
	s_or_b64 exec, exec, s[2:3]
	s_waitcnt lgkmcnt(0)
	s_barrier
	ds_read_b32 v14, v35
	s_waitcnt lgkmcnt(0)
	s_barrier
	s_and_saveexec_b64 s[22:23], s[0:1]
	s_cbranch_execz .LBB21_57
; %bb.55:
	v_mov_b32_e32 v12, s6
	v_mov_b32_e32 v13, s7
	v_lshl_add_u64 v[12:13], v[120:121], 2, v[12:13]
	global_load_dword v16, v[12:13], off
	v_cmp_eq_f32_e32 vcc, 0, v23
	v_cmp_neq_f32_e64 s[0:1], 0, v59
	v_cmp_eq_f32_e64 s[2:3], 0, v71
	v_cndmask_b32_e64 v15, 0, 1, vcc
	s_or_b64 vcc, s[0:1], vcc
	v_cndmask_b32_e32 v15, 2, v15, vcc
	v_cmp_eq_u32_e32 vcc, 0, v15
	s_and_b64 s[0:1], s[2:3], vcc
	v_cndmask_b32_e64 v15, v15, 3, s[0:1]
	v_cmp_eq_f32_e64 s[4:5], 0, v60
	v_cmp_eq_u32_e32 vcc, 0, v15
	s_and_b64 s[0:1], s[4:5], vcc
	v_cndmask_b32_e64 v15, v15, 4, s[0:1]
	v_cmp_eq_f32_e64 s[6:7], 0, v61
	;; [unrolled: 4-line block ×8, first 2 shown]
	v_cmp_eq_u32_e32 vcc, 0, v15
	s_and_b64 s[0:1], s[18:19], vcc
	v_cndmask_b32_e64 v15, v15, 11, s[0:1]
	v_cmp_ne_u32_e64 s[0:1], 0, v15
	s_waitcnt vmcnt(0)
	v_cmp_eq_u32_e32 vcc, 0, v16
	s_and_b64 s[0:1], vcc, s[0:1]
	s_and_b64 exec, exec, s[0:1]
	s_cbranch_execz .LBB21_57
; %bb.56:
	v_add_u32_e32 v15, s21, v15
	global_store_dword v[12:13], v15, off
.LBB21_57:
	s_or_b64 exec, exec, s[22:23]
	v_mul_f32_e32 v12, v133, v14
	v_cmp_lt_u32_e32 vcc, 10, v11
	s_nop 1
	v_cndmask_b32_e32 v10, v10, v12, vcc
	global_store_dword v[108:109], v0, off
	global_store_dword v[110:111], v1, off
	;; [unrolled: 1-line block ×11, first 2 shown]
.LBB21_58:
	s_endpgm
	.section	.rodata,"a",@progbits
	.p2align	6, 0x0
	.amdhsa_kernel _ZN9rocsolver6v33100L23getf2_npvt_small_kernelILi11EfiiPfEEvT1_T3_lS3_lPT2_S3_S3_
		.amdhsa_group_segment_fixed_size 0
		.amdhsa_private_segment_fixed_size 0
		.amdhsa_kernarg_size 312
		.amdhsa_user_sgpr_count 2
		.amdhsa_user_sgpr_dispatch_ptr 0
		.amdhsa_user_sgpr_queue_ptr 0
		.amdhsa_user_sgpr_kernarg_segment_ptr 1
		.amdhsa_user_sgpr_dispatch_id 0
		.amdhsa_user_sgpr_kernarg_preload_length 0
		.amdhsa_user_sgpr_kernarg_preload_offset 0
		.amdhsa_user_sgpr_private_segment_size 0
		.amdhsa_uses_dynamic_stack 0
		.amdhsa_enable_private_segment 0
		.amdhsa_system_sgpr_workgroup_id_x 1
		.amdhsa_system_sgpr_workgroup_id_y 1
		.amdhsa_system_sgpr_workgroup_id_z 0
		.amdhsa_system_sgpr_workgroup_info 0
		.amdhsa_system_vgpr_workitem_id 1
		.amdhsa_next_free_vgpr 146
		.amdhsa_next_free_sgpr 24
		.amdhsa_accum_offset 148
		.amdhsa_reserve_vcc 1
		.amdhsa_float_round_mode_32 0
		.amdhsa_float_round_mode_16_64 0
		.amdhsa_float_denorm_mode_32 3
		.amdhsa_float_denorm_mode_16_64 3
		.amdhsa_dx10_clamp 1
		.amdhsa_ieee_mode 1
		.amdhsa_fp16_overflow 0
		.amdhsa_tg_split 0
		.amdhsa_exception_fp_ieee_invalid_op 0
		.amdhsa_exception_fp_denorm_src 0
		.amdhsa_exception_fp_ieee_div_zero 0
		.amdhsa_exception_fp_ieee_overflow 0
		.amdhsa_exception_fp_ieee_underflow 0
		.amdhsa_exception_fp_ieee_inexact 0
		.amdhsa_exception_int_div_zero 0
	.end_amdhsa_kernel
	.section	.text._ZN9rocsolver6v33100L23getf2_npvt_small_kernelILi11EfiiPfEEvT1_T3_lS3_lPT2_S3_S3_,"axG",@progbits,_ZN9rocsolver6v33100L23getf2_npvt_small_kernelILi11EfiiPfEEvT1_T3_lS3_lPT2_S3_S3_,comdat
.Lfunc_end21:
	.size	_ZN9rocsolver6v33100L23getf2_npvt_small_kernelILi11EfiiPfEEvT1_T3_lS3_lPT2_S3_S3_, .Lfunc_end21-_ZN9rocsolver6v33100L23getf2_npvt_small_kernelILi11EfiiPfEEvT1_T3_lS3_lPT2_S3_S3_
                                        ; -- End function
	.set _ZN9rocsolver6v33100L23getf2_npvt_small_kernelILi11EfiiPfEEvT1_T3_lS3_lPT2_S3_S3_.num_vgpr, 146
	.set _ZN9rocsolver6v33100L23getf2_npvt_small_kernelILi11EfiiPfEEvT1_T3_lS3_lPT2_S3_S3_.num_agpr, 0
	.set _ZN9rocsolver6v33100L23getf2_npvt_small_kernelILi11EfiiPfEEvT1_T3_lS3_lPT2_S3_S3_.numbered_sgpr, 24
	.set _ZN9rocsolver6v33100L23getf2_npvt_small_kernelILi11EfiiPfEEvT1_T3_lS3_lPT2_S3_S3_.num_named_barrier, 0
	.set _ZN9rocsolver6v33100L23getf2_npvt_small_kernelILi11EfiiPfEEvT1_T3_lS3_lPT2_S3_S3_.private_seg_size, 0
	.set _ZN9rocsolver6v33100L23getf2_npvt_small_kernelILi11EfiiPfEEvT1_T3_lS3_lPT2_S3_S3_.uses_vcc, 1
	.set _ZN9rocsolver6v33100L23getf2_npvt_small_kernelILi11EfiiPfEEvT1_T3_lS3_lPT2_S3_S3_.uses_flat_scratch, 0
	.set _ZN9rocsolver6v33100L23getf2_npvt_small_kernelILi11EfiiPfEEvT1_T3_lS3_lPT2_S3_S3_.has_dyn_sized_stack, 0
	.set _ZN9rocsolver6v33100L23getf2_npvt_small_kernelILi11EfiiPfEEvT1_T3_lS3_lPT2_S3_S3_.has_recursion, 0
	.set _ZN9rocsolver6v33100L23getf2_npvt_small_kernelILi11EfiiPfEEvT1_T3_lS3_lPT2_S3_S3_.has_indirect_call, 0
	.section	.AMDGPU.csdata,"",@progbits
; Kernel info:
; codeLenInByte = 6340
; TotalNumSgprs: 30
; NumVgprs: 146
; NumAgprs: 0
; TotalNumVgprs: 146
; ScratchSize: 0
; MemoryBound: 0
; FloatMode: 240
; IeeeMode: 1
; LDSByteSize: 0 bytes/workgroup (compile time only)
; SGPRBlocks: 3
; VGPRBlocks: 18
; NumSGPRsForWavesPerEU: 30
; NumVGPRsForWavesPerEU: 146
; AccumOffset: 148
; Occupancy: 3
; WaveLimiterHint : 0
; COMPUTE_PGM_RSRC2:SCRATCH_EN: 0
; COMPUTE_PGM_RSRC2:USER_SGPR: 2
; COMPUTE_PGM_RSRC2:TRAP_HANDLER: 0
; COMPUTE_PGM_RSRC2:TGID_X_EN: 1
; COMPUTE_PGM_RSRC2:TGID_Y_EN: 1
; COMPUTE_PGM_RSRC2:TGID_Z_EN: 0
; COMPUTE_PGM_RSRC2:TIDIG_COMP_CNT: 1
; COMPUTE_PGM_RSRC3_GFX90A:ACCUM_OFFSET: 36
; COMPUTE_PGM_RSRC3_GFX90A:TG_SPLIT: 0
	.section	.text._ZN9rocsolver6v33100L18getf2_small_kernelILi12EfiiPfEEvT1_T3_lS3_lPS3_llPT2_S3_S3_S5_l,"axG",@progbits,_ZN9rocsolver6v33100L18getf2_small_kernelILi12EfiiPfEEvT1_T3_lS3_lPS3_llPT2_S3_S3_S5_l,comdat
	.globl	_ZN9rocsolver6v33100L18getf2_small_kernelILi12EfiiPfEEvT1_T3_lS3_lPS3_llPT2_S3_S3_S5_l ; -- Begin function _ZN9rocsolver6v33100L18getf2_small_kernelILi12EfiiPfEEvT1_T3_lS3_lPS3_llPT2_S3_S3_S5_l
	.p2align	8
	.type	_ZN9rocsolver6v33100L18getf2_small_kernelILi12EfiiPfEEvT1_T3_lS3_lPS3_llPT2_S3_S3_S5_l,@function
_ZN9rocsolver6v33100L18getf2_small_kernelILi12EfiiPfEEvT1_T3_lS3_lPS3_llPT2_S3_S3_S5_l: ; @_ZN9rocsolver6v33100L18getf2_small_kernelILi12EfiiPfEEvT1_T3_lS3_lPS3_llPT2_S3_S3_S5_l
; %bb.0:
	s_load_dword s2, s[0:1], 0x6c
	s_load_dwordx2 s[14:15], s[0:1], 0x48
	v_bfe_u32 v3, v0, 10, 10
	s_waitcnt lgkmcnt(0)
	s_lshr_b32 s2, s2, 16
	s_mul_i32 s3, s3, s2
	v_add_u32_e32 v112, s3, v3
	v_cmp_gt_i32_e32 vcc, s14, v112
	s_and_saveexec_b64 s[2:3], vcc
	s_cbranch_execz .LBB22_203
; %bb.1:
	s_load_dwordx4 s[4:7], s[0:1], 0x50
	v_ashrrev_i32_e32 v113, 31, v112
	v_mov_b64_e32 v[114:115], 0
	s_waitcnt lgkmcnt(0)
	s_cmp_eq_u64 s[4:5], 0
	s_cselect_b64 s[16:17], -1, 0
	s_and_b64 vcc, exec, s[16:17]
	s_cbranch_vccnz .LBB22_3
; %bb.2:
	v_mul_lo_u32 v1, s7, v112
	v_mul_lo_u32 v2, s6, v113
	v_mad_u64_u32 v[4:5], s[2:3], s6, v112, 0
	v_add3_u32 v5, v5, v2, v1
	v_lshl_add_u64 v[114:115], v[4:5], 2, s[4:5]
.LBB22_3:
	s_load_dwordx4 s[20:23], s[0:1], 0x8
	s_load_dwordx8 s[4:11], s[0:1], 0x20
	s_load_dword s12, s[0:1], 0x18
	s_waitcnt lgkmcnt(0)
	v_mov_b32_e32 v4, s20
	v_mul_lo_u32 v1, s5, v112
	v_mul_lo_u32 v2, s4, v113
	v_mad_u64_u32 v[6:7], s[2:3], s4, v112, 0
	v_mov_b32_e32 v5, s21
	v_add3_u32 v7, v7, v2, v1
	v_and_b32_e32 v2, 0x3ff, v0
	s_add_i32 s14, s12, s12
	v_lshl_add_u64 v[4:5], v[6:7], 2, v[4:5]
	v_add_u32_e32 v8, s14, v2
	v_lshl_add_u64 v[110:111], s[22:23], 2, v[4:5]
	v_ashrrev_i32_e32 v9, 31, v8
	v_lshl_add_u64 v[10:11], v[8:9], 2, v[110:111]
	v_add_u32_e32 v8, s12, v8
	v_ashrrev_i32_e32 v9, 31, v8
	v_lshl_add_u64 v[12:13], v[8:9], 2, v[110:111]
	v_add_u32_e32 v8, s12, v8
	v_ashrrev_i32_e32 v9, 31, v8
	v_lshl_add_u64 v[14:15], v[8:9], 2, v[110:111]
	v_add_u32_e32 v8, s12, v8
	v_ashrrev_i32_e32 v9, 31, v8
	v_lshl_add_u64 v[16:17], v[8:9], 2, v[110:111]
	v_add_u32_e32 v8, s12, v8
	v_ashrrev_i32_e32 v9, 31, v8
	v_lshlrev_b32_e32 v0, 2, v2
	v_mov_b32_e32 v1, 0
	v_lshl_add_u64 v[18:19], v[8:9], 2, v[110:111]
	v_add_u32_e32 v8, s12, v8
	v_lshl_add_u64 v[4:5], v[110:111], 0, v[0:1]
	s_ashr_i32 s13, s12, 31
	v_ashrrev_i32_e32 v9, 31, v8
	v_lshl_add_u64 v[6:7], s[12:13], 2, v[4:5]
	v_lshl_add_u64 v[20:21], v[8:9], 2, v[110:111]
	global_load_dword v96, v[4:5], off
	global_load_dword v126, v[6:7], off
	;; [unrolled: 1-line block ×8, first 2 shown]
	v_add_u32_e32 v4, s12, v8
	v_ashrrev_i32_e32 v5, 31, v4
	v_lshl_add_u64 v[6:7], v[4:5], 2, v[110:111]
	v_add_u32_e32 v4, s12, v4
	v_ashrrev_i32_e32 v5, 31, v4
	v_lshl_add_u64 v[8:9], v[4:5], 2, v[110:111]
	;; [unrolled: 3-line block ×4, first 2 shown]
	global_load_dword v121, v[6:7], off
	global_load_dword v118, v[8:9], off
	;; [unrolled: 1-line block ×4, first 2 shown]
	s_load_dword s22, s[0:1], 0x0
	s_load_dwordx2 s[4:5], s[0:1], 0x40
	s_waitcnt lgkmcnt(0)
	s_max_i32 s0, s22, 12
	v_mul_lo_u32 v3, s0, v3
	v_lshl_add_u32 v130, v3, 2, 0
	v_add_u32_e32 v0, v130, v0
	s_cmp_lt_i32 s22, 2
	v_lshlrev_b32_e32 v131, 2, v3
	s_waitcnt vmcnt(11)
	ds_write_b32 v0, v96
	s_waitcnt lgkmcnt(0)
	s_barrier
	ds_read_b32 v0, v130
	s_cbranch_scc1 .LBB22_6
; %bb.4:
	v_add3_u32 v3, v131, 0, 4
	v_mov_b32_e32 v1, 0
	s_mov_b32 s0, 1
.LBB22_5:                               ; =>This Inner Loop Header: Depth=1
	ds_read_b32 v4, v3
	v_mov_b32_e32 v5, s0
	s_add_i32 s0, s0, 1
	v_add_u32_e32 v3, 4, v3
	s_cmp_eq_u32 s22, s0
	s_waitcnt lgkmcnt(0)
	v_cmp_lt_f32_e64 vcc, |v0|, |v4|
	s_nop 1
	v_cndmask_b32_e32 v0, v0, v4, vcc
	v_cndmask_b32_e32 v1, v1, v5, vcc
	s_cbranch_scc0 .LBB22_5
.LBB22_6:
	v_cmp_ne_u32_e32 vcc, v2, v1
                                        ; implicit-def: $vgpr132
	s_and_saveexec_b64 s[0:1], vcc
	s_xor_b64 s[0:1], exec, s[0:1]
	s_cbranch_execz .LBB22_12
; %bb.7:
	v_cmp_eq_u32_e32 vcc, 0, v2
	s_and_saveexec_b64 s[2:3], vcc
	s_cbranch_execz .LBB22_11
; %bb.8:
	v_cmp_ne_u32_e32 vcc, 0, v1
	s_xor_b64 s[18:19], s[16:17], -1
	s_and_b64 s[20:21], s[18:19], vcc
	s_and_saveexec_b64 s[18:19], s[20:21]
	s_cbranch_execz .LBB22_10
; %bb.9:
	v_ashrrev_i32_e32 v3, 31, v1
	v_mov_b32_e32 v2, v1
	v_lshl_add_u64 v[2:3], v[2:3], 2, v[114:115]
	global_load_dword v4, v[2:3], off
	global_load_dword v5, v[114:115], off
	s_waitcnt vmcnt(1)
	global_store_dword v[114:115], v4, off
	s_waitcnt vmcnt(1)
	global_store_dword v[2:3], v5, off
.LBB22_10:
	s_or_b64 exec, exec, s[18:19]
	v_mov_b32_e32 v2, v1
.LBB22_11:
	s_or_b64 exec, exec, s[2:3]
	v_mov_b32_e32 v132, v2
                                        ; implicit-def: $vgpr2
.LBB22_12:
	s_or_saveexec_b64 s[0:1], s[0:1]
	v_mov_b32_e32 v129, v132
	s_xor_b64 exec, exec, s[0:1]
	s_cbranch_execz .LBB22_14
; %bb.13:
	v_mov_b32_e32 v132, 0
	v_mov_b32_e32 v129, v2
	s_waitcnt vmcnt(9)
	ds_write2_b32 v130, v126, v127 offset0:1 offset1:2
	s_waitcnt vmcnt(7)
	ds_write2_b32 v130, v124, v125 offset0:3 offset1:4
	;; [unrolled: 2-line block ×5, first 2 shown]
	s_waitcnt vmcnt(0)
	ds_write_b32 v130, v117 offset:44
.LBB22_14:
	s_or_b64 exec, exec, s[0:1]
	s_waitcnt lgkmcnt(0)
	v_cmp_eq_f32_e64 s[0:1], 0, v0
	v_cmp_gt_i32_e32 vcc, 1, v132
	s_barrier
	s_and_saveexec_b64 s[2:3], vcc
	s_xor_b64 s[2:3], exec, s[2:3]
; %bb.15:
                                        ; implicit-def: $vgpr0
; %bb.16:
	s_andn2_saveexec_b64 s[2:3], s[2:3]
	s_cbranch_execz .LBB22_18
; %bb.17:
	v_div_scale_f32 v1, s[18:19], v0, v0, 1.0
	v_rcp_f32_e32 v2, v1
	v_div_scale_f32 v3, vcc, 1.0, v0, 1.0
	v_fma_f32 v4, -v1, v2, 1.0
	v_fmac_f32_e32 v2, v4, v2
	v_mul_f32_e32 v4, v3, v2
	v_fma_f32 v5, -v1, v4, v3
	v_fmac_f32_e32 v4, v5, v2
	v_fma_f32 v1, -v1, v4, v3
	v_div_fmas_f32 v1, v1, v2, v4
	v_div_fixup_f32 v1, v1, v0, 1.0
	v_cndmask_b32_e64 v2, v1, v0, s[0:1]
	ds_read2_b32 v[0:1], v130 offset0:1 offset1:2
	v_mul_f32_e32 v96, v96, v2
	ds_read2_b32 v[2:3], v130 offset0:3 offset1:4
	ds_read2_b32 v[4:5], v130 offset0:5 offset1:6
	;; [unrolled: 1-line block ×3, first 2 shown]
	s_waitcnt vmcnt(9) lgkmcnt(3)
	v_pk_fma_f32 v[126:127], v[96:97], v[0:1], v[126:127] op_sel_hi:[0,1,1] neg_lo:[1,0,0] neg_hi:[1,0,0]
	ds_read2_b32 v[0:1], v130 offset0:9 offset1:10
	ds_read_b32 v8, v130 offset:44
	s_waitcnt vmcnt(7) lgkmcnt(4)
	v_pk_fma_f32 v[124:125], v[96:97], v[2:3], v[124:125] op_sel_hi:[0,1,1] neg_lo:[1,0,0] neg_hi:[1,0,0]
	s_waitcnt vmcnt(5) lgkmcnt(3)
	v_pk_fma_f32 v[122:123], v[96:97], v[4:5], v[122:123] op_sel_hi:[0,1,1] neg_lo:[1,0,0] neg_hi:[1,0,0]
	;; [unrolled: 2-line block ×4, first 2 shown]
	s_waitcnt vmcnt(0) lgkmcnt(0)
	v_fma_f32 v117, -v96, v8, v117
.LBB22_18:
	s_or_b64 exec, exec, s[2:3]
	v_lshl_add_u32 v0, v132, 2, v130
	s_barrier
	s_waitcnt vmcnt(10)
	ds_write_b32 v0, v126
	s_waitcnt lgkmcnt(0)
	s_barrier
	ds_read_b32 v116, v130 offset:4
	s_mov_b32 s2, 2
	s_cmp_lt_i32 s22, 3
	v_mov_b32_e32 v128, 1
	s_cbranch_scc1 .LBB22_21
; %bb.19:
	v_add3_u32 v0, v131, 0, 8
	v_mov_b32_e32 v128, 1
.LBB22_20:                              ; =>This Inner Loop Header: Depth=1
	ds_read_b32 v1, v0
	v_mov_b32_e32 v2, s2
	s_add_i32 s2, s2, 1
	v_add_u32_e32 v0, 4, v0
	s_cmp_lg_u32 s22, s2
	s_waitcnt lgkmcnt(0)
	v_cmp_lt_f32_e64 vcc, |v116|, |v1|
	s_nop 1
	v_cndmask_b32_e32 v116, v116, v1, vcc
	v_cndmask_b32_e32 v128, v128, v2, vcc
	s_cbranch_scc1 .LBB22_20
.LBB22_21:
	v_mov_b32_e32 v97, v126
	v_mov_b64_e32 v[108:109], v[106:107]
	v_mov_b64_e32 v[106:107], v[104:105]
	v_mov_b64_e32 v[104:105], v[102:103]
	v_mov_b64_e32 v[102:103], v[100:101]
	v_mov_b64_e32 v[100:101], v[98:99]
	v_mov_b64_e32 v[98:99], v[96:97]
	s_waitcnt vmcnt(9)
	v_mov_b32_e32 v100, v127
	v_mov_b64_e32 v[84:85], v[98:99]
	v_mov_b64_e32 v[86:87], v[100:101]
	v_mov_b64_e32 v[88:89], v[102:103]
	v_mov_b64_e32 v[90:91], v[104:105]
	v_mov_b64_e32 v[92:93], v[106:107]
	v_mov_b64_e32 v[94:95], v[108:109]
	s_waitcnt vmcnt(8)
	;; [unrolled: 8-line block ×9, first 2 shown]
	v_mov_b32_e32 v10, v119
	v_cmp_ne_u32_e32 vcc, v132, v128
	s_and_saveexec_b64 s[2:3], vcc
	s_xor_b64 s[2:3], exec, s[2:3]
	s_cbranch_execz .LBB22_27
; %bb.22:
	v_cmp_eq_u32_e32 vcc, 1, v132
	s_and_saveexec_b64 s[18:19], vcc
	s_cbranch_execz .LBB22_26
; %bb.23:
	v_cmp_ne_u32_e32 vcc, 1, v128
	s_xor_b64 s[20:21], s[16:17], -1
	s_and_b64 s[24:25], s[20:21], vcc
	s_and_saveexec_b64 s[20:21], s[24:25]
	s_cbranch_execz .LBB22_25
; %bb.24:
	v_ashrrev_i32_e32 v129, 31, v128
	v_lshl_add_u64 v[22:23], v[128:129], 2, v[114:115]
	global_load_dword v11, v[22:23], off
	global_load_dword v33, v[114:115], off offset:4
	s_waitcnt vmcnt(1)
	global_store_dword v[114:115], v11, off offset:4
	s_waitcnt vmcnt(1)
	global_store_dword v[22:23], v33, off
.LBB22_25:
	s_or_b64 exec, exec, s[20:21]
	v_mov_b32_e32 v129, v128
	v_mov_b32_e32 v132, v128
.LBB22_26:
	s_or_b64 exec, exec, s[18:19]
.LBB22_27:
	s_or_saveexec_b64 s[2:3], s[2:3]
	s_waitcnt vmcnt(0)
	v_mov_b32_e32 v11, v117
	s_xor_b64 exec, exec, s[2:3]
	s_cbranch_execz .LBB22_29
; %bb.28:
	v_mov_b32_e32 v132, 1
	ds_write2_b32 v130, v2, v3 offset0:2 offset1:3
	ds_write2_b32 v130, v4, v5 offset0:4 offset1:5
	;; [unrolled: 1-line block ×5, first 2 shown]
.LBB22_29:
	s_or_b64 exec, exec, s[2:3]
	s_waitcnt lgkmcnt(0)
	v_cmp_neq_f32_e64 s[2:3], 0, v116
	v_cmp_lt_i32_e32 vcc, 1, v132
	s_barrier
	s_and_saveexec_b64 s[18:19], vcc
	s_cbranch_execz .LBB22_31
; %bb.30:
	v_div_scale_f32 v0, s[20:21], v116, v116, 1.0
	v_rcp_f32_e32 v1, v0
	v_div_scale_f32 v11, vcc, 1.0, v116, 1.0
	v_fma_f32 v12, -v0, v1, 1.0
	v_fmac_f32_e32 v1, v12, v1
	v_mul_f32_e32 v12, v11, v1
	v_fma_f32 v13, -v0, v12, v11
	v_fmac_f32_e32 v12, v13, v1
	v_fma_f32 v0, -v0, v12, v11
	v_div_fmas_f32 v0, v0, v1, v12
	v_div_fixup_f32 v0, v0, v116, 1.0
	v_cndmask_b32_e64 v11, v116, v0, s[2:3]
	ds_read2_b32 v[0:1], v130 offset0:2 offset1:3
	v_mul_f32_e32 v12, v126, v11
	v_mov_b32_e32 v97, v12
	v_mov_b64_e32 v[108:109], v[106:107]
	v_mov_b64_e32 v[106:107], v[104:105]
	s_waitcnt lgkmcnt(0)
	v_pk_fma_f32 v[118:119], v[12:13], v[0:1], v[2:3] op_sel_hi:[0,1,1] neg_lo:[1,0,0] neg_hi:[1,0,0]
	v_mov_b64_e32 v[104:105], v[102:103]
	v_mov_b64_e32 v[102:103], v[100:101]
	;; [unrolled: 1-line block ×4, first 2 shown]
	ds_read2_b32 v[14:15], v130 offset0:4 offset1:5
	ds_read2_b32 v[16:17], v130 offset0:6 offset1:7
	;; [unrolled: 1-line block ×3, first 2 shown]
	v_mov_b32_e32 v100, v118
	v_mov_b64_e32 v[84:85], v[98:99]
	v_mov_b64_e32 v[86:87], v[100:101]
	;; [unrolled: 1-line block ×6, first 2 shown]
	v_mov_b32_e32 v87, v119
	v_mov_b64_e32 v[72:73], v[84:85]
	s_waitcnt lgkmcnt(2)
	v_pk_fma_f32 v[120:121], v[12:13], v[14:15], v[4:5] op_sel_hi:[0,1,1] neg_lo:[1,0,0] neg_hi:[1,0,0]
	v_mov_b64_e32 v[76:77], v[88:89]
	v_mov_b64_e32 v[74:75], v[86:87]
	;; [unrolled: 1-line block ×5, first 2 shown]
	v_mov_b32_e32 v76, v120
	v_mov_b64_e32 v[60:61], v[72:73]
	v_mov_b64_e32 v[64:65], v[76:77]
	;; [unrolled: 1-line block ×6, first 2 shown]
	v_mov_b32_e32 v65, v121
	v_mov_b64_e32 v[48:49], v[60:61]
	ds_read2_b32 v[0:1], v130 offset0:10 offset1:11
	s_waitcnt lgkmcnt(2)
	v_pk_fma_f32 v[134:135], v[12:13], v[16:17], v[6:7] op_sel_hi:[0,1,1] neg_lo:[1,0,0] neg_hi:[1,0,0]
	v_mov_b64_e32 v[54:55], v[66:67]
	v_mov_b64_e32 v[50:51], v[62:63]
	;; [unrolled: 1-line block ×5, first 2 shown]
	v_mov_b32_e32 v54, v134
	v_mov_b64_e32 v[36:37], v[48:49]
	v_mov_b64_e32 v[42:43], v[54:55]
	;; [unrolled: 1-line block ×6, first 2 shown]
	v_mov_b32_e32 v43, v135
	v_mov_b64_e32 v[24:25], v[36:37]
	s_waitcnt lgkmcnt(1)
	v_pk_fma_f32 v[136:137], v[12:13], v[18:19], v[8:9] op_sel_hi:[0,1,1] neg_lo:[1,0,0] neg_hi:[1,0,0]
	v_mov_b32_e32 v11, v117
	v_mov_b64_e32 v[32:33], v[44:45]
	s_waitcnt lgkmcnt(0)
	v_pk_fma_f32 v[116:117], v[12:13], v[0:1], v[10:11] op_sel_hi:[0,1,1] neg_lo:[1,0,0] neg_hi:[1,0,0]
	v_mov_b64_e32 v[26:27], v[38:39]
	v_mov_b64_e32 v[28:29], v[40:41]
	v_mov_b64_e32 v[30:31], v[42:43]
	v_mov_b64_e32 v[34:35], v[46:47]
	v_mov_b32_e32 v32, v136
	v_mov_b64_e32 v[12:13], v[24:25]
	v_mov_b64_e32 v[20:21], v[32:33]
	;; [unrolled: 1-line block ×6, first 2 shown]
	v_mov_b32_e32 v21, v137
	v_mov_b64_e32 v[0:1], v[12:13]
	v_mov_b64_e32 v[10:11], v[22:23]
	;; [unrolled: 1-line block ×6, first 2 shown]
	v_mov_b32_e32 v10, v116
	v_mov_b32_e32 v11, v117
	;; [unrolled: 1-line block ×11, first 2 shown]
.LBB22_31:
	s_or_b64 exec, exec, s[18:19]
	v_lshl_add_u32 v22, v132, 2, v130
	s_barrier
	ds_write_b32 v22, v127
	s_waitcnt lgkmcnt(0)
	s_barrier
	ds_read_b32 v33, v130 offset:8
	s_cmp_lt_i32 s22, 4
	v_mov_b32_e32 v22, 2
	s_cbranch_scc1 .LBB22_34
; %bb.32:
	v_mov_b32_e32 v22, 2
	v_add3_u32 v23, v131, 0, 12
	s_mov_b32 s18, 3
.LBB22_33:                              ; =>This Inner Loop Header: Depth=1
	ds_read_b32 v44, v23
	v_mov_b32_e32 v55, s18
	s_add_i32 s18, s18, 1
	v_add_u32_e32 v23, 4, v23
	s_cmp_lg_u32 s22, s18
	s_waitcnt lgkmcnt(0)
	v_cmp_lt_f32_e64 vcc, |v33|, |v44|
	s_nop 1
	v_cndmask_b32_e32 v33, v33, v44, vcc
	v_cndmask_b32_e32 v22, v22, v55, vcc
	s_cbranch_scc1 .LBB22_33
.LBB22_34:
	v_cndmask_b32_e64 v23, 2, 1, s[0:1]
	v_cndmask_b32_e64 v44, 0, 1, s[0:1]
	;; [unrolled: 1-line block ×3, first 2 shown]
	s_waitcnt lgkmcnt(0)
	v_cmp_eq_f32_e32 vcc, 0, v33
	s_and_saveexec_b64 s[0:1], vcc
	s_xor_b64 s[0:1], exec, s[0:1]
; %bb.35:
	v_cmp_ne_u32_e32 vcc, 0, v126
	s_nop 1
	v_cndmask_b32_e32 v126, 3, v126, vcc
; %bb.36:
	s_andn2_saveexec_b64 s[0:1], s[0:1]
	s_cbranch_execz .LBB22_38
; %bb.37:
	v_div_scale_f32 v23, s[2:3], v33, v33, 1.0
	v_rcp_f32_e32 v44, v23
	v_div_scale_f32 v55, vcc, 1.0, v33, 1.0
	v_fma_f32 v66, -v23, v44, 1.0
	v_fmac_f32_e32 v44, v66, v44
	v_mul_f32_e32 v66, v55, v44
	v_fma_f32 v77, -v23, v66, v55
	v_fmac_f32_e32 v66, v77, v44
	v_fma_f32 v23, -v23, v66, v55
	v_div_fmas_f32 v23, v23, v44, v66
	v_div_fixup_f32 v33, v23, v33, 1.0
.LBB22_38:
	s_or_b64 exec, exec, s[0:1]
	v_cmp_ne_u32_e32 vcc, v132, v22
	s_and_saveexec_b64 s[0:1], vcc
	s_xor_b64 s[0:1], exec, s[0:1]
	s_cbranch_execz .LBB22_44
; %bb.39:
	v_cmp_eq_u32_e32 vcc, 2, v132
	s_and_saveexec_b64 s[2:3], vcc
	s_cbranch_execz .LBB22_43
; %bb.40:
	v_cmp_ne_u32_e32 vcc, 2, v22
	s_xor_b64 s[18:19], s[16:17], -1
	s_and_b64 s[20:21], s[18:19], vcc
	s_and_saveexec_b64 s[18:19], s[20:21]
	s_cbranch_execz .LBB22_42
; %bb.41:
	v_ashrrev_i32_e32 v23, 31, v22
	v_lshl_add_u64 v[128:129], v[22:23], 2, v[114:115]
	global_load_dword v23, v[128:129], off
	global_load_dword v44, v[114:115], off offset:8
	s_waitcnt vmcnt(1)
	global_store_dword v[114:115], v23, off offset:8
	s_waitcnt vmcnt(1)
	global_store_dword v[128:129], v44, off
.LBB22_42:
	s_or_b64 exec, exec, s[18:19]
	v_mov_b32_e32 v129, v22
	v_mov_b32_e32 v132, v22
.LBB22_43:
	s_or_b64 exec, exec, s[2:3]
.LBB22_44:
	s_andn2_saveexec_b64 s[0:1], s[0:1]
	s_cbranch_execz .LBB22_46
; %bb.45:
	v_mov_b32_e32 v132, 2
	ds_write2_b32 v130, v3, v4 offset0:3 offset1:4
	ds_write2_b32 v130, v5, v6 offset0:5 offset1:6
	;; [unrolled: 1-line block ×4, first 2 shown]
	ds_write_b32 v130, v117 offset:44
.LBB22_46:
	s_or_b64 exec, exec, s[0:1]
	v_cmp_lt_i32_e32 vcc, 2, v132
	s_waitcnt lgkmcnt(0)
	s_barrier
	s_and_saveexec_b64 s[0:1], vcc
	s_cbranch_execz .LBB22_48
; %bb.47:
	ds_read2_b32 v[0:1], v130 offset0:3 offset1:4
	v_mul_f32_e32 v98, v127, v33
	v_mov_b32_e32 v2, v3
	v_mov_b32_e32 v3, v4
	v_mov_b64_e32 v[84:85], v[96:97]
	s_waitcnt lgkmcnt(0)
	v_pk_fma_f32 v[124:125], v[98:99], v[0:1], v[2:3] op_sel_hi:[0,1,1] neg_lo:[1,0,0] neg_hi:[1,0,0]
	v_mov_b64_e32 v[86:87], v[98:99]
	ds_read2_b32 v[12:13], v130 offset0:5 offset1:6
	ds_read2_b32 v[14:15], v130 offset0:7 offset1:8
	;; [unrolled: 1-line block ×3, first 2 shown]
	v_mov_b64_e32 v[88:89], v[100:101]
	v_mov_b64_e32 v[90:91], v[102:103]
	;; [unrolled: 1-line block ×4, first 2 shown]
	v_mov_b32_e32 v87, v124
	v_mov_b64_e32 v[72:73], v[84:85]
	v_mov_b64_e32 v[76:77], v[88:89]
	v_mov_b32_e32 v0, v5
	v_mov_b32_e32 v1, v6
	v_mov_b64_e32 v[74:75], v[86:87]
	v_mov_b64_e32 v[78:79], v[90:91]
	;; [unrolled: 1-line block ×4, first 2 shown]
	v_mov_b32_e32 v76, v125
	v_mov_b64_e32 v[60:61], v[72:73]
	s_waitcnt lgkmcnt(2)
	v_pk_fma_f32 v[122:123], v[98:99], v[12:13], v[0:1] op_sel_hi:[0,1,1] neg_lo:[1,0,0] neg_hi:[1,0,0]
	v_mov_b64_e32 v[64:65], v[76:77]
	v_mov_b64_e32 v[62:63], v[74:75]
	;; [unrolled: 1-line block ×5, first 2 shown]
	v_mov_b32_e32 v65, v122
	v_mov_b64_e32 v[48:49], v[60:61]
	v_mov_b64_e32 v[54:55], v[66:67]
	v_mov_b32_e32 v0, v7
	v_mov_b32_e32 v1, v8
	v_mov_b64_e32 v[50:51], v[62:63]
	v_mov_b64_e32 v[52:53], v[64:65]
	;; [unrolled: 1-line block ×4, first 2 shown]
	v_mov_b32_e32 v54, v123
	v_mov_b64_e32 v[36:37], v[48:49]
	ds_read_b32 v2, v130 offset:44
	s_waitcnt lgkmcnt(2)
	v_pk_fma_f32 v[120:121], v[98:99], v[14:15], v[0:1] op_sel_hi:[0,1,1] neg_lo:[1,0,0] neg_hi:[1,0,0]
	v_mov_b64_e32 v[42:43], v[54:55]
	v_mov_b64_e32 v[38:39], v[50:51]
	;; [unrolled: 1-line block ×5, first 2 shown]
	v_mov_b32_e32 v43, v120
	v_mov_b64_e32 v[24:25], v[36:37]
	v_mov_b32_e32 v0, v9
	v_mov_b32_e32 v1, v10
	v_mov_b64_e32 v[32:33], v[44:45]
	s_waitcnt lgkmcnt(1)
	v_pk_fma_f32 v[118:119], v[98:99], v[16:17], v[0:1] op_sel_hi:[0,1,1] neg_lo:[1,0,0] neg_hi:[1,0,0]
	v_mov_b64_e32 v[26:27], v[38:39]
	v_mov_b64_e32 v[28:29], v[40:41]
	;; [unrolled: 1-line block ×4, first 2 shown]
	v_mov_b32_e32 v32, v121
	v_mov_b64_e32 v[12:13], v[24:25]
	v_mov_b64_e32 v[20:21], v[32:33]
	s_waitcnt lgkmcnt(0)
	v_fma_f32 v117, -v98, v2, v117
	v_mov_b64_e32 v[14:15], v[26:27]
	v_mov_b64_e32 v[16:17], v[28:29]
	;; [unrolled: 1-line block ×4, first 2 shown]
	v_mov_b32_e32 v21, v118
	v_mov_b64_e32 v[0:1], v[12:13]
	v_mov_b64_e32 v[10:11], v[22:23]
	;; [unrolled: 1-line block ×7, first 2 shown]
	v_mov_b32_e32 v10, v119
	v_mov_b32_e32 v11, v117
	v_mov_b64_e32 v[106:107], v[104:105]
	v_mov_b64_e32 v[104:105], v[102:103]
	;; [unrolled: 1-line block ×5, first 2 shown]
.LBB22_48:
	s_or_b64 exec, exec, s[0:1]
	v_lshl_add_u32 v22, v132, 2, v130
	s_barrier
	ds_write_b32 v22, v124
	s_waitcnt lgkmcnt(0)
	s_barrier
	ds_read_b32 v33, v130 offset:12
	s_cmp_lt_i32 s22, 5
	v_mov_b32_e32 v22, 3
	s_cbranch_scc1 .LBB22_51
; %bb.49:
	v_add3_u32 v23, v131, 0, 16
	v_mov_b32_e32 v22, 3
	s_mov_b32 s0, 4
.LBB22_50:                              ; =>This Inner Loop Header: Depth=1
	ds_read_b32 v44, v23
	v_mov_b32_e32 v55, s0
	s_add_i32 s0, s0, 1
	v_add_u32_e32 v23, 4, v23
	s_cmp_lg_u32 s22, s0
	s_waitcnt lgkmcnt(0)
	v_cmp_lt_f32_e64 vcc, |v33|, |v44|
	s_nop 1
	v_cndmask_b32_e32 v33, v33, v44, vcc
	v_cndmask_b32_e32 v22, v22, v55, vcc
	s_cbranch_scc1 .LBB22_50
.LBB22_51:
	s_waitcnt lgkmcnt(0)
	v_cmp_eq_f32_e32 vcc, 0, v33
	s_and_saveexec_b64 s[0:1], vcc
	s_xor_b64 s[0:1], exec, s[0:1]
; %bb.52:
	v_cmp_ne_u32_e32 vcc, 0, v126
	s_nop 1
	v_cndmask_b32_e32 v126, 4, v126, vcc
; %bb.53:
	s_andn2_saveexec_b64 s[0:1], s[0:1]
	s_cbranch_execz .LBB22_55
; %bb.54:
	v_div_scale_f32 v23, s[2:3], v33, v33, 1.0
	v_rcp_f32_e32 v44, v23
	v_div_scale_f32 v55, vcc, 1.0, v33, 1.0
	v_fma_f32 v66, -v23, v44, 1.0
	v_fmac_f32_e32 v44, v66, v44
	v_mul_f32_e32 v66, v55, v44
	v_fma_f32 v77, -v23, v66, v55
	v_fmac_f32_e32 v66, v77, v44
	v_fma_f32 v23, -v23, v66, v55
	v_div_fmas_f32 v23, v23, v44, v66
	v_div_fixup_f32 v33, v23, v33, 1.0
.LBB22_55:
	s_or_b64 exec, exec, s[0:1]
	v_cmp_ne_u32_e32 vcc, v132, v22
	s_and_saveexec_b64 s[0:1], vcc
	s_xor_b64 s[0:1], exec, s[0:1]
	s_cbranch_execz .LBB22_61
; %bb.56:
	v_cmp_eq_u32_e32 vcc, 3, v132
	s_and_saveexec_b64 s[2:3], vcc
	s_cbranch_execz .LBB22_60
; %bb.57:
	v_cmp_ne_u32_e32 vcc, 3, v22
	s_xor_b64 s[18:19], s[16:17], -1
	s_and_b64 s[20:21], s[18:19], vcc
	s_and_saveexec_b64 s[18:19], s[20:21]
	s_cbranch_execz .LBB22_59
; %bb.58:
	v_ashrrev_i32_e32 v23, 31, v22
	v_lshl_add_u64 v[96:97], v[22:23], 2, v[114:115]
	global_load_dword v23, v[96:97], off
	global_load_dword v44, v[114:115], off offset:12
	s_waitcnt vmcnt(1)
	global_store_dword v[114:115], v23, off offset:12
	s_waitcnt vmcnt(1)
	global_store_dword v[96:97], v44, off
.LBB22_59:
	s_or_b64 exec, exec, s[18:19]
	v_mov_b32_e32 v129, v22
	v_mov_b32_e32 v132, v22
.LBB22_60:
	s_or_b64 exec, exec, s[2:3]
.LBB22_61:
	s_andn2_saveexec_b64 s[0:1], s[0:1]
	s_cbranch_execz .LBB22_63
; %bb.62:
	v_mov_b32_e32 v132, 3
	ds_write2_b32 v130, v4, v5 offset0:4 offset1:5
	ds_write2_b32 v130, v6, v7 offset0:6 offset1:7
	;; [unrolled: 1-line block ×4, first 2 shown]
.LBB22_63:
	s_or_b64 exec, exec, s[0:1]
	v_cmp_lt_i32_e32 vcc, 3, v132
	s_waitcnt lgkmcnt(0)
	s_barrier
	s_and_saveexec_b64 s[0:1], vcc
	s_cbranch_execz .LBB22_65
; %bb.64:
	ds_read2_b32 v[0:1], v130 offset0:4 offset1:5
	ds_read2_b32 v[2:3], v130 offset0:6 offset1:7
	;; [unrolled: 1-line block ×4, first 2 shown]
	v_mul_f32_e32 v16, v124, v33
	v_mov_b32_e32 v101, v16
	v_mov_b64_e32 v[72:73], v[98:99]
	s_waitcnt lgkmcnt(3)
	v_pk_fma_f32 v[96:97], v[16:17], v[0:1], v[4:5] op_sel_hi:[0,1,1] neg_lo:[1,0,0] neg_hi:[1,0,0]
	v_mov_b64_e32 v[76:77], v[102:103]
	v_mov_b64_e32 v[74:75], v[100:101]
	;; [unrolled: 1-line block ×5, first 2 shown]
	v_mov_b32_e32 v76, v96
	v_mov_b64_e32 v[60:61], v[72:73]
	v_mov_b64_e32 v[64:65], v[76:77]
	;; [unrolled: 1-line block ×6, first 2 shown]
	v_mov_b32_e32 v65, v97
	v_mov_b64_e32 v[48:49], v[60:61]
	s_waitcnt lgkmcnt(2)
	v_pk_fma_f32 v[118:119], v[16:17], v[2:3], v[6:7] op_sel_hi:[0,1,1] neg_lo:[1,0,0] neg_hi:[1,0,0]
	v_mov_b64_e32 v[54:55], v[66:67]
	v_mov_b64_e32 v[50:51], v[62:63]
	;; [unrolled: 1-line block ×5, first 2 shown]
	v_mov_b32_e32 v54, v118
	v_mov_b64_e32 v[36:37], v[48:49]
	v_mov_b64_e32 v[42:43], v[54:55]
	;; [unrolled: 1-line block ×6, first 2 shown]
	v_mov_b32_e32 v43, v119
	v_mov_b64_e32 v[24:25], v[36:37]
	s_waitcnt lgkmcnt(1)
	v_pk_fma_f32 v[134:135], v[16:17], v[12:13], v[8:9] op_sel_hi:[0,1,1] neg_lo:[1,0,0] neg_hi:[1,0,0]
	v_mov_b64_e32 v[32:33], v[44:45]
	s_waitcnt lgkmcnt(0)
	v_pk_fma_f32 v[116:117], v[16:17], v[14:15], v[10:11] op_sel_hi:[0,1,1] neg_lo:[1,0,0] neg_hi:[1,0,0]
	v_mov_b64_e32 v[26:27], v[38:39]
	v_mov_b64_e32 v[28:29], v[40:41]
	v_mov_b64_e32 v[30:31], v[42:43]
	v_mov_b64_e32 v[34:35], v[46:47]
	v_mov_b32_e32 v32, v134
	v_mov_b64_e32 v[12:13], v[24:25]
	v_mov_b64_e32 v[20:21], v[32:33]
	;; [unrolled: 1-line block ×6, first 2 shown]
	v_mov_b32_e32 v21, v135
	v_mov_b64_e32 v[0:1], v[12:13]
	v_mov_b64_e32 v[10:11], v[22:23]
	v_mov_b64_e32 v[84:85], v[98:99]
	v_mov_b64_e32 v[2:3], v[14:15]
	v_mov_b64_e32 v[4:5], v[16:17]
	v_mov_b64_e32 v[6:7], v[18:19]
	v_mov_b64_e32 v[8:9], v[20:21]
	v_mov_b32_e32 v10, v116
	v_mov_b32_e32 v11, v117
	v_mov_b64_e32 v[86:87], v[100:101]
	v_mov_b64_e32 v[88:89], v[102:103]
	;; [unrolled: 1-line block ×5, first 2 shown]
	v_mov_b32_e32 v125, v96
	v_mov_b32_e32 v122, v97
	;; [unrolled: 1-line block ×7, first 2 shown]
.LBB22_65:
	s_or_b64 exec, exec, s[0:1]
	v_lshl_add_u32 v22, v132, 2, v130
	s_barrier
	ds_write_b32 v22, v125
	s_waitcnt lgkmcnt(0)
	s_barrier
	ds_read_b32 v33, v130 offset:16
	s_cmp_lt_i32 s22, 6
	v_mov_b32_e32 v22, 4
	s_cbranch_scc1 .LBB22_68
; %bb.66:
	v_add3_u32 v23, v131, 0, 20
	v_mov_b32_e32 v22, 4
	s_mov_b32 s0, 5
.LBB22_67:                              ; =>This Inner Loop Header: Depth=1
	ds_read_b32 v44, v23
	v_mov_b32_e32 v55, s0
	s_add_i32 s0, s0, 1
	v_add_u32_e32 v23, 4, v23
	s_cmp_lg_u32 s22, s0
	s_waitcnt lgkmcnt(0)
	v_cmp_lt_f32_e64 vcc, |v33|, |v44|
	s_nop 1
	v_cndmask_b32_e32 v33, v33, v44, vcc
	v_cndmask_b32_e32 v22, v22, v55, vcc
	s_cbranch_scc1 .LBB22_67
.LBB22_68:
	s_waitcnt lgkmcnt(0)
	v_cmp_eq_f32_e32 vcc, 0, v33
	s_and_saveexec_b64 s[0:1], vcc
	s_xor_b64 s[0:1], exec, s[0:1]
; %bb.69:
	v_cmp_ne_u32_e32 vcc, 0, v126
	s_nop 1
	v_cndmask_b32_e32 v126, 5, v126, vcc
; %bb.70:
	s_andn2_saveexec_b64 s[0:1], s[0:1]
	s_cbranch_execz .LBB22_72
; %bb.71:
	v_div_scale_f32 v23, s[2:3], v33, v33, 1.0
	v_rcp_f32_e32 v44, v23
	v_div_scale_f32 v55, vcc, 1.0, v33, 1.0
	v_fma_f32 v66, -v23, v44, 1.0
	v_fmac_f32_e32 v44, v66, v44
	v_mul_f32_e32 v66, v55, v44
	v_fma_f32 v77, -v23, v66, v55
	v_fmac_f32_e32 v66, v77, v44
	v_fma_f32 v23, -v23, v66, v55
	v_div_fmas_f32 v23, v23, v44, v66
	v_div_fixup_f32 v33, v23, v33, 1.0
.LBB22_72:
	s_or_b64 exec, exec, s[0:1]
	v_cmp_ne_u32_e32 vcc, v132, v22
	s_and_saveexec_b64 s[0:1], vcc
	s_xor_b64 s[0:1], exec, s[0:1]
	s_cbranch_execz .LBB22_78
; %bb.73:
	v_cmp_eq_u32_e32 vcc, 4, v132
	s_and_saveexec_b64 s[2:3], vcc
	s_cbranch_execz .LBB22_77
; %bb.74:
	v_cmp_ne_u32_e32 vcc, 4, v22
	s_xor_b64 s[18:19], s[16:17], -1
	s_and_b64 s[20:21], s[18:19], vcc
	s_and_saveexec_b64 s[18:19], s[20:21]
	s_cbranch_execz .LBB22_76
; %bb.75:
	v_ashrrev_i32_e32 v23, 31, v22
	v_lshl_add_u64 v[96:97], v[22:23], 2, v[114:115]
	global_load_dword v23, v[96:97], off
	global_load_dword v44, v[114:115], off offset:16
	s_waitcnt vmcnt(1)
	global_store_dword v[114:115], v23, off offset:16
	s_waitcnt vmcnt(1)
	global_store_dword v[96:97], v44, off
.LBB22_76:
	s_or_b64 exec, exec, s[18:19]
	v_mov_b32_e32 v129, v22
	v_mov_b32_e32 v132, v22
.LBB22_77:
	s_or_b64 exec, exec, s[2:3]
.LBB22_78:
	s_andn2_saveexec_b64 s[0:1], s[0:1]
	s_cbranch_execz .LBB22_80
; %bb.79:
	v_mov_b32_e32 v132, 4
	ds_write2_b32 v130, v5, v6 offset0:5 offset1:6
	ds_write2_b32 v130, v7, v8 offset0:7 offset1:8
	;; [unrolled: 1-line block ×3, first 2 shown]
	ds_write_b32 v130, v117 offset:44
.LBB22_80:
	s_or_b64 exec, exec, s[0:1]
	v_cmp_lt_i32_e32 vcc, 4, v132
	s_waitcnt lgkmcnt(0)
	s_barrier
	s_and_saveexec_b64 s[0:1], vcc
	s_cbranch_execz .LBB22_82
; %bb.81:
	ds_read2_b32 v[0:1], v130 offset0:5 offset1:6
	v_mul_f32_e32 v88, v125, v33
	v_mov_b32_e32 v2, v5
	v_mov_b32_e32 v3, v6
	v_mov_b64_e32 v[60:61], v[84:85]
	s_waitcnt lgkmcnt(0)
	v_pk_fma_f32 v[122:123], v[88:89], v[0:1], v[2:3] op_sel_hi:[0,1,1] neg_lo:[1,0,0] neg_hi:[1,0,0]
	v_mov_b64_e32 v[64:65], v[88:89]
	ds_read2_b32 v[4:5], v130 offset0:7 offset1:8
	ds_read2_b32 v[12:13], v130 offset0:9 offset1:10
	ds_read_b32 v6, v130 offset:44
	v_mov_b64_e32 v[62:63], v[86:87]
	v_mov_b64_e32 v[66:67], v[90:91]
	;; [unrolled: 1-line block ×4, first 2 shown]
	v_mov_b32_e32 v65, v122
	v_mov_b64_e32 v[48:49], v[60:61]
	v_mov_b64_e32 v[54:55], v[66:67]
	v_mov_b32_e32 v0, v7
	v_mov_b32_e32 v1, v8
	v_mov_b64_e32 v[50:51], v[62:63]
	v_mov_b64_e32 v[52:53], v[64:65]
	;; [unrolled: 1-line block ×4, first 2 shown]
	v_mov_b32_e32 v54, v123
	v_mov_b64_e32 v[36:37], v[48:49]
	s_waitcnt lgkmcnt(2)
	v_pk_fma_f32 v[120:121], v[88:89], v[4:5], v[0:1] op_sel_hi:[0,1,1] neg_lo:[1,0,0] neg_hi:[1,0,0]
	v_mov_b64_e32 v[42:43], v[54:55]
	v_mov_b64_e32 v[38:39], v[50:51]
	;; [unrolled: 1-line block ×5, first 2 shown]
	v_mov_b32_e32 v43, v120
	v_mov_b64_e32 v[24:25], v[36:37]
	v_mov_b32_e32 v0, v9
	v_mov_b32_e32 v1, v10
	v_mov_b64_e32 v[32:33], v[44:45]
	s_waitcnt lgkmcnt(1)
	v_pk_fma_f32 v[118:119], v[88:89], v[12:13], v[0:1] op_sel_hi:[0,1,1] neg_lo:[1,0,0] neg_hi:[1,0,0]
	v_mov_b64_e32 v[26:27], v[38:39]
	v_mov_b64_e32 v[28:29], v[40:41]
	;; [unrolled: 1-line block ×4, first 2 shown]
	v_mov_b32_e32 v32, v121
	v_mov_b64_e32 v[12:13], v[24:25]
	v_mov_b64_e32 v[20:21], v[32:33]
	s_waitcnt lgkmcnt(0)
	v_fma_f32 v117, -v88, v6, v117
	v_mov_b64_e32 v[14:15], v[26:27]
	v_mov_b64_e32 v[16:17], v[28:29]
	;; [unrolled: 1-line block ×4, first 2 shown]
	v_mov_b32_e32 v21, v118
	v_mov_b64_e32 v[0:1], v[12:13]
	v_mov_b64_e32 v[10:11], v[22:23]
	;; [unrolled: 1-line block ×7, first 2 shown]
	v_mov_b32_e32 v10, v119
	v_mov_b32_e32 v11, v117
	v_mov_b64_e32 v[74:75], v[86:87]
	v_mov_b64_e32 v[76:77], v[88:89]
	;; [unrolled: 1-line block ×5, first 2 shown]
.LBB22_82:
	s_or_b64 exec, exec, s[0:1]
	v_lshl_add_u32 v22, v132, 2, v130
	s_barrier
	ds_write_b32 v22, v122
	s_waitcnt lgkmcnt(0)
	s_barrier
	ds_read_b32 v33, v130 offset:20
	s_cmp_lt_i32 s22, 7
	v_mov_b32_e32 v22, 5
	s_cbranch_scc1 .LBB22_85
; %bb.83:
	v_add3_u32 v23, v131, 0, 24
	v_mov_b32_e32 v22, 5
	s_mov_b32 s0, 6
.LBB22_84:                              ; =>This Inner Loop Header: Depth=1
	ds_read_b32 v44, v23
	v_mov_b32_e32 v55, s0
	s_add_i32 s0, s0, 1
	v_add_u32_e32 v23, 4, v23
	s_cmp_lg_u32 s22, s0
	s_waitcnt lgkmcnt(0)
	v_cmp_lt_f32_e64 vcc, |v33|, |v44|
	s_nop 1
	v_cndmask_b32_e32 v33, v33, v44, vcc
	v_cndmask_b32_e32 v22, v22, v55, vcc
	s_cbranch_scc1 .LBB22_84
.LBB22_85:
	s_waitcnt lgkmcnt(0)
	v_cmp_eq_f32_e32 vcc, 0, v33
	s_and_saveexec_b64 s[0:1], vcc
	s_xor_b64 s[0:1], exec, s[0:1]
; %bb.86:
	v_cmp_ne_u32_e32 vcc, 0, v126
	s_nop 1
	v_cndmask_b32_e32 v126, 6, v126, vcc
; %bb.87:
	s_andn2_saveexec_b64 s[0:1], s[0:1]
	s_cbranch_execz .LBB22_89
; %bb.88:
	v_div_scale_f32 v23, s[2:3], v33, v33, 1.0
	v_rcp_f32_e32 v44, v23
	v_div_scale_f32 v55, vcc, 1.0, v33, 1.0
	v_fma_f32 v66, -v23, v44, 1.0
	v_fmac_f32_e32 v44, v66, v44
	v_mul_f32_e32 v66, v55, v44
	v_fma_f32 v77, -v23, v66, v55
	v_fmac_f32_e32 v66, v77, v44
	v_fma_f32 v23, -v23, v66, v55
	v_div_fmas_f32 v23, v23, v44, v66
	v_div_fixup_f32 v33, v23, v33, 1.0
.LBB22_89:
	s_or_b64 exec, exec, s[0:1]
	v_cmp_ne_u32_e32 vcc, v132, v22
	s_and_saveexec_b64 s[0:1], vcc
	s_xor_b64 s[0:1], exec, s[0:1]
	s_cbranch_execz .LBB22_95
; %bb.90:
	v_cmp_eq_u32_e32 vcc, 5, v132
	s_and_saveexec_b64 s[2:3], vcc
	s_cbranch_execz .LBB22_94
; %bb.91:
	v_cmp_ne_u32_e32 vcc, 5, v22
	s_xor_b64 s[18:19], s[16:17], -1
	s_and_b64 s[20:21], s[18:19], vcc
	s_and_saveexec_b64 s[18:19], s[20:21]
	s_cbranch_execz .LBB22_93
; %bb.92:
	v_ashrrev_i32_e32 v23, 31, v22
	v_lshl_add_u64 v[84:85], v[22:23], 2, v[114:115]
	global_load_dword v23, v[84:85], off
	global_load_dword v44, v[114:115], off offset:20
	s_waitcnt vmcnt(1)
	global_store_dword v[114:115], v23, off offset:20
	s_waitcnt vmcnt(1)
	global_store_dword v[84:85], v44, off
.LBB22_93:
	s_or_b64 exec, exec, s[18:19]
	v_mov_b32_e32 v129, v22
	v_mov_b32_e32 v132, v22
.LBB22_94:
	s_or_b64 exec, exec, s[2:3]
.LBB22_95:
	s_andn2_saveexec_b64 s[0:1], s[0:1]
	s_cbranch_execz .LBB22_97
; %bb.96:
	v_mov_b32_e32 v132, 5
	ds_write2_b32 v130, v6, v7 offset0:6 offset1:7
	ds_write2_b32 v130, v8, v9 offset0:8 offset1:9
	;; [unrolled: 1-line block ×3, first 2 shown]
.LBB22_97:
	s_or_b64 exec, exec, s[0:1]
	v_cmp_lt_i32_e32 vcc, 5, v132
	s_waitcnt lgkmcnt(0)
	s_barrier
	s_and_saveexec_b64 s[0:1], vcc
	s_cbranch_execz .LBB22_99
; %bb.98:
	ds_read2_b32 v[0:1], v130 offset0:6 offset1:7
	ds_read2_b32 v[2:3], v130 offset0:8 offset1:9
	;; [unrolled: 1-line block ×3, first 2 shown]
	v_mul_f32_e32 v12, v122, v33
	v_mov_b32_e32 v77, v12
	v_mov_b64_e32 v[48:49], v[72:73]
	s_waitcnt lgkmcnt(2)
	v_pk_fma_f32 v[84:85], v[12:13], v[0:1], v[6:7] op_sel_hi:[0,1,1] neg_lo:[1,0,0] neg_hi:[1,0,0]
	v_mov_b64_e32 v[54:55], v[78:79]
	v_mov_b64_e32 v[50:51], v[74:75]
	;; [unrolled: 1-line block ×5, first 2 shown]
	v_mov_b32_e32 v54, v84
	v_mov_b64_e32 v[36:37], v[48:49]
	v_mov_b64_e32 v[42:43], v[54:55]
	;; [unrolled: 1-line block ×6, first 2 shown]
	v_mov_b32_e32 v43, v85
	v_mov_b64_e32 v[24:25], v[36:37]
	s_waitcnt lgkmcnt(1)
	v_pk_fma_f32 v[86:87], v[12:13], v[2:3], v[8:9] op_sel_hi:[0,1,1] neg_lo:[1,0,0] neg_hi:[1,0,0]
	v_mov_b64_e32 v[32:33], v[44:45]
	s_waitcnt lgkmcnt(0)
	v_pk_fma_f32 v[116:117], v[12:13], v[4:5], v[10:11] op_sel_hi:[0,1,1] neg_lo:[1,0,0] neg_hi:[1,0,0]
	v_mov_b64_e32 v[26:27], v[38:39]
	v_mov_b64_e32 v[28:29], v[40:41]
	v_mov_b64_e32 v[30:31], v[42:43]
	v_mov_b64_e32 v[34:35], v[46:47]
	v_mov_b32_e32 v32, v86
	v_mov_b64_e32 v[12:13], v[24:25]
	v_mov_b64_e32 v[20:21], v[32:33]
	;; [unrolled: 1-line block ×6, first 2 shown]
	v_mov_b32_e32 v21, v87
	v_mov_b64_e32 v[0:1], v[12:13]
	v_mov_b64_e32 v[10:11], v[22:23]
	v_mov_b64_e32 v[60:61], v[72:73]
	v_mov_b64_e32 v[2:3], v[14:15]
	v_mov_b64_e32 v[4:5], v[16:17]
	v_mov_b64_e32 v[6:7], v[18:19]
	v_mov_b64_e32 v[8:9], v[20:21]
	v_mov_b32_e32 v10, v116
	v_mov_b32_e32 v11, v117
	v_mov_b64_e32 v[62:63], v[74:75]
	v_mov_b64_e32 v[64:65], v[76:77]
	;; [unrolled: 1-line block ×5, first 2 shown]
	v_mov_b32_e32 v123, v84
	v_mov_b32_e32 v120, v85
	;; [unrolled: 1-line block ×5, first 2 shown]
.LBB22_99:
	s_or_b64 exec, exec, s[0:1]
	v_lshl_add_u32 v22, v132, 2, v130
	s_barrier
	ds_write_b32 v22, v123
	s_waitcnt lgkmcnt(0)
	s_barrier
	ds_read_b32 v33, v130 offset:24
	s_cmp_lt_i32 s22, 8
	v_mov_b32_e32 v22, 6
	s_cbranch_scc1 .LBB22_102
; %bb.100:
	v_add3_u32 v23, v131, 0, 28
	v_mov_b32_e32 v22, 6
	s_mov_b32 s0, 7
.LBB22_101:                             ; =>This Inner Loop Header: Depth=1
	ds_read_b32 v44, v23
	v_mov_b32_e32 v55, s0
	s_add_i32 s0, s0, 1
	v_add_u32_e32 v23, 4, v23
	s_cmp_lg_u32 s22, s0
	s_waitcnt lgkmcnt(0)
	v_cmp_lt_f32_e64 vcc, |v33|, |v44|
	s_nop 1
	v_cndmask_b32_e32 v33, v33, v44, vcc
	v_cndmask_b32_e32 v22, v22, v55, vcc
	s_cbranch_scc1 .LBB22_101
.LBB22_102:
	s_waitcnt lgkmcnt(0)
	v_cmp_eq_f32_e32 vcc, 0, v33
	s_and_saveexec_b64 s[0:1], vcc
	s_xor_b64 s[0:1], exec, s[0:1]
; %bb.103:
	v_cmp_ne_u32_e32 vcc, 0, v126
	s_nop 1
	v_cndmask_b32_e32 v126, 7, v126, vcc
; %bb.104:
	s_andn2_saveexec_b64 s[0:1], s[0:1]
	s_cbranch_execz .LBB22_106
; %bb.105:
	v_div_scale_f32 v23, s[2:3], v33, v33, 1.0
	v_rcp_f32_e32 v44, v23
	v_div_scale_f32 v55, vcc, 1.0, v33, 1.0
	v_fma_f32 v66, -v23, v44, 1.0
	v_fmac_f32_e32 v44, v66, v44
	v_mul_f32_e32 v66, v55, v44
	v_fma_f32 v72, -v23, v66, v55
	v_fmac_f32_e32 v66, v72, v44
	v_fma_f32 v23, -v23, v66, v55
	v_div_fmas_f32 v23, v23, v44, v66
	v_div_fixup_f32 v33, v23, v33, 1.0
.LBB22_106:
	s_or_b64 exec, exec, s[0:1]
	v_cmp_ne_u32_e32 vcc, v132, v22
	s_and_saveexec_b64 s[0:1], vcc
	s_xor_b64 s[0:1], exec, s[0:1]
	s_cbranch_execz .LBB22_112
; %bb.107:
	v_cmp_eq_u32_e32 vcc, 6, v132
	s_and_saveexec_b64 s[2:3], vcc
	s_cbranch_execz .LBB22_111
; %bb.108:
	v_cmp_ne_u32_e32 vcc, 6, v22
	s_xor_b64 s[18:19], s[16:17], -1
	s_and_b64 s[20:21], s[18:19], vcc
	s_and_saveexec_b64 s[18:19], s[20:21]
	s_cbranch_execz .LBB22_110
; %bb.109:
	v_ashrrev_i32_e32 v23, 31, v22
	v_lshl_add_u64 v[72:73], v[22:23], 2, v[114:115]
	global_load_dword v23, v[72:73], off
	global_load_dword v44, v[114:115], off offset:24
	s_waitcnt vmcnt(1)
	global_store_dword v[114:115], v23, off offset:24
	s_waitcnt vmcnt(1)
	global_store_dword v[72:73], v44, off
.LBB22_110:
	s_or_b64 exec, exec, s[18:19]
	v_mov_b32_e32 v129, v22
	v_mov_b32_e32 v132, v22
.LBB22_111:
	s_or_b64 exec, exec, s[2:3]
.LBB22_112:
	s_andn2_saveexec_b64 s[0:1], s[0:1]
	s_cbranch_execz .LBB22_114
; %bb.113:
	v_mov_b32_e32 v132, 6
	ds_write2_b32 v130, v7, v8 offset0:7 offset1:8
	ds_write2_b32 v130, v9, v10 offset0:9 offset1:10
	ds_write_b32 v130, v117 offset:44
.LBB22_114:
	s_or_b64 exec, exec, s[0:1]
	v_cmp_lt_i32_e32 vcc, 6, v132
	s_waitcnt lgkmcnt(0)
	s_barrier
	s_and_saveexec_b64 s[0:1], vcc
	s_cbranch_execz .LBB22_116
; %bb.115:
	ds_read2_b32 v[0:1], v130 offset0:7 offset1:8
	v_mul_f32_e32 v66, v123, v33
	v_mov_b32_e32 v2, v7
	v_mov_b32_e32 v3, v8
	v_mov_b64_e32 v[36:37], v[60:61]
	ds_read2_b32 v[4:5], v130 offset0:9 offset1:10
	ds_read_b32 v6, v130 offset:44
	s_waitcnt lgkmcnt(2)
	v_pk_fma_f32 v[120:121], v[66:67], v[0:1], v[2:3] op_sel_hi:[0,1,1] neg_lo:[1,0,0] neg_hi:[1,0,0]
	v_mov_b64_e32 v[42:43], v[66:67]
	v_mov_b64_e32 v[38:39], v[62:63]
	;; [unrolled: 1-line block ×5, first 2 shown]
	v_mov_b32_e32 v43, v120
	v_mov_b64_e32 v[24:25], v[36:37]
	v_mov_b64_e32 v[32:33], v[44:45]
	v_mov_b32_e32 v0, v9
	v_mov_b32_e32 v1, v10
	v_mov_b64_e32 v[26:27], v[38:39]
	v_mov_b64_e32 v[28:29], v[40:41]
	;; [unrolled: 1-line block ×4, first 2 shown]
	v_mov_b32_e32 v32, v121
	v_mov_b64_e32 v[12:13], v[24:25]
	s_waitcnt lgkmcnt(1)
	v_pk_fma_f32 v[118:119], v[66:67], v[4:5], v[0:1] op_sel_hi:[0,1,1] neg_lo:[1,0,0] neg_hi:[1,0,0]
	v_mov_b64_e32 v[20:21], v[32:33]
	s_waitcnt lgkmcnt(0)
	v_fma_f32 v117, -v66, v6, v117
	v_mov_b64_e32 v[14:15], v[26:27]
	v_mov_b64_e32 v[16:17], v[28:29]
	;; [unrolled: 1-line block ×4, first 2 shown]
	v_mov_b32_e32 v21, v118
	v_mov_b64_e32 v[0:1], v[12:13]
	v_mov_b64_e32 v[10:11], v[22:23]
	;; [unrolled: 1-line block ×7, first 2 shown]
	v_mov_b32_e32 v10, v119
	v_mov_b32_e32 v11, v117
	v_mov_b64_e32 v[50:51], v[62:63]
	v_mov_b64_e32 v[52:53], v[64:65]
	;; [unrolled: 1-line block ×5, first 2 shown]
.LBB22_116:
	s_or_b64 exec, exec, s[0:1]
	v_lshl_add_u32 v22, v132, 2, v130
	s_barrier
	ds_write_b32 v22, v120
	s_waitcnt lgkmcnt(0)
	s_barrier
	ds_read_b32 v33, v130 offset:28
	s_cmp_lt_i32 s22, 9
	v_mov_b32_e32 v22, 7
	s_cbranch_scc1 .LBB22_119
; %bb.117:
	v_add3_u32 v23, v131, 0, 32
	v_mov_b32_e32 v22, 7
	s_mov_b32 s0, 8
.LBB22_118:                             ; =>This Inner Loop Header: Depth=1
	ds_read_b32 v44, v23
	v_mov_b32_e32 v55, s0
	s_add_i32 s0, s0, 1
	v_add_u32_e32 v23, 4, v23
	s_cmp_lg_u32 s22, s0
	s_waitcnt lgkmcnt(0)
	v_cmp_lt_f32_e64 vcc, |v33|, |v44|
	s_nop 1
	v_cndmask_b32_e32 v33, v33, v44, vcc
	v_cndmask_b32_e32 v22, v22, v55, vcc
	s_cbranch_scc1 .LBB22_118
.LBB22_119:
	s_waitcnt lgkmcnt(0)
	v_cmp_eq_f32_e32 vcc, 0, v33
	s_and_saveexec_b64 s[0:1], vcc
	s_xor_b64 s[0:1], exec, s[0:1]
; %bb.120:
	v_cmp_ne_u32_e32 vcc, 0, v126
	s_nop 1
	v_cndmask_b32_e32 v126, 8, v126, vcc
; %bb.121:
	s_andn2_saveexec_b64 s[0:1], s[0:1]
	s_cbranch_execz .LBB22_123
; %bb.122:
	v_div_scale_f32 v23, s[2:3], v33, v33, 1.0
	v_rcp_f32_e32 v44, v23
	v_div_scale_f32 v55, vcc, 1.0, v33, 1.0
	v_fma_f32 v60, -v23, v44, 1.0
	v_fmac_f32_e32 v44, v60, v44
	v_mul_f32_e32 v60, v55, v44
	v_fma_f32 v61, -v23, v60, v55
	v_fmac_f32_e32 v60, v61, v44
	v_fma_f32 v23, -v23, v60, v55
	v_div_fmas_f32 v23, v23, v44, v60
	v_div_fixup_f32 v33, v23, v33, 1.0
.LBB22_123:
	s_or_b64 exec, exec, s[0:1]
	v_cmp_ne_u32_e32 vcc, v132, v22
	s_and_saveexec_b64 s[0:1], vcc
	s_xor_b64 s[0:1], exec, s[0:1]
	s_cbranch_execz .LBB22_129
; %bb.124:
	v_cmp_eq_u32_e32 vcc, 7, v132
	s_and_saveexec_b64 s[2:3], vcc
	s_cbranch_execz .LBB22_128
; %bb.125:
	v_cmp_ne_u32_e32 vcc, 7, v22
	s_xor_b64 s[18:19], s[16:17], -1
	s_and_b64 s[20:21], s[18:19], vcc
	s_and_saveexec_b64 s[18:19], s[20:21]
	s_cbranch_execz .LBB22_127
; %bb.126:
	v_ashrrev_i32_e32 v23, 31, v22
	v_lshl_add_u64 v[60:61], v[22:23], 2, v[114:115]
	global_load_dword v23, v[60:61], off
	global_load_dword v44, v[114:115], off offset:28
	s_waitcnt vmcnt(1)
	global_store_dword v[114:115], v23, off offset:28
	s_waitcnt vmcnt(1)
	global_store_dword v[60:61], v44, off
.LBB22_127:
	s_or_b64 exec, exec, s[18:19]
	v_mov_b32_e32 v129, v22
	v_mov_b32_e32 v132, v22
.LBB22_128:
	s_or_b64 exec, exec, s[2:3]
.LBB22_129:
	s_andn2_saveexec_b64 s[0:1], s[0:1]
	s_cbranch_execz .LBB22_131
; %bb.130:
	v_mov_b32_e32 v132, 7
	ds_write2_b32 v130, v8, v9 offset0:8 offset1:9
	ds_write2_b32 v130, v10, v11 offset0:10 offset1:11
.LBB22_131:
	s_or_b64 exec, exec, s[0:1]
	v_cmp_lt_i32_e32 vcc, 7, v132
	s_waitcnt lgkmcnt(0)
	s_barrier
	s_and_saveexec_b64 s[0:1], vcc
	s_cbranch_execz .LBB22_133
; %bb.132:
	ds_read2_b32 v[0:1], v130 offset0:8 offset1:9
	ds_read2_b32 v[2:3], v130 offset0:10 offset1:11
	v_mul_f32_e32 v4, v120, v33
	v_mov_b32_e32 v55, v4
	v_mov_b64_e32 v[24:25], v[48:49]
	s_waitcnt lgkmcnt(1)
	v_pk_fma_f32 v[60:61], v[4:5], v[0:1], v[8:9] op_sel_hi:[0,1,1] neg_lo:[1,0,0] neg_hi:[1,0,0]
	v_mov_b64_e32 v[32:33], v[56:57]
	v_mov_b64_e32 v[26:27], v[50:51]
	;; [unrolled: 1-line block ×5, first 2 shown]
	v_mov_b32_e32 v32, v60
	v_mov_b64_e32 v[12:13], v[24:25]
	v_mov_b64_e32 v[20:21], v[32:33]
	s_waitcnt lgkmcnt(0)
	v_pk_fma_f32 v[116:117], v[4:5], v[2:3], v[10:11] op_sel_hi:[0,1,1] neg_lo:[1,0,0] neg_hi:[1,0,0]
	v_mov_b64_e32 v[14:15], v[26:27]
	v_mov_b64_e32 v[16:17], v[28:29]
	;; [unrolled: 1-line block ×4, first 2 shown]
	v_mov_b32_e32 v21, v61
	v_mov_b64_e32 v[0:1], v[12:13]
	v_mov_b64_e32 v[10:11], v[22:23]
	;; [unrolled: 1-line block ×7, first 2 shown]
	v_mov_b32_e32 v10, v116
	v_mov_b32_e32 v11, v117
	v_mov_b64_e32 v[38:39], v[50:51]
	v_mov_b64_e32 v[40:41], v[52:53]
	;; [unrolled: 1-line block ×5, first 2 shown]
	v_mov_b32_e32 v121, v60
	v_mov_b32_e32 v118, v61
	;; [unrolled: 1-line block ×3, first 2 shown]
.LBB22_133:
	s_or_b64 exec, exec, s[0:1]
	v_lshl_add_u32 v22, v132, 2, v130
	s_barrier
	ds_write_b32 v22, v121
	s_waitcnt lgkmcnt(0)
	s_barrier
	ds_read_b32 v33, v130 offset:32
	s_cmp_lt_i32 s22, 10
	v_mov_b32_e32 v22, 8
	s_cbranch_scc1 .LBB22_136
; %bb.134:
	v_add3_u32 v23, v131, 0, 36
	v_mov_b32_e32 v22, 8
	s_mov_b32 s0, 9
.LBB22_135:                             ; =>This Inner Loop Header: Depth=1
	ds_read_b32 v44, v23
	v_mov_b32_e32 v48, s0
	s_add_i32 s0, s0, 1
	v_add_u32_e32 v23, 4, v23
	s_cmp_lg_u32 s22, s0
	s_waitcnt lgkmcnt(0)
	v_cmp_lt_f32_e64 vcc, |v33|, |v44|
	s_nop 1
	v_cndmask_b32_e32 v33, v33, v44, vcc
	v_cndmask_b32_e32 v22, v22, v48, vcc
	s_cbranch_scc1 .LBB22_135
.LBB22_136:
	s_waitcnt lgkmcnt(0)
	v_cmp_eq_f32_e32 vcc, 0, v33
	s_and_saveexec_b64 s[0:1], vcc
	s_xor_b64 s[0:1], exec, s[0:1]
; %bb.137:
	v_cmp_ne_u32_e32 vcc, 0, v126
	s_nop 1
	v_cndmask_b32_e32 v126, 9, v126, vcc
; %bb.138:
	s_andn2_saveexec_b64 s[0:1], s[0:1]
	s_cbranch_execz .LBB22_140
; %bb.139:
	v_div_scale_f32 v23, s[2:3], v33, v33, 1.0
	v_rcp_f32_e32 v44, v23
	v_div_scale_f32 v48, vcc, 1.0, v33, 1.0
	v_fma_f32 v49, -v23, v44, 1.0
	v_fmac_f32_e32 v44, v49, v44
	v_mul_f32_e32 v49, v48, v44
	v_fma_f32 v50, -v23, v49, v48
	v_fmac_f32_e32 v49, v50, v44
	v_fma_f32 v23, -v23, v49, v48
	v_div_fmas_f32 v23, v23, v44, v49
	v_div_fixup_f32 v33, v23, v33, 1.0
.LBB22_140:
	s_or_b64 exec, exec, s[0:1]
	v_cmp_ne_u32_e32 vcc, v132, v22
	s_and_saveexec_b64 s[0:1], vcc
	s_xor_b64 s[0:1], exec, s[0:1]
	s_cbranch_execz .LBB22_146
; %bb.141:
	v_cmp_eq_u32_e32 vcc, 8, v132
	s_and_saveexec_b64 s[2:3], vcc
	s_cbranch_execz .LBB22_145
; %bb.142:
	v_cmp_ne_u32_e32 vcc, 8, v22
	s_xor_b64 s[18:19], s[16:17], -1
	s_and_b64 s[20:21], s[18:19], vcc
	s_and_saveexec_b64 s[18:19], s[20:21]
	s_cbranch_execz .LBB22_144
; %bb.143:
	v_ashrrev_i32_e32 v23, 31, v22
	v_lshl_add_u64 v[48:49], v[22:23], 2, v[114:115]
	global_load_dword v23, v[48:49], off
	global_load_dword v44, v[114:115], off offset:32
	s_waitcnt vmcnt(1)
	global_store_dword v[114:115], v23, off offset:32
	s_waitcnt vmcnt(1)
	global_store_dword v[48:49], v44, off
.LBB22_144:
	s_or_b64 exec, exec, s[18:19]
	v_mov_b32_e32 v129, v22
	v_mov_b32_e32 v132, v22
.LBB22_145:
	s_or_b64 exec, exec, s[2:3]
.LBB22_146:
	s_andn2_saveexec_b64 s[0:1], s[0:1]
	s_cbranch_execz .LBB22_148
; %bb.147:
	v_mov_b32_e32 v132, 8
	ds_write2_b32 v130, v9, v10 offset0:9 offset1:10
	ds_write_b32 v130, v117 offset:44
.LBB22_148:
	s_or_b64 exec, exec, s[0:1]
	v_cmp_lt_i32_e32 vcc, 8, v132
	s_waitcnt lgkmcnt(0)
	s_barrier
	s_and_saveexec_b64 s[0:1], vcc
	s_cbranch_execz .LBB22_150
; %bb.149:
	ds_read2_b32 v[0:1], v130 offset0:9 offset1:10
	ds_read_b32 v4, v130 offset:44
	v_mul_f32_e32 v44, v121, v33
	v_mov_b32_e32 v2, v9
	v_mov_b32_e32 v3, v10
	v_mov_b64_e32 v[12:13], v[36:37]
	s_waitcnt lgkmcnt(1)
	v_pk_fma_f32 v[118:119], v[44:45], v[0:1], v[2:3] op_sel_hi:[0,1,1] neg_lo:[1,0,0] neg_hi:[1,0,0]
	v_mov_b64_e32 v[20:21], v[44:45]
	s_waitcnt lgkmcnt(0)
	v_fma_f32 v117, -v44, v4, v117
	v_mov_b64_e32 v[14:15], v[38:39]
	v_mov_b64_e32 v[16:17], v[40:41]
	;; [unrolled: 1-line block ×4, first 2 shown]
	v_mov_b32_e32 v21, v118
	v_mov_b64_e32 v[0:1], v[12:13]
	v_mov_b64_e32 v[10:11], v[22:23]
	;; [unrolled: 1-line block ×7, first 2 shown]
	v_mov_b32_e32 v10, v119
	v_mov_b32_e32 v11, v117
	v_mov_b64_e32 v[26:27], v[38:39]
	v_mov_b64_e32 v[28:29], v[40:41]
	;; [unrolled: 1-line block ×5, first 2 shown]
.LBB22_150:
	s_or_b64 exec, exec, s[0:1]
	v_lshl_add_u32 v22, v132, 2, v130
	s_barrier
	ds_write_b32 v22, v118
	s_waitcnt lgkmcnt(0)
	s_barrier
	ds_read_b32 v33, v130 offset:36
	s_cmp_lt_i32 s22, 11
	v_mov_b32_e32 v22, 9
	s_cbranch_scc1 .LBB22_153
; %bb.151:
	v_add3_u32 v23, v131, 0, 40
	v_mov_b32_e32 v22, 9
	s_mov_b32 s0, 10
.LBB22_152:                             ; =>This Inner Loop Header: Depth=1
	ds_read_b32 v36, v23
	v_mov_b32_e32 v37, s0
	s_add_i32 s0, s0, 1
	v_add_u32_e32 v23, 4, v23
	s_cmp_lg_u32 s22, s0
	s_waitcnt lgkmcnt(0)
	v_cmp_lt_f32_e64 vcc, |v33|, |v36|
	s_nop 1
	v_cndmask_b32_e32 v33, v33, v36, vcc
	v_cndmask_b32_e32 v22, v22, v37, vcc
	s_cbranch_scc1 .LBB22_152
.LBB22_153:
	s_waitcnt lgkmcnt(0)
	v_cmp_eq_f32_e32 vcc, 0, v33
	s_and_saveexec_b64 s[0:1], vcc
	s_xor_b64 s[0:1], exec, s[0:1]
; %bb.154:
	v_cmp_ne_u32_e32 vcc, 0, v126
	s_nop 1
	v_cndmask_b32_e32 v126, 10, v126, vcc
; %bb.155:
	s_andn2_saveexec_b64 s[0:1], s[0:1]
	s_cbranch_execz .LBB22_157
; %bb.156:
	v_div_scale_f32 v23, s[2:3], v33, v33, 1.0
	v_rcp_f32_e32 v36, v23
	v_div_scale_f32 v37, vcc, 1.0, v33, 1.0
	v_fma_f32 v38, -v23, v36, 1.0
	v_fmac_f32_e32 v36, v38, v36
	v_mul_f32_e32 v38, v37, v36
	v_fma_f32 v39, -v23, v38, v37
	v_fmac_f32_e32 v38, v39, v36
	v_fma_f32 v23, -v23, v38, v37
	v_div_fmas_f32 v23, v23, v36, v38
	v_div_fixup_f32 v33, v23, v33, 1.0
.LBB22_157:
	s_or_b64 exec, exec, s[0:1]
	v_cmp_ne_u32_e32 vcc, v132, v22
	s_and_saveexec_b64 s[0:1], vcc
	s_xor_b64 s[0:1], exec, s[0:1]
	s_cbranch_execz .LBB22_163
; %bb.158:
	v_cmp_eq_u32_e32 vcc, 9, v132
	s_and_saveexec_b64 s[2:3], vcc
	s_cbranch_execz .LBB22_162
; %bb.159:
	v_cmp_ne_u32_e32 vcc, 9, v22
	s_xor_b64 s[18:19], s[16:17], -1
	s_and_b64 s[20:21], s[18:19], vcc
	s_and_saveexec_b64 s[18:19], s[20:21]
	s_cbranch_execz .LBB22_161
; %bb.160:
	v_ashrrev_i32_e32 v23, 31, v22
	v_lshl_add_u64 v[36:37], v[22:23], 2, v[114:115]
	global_load_dword v23, v[36:37], off
	global_load_dword v38, v[114:115], off offset:36
	s_waitcnt vmcnt(1)
	global_store_dword v[114:115], v23, off offset:36
	s_waitcnt vmcnt(1)
	global_store_dword v[36:37], v38, off
.LBB22_161:
	s_or_b64 exec, exec, s[18:19]
	v_mov_b32_e32 v129, v22
	v_mov_b32_e32 v132, v22
.LBB22_162:
	s_or_b64 exec, exec, s[2:3]
.LBB22_163:
	s_andn2_saveexec_b64 s[0:1], s[0:1]
; %bb.164:
	v_mov_b32_e32 v132, 9
	ds_write2_b32 v130, v10, v11 offset0:10 offset1:11
; %bb.165:
	s_or_b64 exec, exec, s[0:1]
	v_cmp_lt_i32_e32 vcc, 9, v132
	s_waitcnt lgkmcnt(0)
	s_barrier
	s_and_saveexec_b64 s[0:1], vcc
	s_cbranch_execz .LBB22_167
; %bb.166:
	ds_read2_b32 v[0:1], v130 offset0:10 offset1:11
	v_mul_f32_e32 v2, v118, v33
	v_mov_b32_e32 v33, v2
	v_mov_b64_e32 v[12:13], v[24:25]
	v_mov_b64_e32 v[14:15], v[26:27]
	s_waitcnt lgkmcnt(0)
	v_pk_fma_f32 v[116:117], v[2:3], v[0:1], v[10:11] op_sel_hi:[0,1,1] neg_lo:[1,0,0] neg_hi:[1,0,0]
	v_mov_b64_e32 v[0:1], v[24:25]
	v_mov_b64_e32 v[10:11], v[34:35]
	;; [unrolled: 1-line block ×6, first 2 shown]
	v_mov_b32_e32 v10, v116
	v_mov_b32_e32 v11, v117
	v_mov_b64_e32 v[16:17], v[28:29]
	v_mov_b64_e32 v[18:19], v[30:31]
	;; [unrolled: 1-line block ×3, first 2 shown]
	v_mov_b32_e32 v119, v116
	v_mov_b64_e32 v[22:23], v[34:35]
.LBB22_167:
	s_or_b64 exec, exec, s[0:1]
	v_lshl_add_u32 v22, v132, 2, v130
	s_barrier
	ds_write_b32 v22, v119
	s_waitcnt lgkmcnt(0)
	s_barrier
	ds_read_b32 v24, v130 offset:40
	s_cmp_lt_i32 s22, 12
	v_mov_b32_e32 v22, 10
	s_cbranch_scc1 .LBB22_170
; %bb.168:
	v_add3_u32 v23, v131, 0, 44
	v_mov_b32_e32 v22, 10
	s_mov_b32 s0, 11
.LBB22_169:                             ; =>This Inner Loop Header: Depth=1
	ds_read_b32 v25, v23
	v_mov_b32_e32 v26, s0
	s_add_i32 s0, s0, 1
	v_add_u32_e32 v23, 4, v23
	s_cmp_lg_u32 s22, s0
	s_waitcnt lgkmcnt(0)
	v_cmp_lt_f32_e64 vcc, |v24|, |v25|
	s_nop 1
	v_cndmask_b32_e32 v24, v24, v25, vcc
	v_cndmask_b32_e32 v22, v22, v26, vcc
	s_cbranch_scc1 .LBB22_169
.LBB22_170:
	s_waitcnt lgkmcnt(0)
	v_cmp_eq_f32_e32 vcc, 0, v24
	s_and_saveexec_b64 s[0:1], vcc
	s_xor_b64 s[0:1], exec, s[0:1]
; %bb.171:
	v_cmp_ne_u32_e32 vcc, 0, v126
	s_nop 1
	v_cndmask_b32_e32 v126, 11, v126, vcc
; %bb.172:
	s_andn2_saveexec_b64 s[0:1], s[0:1]
	s_cbranch_execz .LBB22_174
; %bb.173:
	v_div_scale_f32 v23, s[2:3], v24, v24, 1.0
	v_rcp_f32_e32 v25, v23
	v_div_scale_f32 v26, vcc, 1.0, v24, 1.0
	v_fma_f32 v27, -v23, v25, 1.0
	v_fmac_f32_e32 v25, v27, v25
	v_mul_f32_e32 v27, v26, v25
	v_fma_f32 v28, -v23, v27, v26
	v_fmac_f32_e32 v27, v28, v25
	v_fma_f32 v23, -v23, v27, v26
	v_div_fmas_f32 v23, v23, v25, v27
	v_div_fixup_f32 v24, v23, v24, 1.0
.LBB22_174:
	s_or_b64 exec, exec, s[0:1]
	v_cmp_ne_u32_e32 vcc, v132, v22
	s_and_saveexec_b64 s[0:1], vcc
	s_xor_b64 s[0:1], exec, s[0:1]
	s_cbranch_execz .LBB22_180
; %bb.175:
	v_cmp_eq_u32_e32 vcc, 10, v132
	s_and_saveexec_b64 s[2:3], vcc
	s_cbranch_execz .LBB22_179
; %bb.176:
	v_cmp_ne_u32_e32 vcc, 10, v22
	s_xor_b64 s[18:19], s[16:17], -1
	s_and_b64 s[20:21], s[18:19], vcc
	s_and_saveexec_b64 s[18:19], s[20:21]
	s_cbranch_execz .LBB22_178
; %bb.177:
	v_ashrrev_i32_e32 v23, 31, v22
	v_lshl_add_u64 v[26:27], v[22:23], 2, v[114:115]
	global_load_dword v23, v[26:27], off
	global_load_dword v25, v[114:115], off offset:40
	s_waitcnt vmcnt(1)
	global_store_dword v[114:115], v23, off offset:40
	s_waitcnt vmcnt(1)
	global_store_dword v[26:27], v25, off
.LBB22_178:
	s_or_b64 exec, exec, s[18:19]
	v_mov_b32_e32 v129, v22
	v_mov_b32_e32 v132, v22
.LBB22_179:
	s_or_b64 exec, exec, s[2:3]
.LBB22_180:
	s_andn2_saveexec_b64 s[0:1], s[0:1]
; %bb.181:
	v_mov_b32_e32 v132, 10
	ds_write_b32 v130, v117 offset:44
; %bb.182:
	s_or_b64 exec, exec, s[0:1]
	v_cmp_lt_i32_e32 vcc, 10, v132
	s_waitcnt lgkmcnt(0)
	s_barrier
	s_and_saveexec_b64 s[0:1], vcc
	s_cbranch_execz .LBB22_184
; %bb.183:
	ds_read_b32 v0, v130 offset:44
	v_mul_f32_e32 v22, v119, v24
	s_waitcnt lgkmcnt(0)
	v_fma_f32 v23, -v22, v0, v117
	v_mov_b64_e32 v[0:1], v[12:13]
	v_mov_b64_e32 v[2:3], v[14:15]
	;; [unrolled: 1-line block ×6, first 2 shown]
	v_mov_b32_e32 v117, v23
.LBB22_184:
	s_or_b64 exec, exec, s[0:1]
	v_lshl_add_u32 v12, v132, 2, v130
	s_barrier
	ds_write_b32 v12, v117
	s_waitcnt lgkmcnt(0)
	s_barrier
	ds_read_b32 v16, v130 offset:44
	s_cmp_lt_i32 s22, 13
	v_mov_b32_e32 v12, 11
	s_cbranch_scc1 .LBB22_187
; %bb.185:
	v_add3_u32 v13, v131, 0, 48
	v_mov_b32_e32 v12, 11
	s_mov_b32 s0, 12
.LBB22_186:                             ; =>This Inner Loop Header: Depth=1
	ds_read_b32 v14, v13
	v_mov_b32_e32 v15, s0
	s_add_i32 s0, s0, 1
	v_add_u32_e32 v13, 4, v13
	s_cmp_lg_u32 s22, s0
	s_waitcnt lgkmcnt(0)
	v_cmp_lt_f32_e64 vcc, |v16|, |v14|
	s_nop 1
	v_cndmask_b32_e32 v16, v16, v14, vcc
	v_cndmask_b32_e32 v12, v12, v15, vcc
	s_cbranch_scc1 .LBB22_186
.LBB22_187:
	s_waitcnt lgkmcnt(0)
	v_cmp_eq_f32_e32 vcc, 0, v16
	s_and_saveexec_b64 s[0:1], vcc
	s_xor_b64 s[0:1], exec, s[0:1]
; %bb.188:
	v_cmp_ne_u32_e32 vcc, 0, v126
	s_nop 1
	v_cndmask_b32_e32 v126, 12, v126, vcc
; %bb.189:
	s_andn2_saveexec_b64 s[0:1], s[0:1]
	s_cbranch_execz .LBB22_191
; %bb.190:
	v_div_scale_f32 v13, s[2:3], v16, v16, 1.0
	v_rcp_f32_e32 v14, v13
	v_div_scale_f32 v15, vcc, 1.0, v16, 1.0
	v_fma_f32 v17, -v13, v14, 1.0
	v_fmac_f32_e32 v14, v17, v14
	v_mul_f32_e32 v17, v15, v14
	v_fma_f32 v18, -v13, v17, v15
	v_fmac_f32_e32 v17, v18, v14
	v_fma_f32 v13, -v13, v17, v15
	v_div_fmas_f32 v13, v13, v14, v17
	v_div_fixup_f32 v16, v13, v16, 1.0
.LBB22_191:
	s_or_b64 exec, exec, s[0:1]
	v_cmp_ne_u32_e32 vcc, v132, v12
	v_mov_b32_e32 v14, 11
	s_and_saveexec_b64 s[0:1], vcc
	s_cbranch_execz .LBB22_197
; %bb.192:
	v_cmp_eq_u32_e32 vcc, 11, v132
	s_and_saveexec_b64 s[2:3], vcc
	s_cbranch_execz .LBB22_196
; %bb.193:
	v_cmp_ne_u32_e32 vcc, 11, v12
	s_xor_b64 s[16:17], s[16:17], -1
	s_and_b64 s[18:19], s[16:17], vcc
	s_and_saveexec_b64 s[16:17], s[18:19]
	s_cbranch_execz .LBB22_195
; %bb.194:
	v_ashrrev_i32_e32 v13, 31, v12
	v_lshl_add_u64 v[14:15], v[12:13], 2, v[114:115]
	global_load_dword v13, v[14:15], off
	global_load_dword v17, v[114:115], off offset:44
	s_waitcnt vmcnt(1)
	global_store_dword v[114:115], v13, off offset:44
	s_waitcnt vmcnt(1)
	global_store_dword v[14:15], v17, off
.LBB22_195:
	s_or_b64 exec, exec, s[16:17]
	v_mov_b32_e32 v129, v12
	v_mov_b32_e32 v132, v12
.LBB22_196:
	s_or_b64 exec, exec, s[2:3]
	v_mov_b32_e32 v14, v132
.LBB22_197:
	s_or_b64 exec, exec, s[0:1]
	v_cmp_gt_i32_e32 vcc, 12, v14
	v_ashrrev_i32_e32 v15, 31, v14
	s_barrier
	s_barrier
	s_and_saveexec_b64 s[0:1], vcc
	s_cbranch_execz .LBB22_199
; %bb.198:
	v_mul_lo_u32 v17, s11, v112
	v_mul_lo_u32 v20, s10, v113
	v_mad_u64_u32 v[18:19], s[2:3], s10, v112, 0
	v_mov_b32_e32 v12, s6
	v_mov_b32_e32 v13, s7
	v_add3_u32 v19, v19, v20, v17
	v_lshl_add_u64 v[12:13], v[18:19], 2, v[12:13]
	v_lshl_add_u64 v[12:13], s[8:9], 2, v[12:13]
	;; [unrolled: 1-line block ×3, first 2 shown]
	v_add3_u32 v17, v129, s15, 1
	global_store_dword v[12:13], v17, off
.LBB22_199:
	s_or_b64 exec, exec, s[0:1]
	v_cmp_eq_u32_e32 vcc, 0, v14
	s_and_saveexec_b64 s[2:3], vcc
	s_cbranch_execz .LBB22_202
; %bb.200:
	v_mov_b32_e32 v12, s4
	v_mov_b32_e32 v13, s5
	v_lshl_add_u64 v[12:13], v[112:113], 2, v[12:13]
	global_load_dword v17, v[12:13], off
	v_cmp_ne_u32_e64 s[0:1], 0, v126
	s_waitcnt vmcnt(0)
	v_cmp_eq_u32_e32 vcc, 0, v17
	s_and_b64 s[0:1], vcc, s[0:1]
	s_and_b64 exec, exec, s[0:1]
	s_cbranch_execz .LBB22_202
; %bb.201:
	v_add_u32_e32 v17, s15, v126
	global_store_dword v[12:13], v17, off
.LBB22_202:
	s_or_b64 exec, exec, s[2:3]
	v_mul_f32_e32 v12, v117, v16
	v_cmp_lt_i32_e32 vcc, 11, v14
	s_nop 1
	v_cndmask_b32_e32 v11, v11, v12, vcc
	v_lshl_add_u64 v[12:13], v[14:15], 2, v[110:111]
	global_store_dword v[12:13], v0, off
	v_lshl_add_u64 v[12:13], s[12:13], 2, v[12:13]
	v_add_u32_e32 v0, s14, v14
	global_store_dword v[12:13], v1, off
	v_ashrrev_i32_e32 v1, 31, v0
	v_lshl_add_u64 v[12:13], v[0:1], 2, v[110:111]
	v_add_u32_e32 v0, s12, v0
	v_ashrrev_i32_e32 v1, 31, v0
	global_store_dword v[12:13], v2, off
	v_lshl_add_u64 v[12:13], v[0:1], 2, v[110:111]
	v_add_u32_e32 v0, s12, v0
	v_ashrrev_i32_e32 v1, 31, v0
	global_store_dword v[12:13], v3, off
	;; [unrolled: 4-line block ×8, first 2 shown]
	v_lshl_add_u64 v[2:3], v[0:1], 2, v[110:111]
	v_add_u32_e32 v0, s12, v0
	v_ashrrev_i32_e32 v1, 31, v0
	v_lshl_add_u64 v[0:1], v[0:1], 2, v[110:111]
	global_store_dword v[2:3], v10, off
	global_store_dword v[0:1], v11, off
.LBB22_203:
	s_endpgm
	.section	.rodata,"a",@progbits
	.p2align	6, 0x0
	.amdhsa_kernel _ZN9rocsolver6v33100L18getf2_small_kernelILi12EfiiPfEEvT1_T3_lS3_lPS3_llPT2_S3_S3_S5_l
		.amdhsa_group_segment_fixed_size 0
		.amdhsa_private_segment_fixed_size 0
		.amdhsa_kernarg_size 352
		.amdhsa_user_sgpr_count 2
		.amdhsa_user_sgpr_dispatch_ptr 0
		.amdhsa_user_sgpr_queue_ptr 0
		.amdhsa_user_sgpr_kernarg_segment_ptr 1
		.amdhsa_user_sgpr_dispatch_id 0
		.amdhsa_user_sgpr_kernarg_preload_length 0
		.amdhsa_user_sgpr_kernarg_preload_offset 0
		.amdhsa_user_sgpr_private_segment_size 0
		.amdhsa_uses_dynamic_stack 0
		.amdhsa_enable_private_segment 0
		.amdhsa_system_sgpr_workgroup_id_x 1
		.amdhsa_system_sgpr_workgroup_id_y 1
		.amdhsa_system_sgpr_workgroup_id_z 0
		.amdhsa_system_sgpr_workgroup_info 0
		.amdhsa_system_vgpr_workitem_id 1
		.amdhsa_next_free_vgpr 138
		.amdhsa_next_free_sgpr 26
		.amdhsa_accum_offset 140
		.amdhsa_reserve_vcc 1
		.amdhsa_float_round_mode_32 0
		.amdhsa_float_round_mode_16_64 0
		.amdhsa_float_denorm_mode_32 3
		.amdhsa_float_denorm_mode_16_64 3
		.amdhsa_dx10_clamp 1
		.amdhsa_ieee_mode 1
		.amdhsa_fp16_overflow 0
		.amdhsa_tg_split 0
		.amdhsa_exception_fp_ieee_invalid_op 0
		.amdhsa_exception_fp_denorm_src 0
		.amdhsa_exception_fp_ieee_div_zero 0
		.amdhsa_exception_fp_ieee_overflow 0
		.amdhsa_exception_fp_ieee_underflow 0
		.amdhsa_exception_fp_ieee_inexact 0
		.amdhsa_exception_int_div_zero 0
	.end_amdhsa_kernel
	.section	.text._ZN9rocsolver6v33100L18getf2_small_kernelILi12EfiiPfEEvT1_T3_lS3_lPS3_llPT2_S3_S3_S5_l,"axG",@progbits,_ZN9rocsolver6v33100L18getf2_small_kernelILi12EfiiPfEEvT1_T3_lS3_lPS3_llPT2_S3_S3_S5_l,comdat
.Lfunc_end22:
	.size	_ZN9rocsolver6v33100L18getf2_small_kernelILi12EfiiPfEEvT1_T3_lS3_lPS3_llPT2_S3_S3_S5_l, .Lfunc_end22-_ZN9rocsolver6v33100L18getf2_small_kernelILi12EfiiPfEEvT1_T3_lS3_lPS3_llPT2_S3_S3_S5_l
                                        ; -- End function
	.set _ZN9rocsolver6v33100L18getf2_small_kernelILi12EfiiPfEEvT1_T3_lS3_lPS3_llPT2_S3_S3_S5_l.num_vgpr, 138
	.set _ZN9rocsolver6v33100L18getf2_small_kernelILi12EfiiPfEEvT1_T3_lS3_lPS3_llPT2_S3_S3_S5_l.num_agpr, 0
	.set _ZN9rocsolver6v33100L18getf2_small_kernelILi12EfiiPfEEvT1_T3_lS3_lPS3_llPT2_S3_S3_S5_l.numbered_sgpr, 26
	.set _ZN9rocsolver6v33100L18getf2_small_kernelILi12EfiiPfEEvT1_T3_lS3_lPS3_llPT2_S3_S3_S5_l.num_named_barrier, 0
	.set _ZN9rocsolver6v33100L18getf2_small_kernelILi12EfiiPfEEvT1_T3_lS3_lPS3_llPT2_S3_S3_S5_l.private_seg_size, 0
	.set _ZN9rocsolver6v33100L18getf2_small_kernelILi12EfiiPfEEvT1_T3_lS3_lPS3_llPT2_S3_S3_S5_l.uses_vcc, 1
	.set _ZN9rocsolver6v33100L18getf2_small_kernelILi12EfiiPfEEvT1_T3_lS3_lPS3_llPT2_S3_S3_S5_l.uses_flat_scratch, 0
	.set _ZN9rocsolver6v33100L18getf2_small_kernelILi12EfiiPfEEvT1_T3_lS3_lPS3_llPT2_S3_S3_S5_l.has_dyn_sized_stack, 0
	.set _ZN9rocsolver6v33100L18getf2_small_kernelILi12EfiiPfEEvT1_T3_lS3_lPS3_llPT2_S3_S3_S5_l.has_recursion, 0
	.set _ZN9rocsolver6v33100L18getf2_small_kernelILi12EfiiPfEEvT1_T3_lS3_lPS3_llPT2_S3_S3_S5_l.has_indirect_call, 0
	.section	.AMDGPU.csdata,"",@progbits
; Kernel info:
; codeLenInByte = 8696
; TotalNumSgprs: 32
; NumVgprs: 138
; NumAgprs: 0
; TotalNumVgprs: 138
; ScratchSize: 0
; MemoryBound: 0
; FloatMode: 240
; IeeeMode: 1
; LDSByteSize: 0 bytes/workgroup (compile time only)
; SGPRBlocks: 3
; VGPRBlocks: 17
; NumSGPRsForWavesPerEU: 32
; NumVGPRsForWavesPerEU: 138
; AccumOffset: 140
; Occupancy: 3
; WaveLimiterHint : 0
; COMPUTE_PGM_RSRC2:SCRATCH_EN: 0
; COMPUTE_PGM_RSRC2:USER_SGPR: 2
; COMPUTE_PGM_RSRC2:TRAP_HANDLER: 0
; COMPUTE_PGM_RSRC2:TGID_X_EN: 1
; COMPUTE_PGM_RSRC2:TGID_Y_EN: 1
; COMPUTE_PGM_RSRC2:TGID_Z_EN: 0
; COMPUTE_PGM_RSRC2:TIDIG_COMP_CNT: 1
; COMPUTE_PGM_RSRC3_GFX90A:ACCUM_OFFSET: 34
; COMPUTE_PGM_RSRC3_GFX90A:TG_SPLIT: 0
	.section	.text._ZN9rocsolver6v33100L23getf2_npvt_small_kernelILi12EfiiPfEEvT1_T3_lS3_lPT2_S3_S3_,"axG",@progbits,_ZN9rocsolver6v33100L23getf2_npvt_small_kernelILi12EfiiPfEEvT1_T3_lS3_lPT2_S3_S3_,comdat
	.globl	_ZN9rocsolver6v33100L23getf2_npvt_small_kernelILi12EfiiPfEEvT1_T3_lS3_lPT2_S3_S3_ ; -- Begin function _ZN9rocsolver6v33100L23getf2_npvt_small_kernelILi12EfiiPfEEvT1_T3_lS3_lPT2_S3_S3_
	.p2align	8
	.type	_ZN9rocsolver6v33100L23getf2_npvt_small_kernelILi12EfiiPfEEvT1_T3_lS3_lPT2_S3_S3_,@function
_ZN9rocsolver6v33100L23getf2_npvt_small_kernelILi12EfiiPfEEvT1_T3_lS3_lPT2_S3_S3_: ; @_ZN9rocsolver6v33100L23getf2_npvt_small_kernelILi12EfiiPfEEvT1_T3_lS3_lPT2_S3_S3_
; %bb.0:
	s_load_dword s2, s[0:1], 0x44
	s_load_dwordx2 s[22:23], s[0:1], 0x30
	v_bfe_u32 v1, v0, 10, 10
	s_waitcnt lgkmcnt(0)
	s_lshr_b32 s2, s2, 16
	s_mul_i32 s3, s3, s2
	v_add_u32_e32 v132, s3, v1
	v_cmp_gt_i32_e32 vcc, s22, v132
	s_and_saveexec_b64 s[4:5], vcc
	s_cbranch_execz .LBB23_63
; %bb.1:
	s_load_dwordx4 s[8:11], s[0:1], 0x8
	s_load_dword s12, s[0:1], 0x18
	s_load_dwordx4 s[4:7], s[0:1], 0x20
	v_ashrrev_i32_e32 v133, 31, v132
	v_and_b32_e32 v158, 0x3ff, v0
	s_waitcnt lgkmcnt(0)
	v_mov_b32_e32 v2, s8
	v_mov_b32_e32 v3, s9
	v_mul_lo_u32 v0, s5, v132
	v_mul_lo_u32 v6, s4, v133
	v_mad_u64_u32 v[4:5], s[0:1], s4, v132, 0
	v_add3_u32 v5, v5, v6, v0
	v_lshl_add_u64 v[2:3], v[4:5], 2, v[2:3]
	v_lshl_add_u64 v[2:3], s[10:11], 2, v[2:3]
	v_lshlrev_b32_e32 v4, 2, v158
	v_mov_b32_e32 v5, 0
	s_add_i32 s0, s12, s12
	v_lshl_add_u64 v[120:121], v[2:3], 0, v[4:5]
	v_add_u32_e32 v4, s0, v158
	v_ashrrev_i32_e32 v5, 31, v4
	v_lshl_add_u64 v[124:125], v[4:5], 2, v[2:3]
	v_add_u32_e32 v4, s12, v4
	v_ashrrev_i32_e32 v5, 31, v4
	;; [unrolled: 3-line block ×7, first 2 shown]
	v_lshl_add_u64 v[138:139], v[4:5], 2, v[2:3]
	v_add_u32_e32 v4, s12, v4
	s_ashr_i32 s13, s12, 31
	v_ashrrev_i32_e32 v5, 31, v4
	v_lshl_add_u64 v[122:123], s[12:13], 2, v[120:121]
	global_load_dword v84, v[120:121], off
	global_load_dword v156, v[122:123], off
	;; [unrolled: 1-line block ×8, first 2 shown]
	v_lshl_add_u64 v[140:141], v[4:5], 2, v[2:3]
	v_add_u32_e32 v4, s12, v4
	v_ashrrev_i32_e32 v5, 31, v4
	v_lshl_add_u64 v[142:143], v[4:5], 2, v[2:3]
	v_add_u32_e32 v4, s12, v4
	v_ashrrev_i32_e32 v5, 31, v4
	v_lshl_add_u64 v[144:145], v[4:5], 2, v[2:3]
	global_load_dword v151, v[138:139], off
	global_load_dword v148, v[140:141], off
	global_load_dword v149, v[142:143], off
	global_load_dword v147, v[144:145], off
	s_mul_i32 s2, s2, 48
	s_add_i32 s0, s2, 0
	v_mad_u32_u24 v161, v1, 48, 0
	v_lshl_add_u32 v160, v1, 2, s0
	v_cmp_ne_u32_e64 s[2:3], 0, v158
	v_cmp_eq_u32_e64 s[0:1], 0, v158
	s_and_saveexec_b64 s[4:5], s[0:1]
	s_cbranch_execz .LBB23_4
; %bb.2:
	s_waitcnt vmcnt(11)
	ds_write_b32 v160, v84
	s_waitcnt vmcnt(9)
	ds_write2_b32 v161, v156, v157 offset0:1 offset1:2
	s_waitcnt vmcnt(7)
	ds_write2_b32 v161, v154, v155 offset0:3 offset1:4
	;; [unrolled: 2-line block ×5, first 2 shown]
	s_waitcnt vmcnt(0)
	ds_write_b32 v161, v147 offset:44
	ds_read_b32 v0, v160
	s_waitcnt lgkmcnt(0)
	v_cmp_neq_f32_e32 vcc, 0, v0
	s_and_b64 exec, exec, vcc
	s_cbranch_execz .LBB23_4
; %bb.3:
	v_div_scale_f32 v1, s[8:9], v0, v0, 1.0
	v_rcp_f32_e32 v2, v1
	v_div_scale_f32 v3, vcc, 1.0, v0, 1.0
	v_fma_f32 v4, -v1, v2, 1.0
	v_fmac_f32_e32 v2, v4, v2
	v_mul_f32_e32 v4, v3, v2
	v_fma_f32 v5, -v1, v4, v3
	v_fmac_f32_e32 v4, v5, v2
	v_fma_f32 v1, -v1, v4, v3
	v_div_fmas_f32 v1, v1, v2, v4
	v_div_fixup_f32 v0, v1, v0, 1.0
	ds_write_b32 v160, v0
.LBB23_4:
	s_or_b64 exec, exec, s[4:5]
	s_waitcnt lgkmcnt(0)
	s_barrier
	ds_read_b32 v159, v160
	s_and_saveexec_b64 s[4:5], s[2:3]
	s_xor_b64 s[2:3], exec, s[4:5]
	s_cbranch_execz .LBB23_6
; %bb.5:
	ds_read2_b32 v[0:1], v161 offset0:1 offset1:2
	s_waitcnt vmcnt(11) lgkmcnt(1)
	v_mul_f32_e32 v84, v84, v159
	ds_read2_b32 v[2:3], v161 offset0:3 offset1:4
	ds_read2_b32 v[4:5], v161 offset0:5 offset1:6
	;; [unrolled: 1-line block ×3, first 2 shown]
	s_waitcnt vmcnt(7) lgkmcnt(2)
	v_pk_fma_f32 v[154:155], v[84:85], v[2:3], v[154:155] op_sel_hi:[0,1,1] neg_lo:[1,0,0] neg_hi:[1,0,0]
	v_pk_fma_f32 v[156:157], v[84:85], v[0:1], v[156:157] op_sel_hi:[0,1,1] neg_lo:[1,0,0] neg_hi:[1,0,0]
	ds_read2_b32 v[0:1], v161 offset0:9 offset1:10
	ds_read_b32 v8, v161 offset:44
	s_waitcnt vmcnt(5) lgkmcnt(3)
	v_pk_fma_f32 v[152:153], v[84:85], v[4:5], v[152:153] op_sel_hi:[0,1,1] neg_lo:[1,0,0] neg_hi:[1,0,0]
	s_waitcnt vmcnt(3) lgkmcnt(2)
	v_pk_fma_f32 v[150:151], v[84:85], v[6:7], v[150:151] op_sel_hi:[0,1,1] neg_lo:[1,0,0] neg_hi:[1,0,0]
	s_waitcnt vmcnt(1) lgkmcnt(1)
	v_pk_fma_f32 v[148:149], v[84:85], v[0:1], v[148:149] op_sel_hi:[0,1,1] neg_lo:[1,0,0] neg_hi:[1,0,0]
	s_waitcnt vmcnt(0) lgkmcnt(0)
	v_fma_f32 v147, -v84, v8, v147
.LBB23_6:
	s_andn2_saveexec_b64 s[2:3], s[2:3]
	s_or_b64 exec, exec, s[2:3]
	s_waitcnt vmcnt(10)
	v_mov_b32_e32 v85, v156
	v_mov_b64_e32 v[118:119], v[94:95]
	v_mov_b64_e32 v[110:111], v[86:87]
	v_mov_b64_e32 v[108:109], v[84:85]
	v_mov_b64_e32 v[116:117], v[92:93]
	v_mov_b64_e32 v[114:115], v[90:91]
	v_mov_b64_e32 v[112:113], v[88:89]
	s_waitcnt vmcnt(9)
	v_mov_b32_e32 v110, v157
	v_mov_b64_e32 v[96:97], v[108:109]
	v_mov_b64_e32 v[98:99], v[110:111]
	v_mov_b64_e32 v[100:101], v[112:113]
	v_mov_b64_e32 v[102:103], v[114:115]
	v_mov_b64_e32 v[104:105], v[116:117]
	v_mov_b64_e32 v[106:107], v[118:119]
	s_waitcnt vmcnt(8)
	v_mov_b32_e32 v99, v154
	v_mov_b64_e32 v[72:73], v[96:97]
	v_mov_b64_e32 v[76:77], v[100:101]
	v_mov_b64_e32 v[74:75], v[98:99]
	v_mov_b64_e32 v[78:79], v[102:103]
	v_mov_b64_e32 v[80:81], v[104:105]
	v_mov_b64_e32 v[82:83], v[106:107]
	s_waitcnt vmcnt(7)
	v_mov_b32_e32 v76, v155
	v_mov_b64_e32 v[60:61], v[72:73]
	v_mov_b64_e32 v[64:65], v[76:77]
	v_mov_b64_e32 v[62:63], v[74:75]
	v_mov_b64_e32 v[66:67], v[78:79]
	v_mov_b64_e32 v[68:69], v[80:81]
	v_mov_b64_e32 v[70:71], v[82:83]
	s_waitcnt vmcnt(6)
	v_mov_b32_e32 v65, v152
	v_mov_b64_e32 v[48:49], v[60:61]
	v_mov_b64_e32 v[54:55], v[66:67]
	v_mov_b64_e32 v[50:51], v[62:63]
	v_mov_b64_e32 v[52:53], v[64:65]
	v_mov_b64_e32 v[56:57], v[68:69]
	v_mov_b64_e32 v[58:59], v[70:71]
	s_waitcnt vmcnt(5)
	v_mov_b32_e32 v54, v153
	v_mov_b64_e32 v[36:37], v[48:49]
	v_mov_b64_e32 v[42:43], v[54:55]
	v_mov_b64_e32 v[38:39], v[50:51]
	v_mov_b64_e32 v[40:41], v[52:53]
	v_mov_b64_e32 v[44:45], v[56:57]
	v_mov_b64_e32 v[46:47], v[58:59]
	s_waitcnt vmcnt(4)
	v_mov_b32_e32 v43, v150
	v_mov_b64_e32 v[24:25], v[36:37]
	v_mov_b64_e32 v[32:33], v[44:45]
	v_mov_b64_e32 v[26:27], v[38:39]
	v_mov_b64_e32 v[28:29], v[40:41]
	v_mov_b64_e32 v[30:31], v[42:43]
	v_mov_b64_e32 v[34:35], v[46:47]
	s_waitcnt vmcnt(3)
	v_mov_b32_e32 v32, v151
	v_mov_b64_e32 v[12:13], v[24:25]
	v_mov_b64_e32 v[20:21], v[32:33]
	v_mov_b64_e32 v[14:15], v[26:27]
	v_mov_b64_e32 v[16:17], v[28:29]
	v_mov_b64_e32 v[18:19], v[30:31]
	v_mov_b64_e32 v[22:23], v[34:35]
	s_waitcnt vmcnt(2)
	v_mov_b32_e32 v21, v148
	v_mov_b64_e32 v[0:1], v[12:13]
	v_mov_b64_e32 v[10:11], v[22:23]
	v_mov_b64_e32 v[2:3], v[14:15]
	v_mov_b64_e32 v[4:5], v[16:17]
	v_mov_b64_e32 v[6:7], v[18:19]
	v_mov_b64_e32 v[8:9], v[20:21]
	s_waitcnt vmcnt(1)
	v_mov_b32_e32 v10, v149
	s_waitcnt vmcnt(0)
	v_mov_b32_e32 v11, v147
	v_cmp_eq_u32_e32 vcc, 1, v158
	s_waitcnt lgkmcnt(0)
	s_barrier
	s_and_saveexec_b64 s[2:3], vcc
	s_cbranch_execz .LBB23_9
; %bb.7:
	v_mov_b32_e32 v146, v10
	ds_write_b32 v160, v156
	ds_write2_b64 v161, v[2:3], v[4:5] offset0:1 offset1:2
	ds_write2_b64 v161, v[6:7], v[8:9] offset0:3 offset1:4
	ds_write_b64 v161, v[146:147] offset:40
	ds_read_b32 v22, v160
	s_waitcnt lgkmcnt(0)
	v_cmp_neq_f32_e32 vcc, 0, v22
	s_and_b64 exec, exec, vcc
	s_cbranch_execz .LBB23_9
; %bb.8:
	v_div_scale_f32 v23, s[4:5], v22, v22, 1.0
	v_rcp_f32_e32 v33, v23
	v_div_scale_f32 v44, vcc, 1.0, v22, 1.0
	v_fma_f32 v55, -v23, v33, 1.0
	v_fmac_f32_e32 v33, v55, v33
	v_mul_f32_e32 v55, v44, v33
	v_fma_f32 v66, -v23, v55, v44
	v_fmac_f32_e32 v55, v66, v33
	v_fma_f32 v23, -v23, v55, v44
	v_div_fmas_f32 v23, v23, v33, v55
	v_div_fixup_f32 v22, v23, v22, 1.0
	ds_write_b32 v160, v22
.LBB23_9:
	s_or_b64 exec, exec, s[2:3]
	s_waitcnt lgkmcnt(0)
	s_barrier
	ds_read_b32 v162, v160
	v_cmp_lt_u32_e32 vcc, 1, v158
	s_and_saveexec_b64 s[2:3], vcc
	s_cbranch_execz .LBB23_11
; %bb.10:
	ds_read2_b64 v[12:15], v161 offset0:1 offset1:2
	ds_read2_b64 v[16:19], v161 offset0:3 offset1:4
	s_waitcnt lgkmcnt(2)
	v_mul_f32_e32 v0, v156, v162
	v_mov_b32_e32 v85, v0
	v_mov_b64_e32 v[118:119], v[94:95]
	s_waitcnt lgkmcnt(1)
	v_pk_fma_f32 v[148:149], v[0:1], v[12:13], v[2:3] op_sel_hi:[0,1,1] neg_lo:[1,0,0] neg_hi:[1,0,0]
	v_mov_b64_e32 v[110:111], v[86:87]
	v_mov_b64_e32 v[108:109], v[84:85]
	;; [unrolled: 1-line block ×5, first 2 shown]
	v_mov_b32_e32 v110, v148
	v_mov_b64_e32 v[96:97], v[108:109]
	v_mov_b64_e32 v[98:99], v[110:111]
	;; [unrolled: 1-line block ×6, first 2 shown]
	v_mov_b32_e32 v99, v149
	v_mov_b64_e32 v[72:73], v[96:97]
	v_pk_fma_f32 v[150:151], v[0:1], v[14:15], v[4:5] op_sel_hi:[0,1,1] neg_lo:[1,0,0] neg_hi:[1,0,0]
	v_mov_b64_e32 v[76:77], v[100:101]
	v_mov_b64_e32 v[74:75], v[98:99]
	;; [unrolled: 1-line block ×5, first 2 shown]
	v_mov_b32_e32 v76, v150
	v_mov_b64_e32 v[60:61], v[72:73]
	v_mov_b64_e32 v[64:65], v[76:77]
	;; [unrolled: 1-line block ×6, first 2 shown]
	v_mov_b32_e32 v65, v151
	v_mov_b64_e32 v[48:49], v[60:61]
	ds_read_b64 v[20:21], v161 offset:40
	s_waitcnt lgkmcnt(1)
	v_pk_fma_f32 v[164:165], v[0:1], v[16:17], v[6:7] op_sel_hi:[0,1,1] neg_lo:[1,0,0] neg_hi:[1,0,0]
	v_mov_b64_e32 v[54:55], v[66:67]
	v_mov_b64_e32 v[50:51], v[62:63]
	;; [unrolled: 1-line block ×5, first 2 shown]
	v_mov_b32_e32 v54, v164
	v_mov_b64_e32 v[36:37], v[48:49]
	v_mov_b64_e32 v[42:43], v[54:55]
	;; [unrolled: 1-line block ×6, first 2 shown]
	v_mov_b32_e32 v43, v165
	v_mov_b64_e32 v[24:25], v[36:37]
	v_pk_fma_f32 v[166:167], v[0:1], v[18:19], v[8:9] op_sel_hi:[0,1,1] neg_lo:[1,0,0] neg_hi:[1,0,0]
	v_mov_b32_e32 v11, v147
	v_mov_b64_e32 v[32:33], v[44:45]
	s_waitcnt lgkmcnt(0)
	v_pk_fma_f32 v[146:147], v[0:1], v[20:21], v[10:11] op_sel_hi:[0,1,1] neg_lo:[1,0,0] neg_hi:[1,0,0]
	v_mov_b64_e32 v[26:27], v[38:39]
	v_mov_b64_e32 v[28:29], v[40:41]
	;; [unrolled: 1-line block ×4, first 2 shown]
	v_mov_b32_e32 v32, v166
	v_mov_b64_e32 v[12:13], v[24:25]
	v_mov_b64_e32 v[20:21], v[32:33]
	;; [unrolled: 1-line block ×6, first 2 shown]
	v_mov_b32_e32 v21, v167
	v_mov_b64_e32 v[0:1], v[12:13]
	v_mov_b64_e32 v[10:11], v[22:23]
	;; [unrolled: 1-line block ×6, first 2 shown]
	v_mov_b32_e32 v10, v146
	v_mov_b32_e32 v11, v147
	;; [unrolled: 1-line block ×11, first 2 shown]
.LBB23_11:
	s_or_b64 exec, exec, s[2:3]
	v_cmp_eq_u32_e32 vcc, 2, v158
	s_waitcnt lgkmcnt(0)
	s_barrier
	s_and_saveexec_b64 s[2:3], vcc
	s_cbranch_execz .LBB23_14
; %bb.12:
	ds_write_b32 v160, v157
	ds_write2_b32 v161, v3, v4 offset0:3 offset1:4
	ds_write2_b32 v161, v5, v6 offset0:5 offset1:6
	;; [unrolled: 1-line block ×4, first 2 shown]
	ds_write_b32 v161, v147 offset:44
	ds_read_b32 v22, v160
	s_waitcnt lgkmcnt(0)
	v_cmp_neq_f32_e32 vcc, 0, v22
	s_and_b64 exec, exec, vcc
	s_cbranch_execz .LBB23_14
; %bb.13:
	v_div_scale_f32 v23, s[4:5], v22, v22, 1.0
	v_rcp_f32_e32 v33, v23
	v_div_scale_f32 v44, vcc, 1.0, v22, 1.0
	v_fma_f32 v55, -v23, v33, 1.0
	v_fmac_f32_e32 v33, v55, v33
	v_mul_f32_e32 v55, v44, v33
	v_fma_f32 v66, -v23, v55, v44
	v_fmac_f32_e32 v55, v66, v33
	v_fma_f32 v23, -v23, v55, v44
	v_div_fmas_f32 v23, v23, v33, v55
	v_div_fixup_f32 v22, v23, v22, 1.0
	ds_write_b32 v160, v22
.LBB23_14:
	s_or_b64 exec, exec, s[2:3]
	s_waitcnt lgkmcnt(0)
	s_barrier
	ds_read_b32 v156, v160
	v_cmp_lt_u32_e32 vcc, 2, v158
	s_and_saveexec_b64 s[2:3], vcc
	s_cbranch_execz .LBB23_16
; %bb.15:
	ds_read2_b32 v[0:1], v161 offset0:3 offset1:4
	s_waitcnt lgkmcnt(1)
	v_mul_f32_e32 v86, v157, v156
	v_mov_b32_e32 v2, v3
	v_mov_b32_e32 v3, v4
	v_mov_b64_e32 v[106:107], v[94:95]
	s_waitcnt lgkmcnt(0)
	v_pk_fma_f32 v[154:155], v[86:87], v[0:1], v[2:3] op_sel_hi:[0,1,1] neg_lo:[1,0,0] neg_hi:[1,0,0]
	v_mov_b64_e32 v[98:99], v[86:87]
	v_mov_b64_e32 v[96:97], v[84:85]
	ds_read2_b32 v[12:13], v161 offset0:5 offset1:6
	ds_read2_b32 v[14:15], v161 offset0:7 offset1:8
	;; [unrolled: 1-line block ×3, first 2 shown]
	v_mov_b64_e32 v[104:105], v[92:93]
	v_mov_b64_e32 v[102:103], v[90:91]
	;; [unrolled: 1-line block ×3, first 2 shown]
	v_mov_b32_e32 v99, v154
	v_mov_b64_e32 v[72:73], v[96:97]
	v_mov_b64_e32 v[76:77], v[100:101]
	v_mov_b32_e32 v0, v5
	v_mov_b32_e32 v1, v6
	v_mov_b64_e32 v[74:75], v[98:99]
	v_mov_b64_e32 v[78:79], v[102:103]
	v_mov_b64_e32 v[80:81], v[104:105]
	v_mov_b64_e32 v[82:83], v[106:107]
	v_mov_b32_e32 v76, v155
	v_mov_b64_e32 v[60:61], v[72:73]
	s_waitcnt lgkmcnt(2)
	v_pk_fma_f32 v[152:153], v[86:87], v[12:13], v[0:1] op_sel_hi:[0,1,1] neg_lo:[1,0,0] neg_hi:[1,0,0]
	v_mov_b64_e32 v[64:65], v[76:77]
	v_mov_b64_e32 v[62:63], v[74:75]
	;; [unrolled: 1-line block ×5, first 2 shown]
	v_mov_b32_e32 v65, v152
	v_mov_b64_e32 v[48:49], v[60:61]
	v_mov_b64_e32 v[54:55], v[66:67]
	v_mov_b32_e32 v0, v7
	v_mov_b32_e32 v1, v8
	v_mov_b64_e32 v[50:51], v[62:63]
	v_mov_b64_e32 v[52:53], v[64:65]
	;; [unrolled: 1-line block ×4, first 2 shown]
	v_mov_b32_e32 v54, v153
	v_mov_b64_e32 v[36:37], v[48:49]
	ds_read_b32 v2, v161 offset:44
	s_waitcnt lgkmcnt(2)
	v_pk_fma_f32 v[150:151], v[86:87], v[14:15], v[0:1] op_sel_hi:[0,1,1] neg_lo:[1,0,0] neg_hi:[1,0,0]
	v_mov_b64_e32 v[42:43], v[54:55]
	v_mov_b64_e32 v[38:39], v[50:51]
	;; [unrolled: 1-line block ×5, first 2 shown]
	v_mov_b32_e32 v43, v150
	v_mov_b64_e32 v[24:25], v[36:37]
	v_mov_b32_e32 v0, v9
	v_mov_b32_e32 v1, v10
	v_mov_b64_e32 v[32:33], v[44:45]
	s_waitcnt lgkmcnt(1)
	v_pk_fma_f32 v[148:149], v[86:87], v[16:17], v[0:1] op_sel_hi:[0,1,1] neg_lo:[1,0,0] neg_hi:[1,0,0]
	v_mov_b64_e32 v[26:27], v[38:39]
	v_mov_b64_e32 v[28:29], v[40:41]
	;; [unrolled: 1-line block ×4, first 2 shown]
	v_mov_b32_e32 v32, v151
	v_mov_b64_e32 v[12:13], v[24:25]
	v_mov_b64_e32 v[20:21], v[32:33]
	s_waitcnt lgkmcnt(0)
	v_fma_f32 v147, -v86, v2, v147
	v_mov_b64_e32 v[14:15], v[26:27]
	v_mov_b64_e32 v[16:17], v[28:29]
	;; [unrolled: 1-line block ×4, first 2 shown]
	v_mov_b32_e32 v21, v148
	v_mov_b64_e32 v[0:1], v[12:13]
	v_mov_b64_e32 v[10:11], v[22:23]
	;; [unrolled: 1-line block ×7, first 2 shown]
	v_mov_b32_e32 v10, v149
	v_mov_b32_e32 v11, v147
	v_mov_b64_e32 v[116:117], v[92:93]
	v_mov_b64_e32 v[114:115], v[90:91]
	;; [unrolled: 1-line block ×5, first 2 shown]
.LBB23_16:
	s_or_b64 exec, exec, s[2:3]
	v_cmp_eq_u32_e32 vcc, 3, v158
	s_waitcnt lgkmcnt(0)
	s_barrier
	s_and_saveexec_b64 s[2:3], vcc
	s_cbranch_execz .LBB23_19
; %bb.17:
	ds_write_b32 v160, v154
	ds_write2_b64 v161, v[4:5], v[6:7] offset0:2 offset1:3
	ds_write2_b64 v161, v[8:9], v[10:11] offset0:4 offset1:5
	ds_read_b32 v22, v160
	s_waitcnt lgkmcnt(0)
	v_cmp_neq_f32_e32 vcc, 0, v22
	s_and_b64 exec, exec, vcc
	s_cbranch_execz .LBB23_19
; %bb.18:
	v_div_scale_f32 v23, s[4:5], v22, v22, 1.0
	v_rcp_f32_e32 v33, v23
	v_div_scale_f32 v44, vcc, 1.0, v22, 1.0
	v_fma_f32 v55, -v23, v33, 1.0
	v_fmac_f32_e32 v33, v55, v33
	v_mul_f32_e32 v55, v44, v33
	v_fma_f32 v66, -v23, v55, v44
	v_fmac_f32_e32 v55, v66, v33
	v_fma_f32 v23, -v23, v55, v44
	v_div_fmas_f32 v23, v23, v33, v55
	v_div_fixup_f32 v22, v23, v22, 1.0
	ds_write_b32 v160, v22
.LBB23_19:
	s_or_b64 exec, exec, s[2:3]
	s_waitcnt lgkmcnt(0)
	s_barrier
	ds_read_b32 v84, v160
	v_cmp_lt_u32_e32 vcc, 3, v158
	s_and_saveexec_b64 s[2:3], vcc
	s_cbranch_execz .LBB23_21
; %bb.20:
	ds_read2_b64 v[0:3], v161 offset0:2 offset1:3
	ds_read2_b64 v[12:15], v161 offset0:4 offset1:5
	s_waitcnt lgkmcnt(2)
	v_mul_f32_e32 v16, v154, v84
	v_mov_b32_e32 v111, v16
	v_mov_b64_e32 v[72:73], v[108:109]
	s_waitcnt lgkmcnt(1)
	v_pk_fma_f32 v[86:87], v[16:17], v[0:1], v[4:5] op_sel_hi:[0,1,1] neg_lo:[1,0,0] neg_hi:[1,0,0]
	v_mov_b64_e32 v[76:77], v[112:113]
	v_mov_b64_e32 v[74:75], v[110:111]
	;; [unrolled: 1-line block ×5, first 2 shown]
	v_mov_b32_e32 v76, v86
	v_mov_b64_e32 v[60:61], v[72:73]
	v_mov_b64_e32 v[64:65], v[76:77]
	v_mov_b64_e32 v[62:63], v[74:75]
	v_mov_b64_e32 v[66:67], v[78:79]
	v_mov_b64_e32 v[68:69], v[80:81]
	v_mov_b64_e32 v[70:71], v[82:83]
	v_mov_b32_e32 v65, v87
	v_mov_b64_e32 v[48:49], v[60:61]
	v_pk_fma_f32 v[88:89], v[16:17], v[2:3], v[6:7] op_sel_hi:[0,1,1] neg_lo:[1,0,0] neg_hi:[1,0,0]
	v_mov_b64_e32 v[54:55], v[66:67]
	v_mov_b64_e32 v[50:51], v[62:63]
	;; [unrolled: 1-line block ×5, first 2 shown]
	v_mov_b32_e32 v54, v88
	v_mov_b64_e32 v[36:37], v[48:49]
	v_mov_b64_e32 v[42:43], v[54:55]
	;; [unrolled: 1-line block ×6, first 2 shown]
	v_mov_b32_e32 v43, v89
	v_mov_b64_e32 v[24:25], v[36:37]
	s_waitcnt lgkmcnt(0)
	v_pk_fma_f32 v[90:91], v[16:17], v[12:13], v[8:9] op_sel_hi:[0,1,1] neg_lo:[1,0,0] neg_hi:[1,0,0]
	v_mov_b64_e32 v[32:33], v[44:45]
	v_pk_fma_f32 v[146:147], v[16:17], v[14:15], v[10:11] op_sel_hi:[0,1,1] neg_lo:[1,0,0] neg_hi:[1,0,0]
	v_mov_b64_e32 v[26:27], v[38:39]
	v_mov_b64_e32 v[28:29], v[40:41]
	;; [unrolled: 1-line block ×4, first 2 shown]
	v_mov_b32_e32 v32, v90
	v_mov_b64_e32 v[12:13], v[24:25]
	v_mov_b64_e32 v[20:21], v[32:33]
	;; [unrolled: 1-line block ×6, first 2 shown]
	v_mov_b32_e32 v21, v91
	v_mov_b64_e32 v[0:1], v[12:13]
	v_mov_b64_e32 v[10:11], v[22:23]
	;; [unrolled: 1-line block ×7, first 2 shown]
	v_mov_b32_e32 v10, v146
	v_mov_b32_e32 v11, v147
	v_mov_b64_e32 v[98:99], v[110:111]
	v_mov_b64_e32 v[100:101], v[112:113]
	;; [unrolled: 1-line block ×5, first 2 shown]
	v_mov_b32_e32 v155, v86
	v_mov_b32_e32 v152, v87
	;; [unrolled: 1-line block ×7, first 2 shown]
.LBB23_21:
	s_or_b64 exec, exec, s[2:3]
	v_cmp_eq_u32_e32 vcc, 4, v158
	s_waitcnt lgkmcnt(0)
	s_barrier
	s_and_saveexec_b64 s[2:3], vcc
	s_cbranch_execz .LBB23_24
; %bb.22:
	ds_write_b32 v160, v155
	ds_write2_b32 v161, v5, v6 offset0:5 offset1:6
	ds_write2_b32 v161, v7, v8 offset0:7 offset1:8
	;; [unrolled: 1-line block ×3, first 2 shown]
	ds_write_b32 v161, v147 offset:44
	ds_read_b32 v22, v160
	s_waitcnt lgkmcnt(0)
	v_cmp_neq_f32_e32 vcc, 0, v22
	s_and_b64 exec, exec, vcc
	s_cbranch_execz .LBB23_24
; %bb.23:
	v_div_scale_f32 v23, s[4:5], v22, v22, 1.0
	v_rcp_f32_e32 v33, v23
	v_div_scale_f32 v44, vcc, 1.0, v22, 1.0
	v_fma_f32 v55, -v23, v33, 1.0
	v_fmac_f32_e32 v33, v55, v33
	v_mul_f32_e32 v55, v44, v33
	v_fma_f32 v66, -v23, v55, v44
	v_fmac_f32_e32 v55, v66, v33
	v_fma_f32 v23, -v23, v55, v44
	v_div_fmas_f32 v23, v23, v33, v55
	v_div_fixup_f32 v22, v23, v22, 1.0
	ds_write_b32 v160, v22
.LBB23_24:
	s_or_b64 exec, exec, s[2:3]
	s_waitcnt lgkmcnt(0)
	s_barrier
	ds_read_b32 v85, v160
	v_cmp_lt_u32_e32 vcc, 4, v158
	s_and_saveexec_b64 s[2:3], vcc
	s_cbranch_execz .LBB23_26
; %bb.25:
	ds_read2_b32 v[0:1], v161 offset0:5 offset1:6
	s_waitcnt lgkmcnt(1)
	v_mul_f32_e32 v100, v155, v85
	v_mov_b32_e32 v2, v5
	v_mov_b32_e32 v3, v6
	v_mov_b64_e32 v[60:61], v[96:97]
	s_waitcnt lgkmcnt(0)
	v_pk_fma_f32 v[152:153], v[100:101], v[0:1], v[2:3] op_sel_hi:[0,1,1] neg_lo:[1,0,0] neg_hi:[1,0,0]
	v_mov_b64_e32 v[64:65], v[100:101]
	ds_read2_b32 v[4:5], v161 offset0:7 offset1:8
	ds_read2_b32 v[12:13], v161 offset0:9 offset1:10
	ds_read_b32 v6, v161 offset:44
	v_mov_b64_e32 v[62:63], v[98:99]
	v_mov_b64_e32 v[66:67], v[102:103]
	;; [unrolled: 1-line block ×4, first 2 shown]
	v_mov_b32_e32 v65, v152
	v_mov_b64_e32 v[48:49], v[60:61]
	v_mov_b64_e32 v[54:55], v[66:67]
	v_mov_b32_e32 v0, v7
	v_mov_b32_e32 v1, v8
	v_mov_b64_e32 v[50:51], v[62:63]
	v_mov_b64_e32 v[52:53], v[64:65]
	;; [unrolled: 1-line block ×4, first 2 shown]
	v_mov_b32_e32 v54, v153
	v_mov_b64_e32 v[36:37], v[48:49]
	s_waitcnt lgkmcnt(2)
	v_pk_fma_f32 v[150:151], v[100:101], v[4:5], v[0:1] op_sel_hi:[0,1,1] neg_lo:[1,0,0] neg_hi:[1,0,0]
	v_mov_b64_e32 v[42:43], v[54:55]
	v_mov_b64_e32 v[38:39], v[50:51]
	;; [unrolled: 1-line block ×5, first 2 shown]
	v_mov_b32_e32 v43, v150
	v_mov_b64_e32 v[24:25], v[36:37]
	v_mov_b32_e32 v0, v9
	v_mov_b32_e32 v1, v10
	v_mov_b64_e32 v[32:33], v[44:45]
	s_waitcnt lgkmcnt(1)
	v_pk_fma_f32 v[148:149], v[100:101], v[12:13], v[0:1] op_sel_hi:[0,1,1] neg_lo:[1,0,0] neg_hi:[1,0,0]
	v_mov_b64_e32 v[26:27], v[38:39]
	v_mov_b64_e32 v[28:29], v[40:41]
	;; [unrolled: 1-line block ×4, first 2 shown]
	v_mov_b32_e32 v32, v151
	v_mov_b64_e32 v[12:13], v[24:25]
	v_mov_b64_e32 v[20:21], v[32:33]
	s_waitcnt lgkmcnt(0)
	v_fma_f32 v147, -v100, v6, v147
	v_mov_b64_e32 v[14:15], v[26:27]
	v_mov_b64_e32 v[16:17], v[28:29]
	;; [unrolled: 1-line block ×4, first 2 shown]
	v_mov_b32_e32 v21, v148
	v_mov_b64_e32 v[0:1], v[12:13]
	v_mov_b64_e32 v[10:11], v[22:23]
	;; [unrolled: 1-line block ×7, first 2 shown]
	v_mov_b32_e32 v10, v149
	v_mov_b32_e32 v11, v147
	v_mov_b64_e32 v[74:75], v[98:99]
	v_mov_b64_e32 v[76:77], v[100:101]
	;; [unrolled: 1-line block ×5, first 2 shown]
.LBB23_26:
	s_or_b64 exec, exec, s[2:3]
	v_cmp_eq_u32_e32 vcc, 5, v158
	s_waitcnt lgkmcnt(0)
	s_barrier
	s_and_saveexec_b64 s[2:3], vcc
	s_cbranch_execz .LBB23_29
; %bb.27:
	ds_write_b32 v160, v152
	ds_write2_b64 v161, v[6:7], v[8:9] offset0:3 offset1:4
	ds_write_b64 v161, v[10:11] offset:40
	ds_read_b32 v22, v160
	s_waitcnt lgkmcnt(0)
	v_cmp_neq_f32_e32 vcc, 0, v22
	s_and_b64 exec, exec, vcc
	s_cbranch_execz .LBB23_29
; %bb.28:
	v_div_scale_f32 v23, s[4:5], v22, v22, 1.0
	v_rcp_f32_e32 v33, v23
	v_div_scale_f32 v44, vcc, 1.0, v22, 1.0
	v_fma_f32 v55, -v23, v33, 1.0
	v_fmac_f32_e32 v33, v55, v33
	v_mul_f32_e32 v55, v44, v33
	v_fma_f32 v66, -v23, v55, v44
	v_fmac_f32_e32 v55, v66, v33
	v_fma_f32 v23, -v23, v55, v44
	v_div_fmas_f32 v23, v23, v33, v55
	v_div_fixup_f32 v22, v23, v22, 1.0
	ds_write_b32 v160, v22
.LBB23_29:
	s_or_b64 exec, exec, s[2:3]
	s_waitcnt lgkmcnt(0)
	s_barrier
	ds_read_b32 v86, v160
	v_cmp_lt_u32_e32 vcc, 5, v158
	s_and_saveexec_b64 s[2:3], vcc
	s_cbranch_execz .LBB23_31
; %bb.30:
	ds_read2_b64 v[0:3], v161 offset0:3 offset1:4
	ds_read_b64 v[4:5], v161 offset:40
	s_waitcnt lgkmcnt(2)
	v_mul_f32_e32 v12, v152, v86
	v_mov_b32_e32 v77, v12
	v_mov_b64_e32 v[48:49], v[72:73]
	s_waitcnt lgkmcnt(1)
	v_pk_fma_f32 v[88:89], v[12:13], v[0:1], v[6:7] op_sel_hi:[0,1,1] neg_lo:[1,0,0] neg_hi:[1,0,0]
	v_mov_b64_e32 v[54:55], v[78:79]
	v_mov_b64_e32 v[50:51], v[74:75]
	;; [unrolled: 1-line block ×5, first 2 shown]
	v_mov_b32_e32 v54, v88
	v_mov_b64_e32 v[36:37], v[48:49]
	v_mov_b64_e32 v[42:43], v[54:55]
	;; [unrolled: 1-line block ×6, first 2 shown]
	v_mov_b32_e32 v43, v89
	v_mov_b64_e32 v[24:25], v[36:37]
	v_pk_fma_f32 v[90:91], v[12:13], v[2:3], v[8:9] op_sel_hi:[0,1,1] neg_lo:[1,0,0] neg_hi:[1,0,0]
	v_mov_b64_e32 v[32:33], v[44:45]
	s_waitcnt lgkmcnt(0)
	v_pk_fma_f32 v[146:147], v[12:13], v[4:5], v[10:11] op_sel_hi:[0,1,1] neg_lo:[1,0,0] neg_hi:[1,0,0]
	v_mov_b64_e32 v[26:27], v[38:39]
	v_mov_b64_e32 v[28:29], v[40:41]
	;; [unrolled: 1-line block ×4, first 2 shown]
	v_mov_b32_e32 v32, v90
	v_mov_b64_e32 v[12:13], v[24:25]
	v_mov_b64_e32 v[20:21], v[32:33]
	;; [unrolled: 1-line block ×6, first 2 shown]
	v_mov_b32_e32 v21, v91
	v_mov_b64_e32 v[0:1], v[12:13]
	v_mov_b64_e32 v[10:11], v[22:23]
	;; [unrolled: 1-line block ×7, first 2 shown]
	v_mov_b32_e32 v10, v146
	v_mov_b32_e32 v11, v147
	v_mov_b64_e32 v[62:63], v[74:75]
	v_mov_b64_e32 v[64:65], v[76:77]
	;; [unrolled: 1-line block ×5, first 2 shown]
	v_mov_b32_e32 v153, v88
	v_mov_b32_e32 v150, v89
	v_mov_b32_e32 v151, v90
	v_mov_b32_e32 v148, v91
	v_mov_b32_e32 v149, v146
.LBB23_31:
	s_or_b64 exec, exec, s[2:3]
	v_cmp_eq_u32_e32 vcc, 6, v158
	s_waitcnt lgkmcnt(0)
	s_barrier
	s_and_saveexec_b64 s[2:3], vcc
	s_cbranch_execz .LBB23_34
; %bb.32:
	ds_write_b32 v160, v153
	ds_write2_b32 v161, v7, v8 offset0:7 offset1:8
	ds_write2_b32 v161, v9, v10 offset0:9 offset1:10
	ds_write_b32 v161, v147 offset:44
	ds_read_b32 v22, v160
	s_waitcnt lgkmcnt(0)
	v_cmp_neq_f32_e32 vcc, 0, v22
	s_and_b64 exec, exec, vcc
	s_cbranch_execz .LBB23_34
; %bb.33:
	v_div_scale_f32 v23, s[4:5], v22, v22, 1.0
	v_rcp_f32_e32 v33, v23
	v_div_scale_f32 v44, vcc, 1.0, v22, 1.0
	v_fma_f32 v55, -v23, v33, 1.0
	v_fmac_f32_e32 v33, v55, v33
	v_mul_f32_e32 v55, v44, v33
	v_fma_f32 v66, -v23, v55, v44
	v_fmac_f32_e32 v55, v66, v33
	v_fma_f32 v23, -v23, v55, v44
	v_div_fmas_f32 v23, v23, v33, v55
	v_div_fixup_f32 v22, v23, v22, 1.0
	ds_write_b32 v160, v22
.LBB23_34:
	s_or_b64 exec, exec, s[2:3]
	s_waitcnt lgkmcnt(0)
	s_barrier
	ds_read_b32 v72, v160
	v_cmp_lt_u32_e32 vcc, 6, v158
	s_and_saveexec_b64 s[2:3], vcc
	s_cbranch_execz .LBB23_36
; %bb.35:
	ds_read2_b32 v[0:1], v161 offset0:7 offset1:8
	s_waitcnt lgkmcnt(1)
	v_mul_f32_e32 v66, v153, v72
	v_mov_b32_e32 v2, v7
	v_mov_b32_e32 v3, v8
	v_mov_b64_e32 v[36:37], v[60:61]
	ds_read2_b32 v[4:5], v161 offset0:9 offset1:10
	ds_read_b32 v6, v161 offset:44
	s_waitcnt lgkmcnt(2)
	v_pk_fma_f32 v[150:151], v[66:67], v[0:1], v[2:3] op_sel_hi:[0,1,1] neg_lo:[1,0,0] neg_hi:[1,0,0]
	v_mov_b64_e32 v[42:43], v[66:67]
	v_mov_b64_e32 v[38:39], v[62:63]
	;; [unrolled: 1-line block ×5, first 2 shown]
	v_mov_b32_e32 v43, v150
	v_mov_b64_e32 v[24:25], v[36:37]
	v_mov_b64_e32 v[32:33], v[44:45]
	v_mov_b32_e32 v0, v9
	v_mov_b32_e32 v1, v10
	v_mov_b64_e32 v[26:27], v[38:39]
	v_mov_b64_e32 v[28:29], v[40:41]
	;; [unrolled: 1-line block ×4, first 2 shown]
	v_mov_b32_e32 v32, v151
	v_mov_b64_e32 v[12:13], v[24:25]
	s_waitcnt lgkmcnt(1)
	v_pk_fma_f32 v[148:149], v[66:67], v[4:5], v[0:1] op_sel_hi:[0,1,1] neg_lo:[1,0,0] neg_hi:[1,0,0]
	v_mov_b64_e32 v[20:21], v[32:33]
	s_waitcnt lgkmcnt(0)
	v_fma_f32 v147, -v66, v6, v147
	v_mov_b64_e32 v[14:15], v[26:27]
	v_mov_b64_e32 v[16:17], v[28:29]
	;; [unrolled: 1-line block ×4, first 2 shown]
	v_mov_b32_e32 v21, v148
	v_mov_b64_e32 v[0:1], v[12:13]
	v_mov_b64_e32 v[10:11], v[22:23]
	;; [unrolled: 1-line block ×7, first 2 shown]
	v_mov_b32_e32 v10, v149
	v_mov_b32_e32 v11, v147
	v_mov_b64_e32 v[50:51], v[62:63]
	v_mov_b64_e32 v[52:53], v[64:65]
	;; [unrolled: 1-line block ×5, first 2 shown]
.LBB23_36:
	s_or_b64 exec, exec, s[2:3]
	v_cmp_eq_u32_e32 vcc, 7, v158
	s_waitcnt lgkmcnt(0)
	s_barrier
	s_and_saveexec_b64 s[2:3], vcc
	s_cbranch_execz .LBB23_39
; %bb.37:
	ds_write_b32 v160, v150
	ds_write2_b64 v161, v[8:9], v[10:11] offset0:4 offset1:5
	ds_read_b32 v22, v160
	s_waitcnt lgkmcnt(0)
	v_cmp_neq_f32_e32 vcc, 0, v22
	s_and_b64 exec, exec, vcc
	s_cbranch_execz .LBB23_39
; %bb.38:
	v_div_scale_f32 v23, s[4:5], v22, v22, 1.0
	v_rcp_f32_e32 v33, v23
	v_div_scale_f32 v44, vcc, 1.0, v22, 1.0
	v_fma_f32 v55, -v23, v33, 1.0
	v_fmac_f32_e32 v33, v55, v33
	v_mul_f32_e32 v55, v44, v33
	v_fma_f32 v60, -v23, v55, v44
	v_fmac_f32_e32 v55, v60, v33
	v_fma_f32 v23, -v23, v55, v44
	v_div_fmas_f32 v23, v23, v33, v55
	v_div_fixup_f32 v22, v23, v22, 1.0
	ds_write_b32 v160, v22
.LBB23_39:
	s_or_b64 exec, exec, s[2:3]
	s_waitcnt lgkmcnt(0)
	s_barrier
	ds_read_b32 v60, v160
	v_cmp_lt_u32_e32 vcc, 7, v158
	s_and_saveexec_b64 s[2:3], vcc
	s_cbranch_execz .LBB23_41
; %bb.40:
	ds_read2_b64 v[0:3], v161 offset0:4 offset1:5
	s_waitcnt lgkmcnt(1)
	v_mul_f32_e32 v4, v150, v60
	v_mov_b32_e32 v55, v4
	v_mov_b64_e32 v[24:25], v[48:49]
	v_mov_b64_e32 v[32:33], v[56:57]
	s_waitcnt lgkmcnt(0)
	v_pk_fma_f32 v[62:63], v[4:5], v[0:1], v[8:9] op_sel_hi:[0,1,1] neg_lo:[1,0,0] neg_hi:[1,0,0]
	v_mov_b64_e32 v[26:27], v[50:51]
	v_mov_b64_e32 v[28:29], v[52:53]
	;; [unrolled: 1-line block ×4, first 2 shown]
	v_mov_b32_e32 v32, v62
	v_mov_b64_e32 v[12:13], v[24:25]
	v_mov_b64_e32 v[20:21], v[32:33]
	v_pk_fma_f32 v[146:147], v[4:5], v[2:3], v[10:11] op_sel_hi:[0,1,1] neg_lo:[1,0,0] neg_hi:[1,0,0]
	v_mov_b64_e32 v[14:15], v[26:27]
	v_mov_b64_e32 v[16:17], v[28:29]
	;; [unrolled: 1-line block ×4, first 2 shown]
	v_mov_b32_e32 v21, v63
	v_mov_b64_e32 v[0:1], v[12:13]
	v_mov_b64_e32 v[10:11], v[22:23]
	;; [unrolled: 1-line block ×7, first 2 shown]
	v_mov_b32_e32 v10, v146
	v_mov_b32_e32 v11, v147
	v_mov_b64_e32 v[38:39], v[50:51]
	v_mov_b64_e32 v[40:41], v[52:53]
	;; [unrolled: 1-line block ×5, first 2 shown]
	v_mov_b32_e32 v151, v62
	v_mov_b32_e32 v148, v63
	;; [unrolled: 1-line block ×3, first 2 shown]
.LBB23_41:
	s_or_b64 exec, exec, s[2:3]
	v_cmp_eq_u32_e32 vcc, 8, v158
	s_waitcnt lgkmcnt(0)
	s_barrier
	s_and_saveexec_b64 s[2:3], vcc
	s_cbranch_execz .LBB23_44
; %bb.42:
	ds_write_b32 v160, v151
	ds_write2_b32 v161, v9, v10 offset0:9 offset1:10
	ds_write_b32 v161, v147 offset:44
	ds_read_b32 v22, v160
	s_waitcnt lgkmcnt(0)
	v_cmp_neq_f32_e32 vcc, 0, v22
	s_and_b64 exec, exec, vcc
	s_cbranch_execz .LBB23_44
; %bb.43:
	v_div_scale_f32 v23, s[4:5], v22, v22, 1.0
	v_rcp_f32_e32 v33, v23
	v_div_scale_f32 v44, vcc, 1.0, v22, 1.0
	v_fma_f32 v48, -v23, v33, 1.0
	v_fmac_f32_e32 v33, v48, v33
	v_mul_f32_e32 v48, v44, v33
	v_fma_f32 v49, -v23, v48, v44
	v_fmac_f32_e32 v48, v49, v33
	v_fma_f32 v23, -v23, v48, v44
	v_div_fmas_f32 v23, v23, v33, v48
	v_div_fixup_f32 v22, v23, v22, 1.0
	ds_write_b32 v160, v22
.LBB23_44:
	s_or_b64 exec, exec, s[2:3]
	s_waitcnt lgkmcnt(0)
	s_barrier
	ds_read_b32 v48, v160
	v_cmp_lt_u32_e32 vcc, 8, v158
	s_and_saveexec_b64 s[2:3], vcc
	s_cbranch_execz .LBB23_46
; %bb.45:
	ds_read2_b32 v[0:1], v161 offset0:9 offset1:10
	ds_read_b32 v4, v161 offset:44
	s_waitcnt lgkmcnt(2)
	v_mul_f32_e32 v44, v151, v48
	v_mov_b32_e32 v2, v9
	v_mov_b32_e32 v3, v10
	v_mov_b64_e32 v[12:13], v[36:37]
	s_waitcnt lgkmcnt(1)
	v_pk_fma_f32 v[148:149], v[44:45], v[0:1], v[2:3] op_sel_hi:[0,1,1] neg_lo:[1,0,0] neg_hi:[1,0,0]
	v_mov_b64_e32 v[20:21], v[44:45]
	s_waitcnt lgkmcnt(0)
	v_fma_f32 v147, -v44, v4, v147
	v_mov_b64_e32 v[14:15], v[38:39]
	v_mov_b64_e32 v[16:17], v[40:41]
	;; [unrolled: 1-line block ×4, first 2 shown]
	v_mov_b32_e32 v21, v148
	v_mov_b64_e32 v[0:1], v[12:13]
	v_mov_b64_e32 v[10:11], v[22:23]
	;; [unrolled: 1-line block ×7, first 2 shown]
	v_mov_b32_e32 v10, v149
	v_mov_b32_e32 v11, v147
	v_mov_b64_e32 v[26:27], v[38:39]
	v_mov_b64_e32 v[28:29], v[40:41]
	;; [unrolled: 1-line block ×5, first 2 shown]
.LBB23_46:
	s_or_b64 exec, exec, s[2:3]
	v_cmp_eq_u32_e32 vcc, 9, v158
	s_waitcnt lgkmcnt(0)
	s_barrier
	s_and_saveexec_b64 s[2:3], vcc
	s_cbranch_execz .LBB23_49
; %bb.47:
	ds_write_b32 v160, v148
	ds_write_b64 v161, v[10:11] offset:40
	ds_read_b32 v22, v160
	s_waitcnt lgkmcnt(0)
	v_cmp_neq_f32_e32 vcc, 0, v22
	s_and_b64 exec, exec, vcc
	s_cbranch_execz .LBB23_49
; %bb.48:
	v_div_scale_f32 v23, s[4:5], v22, v22, 1.0
	v_rcp_f32_e32 v33, v23
	v_div_scale_f32 v36, vcc, 1.0, v22, 1.0
	v_fma_f32 v37, -v23, v33, 1.0
	v_fmac_f32_e32 v33, v37, v33
	v_mul_f32_e32 v37, v36, v33
	v_fma_f32 v38, -v23, v37, v36
	v_fmac_f32_e32 v37, v38, v33
	v_fma_f32 v23, -v23, v37, v36
	v_div_fmas_f32 v23, v23, v33, v37
	v_div_fixup_f32 v22, v23, v22, 1.0
	ds_write_b32 v160, v22
.LBB23_49:
	s_or_b64 exec, exec, s[2:3]
	s_waitcnt lgkmcnt(0)
	s_barrier
	ds_read_b32 v36, v160
	v_cmp_lt_u32_e32 vcc, 9, v158
	s_and_saveexec_b64 s[2:3], vcc
	s_cbranch_execz .LBB23_51
; %bb.50:
	ds_read_b64 v[0:1], v161 offset:40
	s_waitcnt lgkmcnt(1)
	v_mul_f32_e32 v2, v148, v36
	v_mov_b32_e32 v33, v2
	v_mov_b64_e32 v[12:13], v[24:25]
	v_mov_b64_e32 v[14:15], v[26:27]
	s_waitcnt lgkmcnt(0)
	v_pk_fma_f32 v[146:147], v[2:3], v[0:1], v[10:11] op_sel_hi:[0,1,1] neg_lo:[1,0,0] neg_hi:[1,0,0]
	v_mov_b64_e32 v[0:1], v[24:25]
	v_mov_b64_e32 v[10:11], v[34:35]
	;; [unrolled: 1-line block ×6, first 2 shown]
	v_mov_b32_e32 v10, v146
	v_mov_b32_e32 v11, v147
	v_mov_b64_e32 v[16:17], v[28:29]
	v_mov_b64_e32 v[18:19], v[30:31]
	;; [unrolled: 1-line block ×3, first 2 shown]
	v_mov_b32_e32 v149, v146
	v_mov_b64_e32 v[22:23], v[34:35]
.LBB23_51:
	s_or_b64 exec, exec, s[2:3]
	v_cmp_eq_u32_e32 vcc, 10, v158
	s_waitcnt lgkmcnt(0)
	s_barrier
	s_and_saveexec_b64 s[2:3], vcc
	s_cbranch_execz .LBB23_54
; %bb.52:
	ds_write_b32 v160, v149
	ds_write_b32 v161, v147 offset:44
	ds_read_b32 v22, v160
	s_waitcnt lgkmcnt(0)
	v_cmp_neq_f32_e32 vcc, 0, v22
	s_and_b64 exec, exec, vcc
	s_cbranch_execz .LBB23_54
; %bb.53:
	v_div_scale_f32 v23, s[4:5], v22, v22, 1.0
	v_rcp_f32_e32 v24, v23
	v_div_scale_f32 v25, vcc, 1.0, v22, 1.0
	v_fma_f32 v26, -v23, v24, 1.0
	v_fmac_f32_e32 v24, v26, v24
	v_mul_f32_e32 v26, v25, v24
	v_fma_f32 v27, -v23, v26, v25
	v_fmac_f32_e32 v26, v27, v24
	v_fma_f32 v23, -v23, v26, v25
	v_div_fmas_f32 v23, v23, v24, v26
	v_div_fixup_f32 v22, v23, v22, 1.0
	ds_write_b32 v160, v22
.LBB23_54:
	s_or_b64 exec, exec, s[2:3]
	s_waitcnt lgkmcnt(0)
	s_barrier
	ds_read_b32 v24, v160
	v_cmp_lt_u32_e32 vcc, 10, v158
	s_and_saveexec_b64 s[2:3], vcc
	s_cbranch_execz .LBB23_56
; %bb.55:
	ds_read_b32 v0, v161 offset:44
	s_waitcnt lgkmcnt(1)
	v_mul_f32_e32 v22, v149, v24
	s_waitcnt lgkmcnt(0)
	v_fma_f32 v23, -v22, v0, v147
	v_mov_b64_e32 v[0:1], v[12:13]
	v_mov_b64_e32 v[2:3], v[14:15]
	;; [unrolled: 1-line block ×6, first 2 shown]
	v_mov_b32_e32 v147, v23
.LBB23_56:
	s_or_b64 exec, exec, s[2:3]
	v_cmp_eq_u32_e32 vcc, 11, v158
	s_waitcnt lgkmcnt(0)
	s_barrier
	s_and_saveexec_b64 s[2:3], vcc
	s_cbranch_execz .LBB23_59
; %bb.57:
	v_cmp_neq_f32_e32 vcc, 0, v147
	ds_write_b32 v160, v147
	s_and_b64 exec, exec, vcc
	s_cbranch_execz .LBB23_59
; %bb.58:
	v_div_scale_f32 v12, s[4:5], v147, v147, 1.0
	v_rcp_f32_e32 v13, v12
	v_div_scale_f32 v14, vcc, 1.0, v147, 1.0
	v_fma_f32 v15, -v12, v13, 1.0
	v_fmac_f32_e32 v13, v15, v13
	v_mul_f32_e32 v15, v14, v13
	v_fma_f32 v16, -v12, v15, v14
	v_fmac_f32_e32 v15, v16, v13
	v_fma_f32 v12, -v12, v15, v14
	v_div_fmas_f32 v12, v12, v13, v15
	v_div_fixup_f32 v12, v12, v147, 1.0
	ds_write_b32 v160, v12
.LBB23_59:
	s_or_b64 exec, exec, s[2:3]
	s_waitcnt lgkmcnt(0)
	s_barrier
	ds_read_b32 v14, v160
	s_waitcnt lgkmcnt(0)
	s_barrier
	s_and_saveexec_b64 s[24:25], s[0:1]
	s_cbranch_execz .LBB23_62
; %bb.60:
	v_mov_b32_e32 v12, s6
	v_mov_b32_e32 v13, s7
	v_lshl_add_u64 v[12:13], v[132:133], 2, v[12:13]
	global_load_dword v16, v[12:13], off
	v_cmp_eq_f32_e32 vcc, 0, v159
	v_cmp_neq_f32_e64 s[0:1], 0, v162
	v_cmp_eq_f32_e64 s[2:3], 0, v156
	v_cndmask_b32_e64 v15, 0, 1, vcc
	s_or_b64 vcc, s[0:1], vcc
	v_cndmask_b32_e32 v15, 2, v15, vcc
	v_cmp_eq_u32_e32 vcc, 0, v15
	s_and_b64 s[0:1], s[2:3], vcc
	v_cndmask_b32_e64 v15, v15, 3, s[0:1]
	v_cmp_eq_f32_e64 s[4:5], 0, v84
	v_cmp_eq_u32_e32 vcc, 0, v15
	s_and_b64 s[0:1], s[4:5], vcc
	v_cndmask_b32_e64 v15, v15, 4, s[0:1]
	v_cmp_eq_f32_e64 s[6:7], 0, v85
	;; [unrolled: 4-line block ×9, first 2 shown]
	v_cmp_eq_u32_e32 vcc, 0, v15
	s_and_b64 s[0:1], s[20:21], vcc
	v_cndmask_b32_e64 v15, v15, 12, s[0:1]
	v_cmp_ne_u32_e64 s[0:1], 0, v15
	s_waitcnt vmcnt(0)
	v_cmp_eq_u32_e32 vcc, 0, v16
	s_and_b64 s[0:1], vcc, s[0:1]
	s_and_b64 exec, exec, s[0:1]
	s_cbranch_execz .LBB23_62
; %bb.61:
	v_add_u32_e32 v15, s23, v15
	global_store_dword v[12:13], v15, off
.LBB23_62:
	s_or_b64 exec, exec, s[24:25]
	v_mul_f32_e32 v12, v147, v14
	v_cmp_lt_u32_e32 vcc, 11, v158
	s_nop 1
	v_cndmask_b32_e32 v11, v11, v12, vcc
	global_store_dword v[120:121], v0, off
	global_store_dword v[122:123], v1, off
	;; [unrolled: 1-line block ×12, first 2 shown]
.LBB23_63:
	s_endpgm
	.section	.rodata,"a",@progbits
	.p2align	6, 0x0
	.amdhsa_kernel _ZN9rocsolver6v33100L23getf2_npvt_small_kernelILi12EfiiPfEEvT1_T3_lS3_lPT2_S3_S3_
		.amdhsa_group_segment_fixed_size 0
		.amdhsa_private_segment_fixed_size 0
		.amdhsa_kernarg_size 312
		.amdhsa_user_sgpr_count 2
		.amdhsa_user_sgpr_dispatch_ptr 0
		.amdhsa_user_sgpr_queue_ptr 0
		.amdhsa_user_sgpr_kernarg_segment_ptr 1
		.amdhsa_user_sgpr_dispatch_id 0
		.amdhsa_user_sgpr_kernarg_preload_length 0
		.amdhsa_user_sgpr_kernarg_preload_offset 0
		.amdhsa_user_sgpr_private_segment_size 0
		.amdhsa_uses_dynamic_stack 0
		.amdhsa_enable_private_segment 0
		.amdhsa_system_sgpr_workgroup_id_x 1
		.amdhsa_system_sgpr_workgroup_id_y 1
		.amdhsa_system_sgpr_workgroup_id_z 0
		.amdhsa_system_sgpr_workgroup_info 0
		.amdhsa_system_vgpr_workitem_id 1
		.amdhsa_next_free_vgpr 168
		.amdhsa_next_free_sgpr 26
		.amdhsa_accum_offset 168
		.amdhsa_reserve_vcc 1
		.amdhsa_float_round_mode_32 0
		.amdhsa_float_round_mode_16_64 0
		.amdhsa_float_denorm_mode_32 3
		.amdhsa_float_denorm_mode_16_64 3
		.amdhsa_dx10_clamp 1
		.amdhsa_ieee_mode 1
		.amdhsa_fp16_overflow 0
		.amdhsa_tg_split 0
		.amdhsa_exception_fp_ieee_invalid_op 0
		.amdhsa_exception_fp_denorm_src 0
		.amdhsa_exception_fp_ieee_div_zero 0
		.amdhsa_exception_fp_ieee_overflow 0
		.amdhsa_exception_fp_ieee_underflow 0
		.amdhsa_exception_fp_ieee_inexact 0
		.amdhsa_exception_int_div_zero 0
	.end_amdhsa_kernel
	.section	.text._ZN9rocsolver6v33100L23getf2_npvt_small_kernelILi12EfiiPfEEvT1_T3_lS3_lPT2_S3_S3_,"axG",@progbits,_ZN9rocsolver6v33100L23getf2_npvt_small_kernelILi12EfiiPfEEvT1_T3_lS3_lPT2_S3_S3_,comdat
.Lfunc_end23:
	.size	_ZN9rocsolver6v33100L23getf2_npvt_small_kernelILi12EfiiPfEEvT1_T3_lS3_lPT2_S3_S3_, .Lfunc_end23-_ZN9rocsolver6v33100L23getf2_npvt_small_kernelILi12EfiiPfEEvT1_T3_lS3_lPT2_S3_S3_
                                        ; -- End function
	.set _ZN9rocsolver6v33100L23getf2_npvt_small_kernelILi12EfiiPfEEvT1_T3_lS3_lPT2_S3_S3_.num_vgpr, 168
	.set _ZN9rocsolver6v33100L23getf2_npvt_small_kernelILi12EfiiPfEEvT1_T3_lS3_lPT2_S3_S3_.num_agpr, 0
	.set _ZN9rocsolver6v33100L23getf2_npvt_small_kernelILi12EfiiPfEEvT1_T3_lS3_lPT2_S3_S3_.numbered_sgpr, 26
	.set _ZN9rocsolver6v33100L23getf2_npvt_small_kernelILi12EfiiPfEEvT1_T3_lS3_lPT2_S3_S3_.num_named_barrier, 0
	.set _ZN9rocsolver6v33100L23getf2_npvt_small_kernelILi12EfiiPfEEvT1_T3_lS3_lPT2_S3_S3_.private_seg_size, 0
	.set _ZN9rocsolver6v33100L23getf2_npvt_small_kernelILi12EfiiPfEEvT1_T3_lS3_lPT2_S3_S3_.uses_vcc, 1
	.set _ZN9rocsolver6v33100L23getf2_npvt_small_kernelILi12EfiiPfEEvT1_T3_lS3_lPT2_S3_S3_.uses_flat_scratch, 0
	.set _ZN9rocsolver6v33100L23getf2_npvt_small_kernelILi12EfiiPfEEvT1_T3_lS3_lPT2_S3_S3_.has_dyn_sized_stack, 0
	.set _ZN9rocsolver6v33100L23getf2_npvt_small_kernelILi12EfiiPfEEvT1_T3_lS3_lPT2_S3_S3_.has_recursion, 0
	.set _ZN9rocsolver6v33100L23getf2_npvt_small_kernelILi12EfiiPfEEvT1_T3_lS3_lPT2_S3_S3_.has_indirect_call, 0
	.section	.AMDGPU.csdata,"",@progbits
; Kernel info:
; codeLenInByte = 5952
; TotalNumSgprs: 32
; NumVgprs: 168
; NumAgprs: 0
; TotalNumVgprs: 168
; ScratchSize: 0
; MemoryBound: 0
; FloatMode: 240
; IeeeMode: 1
; LDSByteSize: 0 bytes/workgroup (compile time only)
; SGPRBlocks: 3
; VGPRBlocks: 20
; NumSGPRsForWavesPerEU: 32
; NumVGPRsForWavesPerEU: 168
; AccumOffset: 168
; Occupancy: 3
; WaveLimiterHint : 0
; COMPUTE_PGM_RSRC2:SCRATCH_EN: 0
; COMPUTE_PGM_RSRC2:USER_SGPR: 2
; COMPUTE_PGM_RSRC2:TRAP_HANDLER: 0
; COMPUTE_PGM_RSRC2:TGID_X_EN: 1
; COMPUTE_PGM_RSRC2:TGID_Y_EN: 1
; COMPUTE_PGM_RSRC2:TGID_Z_EN: 0
; COMPUTE_PGM_RSRC2:TIDIG_COMP_CNT: 1
; COMPUTE_PGM_RSRC3_GFX90A:ACCUM_OFFSET: 41
; COMPUTE_PGM_RSRC3_GFX90A:TG_SPLIT: 0
	.section	.text._ZN9rocsolver6v33100L18getf2_small_kernelILi13EfiiPfEEvT1_T3_lS3_lPS3_llPT2_S3_S3_S5_l,"axG",@progbits,_ZN9rocsolver6v33100L18getf2_small_kernelILi13EfiiPfEEvT1_T3_lS3_lPS3_llPT2_S3_S3_S5_l,comdat
	.globl	_ZN9rocsolver6v33100L18getf2_small_kernelILi13EfiiPfEEvT1_T3_lS3_lPS3_llPT2_S3_S3_S5_l ; -- Begin function _ZN9rocsolver6v33100L18getf2_small_kernelILi13EfiiPfEEvT1_T3_lS3_lPS3_llPT2_S3_S3_S5_l
	.p2align	8
	.type	_ZN9rocsolver6v33100L18getf2_small_kernelILi13EfiiPfEEvT1_T3_lS3_lPS3_llPT2_S3_S3_S5_l,@function
_ZN9rocsolver6v33100L18getf2_small_kernelILi13EfiiPfEEvT1_T3_lS3_lPS3_llPT2_S3_S3_S5_l: ; @_ZN9rocsolver6v33100L18getf2_small_kernelILi13EfiiPfEEvT1_T3_lS3_lPS3_llPT2_S3_S3_S5_l
; %bb.0:
	s_load_dword s2, s[0:1], 0x6c
	s_load_dwordx2 s[14:15], s[0:1], 0x48
	v_bfe_u32 v4, v0, 10, 10
	s_waitcnt lgkmcnt(0)
	s_lshr_b32 s2, s2, 16
	s_mul_i32 s3, s3, s2
	v_add_u32_e32 v214, s3, v4
	v_cmp_gt_i32_e32 vcc, s14, v214
	s_and_saveexec_b64 s[2:3], vcc
	s_cbranch_execz .LBB24_220
; %bb.1:
	s_load_dwordx4 s[4:7], s[0:1], 0x50
	v_ashrrev_i32_e32 v215, 31, v214
	v_mov_b64_e32 v[216:217], 0
	s_waitcnt lgkmcnt(0)
	s_cmp_eq_u64 s[4:5], 0
	s_cselect_b64 s[16:17], -1, 0
	s_and_b64 vcc, exec, s[16:17]
	s_cbranch_vccnz .LBB24_3
; %bb.2:
	v_mul_lo_u32 v1, s7, v214
	v_mul_lo_u32 v5, s6, v215
	v_mad_u64_u32 v[2:3], s[2:3], s6, v214, 0
	v_add3_u32 v3, v3, v5, v1
	v_lshl_add_u64 v[216:217], v[2:3], 2, s[4:5]
.LBB24_3:
	s_load_dwordx4 s[24:27], s[0:1], 0x8
	s_load_dwordx8 s[4:11], s[0:1], 0x20
	s_load_dword s12, s[0:1], 0x18
	s_load_dword s22, s[0:1], 0x0
	s_waitcnt lgkmcnt(0)
	v_mov_b32_e32 v2, s24
	v_mul_lo_u32 v1, s5, v214
	v_mul_lo_u32 v5, s4, v215
	v_mad_u64_u32 v[6:7], s[2:3], s4, v214, 0
	v_mov_b32_e32 v3, s25
	v_add3_u32 v7, v7, v5, v1
	v_lshl_add_u64 v[2:3], v[6:7], 2, v[2:3]
	v_and_b32_e32 v1, 0x3ff, v0
	v_lshl_add_u64 v[212:213], s[26:27], 2, v[2:3]
	v_lshlrev_b32_e32 v2, 2, v1
	v_mov_b32_e32 v3, 0
	v_lshl_add_u64 v[6:7], v[212:213], 0, v[2:3]
	global_load_dword v0, v[6:7], off
	s_max_i32 s2, s22, 13
	s_add_i32 s14, s12, s12
	v_mul_lo_u32 v28, s2, v4
	v_add_u32_e32 v4, s14, v1
	v_add_u32_e32 v8, s12, v4
	;; [unrolled: 1-line block ×10, first 2 shown]
	v_ashrrev_i32_e32 v25, 31, v24
	v_add_u32_e32 v26, s12, v24
	s_ashr_i32 s13, s12, 31
	v_ashrrev_i32_e32 v5, 31, v4
	v_ashrrev_i32_e32 v9, 31, v8
	v_ashrrev_i32_e32 v11, 31, v10
	v_ashrrev_i32_e32 v13, 31, v12
	v_ashrrev_i32_e32 v15, 31, v14
	v_ashrrev_i32_e32 v17, 31, v16
	v_lshl_add_u64 v[24:25], v[24:25], 2, v[212:213]
	v_ashrrev_i32_e32 v27, 31, v26
	v_lshl_add_u64 v[4:5], v[4:5], 2, v[212:213]
	v_lshl_add_u64 v[8:9], v[8:9], 2, v[212:213]
	;; [unrolled: 1-line block ×8, first 2 shown]
	global_load_dword v218, v[24:25], off
	global_load_dword v219, v[26:27], off
	;; [unrolled: 1-line block ×9, first 2 shown]
	v_lshl_add_u32 v220, v28, 2, 0
	v_add_u32_e32 v2, v220, v2
	v_ashrrev_i32_e32 v19, 31, v18
	v_lshl_add_u64 v[4:5], v[18:19], 2, v[212:213]
	v_ashrrev_i32_e32 v21, 31, v20
	v_ashrrev_i32_e32 v23, 31, v22
	v_lshl_add_u64 v[6:7], v[20:21], 2, v[212:213]
	v_lshl_add_u64 v[8:9], v[22:23], 2, v[212:213]
	s_load_dwordx2 s[4:5], s[0:1], 0x40
	s_cmp_lt_i32 s22, 2
	v_lshlrev_b32_e32 v221, 2, v28
	s_waitcnt vmcnt(9)
	ds_write_b32 v2, v0
	global_load_dword v74, v[4:5], off
	global_load_dword v65, v[6:7], off
	;; [unrolled: 1-line block ×3, first 2 shown]
	s_waitcnt lgkmcnt(0)
	s_barrier
	ds_read_b32 v2, v220
	s_cbranch_scc1 .LBB24_6
; %bb.4:
	v_add3_u32 v4, v221, 0, 4
	v_mov_b32_e32 v3, 0
	s_mov_b32 s0, 1
.LBB24_5:                               ; =>This Inner Loop Header: Depth=1
	ds_read_b32 v5, v4
	v_mov_b32_e32 v6, s0
	s_add_i32 s0, s0, 1
	v_add_u32_e32 v4, 4, v4
	s_cmp_eq_u32 s22, s0
	s_waitcnt lgkmcnt(0)
	v_cmp_lt_f32_e64 vcc, |v2|, |v5|
	s_nop 1
	v_cndmask_b32_e32 v2, v2, v5, vcc
	v_cndmask_b32_e32 v3, v3, v6, vcc
	s_cbranch_scc0 .LBB24_5
.LBB24_6:
	v_cmp_ne_u32_e32 vcc, v1, v3
                                        ; implicit-def: $vgpr223
	s_and_saveexec_b64 s[0:1], vcc
	s_xor_b64 s[0:1], exec, s[0:1]
	s_cbranch_execz .LBB24_12
; %bb.7:
	v_cmp_eq_u32_e32 vcc, 0, v1
	s_and_saveexec_b64 s[2:3], vcc
	s_cbranch_execz .LBB24_11
; %bb.8:
	v_cmp_ne_u32_e32 vcc, 0, v3
	s_xor_b64 s[18:19], s[16:17], -1
	s_and_b64 s[20:21], s[18:19], vcc
	s_and_saveexec_b64 s[18:19], s[20:21]
	s_cbranch_execz .LBB24_10
; %bb.9:
	v_ashrrev_i32_e32 v5, 31, v3
	v_mov_b32_e32 v4, v3
	v_lshl_add_u64 v[4:5], v[4:5], 2, v[216:217]
	global_load_dword v1, v[4:5], off
	global_load_dword v6, v[216:217], off
	s_waitcnt vmcnt(1)
	global_store_dword v[216:217], v1, off
	s_waitcnt vmcnt(1)
	global_store_dword v[4:5], v6, off
.LBB24_10:
	s_or_b64 exec, exec, s[18:19]
	v_mov_b32_e32 v1, v3
.LBB24_11:
	s_or_b64 exec, exec, s[2:3]
	v_mov_b32_e32 v223, v1
                                        ; implicit-def: $vgpr1
.LBB24_12:
	s_or_saveexec_b64 s[0:1], s[0:1]
	v_mov_b32_e32 v222, v223
	s_xor_b64 exec, exec, s[0:1]
	s_cbranch_execz .LBB24_14
; %bb.13:
	v_mov_b32_e32 v222, v1
	v_mov_b32_e32 v223, 0
	s_waitcnt vmcnt(8)
	ds_write2_b32 v220, v159, v194 offset0:1 offset1:2
	s_waitcnt vmcnt(6)
	ds_write2_b32 v220, v175, v140 offset0:3 offset1:4
	s_waitcnt vmcnt(4)
	ds_write2_b32 v220, v135, v116 offset0:5 offset1:6
	s_waitcnt vmcnt(2)
	ds_write2_b32 v220, v109, v74 offset0:7 offset1:8
	s_waitcnt vmcnt(0)
	ds_write2_b32 v220, v65, v30 offset0:9 offset1:10
	ds_write2_b32 v220, v218, v219 offset0:11 offset1:12
.LBB24_14:
	s_or_b64 exec, exec, s[0:1]
	s_waitcnt lgkmcnt(0)
	v_cmp_eq_f32_e64 s[0:1], 0, v2
	v_cmp_gt_i32_e32 vcc, 1, v223
	s_barrier
	s_and_saveexec_b64 s[2:3], vcc
	s_xor_b64 s[2:3], exec, s[2:3]
; %bb.15:
                                        ; implicit-def: $vgpr2
; %bb.16:
	s_andn2_saveexec_b64 s[2:3], s[2:3]
	s_cbranch_execz .LBB24_18
; %bb.17:
	v_div_scale_f32 v1, s[18:19], v2, v2, 1.0
	v_rcp_f32_e32 v3, v1
	s_waitcnt vmcnt(9)
	v_mov_b32_e32 v4, v159
	s_waitcnt vmcnt(8)
	v_mov_b32_e32 v5, v194
	;; [unrolled: 2-line block ×3, first 2 shown]
	v_fma_f32 v12, -v1, v3, 1.0
	v_fmac_f32_e32 v3, v12, v3
	v_div_scale_f32 v12, vcc, 1.0, v2, 1.0
	v_mul_f32_e32 v13, v12, v3
	v_fma_f32 v14, -v1, v13, v12
	v_fmac_f32_e32 v13, v14, v3
	v_fma_f32 v1, -v1, v13, v12
	v_div_fmas_f32 v1, v1, v3, v13
	ds_read2_b32 v[12:13], v220 offset0:1 offset1:2
	ds_read2_b32 v[14:15], v220 offset0:3 offset1:4
	v_div_fixup_f32 v1, v1, v2, 1.0
	v_cndmask_b32_e64 v1, v1, v2, s[0:1]
	s_waitcnt vmcnt(6)
	v_mov_b32_e32 v7, v140
	v_mul_f32_e32 v0, v0, v1
	ds_read2_b32 v[16:17], v220 offset0:5 offset1:6
	ds_read2_b32 v[18:19], v220 offset0:7 offset1:8
	s_waitcnt lgkmcnt(3)
	v_pk_fma_f32 v[4:5], v[0:1], v[12:13], v[4:5] op_sel_hi:[0,1,1] neg_lo:[1,0,0] neg_hi:[1,0,0]
	s_waitcnt lgkmcnt(2)
	v_pk_fma_f32 v[6:7], v[0:1], v[14:15], v[6:7] op_sel_hi:[0,1,1] neg_lo:[1,0,0] neg_hi:[1,0,0]
	ds_read2_b32 v[12:13], v220 offset0:9 offset1:10
	ds_read2_b32 v[14:15], v220 offset0:11 offset1:12
	s_waitcnt vmcnt(5)
	v_mov_b32_e32 v8, v135
	s_waitcnt vmcnt(4)
	v_mov_b32_e32 v9, v116
	;; [unrolled: 2-line block ×6, first 2 shown]
	s_waitcnt lgkmcnt(3)
	v_pk_fma_f32 v[8:9], v[0:1], v[16:17], v[8:9] op_sel_hi:[0,1,1] neg_lo:[1,0,0] neg_hi:[1,0,0]
	s_waitcnt lgkmcnt(2)
	v_pk_fma_f32 v[10:11], v[0:1], v[18:19], v[10:11] op_sel_hi:[0,1,1] neg_lo:[1,0,0] neg_hi:[1,0,0]
	;; [unrolled: 2-line block ×4, first 2 shown]
	v_mov_b32_e32 v159, v4
	v_mov_b32_e32 v194, v5
	;; [unrolled: 1-line block ×10, first 2 shown]
.LBB24_18:
	s_or_b64 exec, exec, s[2:3]
	v_lshl_add_u32 v1, v223, 2, v220
	s_barrier
	s_waitcnt vmcnt(9)
	ds_write_b32 v1, v159
	s_waitcnt lgkmcnt(0)
	s_barrier
	ds_read_b32 v13, v220 offset:4
	s_mov_b32 s2, 2
	s_cmp_lt_i32 s22, 3
	v_mov_b32_e32 v2, 1
	s_cbranch_scc1 .LBB24_21
; %bb.19:
	v_add3_u32 v1, v221, 0, 8
	v_mov_b32_e32 v2, 1
.LBB24_20:                              ; =>This Inner Loop Header: Depth=1
	ds_read_b32 v3, v1
	v_mov_b32_e32 v4, s2
	s_add_i32 s2, s2, 1
	v_add_u32_e32 v1, 4, v1
	s_cmp_lg_u32 s22, s2
	s_waitcnt lgkmcnt(0)
	v_cmp_lt_f32_e64 vcc, |v13|, |v3|
	s_nop 1
	v_cndmask_b32_e32 v13, v13, v3, vcc
	v_cndmask_b32_e32 v2, v2, v4, vcc
	s_cbranch_scc1 .LBB24_20
.LBB24_21:
	v_cmp_ne_u32_e32 vcc, v223, v2
	s_and_saveexec_b64 s[2:3], vcc
	s_xor_b64 s[2:3], exec, s[2:3]
	s_cbranch_execz .LBB24_27
; %bb.22:
	v_cmp_eq_u32_e32 vcc, 1, v223
	s_and_saveexec_b64 s[18:19], vcc
	s_cbranch_execz .LBB24_26
; %bb.23:
	v_cmp_ne_u32_e32 vcc, 1, v2
	s_xor_b64 s[20:21], s[16:17], -1
	s_and_b64 s[24:25], s[20:21], vcc
	s_and_saveexec_b64 s[20:21], s[24:25]
	s_cbranch_execz .LBB24_25
; %bb.24:
	v_ashrrev_i32_e32 v3, 31, v2
	v_lshl_add_u64 v[4:5], v[2:3], 2, v[216:217]
	global_load_dword v1, v[4:5], off
	global_load_dword v3, v[216:217], off offset:4
	s_waitcnt vmcnt(1)
	global_store_dword v[216:217], v1, off offset:4
	s_waitcnt vmcnt(1)
	global_store_dword v[4:5], v3, off
.LBB24_25:
	s_or_b64 exec, exec, s[20:21]
	v_mov_b32_e32 v222, v2
	v_mov_b32_e32 v223, v2
.LBB24_26:
	s_or_b64 exec, exec, s[18:19]
.LBB24_27:
	s_or_saveexec_b64 s[2:3], s[2:3]
	v_mov_b32_e32 v1, v159
	s_waitcnt vmcnt(8)
	v_mov_b32_e32 v2, v194
	s_waitcnt vmcnt(7)
	;; [unrolled: 2-line block ×9, first 2 shown]
	v_mov_b32_e32 v10, v30
	v_mov_b32_e32 v11, v218
	;; [unrolled: 1-line block ×3, first 2 shown]
	s_xor_b64 exec, exec, s[2:3]
	s_cbranch_execz .LBB24_29
; %bb.28:
	v_mov_b32_e32 v223, 1
	ds_write2_b32 v220, v194, v175 offset0:2 offset1:3
	ds_write2_b32 v220, v140, v135 offset0:4 offset1:5
	;; [unrolled: 1-line block ×5, first 2 shown]
	ds_write_b32 v220, v219 offset:48
.LBB24_29:
	s_or_b64 exec, exec, s[2:3]
	v_mov_b32_e32 v20, v0
	v_mov_b32_e32 v21, v159
	;; [unrolled: 1-line block ×12, first 2 shown]
	v_mov_b64_e32 v[14:15], v[20:21]
	v_mov_b32_e32 v102, v0
	v_mov_b32_e32 v103, v159
	;; [unrolled: 1-line block ×8, first 2 shown]
	v_mov_b64_e32 v[16:17], v[22:23]
	v_mov_b64_e32 v[18:19], v[24:25]
	;; [unrolled: 1-line block ×8, first 2 shown]
	v_mov_b32_e32 v110, v0
	v_mov_b32_e32 v111, v159
	;; [unrolled: 1-line block ×11, first 2 shown]
	v_mov_b64_e32 v[34:35], v[68:69]
	v_mov_b64_e32 v[36:37], v[70:71]
	;; [unrolled: 1-line block ×8, first 2 shown]
	v_mov_b32_e32 v130, v0
	v_mov_b32_e32 v131, v159
	;; [unrolled: 1-line block ×4, first 2 shown]
	v_mov_b64_e32 v[78:79], v[104:105]
	v_mov_b64_e32 v[80:81], v[106:107]
	;; [unrolled: 1-line block ×8, first 2 shown]
	v_mov_b32_e32 v136, v0
	v_mov_b32_e32 v137, v159
	;; [unrolled: 1-line block ×13, first 2 shown]
	v_mov_b64_e32 v[94:95], v[112:113]
	v_mov_b64_e32 v[96:97], v[114:115]
	;; [unrolled: 1-line block ×8, first 2 shown]
	v_mov_b32_e32 v192, v0
	v_mov_b32_e32 v193, v159
	;; [unrolled: 1-line block ×6, first 2 shown]
	v_mov_b64_e32 v[48:49], v[56:57]
	v_mov_b64_e32 v[120:121], v[132:133]
	;; [unrolled: 1-line block ×11, first 2 shown]
	v_mov_b32_e32 v158, v0
	s_waitcnt lgkmcnt(0)
	v_cmp_neq_f32_e64 s[2:3], 0, v13
	v_cmp_lt_i32_e32 vcc, 1, v223
	v_mov_b64_e32 v[50:51], v[58:59]
	v_mov_b64_e32 v[52:53], v[60:61]
	;; [unrolled: 1-line block ×25, first 2 shown]
	s_barrier
	v_mov_b64_e32 v[58:59], v[66:67]
	v_mov_b64_e32 v[60:61], v[68:69]
	;; [unrolled: 1-line block ×3, first 2 shown]
	s_and_saveexec_b64 s[18:19], vcc
	s_cbranch_execz .LBB24_31
; %bb.30:
	v_div_scale_f32 v1, s[20:21], v13, v13, 1.0
	v_rcp_f32_e32 v2, v1
	v_mov_b32_e32 v195, v175
	v_mov_b32_e32 v31, v218
	;; [unrolled: 1-line block ×3, first 2 shown]
	v_fma_f32 v3, -v1, v2, 1.0
	v_fmac_f32_e32 v2, v3, v2
	v_div_scale_f32 v3, vcc, 1.0, v13, 1.0
	v_mul_f32_e32 v4, v3, v2
	v_fma_f32 v5, -v1, v4, v3
	v_fmac_f32_e32 v4, v5, v2
	v_fma_f32 v1, -v1, v4, v3
	v_div_fmas_f32 v1, v1, v2, v4
	v_div_fixup_f32 v1, v1, v13, 1.0
	v_cndmask_b32_e64 v1, v13, v1, s[2:3]
	ds_read2_b32 v[2:3], v220 offset0:2 offset1:3
	ds_read2_b32 v[4:5], v220 offset0:4 offset1:5
	;; [unrolled: 1-line block ×4, first 2 shown]
	v_mul_f32_e32 v12, v159, v1
	s_waitcnt lgkmcnt(3)
	v_pk_fma_f32 v[194:195], v[12:13], v[2:3], v[194:195] op_sel_hi:[0,1,1] neg_lo:[1,0,0] neg_hi:[1,0,0]
	ds_read2_b32 v[2:3], v220 offset0:10 offset1:11
	ds_read_b32 v1, v220 offset:48
	s_waitcnt lgkmcnt(4)
	v_pk_fma_f32 v[140:141], v[12:13], v[4:5], v[140:141] op_sel_hi:[0,1,1] neg_lo:[1,0,0] neg_hi:[1,0,0]
	v_mov_b32_e32 v117, v109
	s_waitcnt lgkmcnt(3)
	v_pk_fma_f32 v[116:117], v[12:13], v[6:7], v[116:117] op_sel_hi:[0,1,1] neg_lo:[1,0,0] neg_hi:[1,0,0]
	s_waitcnt lgkmcnt(1)
	v_pk_fma_f32 v[30:31], v[12:13], v[2:3], v[30:31] op_sel_hi:[0,1,1] neg_lo:[1,0,0] neg_hi:[1,0,0]
	s_waitcnt lgkmcnt(0)
	v_fma_f32 v219, -v12, v1, v219
	v_mov_b32_e32 v1, v12
	v_mov_b64_e32 v[172:173], v[14:15]
	v_mov_b64_e32 v[170:171], v[12:13]
	v_mov_b64_e32 v[168:169], v[10:11]
	v_mov_b64_e32 v[166:167], v[8:9]
	v_mov_b64_e32 v[164:165], v[6:7]
	v_mov_b64_e32 v[162:163], v[4:5]
	v_mov_b64_e32 v[160:161], v[2:3]
	v_mov_b64_e32 v[158:159], v[0:1]
	v_mov_b32_e32 v2, v194
	v_mov_b64_e32 v[210:211], v[14:15]
	v_mov_b64_e32 v[208:209], v[12:13]
	v_mov_b64_e32 v[206:207], v[10:11]
	v_mov_b64_e32 v[204:205], v[8:9]
	v_mov_b64_e32 v[202:203], v[6:7]
	v_mov_b64_e32 v[200:201], v[4:5]
	v_mov_b64_e32 v[198:199], v[2:3]
	v_mov_b64_e32 v[196:197], v[0:1]
	;; [unrolled: 9-line block ×4, first 2 shown]
	v_mov_b32_e32 v5, v141
	v_mov_b64_e32 v[132:133], v[14:15]
	v_mov_b32_e32 v75, v65
	v_mov_b64_e32 v[130:131], v[12:13]
	v_mov_b64_e32 v[128:129], v[10:11]
	v_mov_b64_e32 v[126:127], v[8:9]
	v_mov_b64_e32 v[124:125], v[6:7]
	v_mov_b64_e32 v[122:123], v[4:5]
	v_mov_b64_e32 v[120:121], v[2:3]
	v_mov_b64_e32 v[118:119], v[0:1]
	v_mov_b32_e32 v6, v116
	v_mov_b64_e32 v[106:107], v[14:15]
	v_pk_fma_f32 v[74:75], v[12:13], v[8:9], v[74:75] op_sel_hi:[0,1,1] neg_lo:[1,0,0] neg_hi:[1,0,0]
	v_mov_b64_e32 v[104:105], v[12:13]
	v_mov_b64_e32 v[102:103], v[10:11]
	v_mov_b64_e32 v[100:101], v[8:9]
	v_mov_b64_e32 v[98:99], v[6:7]
	v_mov_b64_e32 v[96:97], v[4:5]
	v_mov_b64_e32 v[94:95], v[2:3]
	v_mov_b64_e32 v[92:93], v[0:1]
	v_mov_b32_e32 v7, v117
	v_mov_b64_e32 v[90:91], v[14:15]
	v_mov_b64_e32 v[88:89], v[12:13]
	v_mov_b64_e32 v[86:87], v[10:11]
	v_mov_b64_e32 v[84:85], v[8:9]
	v_mov_b64_e32 v[82:83], v[6:7]
	v_mov_b64_e32 v[80:81], v[4:5]
	v_mov_b64_e32 v[78:79], v[2:3]
	v_mov_b64_e32 v[76:77], v[0:1]
	v_mov_b32_e32 v8, v74
	v_mov_b64_e32 v[46:47], v[14:15]
	;; [unrolled: 9-line block ×4, first 2 shown]
	v_mov_b64_e32 v[26:27], v[12:13]
	v_mov_b64_e32 v[24:25], v[10:11]
	;; [unrolled: 1-line block ×7, first 2 shown]
	v_mov_b32_e32 v11, v31
	v_mov_b32_e32 v12, v219
	;; [unrolled: 1-line block ×7, first 2 shown]
.LBB24_31:
	s_or_b64 exec, exec, s[18:19]
	v_lshl_add_u32 v13, v223, 2, v220
	s_barrier
	ds_write_b32 v13, v194
	s_waitcnt lgkmcnt(0)
	s_barrier
	ds_read_b32 v13, v220 offset:8
	s_cmp_lt_i32 s22, 4
	v_mov_b32_e32 v26, 2
	s_cbranch_scc1 .LBB24_34
; %bb.32:
	v_mov_b32_e32 v26, 2
	v_add3_u32 v25, v221, 0, 12
	s_mov_b32 s18, 3
.LBB24_33:                              ; =>This Inner Loop Header: Depth=1
	ds_read_b32 v27, v25
	v_mov_b32_e32 v28, s18
	s_add_i32 s18, s18, 1
	v_add_u32_e32 v25, 4, v25
	s_cmp_lg_u32 s22, s18
	s_waitcnt lgkmcnt(0)
	v_cmp_lt_f32_e64 vcc, |v13|, |v27|
	s_nop 1
	v_cndmask_b32_e32 v13, v13, v27, vcc
	v_cndmask_b32_e32 v26, v26, v28, vcc
	s_cbranch_scc1 .LBB24_33
.LBB24_34:
	v_cndmask_b32_e64 v25, 2, 1, s[0:1]
	v_cndmask_b32_e64 v27, 0, 1, s[0:1]
	v_cndmask_b32_e64 v31, v25, v27, s[2:3]
	s_waitcnt lgkmcnt(0)
	v_cmp_eq_f32_e32 vcc, 0, v13
	s_and_saveexec_b64 s[0:1], vcc
	s_xor_b64 s[0:1], exec, s[0:1]
; %bb.35:
	v_cmp_ne_u32_e32 vcc, 0, v31
	s_nop 1
	v_cndmask_b32_e32 v31, 3, v31, vcc
; %bb.36:
	s_andn2_saveexec_b64 s[0:1], s[0:1]
	s_cbranch_execz .LBB24_38
; %bb.37:
	v_div_scale_f32 v25, s[2:3], v13, v13, 1.0
	v_rcp_f32_e32 v27, v25
	v_div_scale_f32 v28, vcc, 1.0, v13, 1.0
	v_fma_f32 v29, -v25, v27, 1.0
	v_fmac_f32_e32 v27, v29, v27
	v_mul_f32_e32 v29, v28, v27
	v_fma_f32 v41, -v25, v29, v28
	v_fmac_f32_e32 v29, v41, v27
	v_fma_f32 v25, -v25, v29, v28
	v_div_fmas_f32 v25, v25, v27, v29
	v_div_fixup_f32 v13, v25, v13, 1.0
.LBB24_38:
	s_or_b64 exec, exec, s[0:1]
	v_cmp_ne_u32_e32 vcc, v223, v26
	s_and_saveexec_b64 s[0:1], vcc
	s_xor_b64 s[0:1], exec, s[0:1]
	s_cbranch_execz .LBB24_44
; %bb.39:
	v_cmp_eq_u32_e32 vcc, 2, v223
	s_and_saveexec_b64 s[2:3], vcc
	s_cbranch_execz .LBB24_43
; %bb.40:
	v_cmp_ne_u32_e32 vcc, 2, v26
	s_xor_b64 s[18:19], s[16:17], -1
	s_and_b64 s[20:21], s[18:19], vcc
	s_and_saveexec_b64 s[18:19], s[20:21]
	s_cbranch_execz .LBB24_42
; %bb.41:
	v_ashrrev_i32_e32 v27, 31, v26
	v_lshl_add_u64 v[28:29], v[26:27], 2, v[216:217]
	global_load_dword v25, v[28:29], off
	global_load_dword v27, v[216:217], off offset:8
	s_waitcnt vmcnt(1)
	global_store_dword v[216:217], v25, off offset:8
	s_waitcnt vmcnt(1)
	global_store_dword v[28:29], v27, off
.LBB24_42:
	s_or_b64 exec, exec, s[18:19]
	v_mov_b32_e32 v222, v26
	v_mov_b32_e32 v223, v26
.LBB24_43:
	s_or_b64 exec, exec, s[2:3]
.LBB24_44:
	s_andn2_saveexec_b64 s[0:1], s[0:1]
	s_cbranch_execz .LBB24_46
; %bb.45:
	v_mov_b32_e32 v223, 2
	ds_write2_b32 v220, v3, v4 offset0:3 offset1:4
	ds_write2_b32 v220, v5, v6 offset0:5 offset1:6
	;; [unrolled: 1-line block ×5, first 2 shown]
.LBB24_46:
	s_or_b64 exec, exec, s[0:1]
	v_cmp_lt_i32_e32 vcc, 2, v223
	s_waitcnt lgkmcnt(0)
	s_barrier
	s_and_saveexec_b64 s[0:1], vcc
	s_cbranch_execz .LBB24_48
; %bb.47:
	ds_read2_b32 v[0:1], v220 offset0:3 offset1:4
	v_mul_f32_e32 v160, v194, v13
	v_mov_b32_e32 v2, v3
	v_mov_b32_e32 v3, v4
	ds_read2_b32 v[14:15], v220 offset0:5 offset1:6
	ds_read2_b32 v[16:17], v220 offset0:7 offset1:8
	ds_read2_b32 v[18:19], v220 offset0:9 offset1:10
	s_waitcnt lgkmcnt(3)
	v_pk_fma_f32 v[26:27], v[160:161], v[0:1], v[2:3] op_sel_hi:[0,1,1] neg_lo:[1,0,0] neg_hi:[1,0,0]
	ds_read2_b32 v[2:3], v220 offset0:11 offset1:12
	v_mov_b32_e32 v0, v5
	v_mov_b32_e32 v1, v6
	s_waitcnt lgkmcnt(3)
	v_pk_fma_f32 v[28:29], v[160:161], v[14:15], v[0:1] op_sel_hi:[0,1,1] neg_lo:[1,0,0] neg_hi:[1,0,0]
	v_mov_b32_e32 v0, v7
	v_mov_b32_e32 v1, v8
	s_waitcnt lgkmcnt(2)
	v_pk_fma_f32 v[42:43], v[160:161], v[16:17], v[0:1] op_sel_hi:[0,1,1] neg_lo:[1,0,0] neg_hi:[1,0,0]
	;; [unrolled: 4-line block ×4, first 2 shown]
	v_mov_b32_e32 v161, v26
	v_mov_b64_e32 v[190:191], v[172:173]
	v_mov_b64_e32 v[210:211], v[172:173]
	v_mov_b32_e32 v142, v158
	v_mov_b32_e32 v143, v159
	v_mov_b32_e32 v144, v160
	v_mov_b32_e32 v145, v26
	v_mov_b32_e32 v146, v27
	v_mov_b32_e32 v118, v158
	v_mov_b32_e32 v119, v159
	v_mov_b32_e32 v120, v160
	v_mov_b32_e32 v121, v26
	v_mov_b32_e32 v122, v27
	v_mov_b32_e32 v123, v28
	v_mov_b32_e32 v92, v158
	v_mov_b32_e32 v93, v159
	v_mov_b32_e32 v94, v160
	v_mov_b32_e32 v95, v26
	v_mov_b32_e32 v96, v27
	v_mov_b32_e32 v97, v28
	v_mov_b32_e32 v98, v29
	v_mov_b32_e32 v76, v158
	v_mov_b32_e32 v77, v159
	v_mov_b32_e32 v78, v160
	v_mov_b32_e32 v79, v26
	v_mov_b32_e32 v80, v27
	v_mov_b32_e32 v81, v28
	v_mov_b32_e32 v82, v29
	v_mov_b32_e32 v83, v42
	v_mov_b32_e32 v32, v158
	v_mov_b32_e32 v33, v159
	v_mov_b32_e32 v34, v160
	v_mov_b32_e32 v35, v26
	v_mov_b32_e32 v36, v27
	v_mov_b32_e32 v37, v28
	v_mov_b32_e32 v38, v29
	v_mov_b32_e32 v39, v42
	v_mov_b32_e32 v40, v43
	v_mov_b32_e32 v48, v158
	v_mov_b32_e32 v49, v159
	v_mov_b32_e32 v50, v160
	v_mov_b32_e32 v51, v26
	v_mov_b32_e32 v52, v27
	v_mov_b32_e32 v53, v28
	v_mov_b32_e32 v54, v29
	v_mov_b32_e32 v55, v42
	v_mov_b32_e32 v56, v43
	v_mov_b32_e32 v57, v44
	v_mov_b32_e32 v14, v158
	v_mov_b32_e32 v15, v159
	v_mov_b32_e32 v16, v160
	v_mov_b32_e32 v17, v26
	v_mov_b32_e32 v18, v27
	v_mov_b32_e32 v19, v28
	v_mov_b32_e32 v20, v29
	v_mov_b32_e32 v21, v42
	v_mov_b32_e32 v22, v43
	v_mov_b32_e32 v23, v44
	v_mov_b32_e32 v24, v45
	v_mov_b32_e32 v0, v158
	v_mov_b32_e32 v1, v159
	v_mov_b32_e32 v2, v160
	v_mov_b32_e32 v3, v26
	v_mov_b32_e32 v4, v27
	v_mov_b32_e32 v5, v28
	v_mov_b32_e32 v6, v29
	v_mov_b32_e32 v7, v42
	v_mov_b32_e32 v8, v43
	v_mov_b32_e32 v9, v44
	v_mov_b32_e32 v10, v45
	v_mov_b32_e32 v11, v218
	v_mov_b32_e32 v12, v219
	v_mov_b64_e32 v[178:179], v[160:161]
	v_mov_b64_e32 v[176:177], v[158:159]
	v_mov_b64_e32 v[198:199], v[160:161]
	v_mov_b64_e32 v[196:197], v[158:159]
	v_mov_b32_e32 v175, v26
	v_mov_b32_e32 v140, v27
	;; [unrolled: 1-line block ×8, first 2 shown]
	v_mov_b64_e32 v[188:189], v[170:171]
	v_mov_b64_e32 v[186:187], v[168:169]
	;; [unrolled: 1-line block ×10, first 2 shown]
.LBB24_48:
	s_or_b64 exec, exec, s[0:1]
	v_lshl_add_u32 v13, v223, 2, v220
	s_barrier
	ds_write_b32 v13, v175
	s_waitcnt lgkmcnt(0)
	s_barrier
	ds_read_b32 v13, v220 offset:12
	s_cmp_lt_i32 s22, 5
	v_mov_b32_e32 v26, 3
	s_cbranch_scc1 .LBB24_51
; %bb.49:
	v_add3_u32 v25, v221, 0, 16
	v_mov_b32_e32 v26, 3
	s_mov_b32 s0, 4
.LBB24_50:                              ; =>This Inner Loop Header: Depth=1
	ds_read_b32 v27, v25
	v_mov_b32_e32 v28, s0
	s_add_i32 s0, s0, 1
	v_add_u32_e32 v25, 4, v25
	s_cmp_lg_u32 s22, s0
	s_waitcnt lgkmcnt(0)
	v_cmp_lt_f32_e64 vcc, |v13|, |v27|
	s_nop 1
	v_cndmask_b32_e32 v13, v13, v27, vcc
	v_cndmask_b32_e32 v26, v26, v28, vcc
	s_cbranch_scc1 .LBB24_50
.LBB24_51:
	s_waitcnt lgkmcnt(0)
	v_cmp_eq_f32_e32 vcc, 0, v13
	s_and_saveexec_b64 s[0:1], vcc
	s_xor_b64 s[0:1], exec, s[0:1]
; %bb.52:
	v_cmp_ne_u32_e32 vcc, 0, v31
	s_nop 1
	v_cndmask_b32_e32 v31, 4, v31, vcc
; %bb.53:
	s_andn2_saveexec_b64 s[0:1], s[0:1]
	s_cbranch_execz .LBB24_55
; %bb.54:
	v_div_scale_f32 v25, s[2:3], v13, v13, 1.0
	v_rcp_f32_e32 v27, v25
	v_div_scale_f32 v28, vcc, 1.0, v13, 1.0
	v_fma_f32 v29, -v25, v27, 1.0
	v_fmac_f32_e32 v27, v29, v27
	v_mul_f32_e32 v29, v28, v27
	v_fma_f32 v41, -v25, v29, v28
	v_fmac_f32_e32 v29, v41, v27
	v_fma_f32 v25, -v25, v29, v28
	v_div_fmas_f32 v25, v25, v27, v29
	v_div_fixup_f32 v13, v25, v13, 1.0
.LBB24_55:
	s_or_b64 exec, exec, s[0:1]
	v_cmp_ne_u32_e32 vcc, v223, v26
	s_and_saveexec_b64 s[0:1], vcc
	s_xor_b64 s[0:1], exec, s[0:1]
	s_cbranch_execz .LBB24_61
; %bb.56:
	v_cmp_eq_u32_e32 vcc, 3, v223
	s_and_saveexec_b64 s[2:3], vcc
	s_cbranch_execz .LBB24_60
; %bb.57:
	v_cmp_ne_u32_e32 vcc, 3, v26
	s_xor_b64 s[18:19], s[16:17], -1
	s_and_b64 s[20:21], s[18:19], vcc
	s_and_saveexec_b64 s[18:19], s[20:21]
	s_cbranch_execz .LBB24_59
; %bb.58:
	v_ashrrev_i32_e32 v27, 31, v26
	v_lshl_add_u64 v[28:29], v[26:27], 2, v[216:217]
	global_load_dword v25, v[28:29], off
	global_load_dword v27, v[216:217], off offset:12
	s_waitcnt vmcnt(1)
	global_store_dword v[216:217], v25, off offset:12
	s_waitcnt vmcnt(1)
	global_store_dword v[28:29], v27, off
.LBB24_59:
	s_or_b64 exec, exec, s[18:19]
	v_mov_b32_e32 v222, v26
	v_mov_b32_e32 v223, v26
.LBB24_60:
	s_or_b64 exec, exec, s[2:3]
.LBB24_61:
	s_andn2_saveexec_b64 s[0:1], s[0:1]
	s_cbranch_execz .LBB24_63
; %bb.62:
	v_mov_b32_e32 v223, 3
	ds_write2_b32 v220, v4, v5 offset0:4 offset1:5
	ds_write2_b32 v220, v6, v7 offset0:6 offset1:7
	;; [unrolled: 1-line block ×4, first 2 shown]
	ds_write_b32 v220, v219 offset:48
.LBB24_63:
	s_or_b64 exec, exec, s[0:1]
	v_cmp_lt_i32_e32 vcc, 3, v223
	s_waitcnt lgkmcnt(0)
	s_barrier
	s_and_saveexec_b64 s[0:1], vcc
	s_cbranch_execz .LBB24_65
; %bb.64:
	ds_read2_b32 v[0:1], v220 offset0:4 offset1:5
	ds_read2_b32 v[2:3], v220 offset0:6 offset1:7
	;; [unrolled: 1-line block ×4, first 2 shown]
	v_mul_f32_e32 v18, v175, v13
	s_waitcnt lgkmcnt(3)
	v_pk_fma_f32 v[146:147], v[18:19], v[0:1], v[4:5] op_sel_hi:[0,1,1] neg_lo:[1,0,0] neg_hi:[1,0,0]
	ds_read_b32 v0, v220 offset:48
	s_waitcnt lgkmcnt(3)
	v_pk_fma_f32 v[98:99], v[18:19], v[2:3], v[6:7] op_sel_hi:[0,1,1] neg_lo:[1,0,0] neg_hi:[1,0,0]
	s_waitcnt lgkmcnt(2)
	v_pk_fma_f32 v[40:41], v[18:19], v[14:15], v[8:9] op_sel_hi:[0,1,1] neg_lo:[1,0,0] neg_hi:[1,0,0]
	;; [unrolled: 2-line block ×3, first 2 shown]
	v_mov_b32_e32 v199, v18
	s_waitcnt lgkmcnt(0)
	v_fma_f32 v12, -v18, v0, v219
	v_mov_b64_e32 v[176:177], v[196:197]
	v_mov_b32_e32 v142, v196
	v_mov_b32_e32 v143, v197
	v_mov_b32_e32 v144, v198
	v_mov_b32_e32 v145, v18
	v_mov_b32_e32 v118, v196
	v_mov_b32_e32 v119, v197
	v_mov_b32_e32 v120, v198
	v_mov_b32_e32 v121, v18
	v_mov_b32_e32 v122, v146
	v_mov_b32_e32 v123, v147
	v_mov_b32_e32 v92, v196
	v_mov_b32_e32 v93, v197
	v_mov_b32_e32 v94, v198
	v_mov_b32_e32 v95, v18
	v_mov_b32_e32 v96, v146
	v_mov_b32_e32 v97, v147
	v_mov_b32_e32 v76, v196
	v_mov_b32_e32 v77, v197
	v_mov_b32_e32 v78, v198
	v_mov_b32_e32 v79, v18
	v_mov_b32_e32 v80, v146
	v_mov_b32_e32 v81, v147
	v_mov_b32_e32 v82, v98
	v_mov_b32_e32 v83, v99
	v_mov_b32_e32 v32, v196
	v_mov_b32_e32 v33, v197
	v_mov_b32_e32 v34, v198
	v_mov_b32_e32 v35, v18
	v_mov_b32_e32 v36, v146
	v_mov_b32_e32 v37, v147
	v_mov_b32_e32 v38, v98
	v_mov_b32_e32 v39, v99
	v_mov_b32_e32 v17, v18
	v_mov_b32_e32 v3, v18
	v_mov_b32_e32 v51, v18
	v_mov_b32_e32 v48, v196
	v_mov_b32_e32 v49, v197
	v_mov_b32_e32 v50, v198
	v_mov_b32_e32 v52, v146
	v_mov_b32_e32 v53, v147
	v_mov_b32_e32 v54, v98
	v_mov_b32_e32 v55, v99
	v_mov_b32_e32 v56, v40
	v_mov_b32_e32 v57, v41
	v_mov_b32_e32 v14, v196
	v_mov_b32_e32 v15, v197
	v_mov_b32_e32 v16, v198
	v_mov_b32_e32 v18, v146
	v_mov_b32_e32 v19, v147
	v_mov_b32_e32 v20, v98
	v_mov_b32_e32 v21, v99
	v_mov_b32_e32 v22, v40
	v_mov_b32_e32 v23, v41
	v_mov_b32_e32 v0, v196
	v_mov_b32_e32 v1, v197
	v_mov_b32_e32 v2, v198
	v_mov_b32_e32 v4, v146
	v_mov_b32_e32 v5, v147
	v_mov_b32_e32 v6, v98
	v_mov_b32_e32 v7, v99
	v_mov_b32_e32 v8, v40
	v_mov_b32_e32 v9, v41
	v_mov_b32_e32 v10, v24
	v_mov_b32_e32 v11, v25
	v_mov_b64_e32 v[178:179], v[198:199]
	v_mov_b32_e32 v218, v25
	v_mov_b32_e32 v219, v12
	;; [unrolled: 1-line block ×9, first 2 shown]
	v_mov_b64_e32 v[180:181], v[200:201]
	v_mov_b64_e32 v[182:183], v[202:203]
	;; [unrolled: 1-line block ×6, first 2 shown]
.LBB24_65:
	s_or_b64 exec, exec, s[0:1]
	v_lshl_add_u32 v13, v223, 2, v220
	s_barrier
	ds_write_b32 v13, v140
	s_waitcnt lgkmcnt(0)
	s_barrier
	ds_read_b32 v13, v220 offset:16
	s_cmp_lt_i32 s22, 6
	v_mov_b32_e32 v26, 4
	s_cbranch_scc1 .LBB24_68
; %bb.66:
	v_add3_u32 v25, v221, 0, 20
	v_mov_b32_e32 v26, 4
	s_mov_b32 s0, 5
.LBB24_67:                              ; =>This Inner Loop Header: Depth=1
	ds_read_b32 v27, v25
	v_mov_b32_e32 v28, s0
	s_add_i32 s0, s0, 1
	v_add_u32_e32 v25, 4, v25
	s_cmp_lg_u32 s22, s0
	s_waitcnt lgkmcnt(0)
	v_cmp_lt_f32_e64 vcc, |v13|, |v27|
	s_nop 1
	v_cndmask_b32_e32 v13, v13, v27, vcc
	v_cndmask_b32_e32 v26, v26, v28, vcc
	s_cbranch_scc1 .LBB24_67
.LBB24_68:
	s_waitcnt lgkmcnt(0)
	v_cmp_eq_f32_e32 vcc, 0, v13
	s_and_saveexec_b64 s[0:1], vcc
	s_xor_b64 s[0:1], exec, s[0:1]
; %bb.69:
	v_cmp_ne_u32_e32 vcc, 0, v31
	s_nop 1
	v_cndmask_b32_e32 v31, 5, v31, vcc
; %bb.70:
	s_andn2_saveexec_b64 s[0:1], s[0:1]
	s_cbranch_execz .LBB24_72
; %bb.71:
	v_div_scale_f32 v25, s[2:3], v13, v13, 1.0
	v_rcp_f32_e32 v27, v25
	v_div_scale_f32 v28, vcc, 1.0, v13, 1.0
	v_fma_f32 v29, -v25, v27, 1.0
	v_fmac_f32_e32 v27, v29, v27
	v_mul_f32_e32 v29, v28, v27
	v_fma_f32 v41, -v25, v29, v28
	v_fmac_f32_e32 v29, v41, v27
	v_fma_f32 v25, -v25, v29, v28
	v_div_fmas_f32 v25, v25, v27, v29
	v_div_fixup_f32 v13, v25, v13, 1.0
.LBB24_72:
	s_or_b64 exec, exec, s[0:1]
	v_cmp_ne_u32_e32 vcc, v223, v26
	s_and_saveexec_b64 s[0:1], vcc
	s_xor_b64 s[0:1], exec, s[0:1]
	s_cbranch_execz .LBB24_78
; %bb.73:
	v_cmp_eq_u32_e32 vcc, 4, v223
	s_and_saveexec_b64 s[2:3], vcc
	s_cbranch_execz .LBB24_77
; %bb.74:
	v_cmp_ne_u32_e32 vcc, 4, v26
	s_xor_b64 s[18:19], s[16:17], -1
	s_and_b64 s[20:21], s[18:19], vcc
	s_and_saveexec_b64 s[18:19], s[20:21]
	s_cbranch_execz .LBB24_76
; %bb.75:
	v_ashrrev_i32_e32 v27, 31, v26
	v_lshl_add_u64 v[28:29], v[26:27], 2, v[216:217]
	global_load_dword v25, v[28:29], off
	global_load_dword v27, v[216:217], off offset:16
	s_waitcnt vmcnt(1)
	global_store_dword v[216:217], v25, off offset:16
	s_waitcnt vmcnt(1)
	global_store_dword v[28:29], v27, off
.LBB24_76:
	s_or_b64 exec, exec, s[18:19]
	v_mov_b32_e32 v222, v26
	v_mov_b32_e32 v223, v26
.LBB24_77:
	s_or_b64 exec, exec, s[2:3]
.LBB24_78:
	s_andn2_saveexec_b64 s[0:1], s[0:1]
	s_cbranch_execz .LBB24_80
; %bb.79:
	v_mov_b32_e32 v223, 4
	ds_write2_b32 v220, v5, v6 offset0:5 offset1:6
	ds_write2_b32 v220, v7, v8 offset0:7 offset1:8
	;; [unrolled: 1-line block ×4, first 2 shown]
.LBB24_80:
	s_or_b64 exec, exec, s[0:1]
	v_cmp_lt_i32_e32 vcc, 4, v223
	s_waitcnt lgkmcnt(0)
	s_barrier
	s_and_saveexec_b64 s[0:1], vcc
	s_cbranch_execz .LBB24_82
; %bb.81:
	ds_read2_b32 v[0:1], v220 offset0:5 offset1:6
	v_mov_b32_e32 v2, v5
	ds_read2_b32 v[4:5], v220 offset0:7 offset1:8
	ds_read2_b32 v[14:15], v220 offset0:9 offset1:10
	ds_read2_b32 v[16:17], v220 offset0:11 offset1:12
	v_mul_f32_e32 v180, v140, v13
	v_mov_b32_e32 v3, v6
	s_waitcnt lgkmcnt(3)
	v_pk_fma_f32 v[26:27], v[180:181], v[0:1], v[2:3] op_sel_hi:[0,1,1] neg_lo:[1,0,0] neg_hi:[1,0,0]
	v_mov_b32_e32 v0, v7
	v_mov_b32_e32 v1, v8
	s_waitcnt lgkmcnt(2)
	v_pk_fma_f32 v[28:29], v[180:181], v[4:5], v[0:1] op_sel_hi:[0,1,1] neg_lo:[1,0,0] neg_hi:[1,0,0]
	v_mov_b32_e32 v0, v9
	;; [unrolled: 4-line block ×4, first 2 shown]
	v_mov_b64_e32 v[118:119], v[176:177]
	v_mov_b64_e32 v[142:143], v[176:177]
	v_mov_b32_e32 v92, v176
	v_mov_b32_e32 v93, v177
	;; [unrolled: 1-line block ×58, first 2 shown]
	v_mov_b64_e32 v[120:121], v[178:179]
	v_mov_b64_e32 v[122:123], v[180:181]
	;; [unrolled: 1-line block ×4, first 2 shown]
	v_mov_b32_e32 v135, v26
	v_mov_b32_e32 v116, v27
	;; [unrolled: 1-line block ×6, first 2 shown]
	v_mov_b64_e32 v[124:125], v[182:183]
	v_mov_b64_e32 v[126:127], v[184:185]
	;; [unrolled: 1-line block ×10, first 2 shown]
.LBB24_82:
	s_or_b64 exec, exec, s[0:1]
	v_lshl_add_u32 v13, v223, 2, v220
	s_barrier
	ds_write_b32 v13, v135
	s_waitcnt lgkmcnt(0)
	s_barrier
	ds_read_b32 v13, v220 offset:20
	s_cmp_lt_i32 s22, 7
	v_mov_b32_e32 v26, 5
	s_cbranch_scc1 .LBB24_85
; %bb.83:
	v_add3_u32 v25, v221, 0, 24
	v_mov_b32_e32 v26, 5
	s_mov_b32 s0, 6
.LBB24_84:                              ; =>This Inner Loop Header: Depth=1
	ds_read_b32 v27, v25
	v_mov_b32_e32 v28, s0
	s_add_i32 s0, s0, 1
	v_add_u32_e32 v25, 4, v25
	s_cmp_lg_u32 s22, s0
	s_waitcnt lgkmcnt(0)
	v_cmp_lt_f32_e64 vcc, |v13|, |v27|
	s_nop 1
	v_cndmask_b32_e32 v13, v13, v27, vcc
	v_cndmask_b32_e32 v26, v26, v28, vcc
	s_cbranch_scc1 .LBB24_84
.LBB24_85:
	s_waitcnt lgkmcnt(0)
	v_cmp_eq_f32_e32 vcc, 0, v13
	s_and_saveexec_b64 s[0:1], vcc
	s_xor_b64 s[0:1], exec, s[0:1]
; %bb.86:
	v_cmp_ne_u32_e32 vcc, 0, v31
	s_nop 1
	v_cndmask_b32_e32 v31, 6, v31, vcc
; %bb.87:
	s_andn2_saveexec_b64 s[0:1], s[0:1]
	s_cbranch_execz .LBB24_89
; %bb.88:
	v_div_scale_f32 v25, s[2:3], v13, v13, 1.0
	v_rcp_f32_e32 v27, v25
	v_div_scale_f32 v28, vcc, 1.0, v13, 1.0
	v_fma_f32 v29, -v25, v27, 1.0
	v_fmac_f32_e32 v27, v29, v27
	v_mul_f32_e32 v29, v28, v27
	v_fma_f32 v41, -v25, v29, v28
	v_fmac_f32_e32 v29, v41, v27
	v_fma_f32 v25, -v25, v29, v28
	v_div_fmas_f32 v25, v25, v27, v29
	v_div_fixup_f32 v13, v25, v13, 1.0
.LBB24_89:
	s_or_b64 exec, exec, s[0:1]
	v_cmp_ne_u32_e32 vcc, v223, v26
	s_and_saveexec_b64 s[0:1], vcc
	s_xor_b64 s[0:1], exec, s[0:1]
	s_cbranch_execz .LBB24_95
; %bb.90:
	v_cmp_eq_u32_e32 vcc, 5, v223
	s_and_saveexec_b64 s[2:3], vcc
	s_cbranch_execz .LBB24_94
; %bb.91:
	v_cmp_ne_u32_e32 vcc, 5, v26
	s_xor_b64 s[18:19], s[16:17], -1
	s_and_b64 s[20:21], s[18:19], vcc
	s_and_saveexec_b64 s[18:19], s[20:21]
	s_cbranch_execz .LBB24_93
; %bb.92:
	v_ashrrev_i32_e32 v27, 31, v26
	v_lshl_add_u64 v[28:29], v[26:27], 2, v[216:217]
	global_load_dword v25, v[28:29], off
	global_load_dword v27, v[216:217], off offset:20
	s_waitcnt vmcnt(1)
	global_store_dword v[216:217], v25, off offset:20
	s_waitcnt vmcnt(1)
	global_store_dword v[28:29], v27, off
.LBB24_93:
	s_or_b64 exec, exec, s[18:19]
	v_mov_b32_e32 v222, v26
	v_mov_b32_e32 v223, v26
.LBB24_94:
	s_or_b64 exec, exec, s[2:3]
.LBB24_95:
	s_andn2_saveexec_b64 s[0:1], s[0:1]
	s_cbranch_execz .LBB24_97
; %bb.96:
	v_mov_b32_e32 v223, 5
	ds_write2_b32 v220, v6, v7 offset0:6 offset1:7
	ds_write2_b32 v220, v8, v9 offset0:8 offset1:9
	;; [unrolled: 1-line block ×3, first 2 shown]
	ds_write_b32 v220, v219 offset:48
.LBB24_97:
	s_or_b64 exec, exec, s[0:1]
	v_cmp_lt_i32_e32 vcc, 5, v223
	s_waitcnt lgkmcnt(0)
	s_barrier
	s_and_saveexec_b64 s[0:1], vcc
	s_cbranch_execz .LBB24_99
; %bb.98:
	ds_read2_b32 v[0:1], v220 offset0:6 offset1:7
	ds_read2_b32 v[2:3], v220 offset0:8 offset1:9
	;; [unrolled: 1-line block ×3, first 2 shown]
	ds_read_b32 v12, v220 offset:48
	v_mul_f32_e32 v26, v135, v13
	s_waitcnt lgkmcnt(3)
	v_pk_fma_f32 v[98:99], v[26:27], v[0:1], v[6:7] op_sel_hi:[0,1,1] neg_lo:[1,0,0] neg_hi:[1,0,0]
	s_waitcnt lgkmcnt(2)
	v_pk_fma_f32 v[40:41], v[26:27], v[2:3], v[8:9] op_sel_hi:[0,1,1] neg_lo:[1,0,0] neg_hi:[1,0,0]
	;; [unrolled: 2-line block ×3, first 2 shown]
	s_waitcnt lgkmcnt(0)
	v_fma_f32 v12, -v26, v12, v219
	v_mov_b32_e32 v147, v26
	v_mov_b64_e32 v[118:119], v[142:143]
	v_mov_b32_e32 v92, v142
	v_mov_b32_e32 v93, v143
	;; [unrolled: 1-line block ×54, first 2 shown]
	v_mov_b64_e32 v[120:121], v[144:145]
	v_mov_b64_e32 v[122:123], v[146:147]
	v_mov_b32_e32 v218, v25
	v_mov_b32_e32 v219, v12
	;; [unrolled: 1-line block ×7, first 2 shown]
	v_mov_b64_e32 v[124:125], v[148:149]
	v_mov_b64_e32 v[126:127], v[150:151]
	;; [unrolled: 1-line block ×5, first 2 shown]
.LBB24_99:
	s_or_b64 exec, exec, s[0:1]
	v_lshl_add_u32 v13, v223, 2, v220
	s_barrier
	ds_write_b32 v13, v116
	s_waitcnt lgkmcnt(0)
	s_barrier
	ds_read_b32 v13, v220 offset:24
	s_cmp_lt_i32 s22, 8
	v_mov_b32_e32 v26, 6
	s_cbranch_scc1 .LBB24_102
; %bb.100:
	v_add3_u32 v25, v221, 0, 28
	v_mov_b32_e32 v26, 6
	s_mov_b32 s0, 7
.LBB24_101:                             ; =>This Inner Loop Header: Depth=1
	ds_read_b32 v27, v25
	v_mov_b32_e32 v28, s0
	s_add_i32 s0, s0, 1
	v_add_u32_e32 v25, 4, v25
	s_cmp_lg_u32 s22, s0
	s_waitcnt lgkmcnt(0)
	v_cmp_lt_f32_e64 vcc, |v13|, |v27|
	s_nop 1
	v_cndmask_b32_e32 v13, v13, v27, vcc
	v_cndmask_b32_e32 v26, v26, v28, vcc
	s_cbranch_scc1 .LBB24_101
.LBB24_102:
	s_waitcnt lgkmcnt(0)
	v_cmp_eq_f32_e32 vcc, 0, v13
	s_and_saveexec_b64 s[0:1], vcc
	s_xor_b64 s[0:1], exec, s[0:1]
; %bb.103:
	v_cmp_ne_u32_e32 vcc, 0, v31
	s_nop 1
	v_cndmask_b32_e32 v31, 7, v31, vcc
; %bb.104:
	s_andn2_saveexec_b64 s[0:1], s[0:1]
	s_cbranch_execz .LBB24_106
; %bb.105:
	v_div_scale_f32 v25, s[2:3], v13, v13, 1.0
	v_rcp_f32_e32 v27, v25
	v_div_scale_f32 v28, vcc, 1.0, v13, 1.0
	v_fma_f32 v29, -v25, v27, 1.0
	v_fmac_f32_e32 v27, v29, v27
	v_mul_f32_e32 v29, v28, v27
	v_fma_f32 v41, -v25, v29, v28
	v_fmac_f32_e32 v29, v41, v27
	v_fma_f32 v25, -v25, v29, v28
	v_div_fmas_f32 v25, v25, v27, v29
	v_div_fixup_f32 v13, v25, v13, 1.0
.LBB24_106:
	s_or_b64 exec, exec, s[0:1]
	v_cmp_ne_u32_e32 vcc, v223, v26
	s_and_saveexec_b64 s[0:1], vcc
	s_xor_b64 s[0:1], exec, s[0:1]
	s_cbranch_execz .LBB24_112
; %bb.107:
	v_cmp_eq_u32_e32 vcc, 6, v223
	s_and_saveexec_b64 s[2:3], vcc
	s_cbranch_execz .LBB24_111
; %bb.108:
	v_cmp_ne_u32_e32 vcc, 6, v26
	s_xor_b64 s[18:19], s[16:17], -1
	s_and_b64 s[20:21], s[18:19], vcc
	s_and_saveexec_b64 s[18:19], s[20:21]
	s_cbranch_execz .LBB24_110
; %bb.109:
	v_ashrrev_i32_e32 v27, 31, v26
	v_lshl_add_u64 v[28:29], v[26:27], 2, v[216:217]
	global_load_dword v25, v[28:29], off
	global_load_dword v27, v[216:217], off offset:24
	s_waitcnt vmcnt(1)
	global_store_dword v[216:217], v25, off offset:24
	s_waitcnt vmcnt(1)
	global_store_dword v[28:29], v27, off
.LBB24_110:
	s_or_b64 exec, exec, s[18:19]
	v_mov_b32_e32 v222, v26
	v_mov_b32_e32 v223, v26
.LBB24_111:
	s_or_b64 exec, exec, s[2:3]
.LBB24_112:
	s_andn2_saveexec_b64 s[0:1], s[0:1]
	s_cbranch_execz .LBB24_114
; %bb.113:
	v_mov_b32_e32 v223, 6
	ds_write2_b32 v220, v7, v8 offset0:7 offset1:8
	ds_write2_b32 v220, v9, v10 offset0:9 offset1:10
	;; [unrolled: 1-line block ×3, first 2 shown]
.LBB24_114:
	s_or_b64 exec, exec, s[0:1]
	v_cmp_lt_i32_e32 vcc, 6, v223
	s_waitcnt lgkmcnt(0)
	s_barrier
	s_and_saveexec_b64 s[0:1], vcc
	s_cbranch_execz .LBB24_116
; %bb.115:
	ds_read2_b32 v[0:1], v220 offset0:7 offset1:8
	v_mov_b32_e32 v2, v7
	ds_read2_b32 v[4:5], v220 offset0:9 offset1:10
	ds_read2_b32 v[6:7], v220 offset0:11 offset1:12
	v_mul_f32_e32 v124, v116, v13
	v_mov_b32_e32 v3, v8
	s_waitcnt lgkmcnt(2)
	v_pk_fma_f32 v[26:27], v[124:125], v[0:1], v[2:3] op_sel_hi:[0,1,1] neg_lo:[1,0,0] neg_hi:[1,0,0]
	v_mov_b32_e32 v0, v9
	v_mov_b32_e32 v1, v10
	s_waitcnt lgkmcnt(1)
	v_pk_fma_f32 v[28:29], v[124:125], v[4:5], v[0:1] op_sel_hi:[0,1,1] neg_lo:[1,0,0] neg_hi:[1,0,0]
	v_mov_b32_e32 v0, v11
	;; [unrolled: 4-line block ×3, first 2 shown]
	v_mov_b64_e32 v[76:77], v[118:119]
	v_mov_b64_e32 v[92:93], v[118:119]
	v_mov_b32_e32 v32, v118
	v_mov_b32_e32 v33, v119
	;; [unrolled: 1-line block ×43, first 2 shown]
	v_mov_b64_e32 v[78:79], v[120:121]
	v_mov_b64_e32 v[80:81], v[122:123]
	v_mov_b64_e32 v[82:83], v[124:125]
	v_mov_b64_e32 v[94:95], v[120:121]
	v_mov_b64_e32 v[96:97], v[122:123]
	v_mov_b64_e32 v[98:99], v[124:125]
	v_mov_b32_e32 v109, v26
	v_mov_b32_e32 v74, v27
	;; [unrolled: 1-line block ×4, first 2 shown]
	v_mov_b64_e32 v[84:85], v[126:127]
	v_mov_b64_e32 v[86:87], v[128:129]
	;; [unrolled: 1-line block ×8, first 2 shown]
.LBB24_116:
	s_or_b64 exec, exec, s[0:1]
	v_lshl_add_u32 v13, v223, 2, v220
	s_barrier
	ds_write_b32 v13, v109
	s_waitcnt lgkmcnt(0)
	s_barrier
	ds_read_b32 v13, v220 offset:28
	s_cmp_lt_i32 s22, 9
	v_mov_b32_e32 v26, 7
	s_cbranch_scc1 .LBB24_119
; %bb.117:
	v_add3_u32 v25, v221, 0, 32
	v_mov_b32_e32 v26, 7
	s_mov_b32 s0, 8
.LBB24_118:                             ; =>This Inner Loop Header: Depth=1
	ds_read_b32 v27, v25
	v_mov_b32_e32 v28, s0
	s_add_i32 s0, s0, 1
	v_add_u32_e32 v25, 4, v25
	s_cmp_lg_u32 s22, s0
	s_waitcnt lgkmcnt(0)
	v_cmp_lt_f32_e64 vcc, |v13|, |v27|
	s_nop 1
	v_cndmask_b32_e32 v13, v13, v27, vcc
	v_cndmask_b32_e32 v26, v26, v28, vcc
	s_cbranch_scc1 .LBB24_118
.LBB24_119:
	s_waitcnt lgkmcnt(0)
	v_cmp_eq_f32_e32 vcc, 0, v13
	s_and_saveexec_b64 s[0:1], vcc
	s_xor_b64 s[0:1], exec, s[0:1]
; %bb.120:
	v_cmp_ne_u32_e32 vcc, 0, v31
	s_nop 1
	v_cndmask_b32_e32 v31, 8, v31, vcc
; %bb.121:
	s_andn2_saveexec_b64 s[0:1], s[0:1]
	s_cbranch_execz .LBB24_123
; %bb.122:
	v_div_scale_f32 v25, s[2:3], v13, v13, 1.0
	v_rcp_f32_e32 v27, v25
	v_div_scale_f32 v28, vcc, 1.0, v13, 1.0
	v_fma_f32 v29, -v25, v27, 1.0
	v_fmac_f32_e32 v27, v29, v27
	v_mul_f32_e32 v29, v28, v27
	v_fma_f32 v41, -v25, v29, v28
	v_fmac_f32_e32 v29, v41, v27
	v_fma_f32 v25, -v25, v29, v28
	v_div_fmas_f32 v25, v25, v27, v29
	v_div_fixup_f32 v13, v25, v13, 1.0
.LBB24_123:
	s_or_b64 exec, exec, s[0:1]
	v_cmp_ne_u32_e32 vcc, v223, v26
	s_and_saveexec_b64 s[0:1], vcc
	s_xor_b64 s[0:1], exec, s[0:1]
	s_cbranch_execz .LBB24_129
; %bb.124:
	v_cmp_eq_u32_e32 vcc, 7, v223
	s_and_saveexec_b64 s[2:3], vcc
	s_cbranch_execz .LBB24_128
; %bb.125:
	v_cmp_ne_u32_e32 vcc, 7, v26
	s_xor_b64 s[18:19], s[16:17], -1
	s_and_b64 s[20:21], s[18:19], vcc
	s_and_saveexec_b64 s[18:19], s[20:21]
	s_cbranch_execz .LBB24_127
; %bb.126:
	v_ashrrev_i32_e32 v27, 31, v26
	v_lshl_add_u64 v[28:29], v[26:27], 2, v[216:217]
	global_load_dword v25, v[28:29], off
	global_load_dword v27, v[216:217], off offset:28
	s_waitcnt vmcnt(1)
	global_store_dword v[216:217], v25, off offset:28
	s_waitcnt vmcnt(1)
	global_store_dword v[28:29], v27, off
.LBB24_127:
	s_or_b64 exec, exec, s[18:19]
	v_mov_b32_e32 v222, v26
	v_mov_b32_e32 v223, v26
.LBB24_128:
	s_or_b64 exec, exec, s[2:3]
.LBB24_129:
	s_andn2_saveexec_b64 s[0:1], s[0:1]
	s_cbranch_execz .LBB24_131
; %bb.130:
	v_mov_b32_e32 v223, 7
	ds_write2_b32 v220, v8, v9 offset0:8 offset1:9
	ds_write2_b32 v220, v10, v11 offset0:10 offset1:11
	ds_write_b32 v220, v219 offset:48
.LBB24_131:
	s_or_b64 exec, exec, s[0:1]
	v_cmp_lt_i32_e32 vcc, 7, v223
	s_waitcnt lgkmcnt(0)
	s_barrier
	s_and_saveexec_b64 s[0:1], vcc
	s_cbranch_execz .LBB24_133
; %bb.132:
	ds_read2_b32 v[0:1], v220 offset0:8 offset1:9
	ds_read2_b32 v[2:3], v220 offset0:10 offset1:11
	ds_read_b32 v4, v220 offset:48
	v_mul_f32_e32 v26, v109, v13
	v_mov_b32_e32 v99, v26
	s_waitcnt lgkmcnt(2)
	v_pk_fma_f32 v[40:41], v[26:27], v[0:1], v[8:9] op_sel_hi:[0,1,1] neg_lo:[1,0,0] neg_hi:[1,0,0]
	s_waitcnt lgkmcnt(1)
	v_pk_fma_f32 v[24:25], v[26:27], v[2:3], v[10:11] op_sel_hi:[0,1,1] neg_lo:[1,0,0] neg_hi:[1,0,0]
	s_waitcnt lgkmcnt(0)
	v_fma_f32 v12, -v26, v4, v219
	v_mov_b64_e32 v[76:77], v[92:93]
	v_mov_b32_e32 v32, v92
	v_mov_b32_e32 v33, v93
	;; [unrolled: 1-line block ×40, first 2 shown]
	v_mov_b64_e32 v[78:79], v[94:95]
	v_mov_b64_e32 v[80:81], v[96:97]
	;; [unrolled: 1-line block ×3, first 2 shown]
	v_mov_b32_e32 v74, v40
	v_mov_b32_e32 v65, v41
	;; [unrolled: 1-line block ×5, first 2 shown]
	v_mov_b64_e32 v[84:85], v[100:101]
	v_mov_b64_e32 v[86:87], v[102:103]
	;; [unrolled: 1-line block ×4, first 2 shown]
.LBB24_133:
	s_or_b64 exec, exec, s[0:1]
	v_lshl_add_u32 v13, v223, 2, v220
	s_barrier
	ds_write_b32 v13, v74
	s_waitcnt lgkmcnt(0)
	s_barrier
	ds_read_b32 v13, v220 offset:32
	s_cmp_lt_i32 s22, 10
	v_mov_b32_e32 v26, 8
	s_cbranch_scc1 .LBB24_136
; %bb.134:
	v_add3_u32 v25, v221, 0, 36
	v_mov_b32_e32 v26, 8
	s_mov_b32 s0, 9
.LBB24_135:                             ; =>This Inner Loop Header: Depth=1
	ds_read_b32 v27, v25
	v_mov_b32_e32 v28, s0
	s_add_i32 s0, s0, 1
	v_add_u32_e32 v25, 4, v25
	s_cmp_lg_u32 s22, s0
	s_waitcnt lgkmcnt(0)
	v_cmp_lt_f32_e64 vcc, |v13|, |v27|
	s_nop 1
	v_cndmask_b32_e32 v13, v13, v27, vcc
	v_cndmask_b32_e32 v26, v26, v28, vcc
	s_cbranch_scc1 .LBB24_135
.LBB24_136:
	s_waitcnt lgkmcnt(0)
	v_cmp_eq_f32_e32 vcc, 0, v13
	s_and_saveexec_b64 s[0:1], vcc
	s_xor_b64 s[0:1], exec, s[0:1]
; %bb.137:
	v_cmp_ne_u32_e32 vcc, 0, v31
	s_nop 1
	v_cndmask_b32_e32 v31, 9, v31, vcc
; %bb.138:
	s_andn2_saveexec_b64 s[0:1], s[0:1]
	s_cbranch_execz .LBB24_140
; %bb.139:
	v_div_scale_f32 v25, s[2:3], v13, v13, 1.0
	v_rcp_f32_e32 v27, v25
	v_div_scale_f32 v28, vcc, 1.0, v13, 1.0
	v_fma_f32 v29, -v25, v27, 1.0
	v_fmac_f32_e32 v27, v29, v27
	v_mul_f32_e32 v29, v28, v27
	v_fma_f32 v41, -v25, v29, v28
	v_fmac_f32_e32 v29, v41, v27
	v_fma_f32 v25, -v25, v29, v28
	v_div_fmas_f32 v25, v25, v27, v29
	v_div_fixup_f32 v13, v25, v13, 1.0
.LBB24_140:
	s_or_b64 exec, exec, s[0:1]
	v_cmp_ne_u32_e32 vcc, v223, v26
	s_and_saveexec_b64 s[0:1], vcc
	s_xor_b64 s[0:1], exec, s[0:1]
	s_cbranch_execz .LBB24_146
; %bb.141:
	v_cmp_eq_u32_e32 vcc, 8, v223
	s_and_saveexec_b64 s[2:3], vcc
	s_cbranch_execz .LBB24_145
; %bb.142:
	v_cmp_ne_u32_e32 vcc, 8, v26
	s_xor_b64 s[18:19], s[16:17], -1
	s_and_b64 s[20:21], s[18:19], vcc
	s_and_saveexec_b64 s[18:19], s[20:21]
	s_cbranch_execz .LBB24_144
; %bb.143:
	v_ashrrev_i32_e32 v27, 31, v26
	v_lshl_add_u64 v[28:29], v[26:27], 2, v[216:217]
	global_load_dword v25, v[28:29], off
	global_load_dword v27, v[216:217], off offset:32
	s_waitcnt vmcnt(1)
	global_store_dword v[216:217], v25, off offset:32
	s_waitcnt vmcnt(1)
	global_store_dword v[28:29], v27, off
.LBB24_144:
	s_or_b64 exec, exec, s[18:19]
	v_mov_b32_e32 v222, v26
	v_mov_b32_e32 v223, v26
.LBB24_145:
	s_or_b64 exec, exec, s[2:3]
.LBB24_146:
	s_andn2_saveexec_b64 s[0:1], s[0:1]
	s_cbranch_execz .LBB24_148
; %bb.147:
	v_mov_b32_e32 v223, 8
	ds_write2_b32 v220, v9, v10 offset0:9 offset1:10
	ds_write2_b32 v220, v11, v12 offset0:11 offset1:12
.LBB24_148:
	s_or_b64 exec, exec, s[0:1]
	v_cmp_lt_i32_e32 vcc, 8, v223
	s_waitcnt lgkmcnt(0)
	s_barrier
	s_and_saveexec_b64 s[0:1], vcc
	s_cbranch_execz .LBB24_150
; %bb.149:
	ds_read2_b32 v[0:1], v220 offset0:9 offset1:10
	ds_read2_b32 v[4:5], v220 offset0:11 offset1:12
	v_mul_f32_e32 v84, v74, v13
	v_mov_b32_e32 v2, v9
	v_mov_b32_e32 v3, v10
	s_waitcnt lgkmcnt(1)
	v_pk_fma_f32 v[26:27], v[84:85], v[0:1], v[2:3] op_sel_hi:[0,1,1] neg_lo:[1,0,0] neg_hi:[1,0,0]
	v_mov_b32_e32 v0, v11
	v_mov_b32_e32 v1, v12
	s_waitcnt lgkmcnt(0)
	v_pk_fma_f32 v[218:219], v[84:85], v[4:5], v[0:1] op_sel_hi:[0,1,1] neg_lo:[1,0,0] neg_hi:[1,0,0]
	v_mov_b32_e32 v85, v26
	v_mov_b64_e32 v[48:49], v[76:77]
	v_mov_b64_e32 v[32:33], v[76:77]
	v_mov_b32_e32 v14, v76
	v_mov_b32_e32 v15, v77
	;; [unrolled: 1-line block ×24, first 2 shown]
	v_mov_b64_e32 v[50:51], v[78:79]
	v_mov_b64_e32 v[52:53], v[80:81]
	;; [unrolled: 1-line block ×8, first 2 shown]
	v_mov_b32_e32 v65, v26
	v_mov_b32_e32 v30, v27
	v_mov_b64_e32 v[58:59], v[86:87]
	v_mov_b64_e32 v[60:61], v[88:89]
	;; [unrolled: 1-line block ×6, first 2 shown]
.LBB24_150:
	s_or_b64 exec, exec, s[0:1]
	v_lshl_add_u32 v13, v223, 2, v220
	s_barrier
	ds_write_b32 v13, v65
	s_waitcnt lgkmcnt(0)
	s_barrier
	ds_read_b32 v13, v220 offset:36
	s_cmp_lt_i32 s22, 11
	v_mov_b32_e32 v26, 9
	s_cbranch_scc1 .LBB24_153
; %bb.151:
	v_add3_u32 v25, v221, 0, 40
	v_mov_b32_e32 v26, 9
	s_mov_b32 s0, 10
.LBB24_152:                             ; =>This Inner Loop Header: Depth=1
	ds_read_b32 v27, v25
	v_mov_b32_e32 v28, s0
	s_add_i32 s0, s0, 1
	v_add_u32_e32 v25, 4, v25
	s_cmp_lg_u32 s22, s0
	s_waitcnt lgkmcnt(0)
	v_cmp_lt_f32_e64 vcc, |v13|, |v27|
	s_nop 1
	v_cndmask_b32_e32 v13, v13, v27, vcc
	v_cndmask_b32_e32 v26, v26, v28, vcc
	s_cbranch_scc1 .LBB24_152
.LBB24_153:
	s_waitcnt lgkmcnt(0)
	v_cmp_eq_f32_e32 vcc, 0, v13
	s_and_saveexec_b64 s[0:1], vcc
	s_xor_b64 s[0:1], exec, s[0:1]
; %bb.154:
	v_cmp_ne_u32_e32 vcc, 0, v31
	s_nop 1
	v_cndmask_b32_e32 v31, 10, v31, vcc
; %bb.155:
	s_andn2_saveexec_b64 s[0:1], s[0:1]
	s_cbranch_execz .LBB24_157
; %bb.156:
	v_div_scale_f32 v25, s[2:3], v13, v13, 1.0
	v_rcp_f32_e32 v27, v25
	v_div_scale_f32 v28, vcc, 1.0, v13, 1.0
	v_fma_f32 v29, -v25, v27, 1.0
	v_fmac_f32_e32 v27, v29, v27
	v_mul_f32_e32 v29, v28, v27
	v_fma_f32 v41, -v25, v29, v28
	v_fmac_f32_e32 v29, v41, v27
	v_fma_f32 v25, -v25, v29, v28
	v_div_fmas_f32 v25, v25, v27, v29
	v_div_fixup_f32 v13, v25, v13, 1.0
.LBB24_157:
	s_or_b64 exec, exec, s[0:1]
	v_cmp_ne_u32_e32 vcc, v223, v26
	s_and_saveexec_b64 s[0:1], vcc
	s_xor_b64 s[0:1], exec, s[0:1]
	s_cbranch_execz .LBB24_163
; %bb.158:
	v_cmp_eq_u32_e32 vcc, 9, v223
	s_and_saveexec_b64 s[2:3], vcc
	s_cbranch_execz .LBB24_162
; %bb.159:
	v_cmp_ne_u32_e32 vcc, 9, v26
	s_xor_b64 s[18:19], s[16:17], -1
	s_and_b64 s[20:21], s[18:19], vcc
	s_and_saveexec_b64 s[18:19], s[20:21]
	s_cbranch_execz .LBB24_161
; %bb.160:
	v_ashrrev_i32_e32 v27, 31, v26
	v_lshl_add_u64 v[28:29], v[26:27], 2, v[216:217]
	global_load_dword v25, v[28:29], off
	global_load_dword v27, v[216:217], off offset:36
	s_waitcnt vmcnt(1)
	global_store_dword v[216:217], v25, off offset:36
	s_waitcnt vmcnt(1)
	global_store_dword v[28:29], v27, off
.LBB24_161:
	s_or_b64 exec, exec, s[18:19]
	v_mov_b32_e32 v222, v26
	v_mov_b32_e32 v223, v26
.LBB24_162:
	s_or_b64 exec, exec, s[2:3]
.LBB24_163:
	s_andn2_saveexec_b64 s[0:1], s[0:1]
	s_cbranch_execz .LBB24_165
; %bb.164:
	v_mov_b32_e32 v223, 9
	ds_write2_b32 v220, v10, v11 offset0:10 offset1:11
	ds_write_b32 v220, v219 offset:48
.LBB24_165:
	s_or_b64 exec, exec, s[0:1]
	v_cmp_lt_i32_e32 vcc, 9, v223
	s_waitcnt lgkmcnt(0)
	s_barrier
	s_and_saveexec_b64 s[0:1], vcc
	s_cbranch_execz .LBB24_167
; %bb.166:
	ds_read2_b32 v[0:1], v220 offset0:10 offset1:11
	ds_read_b32 v2, v220 offset:48
	v_mul_f32_e32 v26, v65, v13
	v_mov_b32_e32 v41, v26
	v_mov_b64_e32 v[62:63], v[46:47]
	s_waitcnt lgkmcnt(1)
	v_pk_fma_f32 v[24:25], v[26:27], v[0:1], v[10:11] op_sel_hi:[0,1,1] neg_lo:[1,0,0] neg_hi:[1,0,0]
	s_waitcnt lgkmcnt(0)
	v_fma_f32 v12, -v26, v2, v219
	v_mov_b32_e32 v14, v32
	v_mov_b32_e32 v15, v33
	;; [unrolled: 1-line block ×22, first 2 shown]
	v_mov_b64_e32 v[56:57], v[40:41]
	v_mov_b64_e32 v[54:55], v[38:39]
	;; [unrolled: 1-line block ×5, first 2 shown]
	v_mov_b32_e32 v30, v24
	v_mov_b32_e32 v218, v25
	v_mov_b32_e32 v219, v12
	v_mov_b64_e32 v[60:61], v[44:45]
	v_mov_b64_e32 v[58:59], v[42:43]
.LBB24_167:
	s_or_b64 exec, exec, s[0:1]
	v_lshl_add_u32 v13, v223, 2, v220
	s_barrier
	ds_write_b32 v13, v30
	s_waitcnt lgkmcnt(0)
	s_barrier
	ds_read_b32 v13, v220 offset:40
	s_cmp_lt_i32 s22, 12
	v_mov_b32_e32 v26, 10
	s_cbranch_scc1 .LBB24_170
; %bb.168:
	v_add3_u32 v25, v221, 0, 44
	v_mov_b32_e32 v26, 10
	s_mov_b32 s0, 11
.LBB24_169:                             ; =>This Inner Loop Header: Depth=1
	ds_read_b32 v27, v25
	v_mov_b32_e32 v28, s0
	s_add_i32 s0, s0, 1
	v_add_u32_e32 v25, 4, v25
	s_cmp_lg_u32 s22, s0
	s_waitcnt lgkmcnt(0)
	v_cmp_lt_f32_e64 vcc, |v13|, |v27|
	s_nop 1
	v_cndmask_b32_e32 v13, v13, v27, vcc
	v_cndmask_b32_e32 v26, v26, v28, vcc
	s_cbranch_scc1 .LBB24_169
.LBB24_170:
	s_waitcnt lgkmcnt(0)
	v_cmp_eq_f32_e32 vcc, 0, v13
	s_and_saveexec_b64 s[0:1], vcc
	s_xor_b64 s[0:1], exec, s[0:1]
; %bb.171:
	v_cmp_ne_u32_e32 vcc, 0, v31
	s_nop 1
	v_cndmask_b32_e32 v31, 11, v31, vcc
; %bb.172:
	s_andn2_saveexec_b64 s[0:1], s[0:1]
	s_cbranch_execz .LBB24_174
; %bb.173:
	v_div_scale_f32 v25, s[2:3], v13, v13, 1.0
	v_rcp_f32_e32 v27, v25
	v_div_scale_f32 v28, vcc, 1.0, v13, 1.0
	v_fma_f32 v29, -v25, v27, 1.0
	v_fmac_f32_e32 v27, v29, v27
	v_mul_f32_e32 v29, v28, v27
	v_fma_f32 v32, -v25, v29, v28
	v_fmac_f32_e32 v29, v32, v27
	v_fma_f32 v25, -v25, v29, v28
	v_div_fmas_f32 v25, v25, v27, v29
	v_div_fixup_f32 v13, v25, v13, 1.0
.LBB24_174:
	s_or_b64 exec, exec, s[0:1]
	v_cmp_ne_u32_e32 vcc, v223, v26
	s_and_saveexec_b64 s[0:1], vcc
	s_xor_b64 s[0:1], exec, s[0:1]
	s_cbranch_execz .LBB24_180
; %bb.175:
	v_cmp_eq_u32_e32 vcc, 10, v223
	s_and_saveexec_b64 s[2:3], vcc
	s_cbranch_execz .LBB24_179
; %bb.176:
	v_cmp_ne_u32_e32 vcc, 10, v26
	s_xor_b64 s[18:19], s[16:17], -1
	s_and_b64 s[20:21], s[18:19], vcc
	s_and_saveexec_b64 s[18:19], s[20:21]
	s_cbranch_execz .LBB24_178
; %bb.177:
	v_ashrrev_i32_e32 v27, 31, v26
	v_lshl_add_u64 v[28:29], v[26:27], 2, v[216:217]
	global_load_dword v25, v[28:29], off
	global_load_dword v27, v[216:217], off offset:40
	s_waitcnt vmcnt(1)
	global_store_dword v[216:217], v25, off offset:40
	s_waitcnt vmcnt(1)
	global_store_dword v[28:29], v27, off
.LBB24_178:
	s_or_b64 exec, exec, s[18:19]
	v_mov_b32_e32 v222, v26
	v_mov_b32_e32 v223, v26
.LBB24_179:
	s_or_b64 exec, exec, s[2:3]
.LBB24_180:
	s_andn2_saveexec_b64 s[0:1], s[0:1]
; %bb.181:
	v_mov_b32_e32 v223, 10
	ds_write2_b32 v220, v11, v12 offset0:11 offset1:12
; %bb.182:
	s_or_b64 exec, exec, s[0:1]
	v_cmp_lt_i32_e32 vcc, 10, v223
	s_waitcnt lgkmcnt(0)
	s_barrier
	s_and_saveexec_b64 s[0:1], vcc
	s_cbranch_execz .LBB24_184
; %bb.183:
	ds_read2_b32 v[0:1], v220 offset0:11 offset1:12
	v_mul_f32_e32 v58, v30, v13
	v_mov_b32_e32 v2, v11
	v_mov_b32_e32 v3, v12
	s_waitcnt lgkmcnt(0)
	v_pk_fma_f32 v[218:219], v[58:59], v[0:1], v[2:3] op_sel_hi:[0,1,1] neg_lo:[1,0,0] neg_hi:[1,0,0]
	v_mov_b32_e32 v59, v218
	v_mov_b32_e32 v60, v219
	v_mov_b64_e32 v[0:1], v[48:49]
	v_mov_b64_e32 v[14:15], v[62:63]
	v_mov_b64_e32 v[14:15], v[48:49]
	v_mov_b64_e32 v[2:3], v[50:51]
	v_mov_b64_e32 v[4:5], v[52:53]
	v_mov_b64_e32 v[6:7], v[54:55]
	v_mov_b64_e32 v[8:9], v[56:57]
	v_mov_b64_e32 v[10:11], v[58:59]
	v_mov_b64_e32 v[12:13], v[60:61]
	v_mov_b64_e32 v[16:17], v[50:51]
	v_mov_b64_e32 v[18:19], v[52:53]
	v_mov_b64_e32 v[20:21], v[54:55]
	v_mov_b64_e32 v[22:23], v[56:57]
	v_mov_b64_e32 v[24:25], v[58:59]
	v_mov_b64_e32 v[26:27], v[60:61]
	v_mov_b64_e32 v[28:29], v[62:63]
.LBB24_184:
	s_or_b64 exec, exec, s[0:1]
	v_lshl_add_u32 v13, v223, 2, v220
	s_barrier
	ds_write_b32 v13, v218
	s_waitcnt lgkmcnt(0)
	s_barrier
	ds_read_b32 v13, v220 offset:44
	s_cmp_lt_i32 s22, 13
	v_mov_b32_e32 v26, 11
	s_cbranch_scc1 .LBB24_187
; %bb.185:
	v_add3_u32 v25, v221, 0, 48
	v_mov_b32_e32 v26, 11
	s_mov_b32 s0, 12
.LBB24_186:                             ; =>This Inner Loop Header: Depth=1
	ds_read_b32 v27, v25
	v_mov_b32_e32 v28, s0
	s_add_i32 s0, s0, 1
	v_add_u32_e32 v25, 4, v25
	s_cmp_lg_u32 s22, s0
	s_waitcnt lgkmcnt(0)
	v_cmp_lt_f32_e64 vcc, |v13|, |v27|
	s_nop 1
	v_cndmask_b32_e32 v13, v13, v27, vcc
	v_cndmask_b32_e32 v26, v26, v28, vcc
	s_cbranch_scc1 .LBB24_186
.LBB24_187:
	s_waitcnt lgkmcnt(0)
	v_cmp_eq_f32_e32 vcc, 0, v13
	s_and_saveexec_b64 s[0:1], vcc
	s_xor_b64 s[0:1], exec, s[0:1]
; %bb.188:
	v_cmp_ne_u32_e32 vcc, 0, v31
	s_nop 1
	v_cndmask_b32_e32 v31, 12, v31, vcc
; %bb.189:
	s_andn2_saveexec_b64 s[0:1], s[0:1]
	s_cbranch_execz .LBB24_191
; %bb.190:
	v_div_scale_f32 v25, s[2:3], v13, v13, 1.0
	v_rcp_f32_e32 v27, v25
	v_div_scale_f32 v28, vcc, 1.0, v13, 1.0
	v_fma_f32 v29, -v25, v27, 1.0
	v_fmac_f32_e32 v27, v29, v27
	v_mul_f32_e32 v29, v28, v27
	v_fma_f32 v30, -v25, v29, v28
	v_fmac_f32_e32 v29, v30, v27
	v_fma_f32 v25, -v25, v29, v28
	v_div_fmas_f32 v25, v25, v27, v29
	v_div_fixup_f32 v13, v25, v13, 1.0
.LBB24_191:
	s_or_b64 exec, exec, s[0:1]
	v_cmp_ne_u32_e32 vcc, v223, v26
	s_and_saveexec_b64 s[0:1], vcc
	s_xor_b64 s[0:1], exec, s[0:1]
	s_cbranch_execz .LBB24_197
; %bb.192:
	v_cmp_eq_u32_e32 vcc, 11, v223
	s_and_saveexec_b64 s[2:3], vcc
	s_cbranch_execz .LBB24_196
; %bb.193:
	v_cmp_ne_u32_e32 vcc, 11, v26
	s_xor_b64 s[18:19], s[16:17], -1
	s_and_b64 s[20:21], s[18:19], vcc
	s_and_saveexec_b64 s[18:19], s[20:21]
	s_cbranch_execz .LBB24_195
; %bb.194:
	v_ashrrev_i32_e32 v27, 31, v26
	v_lshl_add_u64 v[28:29], v[26:27], 2, v[216:217]
	global_load_dword v25, v[28:29], off
	global_load_dword v27, v[216:217], off offset:44
	s_waitcnt vmcnt(1)
	global_store_dword v[216:217], v25, off offset:44
	s_waitcnt vmcnt(1)
	global_store_dword v[28:29], v27, off
.LBB24_195:
	s_or_b64 exec, exec, s[18:19]
	v_mov_b32_e32 v222, v26
	v_mov_b32_e32 v223, v26
.LBB24_196:
	s_or_b64 exec, exec, s[2:3]
.LBB24_197:
	s_andn2_saveexec_b64 s[0:1], s[0:1]
; %bb.198:
	v_mov_b32_e32 v223, 11
	ds_write_b32 v220, v219 offset:48
; %bb.199:
	s_or_b64 exec, exec, s[0:1]
	v_cmp_lt_i32_e32 vcc, 11, v223
	s_waitcnt lgkmcnt(0)
	s_barrier
	s_and_saveexec_b64 s[0:1], vcc
	s_cbranch_execz .LBB24_201
; %bb.200:
	ds_read_b32 v0, v220 offset:48
	v_mul_f32_e32 v25, v218, v13
	s_waitcnt lgkmcnt(0)
	v_fma_f32 v26, -v25, v0, v219
	v_mov_b64_e32 v[0:1], v[14:15]
	v_mov_b64_e32 v[2:3], v[16:17]
	;; [unrolled: 1-line block ×7, first 2 shown]
	v_mov_b32_e32 v219, v26
	v_mov_b64_e32 v[14:15], v[28:29]
.LBB24_201:
	s_or_b64 exec, exec, s[0:1]
	v_lshl_add_u32 v13, v223, 2, v220
	s_barrier
	ds_write_b32 v13, v219
	s_waitcnt lgkmcnt(0)
	s_barrier
	ds_read_b32 v13, v220 offset:48
	s_cmp_lt_i32 s22, 14
	v_mov_b32_e32 v14, 12
	s_cbranch_scc1 .LBB24_204
; %bb.202:
	v_add3_u32 v15, v221, 0, 52
	v_mov_b32_e32 v14, 12
	s_mov_b32 s0, 13
.LBB24_203:                             ; =>This Inner Loop Header: Depth=1
	ds_read_b32 v16, v15
	v_mov_b32_e32 v17, s0
	s_add_i32 s0, s0, 1
	v_add_u32_e32 v15, 4, v15
	s_cmp_lg_u32 s22, s0
	s_waitcnt lgkmcnt(0)
	v_cmp_lt_f32_e64 vcc, |v13|, |v16|
	s_nop 1
	v_cndmask_b32_e32 v13, v13, v16, vcc
	v_cndmask_b32_e32 v14, v14, v17, vcc
	s_cbranch_scc1 .LBB24_203
.LBB24_204:
	s_waitcnt lgkmcnt(0)
	v_cmp_eq_f32_e32 vcc, 0, v13
	s_and_saveexec_b64 s[0:1], vcc
	s_xor_b64 s[0:1], exec, s[0:1]
; %bb.205:
	v_cmp_ne_u32_e32 vcc, 0, v31
	s_nop 1
	v_cndmask_b32_e32 v31, 13, v31, vcc
; %bb.206:
	s_andn2_saveexec_b64 s[0:1], s[0:1]
	s_cbranch_execz .LBB24_208
; %bb.207:
	v_div_scale_f32 v15, s[2:3], v13, v13, 1.0
	v_rcp_f32_e32 v16, v15
	v_div_scale_f32 v17, vcc, 1.0, v13, 1.0
	v_fma_f32 v18, -v15, v16, 1.0
	v_fmac_f32_e32 v16, v18, v16
	v_mul_f32_e32 v18, v17, v16
	v_fma_f32 v19, -v15, v18, v17
	v_fmac_f32_e32 v18, v19, v16
	v_fma_f32 v15, -v15, v18, v17
	v_div_fmas_f32 v15, v15, v16, v18
	v_div_fixup_f32 v13, v15, v13, 1.0
.LBB24_208:
	s_or_b64 exec, exec, s[0:1]
	v_cmp_ne_u32_e32 vcc, v223, v14
	v_mov_b32_e32 v16, 12
	s_and_saveexec_b64 s[0:1], vcc
	s_cbranch_execz .LBB24_214
; %bb.209:
	v_cmp_eq_u32_e32 vcc, 12, v223
	s_and_saveexec_b64 s[2:3], vcc
	s_cbranch_execz .LBB24_213
; %bb.210:
	v_cmp_ne_u32_e32 vcc, 12, v14
	s_xor_b64 s[16:17], s[16:17], -1
	s_and_b64 s[18:19], s[16:17], vcc
	s_and_saveexec_b64 s[16:17], s[18:19]
	s_cbranch_execz .LBB24_212
; %bb.211:
	v_ashrrev_i32_e32 v15, 31, v14
	v_lshl_add_u64 v[16:17], v[14:15], 2, v[216:217]
	global_load_dword v15, v[16:17], off
	global_load_dword v18, v[216:217], off offset:48
	s_waitcnt vmcnt(1)
	global_store_dword v[216:217], v15, off offset:48
	s_waitcnt vmcnt(1)
	global_store_dword v[16:17], v18, off
.LBB24_212:
	s_or_b64 exec, exec, s[16:17]
	v_mov_b32_e32 v222, v14
	v_mov_b32_e32 v223, v14
.LBB24_213:
	s_or_b64 exec, exec, s[2:3]
	v_mov_b32_e32 v16, v223
.LBB24_214:
	s_or_b64 exec, exec, s[0:1]
	v_cmp_gt_i32_e32 vcc, 13, v16
	v_ashrrev_i32_e32 v17, 31, v16
	s_barrier
	s_barrier
	s_and_saveexec_b64 s[0:1], vcc
	s_cbranch_execz .LBB24_216
; %bb.215:
	v_mul_lo_u32 v20, s11, v214
	v_mul_lo_u32 v21, s10, v215
	v_mad_u64_u32 v[18:19], s[2:3], s10, v214, 0
	v_mov_b32_e32 v14, s6
	v_mov_b32_e32 v15, s7
	v_add3_u32 v19, v19, v21, v20
	v_lshl_add_u64 v[14:15], v[18:19], 2, v[14:15]
	v_lshl_add_u64 v[14:15], s[8:9], 2, v[14:15]
	v_lshl_add_u64 v[14:15], v[16:17], 2, v[14:15]
	v_add3_u32 v18, v222, s15, 1
	global_store_dword v[14:15], v18, off
.LBB24_216:
	s_or_b64 exec, exec, s[0:1]
	v_cmp_eq_u32_e32 vcc, 0, v16
	s_and_saveexec_b64 s[2:3], vcc
	s_cbranch_execz .LBB24_219
; %bb.217:
	v_mov_b32_e32 v14, s4
	v_mov_b32_e32 v15, s5
	v_lshl_add_u64 v[14:15], v[214:215], 2, v[14:15]
	global_load_dword v18, v[14:15], off
	v_cmp_ne_u32_e64 s[0:1], 0, v31
	s_waitcnt vmcnt(0)
	v_cmp_eq_u32_e32 vcc, 0, v18
	s_and_b64 s[0:1], vcc, s[0:1]
	s_and_b64 exec, exec, s[0:1]
	s_cbranch_execz .LBB24_219
; %bb.218:
	v_add_u32_e32 v18, s15, v31
	global_store_dword v[14:15], v18, off
.LBB24_219:
	s_or_b64 exec, exec, s[2:3]
	v_mul_f32_e32 v13, v219, v13
	v_cmp_lt_i32_e32 vcc, 12, v16
	s_nop 1
	v_cndmask_b32_e32 v14, v12, v13, vcc
	v_lshl_add_u64 v[12:13], v[16:17], 2, v[212:213]
	global_store_dword v[12:13], v0, off
	v_lshl_add_u64 v[12:13], s[12:13], 2, v[12:13]
	v_add_u32_e32 v0, s14, v16
	global_store_dword v[12:13], v1, off
	v_ashrrev_i32_e32 v1, 31, v0
	v_lshl_add_u64 v[12:13], v[0:1], 2, v[212:213]
	v_add_u32_e32 v0, s12, v0
	v_ashrrev_i32_e32 v1, 31, v0
	global_store_dword v[12:13], v2, off
	v_lshl_add_u64 v[12:13], v[0:1], 2, v[212:213]
	v_add_u32_e32 v0, s12, v0
	v_ashrrev_i32_e32 v1, 31, v0
	global_store_dword v[12:13], v3, off
	;; [unrolled: 4-line block ×9, first 2 shown]
	v_lshl_add_u64 v[2:3], v[0:1], 2, v[212:213]
	v_add_u32_e32 v0, s12, v0
	v_ashrrev_i32_e32 v1, 31, v0
	v_lshl_add_u64 v[0:1], v[0:1], 2, v[212:213]
	global_store_dword v[2:3], v11, off
	global_store_dword v[0:1], v14, off
.LBB24_220:
	s_endpgm
	.section	.rodata,"a",@progbits
	.p2align	6, 0x0
	.amdhsa_kernel _ZN9rocsolver6v33100L18getf2_small_kernelILi13EfiiPfEEvT1_T3_lS3_lPS3_llPT2_S3_S3_S5_l
		.amdhsa_group_segment_fixed_size 0
		.amdhsa_private_segment_fixed_size 0
		.amdhsa_kernarg_size 352
		.amdhsa_user_sgpr_count 2
		.amdhsa_user_sgpr_dispatch_ptr 0
		.amdhsa_user_sgpr_queue_ptr 0
		.amdhsa_user_sgpr_kernarg_segment_ptr 1
		.amdhsa_user_sgpr_dispatch_id 0
		.amdhsa_user_sgpr_kernarg_preload_length 0
		.amdhsa_user_sgpr_kernarg_preload_offset 0
		.amdhsa_user_sgpr_private_segment_size 0
		.amdhsa_uses_dynamic_stack 0
		.amdhsa_enable_private_segment 0
		.amdhsa_system_sgpr_workgroup_id_x 1
		.amdhsa_system_sgpr_workgroup_id_y 1
		.amdhsa_system_sgpr_workgroup_id_z 0
		.amdhsa_system_sgpr_workgroup_info 0
		.amdhsa_system_vgpr_workitem_id 1
		.amdhsa_next_free_vgpr 224
		.amdhsa_next_free_sgpr 28
		.amdhsa_accum_offset 224
		.amdhsa_reserve_vcc 1
		.amdhsa_float_round_mode_32 0
		.amdhsa_float_round_mode_16_64 0
		.amdhsa_float_denorm_mode_32 3
		.amdhsa_float_denorm_mode_16_64 3
		.amdhsa_dx10_clamp 1
		.amdhsa_ieee_mode 1
		.amdhsa_fp16_overflow 0
		.amdhsa_tg_split 0
		.amdhsa_exception_fp_ieee_invalid_op 0
		.amdhsa_exception_fp_denorm_src 0
		.amdhsa_exception_fp_ieee_div_zero 0
		.amdhsa_exception_fp_ieee_overflow 0
		.amdhsa_exception_fp_ieee_underflow 0
		.amdhsa_exception_fp_ieee_inexact 0
		.amdhsa_exception_int_div_zero 0
	.end_amdhsa_kernel
	.section	.text._ZN9rocsolver6v33100L18getf2_small_kernelILi13EfiiPfEEvT1_T3_lS3_lPS3_llPT2_S3_S3_S5_l,"axG",@progbits,_ZN9rocsolver6v33100L18getf2_small_kernelILi13EfiiPfEEvT1_T3_lS3_lPS3_llPT2_S3_S3_S5_l,comdat
.Lfunc_end24:
	.size	_ZN9rocsolver6v33100L18getf2_small_kernelILi13EfiiPfEEvT1_T3_lS3_lPS3_llPT2_S3_S3_S5_l, .Lfunc_end24-_ZN9rocsolver6v33100L18getf2_small_kernelILi13EfiiPfEEvT1_T3_lS3_lPS3_llPT2_S3_S3_S5_l
                                        ; -- End function
	.set _ZN9rocsolver6v33100L18getf2_small_kernelILi13EfiiPfEEvT1_T3_lS3_lPS3_llPT2_S3_S3_S5_l.num_vgpr, 224
	.set _ZN9rocsolver6v33100L18getf2_small_kernelILi13EfiiPfEEvT1_T3_lS3_lPS3_llPT2_S3_S3_S5_l.num_agpr, 0
	.set _ZN9rocsolver6v33100L18getf2_small_kernelILi13EfiiPfEEvT1_T3_lS3_lPS3_llPT2_S3_S3_S5_l.numbered_sgpr, 28
	.set _ZN9rocsolver6v33100L18getf2_small_kernelILi13EfiiPfEEvT1_T3_lS3_lPS3_llPT2_S3_S3_S5_l.num_named_barrier, 0
	.set _ZN9rocsolver6v33100L18getf2_small_kernelILi13EfiiPfEEvT1_T3_lS3_lPS3_llPT2_S3_S3_S5_l.private_seg_size, 0
	.set _ZN9rocsolver6v33100L18getf2_small_kernelILi13EfiiPfEEvT1_T3_lS3_lPS3_llPT2_S3_S3_S5_l.uses_vcc, 1
	.set _ZN9rocsolver6v33100L18getf2_small_kernelILi13EfiiPfEEvT1_T3_lS3_lPS3_llPT2_S3_S3_S5_l.uses_flat_scratch, 0
	.set _ZN9rocsolver6v33100L18getf2_small_kernelILi13EfiiPfEEvT1_T3_lS3_lPS3_llPT2_S3_S3_S5_l.has_dyn_sized_stack, 0
	.set _ZN9rocsolver6v33100L18getf2_small_kernelILi13EfiiPfEEvT1_T3_lS3_lPS3_llPT2_S3_S3_S5_l.has_recursion, 0
	.set _ZN9rocsolver6v33100L18getf2_small_kernelILi13EfiiPfEEvT1_T3_lS3_lPS3_llPT2_S3_S3_S5_l.has_indirect_call, 0
	.section	.AMDGPU.csdata,"",@progbits
; Kernel info:
; codeLenInByte = 10704
; TotalNumSgprs: 34
; NumVgprs: 224
; NumAgprs: 0
; TotalNumVgprs: 224
; ScratchSize: 0
; MemoryBound: 0
; FloatMode: 240
; IeeeMode: 1
; LDSByteSize: 0 bytes/workgroup (compile time only)
; SGPRBlocks: 4
; VGPRBlocks: 27
; NumSGPRsForWavesPerEU: 34
; NumVGPRsForWavesPerEU: 224
; AccumOffset: 224
; Occupancy: 2
; WaveLimiterHint : 0
; COMPUTE_PGM_RSRC2:SCRATCH_EN: 0
; COMPUTE_PGM_RSRC2:USER_SGPR: 2
; COMPUTE_PGM_RSRC2:TRAP_HANDLER: 0
; COMPUTE_PGM_RSRC2:TGID_X_EN: 1
; COMPUTE_PGM_RSRC2:TGID_Y_EN: 1
; COMPUTE_PGM_RSRC2:TGID_Z_EN: 0
; COMPUTE_PGM_RSRC2:TIDIG_COMP_CNT: 1
; COMPUTE_PGM_RSRC3_GFX90A:ACCUM_OFFSET: 55
; COMPUTE_PGM_RSRC3_GFX90A:TG_SPLIT: 0
	.section	.text._ZN9rocsolver6v33100L23getf2_npvt_small_kernelILi13EfiiPfEEvT1_T3_lS3_lPT2_S3_S3_,"axG",@progbits,_ZN9rocsolver6v33100L23getf2_npvt_small_kernelILi13EfiiPfEEvT1_T3_lS3_lPT2_S3_S3_,comdat
	.globl	_ZN9rocsolver6v33100L23getf2_npvt_small_kernelILi13EfiiPfEEvT1_T3_lS3_lPT2_S3_S3_ ; -- Begin function _ZN9rocsolver6v33100L23getf2_npvt_small_kernelILi13EfiiPfEEvT1_T3_lS3_lPT2_S3_S3_
	.p2align	8
	.type	_ZN9rocsolver6v33100L23getf2_npvt_small_kernelILi13EfiiPfEEvT1_T3_lS3_lPT2_S3_S3_,@function
_ZN9rocsolver6v33100L23getf2_npvt_small_kernelILi13EfiiPfEEvT1_T3_lS3_lPT2_S3_S3_: ; @_ZN9rocsolver6v33100L23getf2_npvt_small_kernelILi13EfiiPfEEvT1_T3_lS3_lPT2_S3_S3_
; %bb.0:
	s_load_dword s2, s[0:1], 0x44
	s_load_dwordx2 s[24:25], s[0:1], 0x30
	v_bfe_u32 v1, v0, 10, 10
	s_waitcnt lgkmcnt(0)
	s_lshr_b32 s8, s2, 16
	s_mul_i32 s3, s3, s8
	v_add_u32_e32 v222, s3, v1
	v_cmp_gt_i32_e32 vcc, s24, v222
	s_and_saveexec_b64 s[2:3], vcc
	s_cbranch_execz .LBB25_70
; %bb.1:
	s_load_dwordx4 s[12:15], s[0:1], 0x8
	s_load_dword s2, s[0:1], 0x18
	s_load_dwordx4 s[4:7], s[0:1], 0x20
	v_ashrrev_i32_e32 v223, 31, v222
	v_and_b32_e32 v238, 0x3ff, v0
	s_waitcnt lgkmcnt(0)
	v_mov_b32_e32 v2, s12
	v_mov_b32_e32 v3, s13
	v_mul_lo_u32 v0, s5, v222
	v_mul_lo_u32 v6, s4, v223
	v_mad_u64_u32 v[4:5], s[0:1], s4, v222, 0
	v_add3_u32 v5, v5, v6, v0
	v_lshl_add_u64 v[2:3], v[4:5], 2, v[2:3]
	v_lshl_add_u64 v[2:3], s[14:15], 2, v[2:3]
	v_lshlrev_b32_e32 v4, 2, v238
	v_mov_b32_e32 v5, 0
	s_add_i32 s0, s2, s2
	v_lshl_add_u64 v[208:209], v[2:3], 0, v[4:5]
	v_add_u32_e32 v4, s0, v238
	v_ashrrev_i32_e32 v5, 31, v4
	v_lshl_add_u64 v[212:213], v[4:5], 2, v[2:3]
	v_add_u32_e32 v4, s2, v4
	v_ashrrev_i32_e32 v5, 31, v4
	v_lshl_add_u64 v[214:215], v[4:5], 2, v[2:3]
	v_add_u32_e32 v4, s2, v4
	v_ashrrev_i32_e32 v5, 31, v4
	v_lshl_add_u64 v[216:217], v[4:5], 2, v[2:3]
	v_add_u32_e32 v4, s2, v4
	v_ashrrev_i32_e32 v5, 31, v4
	v_lshl_add_u64 v[218:219], v[4:5], 2, v[2:3]
	v_add_u32_e32 v4, s2, v4
	v_add_u32_e32 v12, s2, v4
	v_ashrrev_i32_e32 v13, 31, v12
	v_lshl_add_u64 v[224:225], v[12:13], 2, v[2:3]
	v_add_u32_e32 v12, s2, v12
	v_ashrrev_i32_e32 v13, 31, v12
	v_lshl_add_u64 v[226:227], v[12:13], 2, v[2:3]
	;; [unrolled: 3-line block ×3, first 2 shown]
	v_add_u32_e32 v12, s2, v12
	v_ashrrev_i32_e32 v13, 31, v12
	s_ashr_i32 s3, s2, 31
	v_ashrrev_i32_e32 v5, 31, v4
	v_lshl_add_u64 v[230:231], v[12:13], 2, v[2:3]
	v_add_u32_e32 v12, s2, v12
	v_lshl_add_u64 v[210:211], s[2:3], 2, v[208:209]
	v_lshl_add_u64 v[220:221], v[4:5], 2, v[2:3]
	global_load_dword v0, v[208:209], off
	global_load_dword v10, v[210:211], off
	;; [unrolled: 1-line block ×8, first 2 shown]
	v_ashrrev_i32_e32 v13, 31, v12
	v_lshl_add_u64 v[232:233], v[12:13], 2, v[2:3]
	v_add_u32_e32 v12, s2, v12
	v_ashrrev_i32_e32 v13, 31, v12
	v_lshl_add_u64 v[234:235], v[12:13], 2, v[2:3]
	global_load_dword v9, v[226:227], off
	global_load_dword v12, v[228:229], off
	;; [unrolled: 1-line block ×5, first 2 shown]
	s_mul_i32 s8, s8, 52
	s_add_i32 s0, s8, 0
	v_mad_u32_u24 v241, v1, 52, 0
	v_lshl_add_u32 v240, v1, 2, s0
	v_cmp_ne_u32_e64 s[2:3], 0, v238
	v_cmp_eq_u32_e64 s[0:1], 0, v238
	s_and_saveexec_b64 s[4:5], s[0:1]
	s_cbranch_execz .LBB25_4
; %bb.2:
	s_waitcnt vmcnt(12)
	ds_write_b32 v240, v0
	s_waitcnt vmcnt(10)
	ds_write2_b32 v241, v10, v11 offset0:1 offset1:2
	s_waitcnt vmcnt(8)
	ds_write2_b32 v241, v4, v5 offset0:3 offset1:4
	;; [unrolled: 2-line block ×6, first 2 shown]
	ds_read_b32 v1, v240
	s_waitcnt lgkmcnt(0)
	v_cmp_neq_f32_e32 vcc, 0, v1
	s_and_b64 exec, exec, vcc
	s_cbranch_execz .LBB25_4
; %bb.3:
	v_div_scale_f32 v2, s[8:9], v1, v1, 1.0
	v_rcp_f32_e32 v3, v2
	v_div_scale_f32 v14, vcc, 1.0, v1, 1.0
	v_fma_f32 v15, -v2, v3, 1.0
	v_fmac_f32_e32 v3, v15, v3
	v_mul_f32_e32 v15, v14, v3
	v_fma_f32 v16, -v2, v15, v14
	v_fmac_f32_e32 v15, v16, v3
	v_fma_f32 v2, -v2, v15, v14
	v_div_fmas_f32 v2, v2, v3, v15
	v_div_fixup_f32 v1, v2, v1, 1.0
	ds_write_b32 v240, v1
.LBB25_4:
	s_or_b64 exec, exec, s[4:5]
	s_waitcnt lgkmcnt(0)
	s_barrier
	ds_read_b32 v239, v240
                                        ; implicit-def: $vgpr46
                                        ; implicit-def: $vgpr107
                                        ; implicit-def: $vgpr96
                                        ; implicit-def: $vgpr14
                                        ; implicit-def: $vgpr133
                                        ; implicit-def: $vgpr114
                                        ; implicit-def: $vgpr157
                                        ; implicit-def: $vgpr150
                                        ; implicit-def: $vgpr175
	s_and_saveexec_b64 s[4:5], s[2:3]
	s_xor_b64 s[2:3], exec, s[4:5]
	s_cbranch_execz .LBB25_6
; %bb.5:
	ds_read2_b32 v[2:3], v241 offset0:1 offset1:2
	s_waitcnt vmcnt(12) lgkmcnt(1)
	v_mul_f32_e32 v0, v0, v239
	ds_read2_b32 v[16:17], v241 offset0:3 offset1:4
	ds_read2_b32 v[18:19], v241 offset0:5 offset1:6
	;; [unrolled: 1-line block ×3, first 2 shown]
	s_waitcnt vmcnt(8) lgkmcnt(2)
	v_pk_fma_f32 v[16:17], v[0:1], v[16:17], v[4:5] op_sel_hi:[0,1,1] neg_lo:[1,0,0] neg_hi:[1,0,0]
	v_pk_fma_f32 v[14:15], v[0:1], v[2:3], v[10:11] op_sel_hi:[0,1,1] neg_lo:[1,0,0] neg_hi:[1,0,0]
	ds_read2_b32 v[2:3], v241 offset0:9 offset1:10
	ds_read2_b32 v[10:11], v241 offset0:11 offset1:12
	s_waitcnt vmcnt(6) lgkmcnt(3)
	v_pk_fma_f32 v[18:19], v[0:1], v[18:19], v[6:7] op_sel_hi:[0,1,1] neg_lo:[1,0,0] neg_hi:[1,0,0]
	s_waitcnt vmcnt(4) lgkmcnt(2)
	v_pk_fma_f32 v[20:21], v[0:1], v[20:21], v[8:9] op_sel_hi:[0,1,1] neg_lo:[1,0,0] neg_hi:[1,0,0]
                                        ; implicit-def: $vgpr4
                                        ; implicit-def: $vgpr6
                                        ; implicit-def: $vgpr8
	v_mov_b32_e32 v96, v21
	s_waitcnt vmcnt(2) lgkmcnt(1)
	v_pk_fma_f32 v[22:23], v[0:1], v[2:3], v[12:13] op_sel_hi:[0,1,1] neg_lo:[1,0,0] neg_hi:[1,0,0]
	s_waitcnt vmcnt(0) lgkmcnt(0)
	v_pk_fma_f32 v[236:237], v[0:1], v[10:11], v[236:237] op_sel_hi:[0,1,1] neg_lo:[1,0,0] neg_hi:[1,0,0]
	v_mov_b32_e32 v46, v23
	v_mov_b32_e32 v2, v15
                                        ; implicit-def: $vgpr10
                                        ; implicit-def: $vgpr12
	v_mov_b32_e32 v107, v22
	v_mov_b32_e32 v133, v20
	;; [unrolled: 1-line block ×6, first 2 shown]
.LBB25_6:
	s_or_saveexec_b64 s[2:3], s[2:3]
	v_mov_b32_e32 v1, v14
	s_xor_b64 exec, exec, s[2:3]
	s_cbranch_execz .LBB25_8
; %bb.7:
	s_waitcnt vmcnt(11)
	v_mov_b32_e32 v1, v10
	s_waitcnt vmcnt(10)
	v_mov_b32_e32 v2, v11
	;; [unrolled: 2-line block ×10, first 2 shown]
.LBB25_8:
	s_or_b64 exec, exec, s[2:3]
	v_mov_b32_e32 v3, v175
	s_waitcnt vmcnt(9)
	v_mov_b32_e32 v4, v150
	s_waitcnt vmcnt(8)
	;; [unrolled: 2-line block ×6, first 2 shown]
	v_mov_b32_e32 v9, v107
	v_mov_b32_e32 v10, v46
	s_waitcnt vmcnt(1)
	v_mov_b32_e32 v11, v236
	s_waitcnt vmcnt(0)
	v_mov_b32_e32 v12, v237
	v_cmp_eq_u32_e32 vcc, 1, v238
	s_waitcnt lgkmcnt(0)
	s_barrier
	s_and_saveexec_b64 s[2:3], vcc
	s_cbranch_execz .LBB25_11
; %bb.9:
	ds_write_b32 v240, v1
	ds_write2_b32 v241, v2, v175 offset0:2 offset1:3
	ds_write2_b32 v241, v150, v157 offset0:4 offset1:5
	;; [unrolled: 1-line block ×5, first 2 shown]
	ds_write_b32 v241, v237 offset:48
	ds_read_b32 v13, v240
	s_waitcnt lgkmcnt(0)
	v_cmp_neq_f32_e32 vcc, 0, v13
	s_and_b64 exec, exec, vcc
	s_cbranch_execz .LBB25_11
; %bb.10:
	v_div_scale_f32 v14, s[4:5], v13, v13, 1.0
	v_rcp_f32_e32 v15, v14
	v_div_scale_f32 v16, vcc, 1.0, v13, 1.0
	v_fma_f32 v17, -v14, v15, 1.0
	v_fmac_f32_e32 v15, v17, v15
	v_mul_f32_e32 v17, v16, v15
	v_fma_f32 v18, -v14, v17, v16
	v_fmac_f32_e32 v17, v18, v15
	v_fma_f32 v14, -v14, v17, v16
	v_div_fmas_f32 v14, v14, v15, v17
	v_div_fixup_f32 v13, v14, v13, 1.0
	ds_write_b32 v240, v13
.LBB25_11:
	s_or_b64 exec, exec, s[2:3]
	v_mov_b32_e32 v36, v0
	v_mov_b32_e32 v37, v1
	;; [unrolled: 1-line block ×12, first 2 shown]
	v_mov_b64_e32 v[14:15], v[36:37]
	v_mov_b32_e32 v108, v0
	v_mov_b32_e32 v109, v1
	;; [unrolled: 1-line block ×16, first 2 shown]
	v_mov_b64_e32 v[16:17], v[38:39]
	v_mov_b64_e32 v[18:19], v[40:41]
	;; [unrolled: 1-line block ×8, first 2 shown]
	v_mov_b32_e32 v146, v0
	v_mov_b32_e32 v147, v1
	;; [unrolled: 1-line block ×15, first 2 shown]
	s_waitcnt lgkmcnt(0)
	s_barrier
	ds_read_b32 v242, v240
	v_mov_b64_e32 v[32:33], v[90:91]
	v_mov_b64_e32 v[34:35], v[92:93]
	;; [unrolled: 1-line block ×9, first 2 shown]
	v_mov_b32_e32 v172, v0
	v_mov_b32_e32 v173, v1
	v_mov_b32_e32 v154, v2
	v_mov_b32_e32 v155, v175
	v_mov_b32_e32 v156, v150
	v_mov_b64_e32 v[82:83], v[128:129]
	v_mov_b64_e32 v[84:85], v[130:131]
	v_mov_b64_e32 v[86:87], v[132:133]
	v_mov_b64_e32 v[88:89], v[134:135]
	v_mov_b64_e32 v[90:91], v[136:137]
	v_mov_b64_e32 v[92:93], v[138:139]
	v_mov_b64_e32 v[94:95], v[140:141]
	v_mov_b64_e32 v[66:67], v[110:111]
	v_mov_b64_e32 v[68:69], v[112:113]
	v_mov_b64_e32 v[70:71], v[114:115]
	v_mov_b64_e32 v[72:73], v[116:117]
	v_mov_b64_e32 v[74:75], v[118:119]
	v_mov_b64_e32 v[76:77], v[120:121]
	v_mov_b64_e32 v[78:79], v[122:123]
	v_mov_b64_e32 v[116:117], v[152:153]
	v_mov_b64_e32 v[134:135], v[146:147]
	v_mov_b32_e32 v174, v2
	v_mov_b64_e32 v[118:119], v[154:155]
	v_mov_b64_e32 v[120:121], v[156:157]
	;; [unrolled: 1-line block ×15, first 2 shown]
	v_mov_b32_e32 v104, v114
	v_mov_b32_e32 v105, v133
	;; [unrolled: 1-line block ×3, first 2 shown]
	v_mov_b64_e32 v[48:49], v[98:99]
	v_mov_b64_e32 v[160:161], v[174:175]
	;; [unrolled: 1-line block ×10, first 2 shown]
	v_cmp_lt_u32_e32 vcc, 1, v238
	v_mov_b64_e32 v[50:51], v[100:101]
	v_mov_b64_e32 v[52:53], v[102:103]
	;; [unrolled: 1-line block ×21, first 2 shown]
	s_and_saveexec_b64 s[2:3], vcc
	s_cbranch_execz .LBB25_13
; %bb.12:
	ds_read2_b32 v[4:5], v241 offset0:2 offset1:3
	s_waitcnt lgkmcnt(1)
	v_mul_f32_e32 v12, v1, v242
	v_mov_b32_e32 v3, v175
	ds_read2_b32 v[6:7], v241 offset0:4 offset1:5
	ds_read2_b32 v[8:9], v241 offset0:6 offset1:7
	;; [unrolled: 1-line block ×3, first 2 shown]
	v_mov_b32_e32 v151, v157
	s_waitcnt lgkmcnt(3)
	v_pk_fma_f32 v[2:3], v[12:13], v[4:5], v[2:3] op_sel_hi:[0,1,1] neg_lo:[1,0,0] neg_hi:[1,0,0]
	ds_read2_b32 v[4:5], v241 offset0:10 offset1:11
	ds_read_b32 v1, v241 offset:48
	s_waitcnt lgkmcnt(4)
	v_pk_fma_f32 v[150:151], v[12:13], v[6:7], v[150:151] op_sel_hi:[0,1,1] neg_lo:[1,0,0] neg_hi:[1,0,0]
	v_mov_b32_e32 v47, v236
	v_mov_b32_e32 v115, v133
	s_waitcnt lgkmcnt(1)
	v_pk_fma_f32 v[46:47], v[12:13], v[4:5], v[46:47] op_sel_hi:[0,1,1] neg_lo:[1,0,0] neg_hi:[1,0,0]
	s_waitcnt lgkmcnt(0)
	v_fma_f32 v237, -v12, v1, v237
	v_mov_b32_e32 v1, v12
	v_mov_b64_e32 v[206:207], v[14:15]
	v_mov_b64_e32 v[190:191], v[14:15]
	;; [unrolled: 1-line block ×24, first 2 shown]
	v_mov_b32_e32 v4, v150
	v_mov_b64_e32 v[148:149], v[14:15]
	v_pk_fma_f32 v[114:115], v[12:13], v[8:9], v[114:115] op_sel_hi:[0,1,1] neg_lo:[1,0,0] neg_hi:[1,0,0]
	v_mov_b64_e32 v[146:147], v[12:13]
	v_mov_b64_e32 v[144:145], v[10:11]
	;; [unrolled: 1-line block ×7, first 2 shown]
	v_mov_b32_e32 v5, v151
	v_mov_b64_e32 v[130:131], v[14:15]
	v_mov_b32_e32 v97, v107
	v_mov_b64_e32 v[128:129], v[12:13]
	v_mov_b64_e32 v[126:127], v[10:11]
	;; [unrolled: 1-line block ×7, first 2 shown]
	v_mov_b32_e32 v6, v114
	v_mov_b64_e32 v[78:79], v[14:15]
	v_pk_fma_f32 v[96:97], v[12:13], v[10:11], v[96:97] op_sel_hi:[0,1,1] neg_lo:[1,0,0] neg_hi:[1,0,0]
	v_mov_b64_e32 v[76:77], v[12:13]
	v_mov_b64_e32 v[74:75], v[10:11]
	v_mov_b64_e32 v[72:73], v[8:9]
	v_mov_b64_e32 v[70:71], v[6:7]
	v_mov_b64_e32 v[68:69], v[4:5]
	v_mov_b64_e32 v[66:67], v[2:3]
	v_mov_b64_e32 v[64:65], v[0:1]
	v_mov_b32_e32 v7, v115
	v_mov_b64_e32 v[94:95], v[14:15]
	v_mov_b64_e32 v[92:93], v[12:13]
	v_mov_b64_e32 v[90:91], v[10:11]
	v_mov_b64_e32 v[88:89], v[8:9]
	v_mov_b64_e32 v[86:87], v[6:7]
	v_mov_b64_e32 v[84:85], v[4:5]
	v_mov_b64_e32 v[82:83], v[2:3]
	v_mov_b64_e32 v[80:81], v[0:1]
	v_mov_b32_e32 v8, v96
	v_mov_b64_e32 v[44:45], v[14:15]
	;; [unrolled: 9-line block ×4, first 2 shown]
	v_mov_b64_e32 v[26:27], v[12:13]
	v_mov_b64_e32 v[24:25], v[10:11]
	v_mov_b64_e32 v[22:23], v[8:9]
	v_mov_b64_e32 v[20:21], v[6:7]
	v_mov_b64_e32 v[18:19], v[4:5]
	v_mov_b64_e32 v[16:17], v[2:3]
	v_mov_b64_e32 v[14:15], v[0:1]
	v_mov_b32_e32 v11, v47
	v_mov_b32_e32 v12, v237
	;; [unrolled: 1-line block ×7, first 2 shown]
.LBB25_13:
	s_or_b64 exec, exec, s[2:3]
	v_cmp_eq_u32_e32 vcc, 2, v238
	s_waitcnt lgkmcnt(0)
	s_barrier
	s_and_saveexec_b64 s[2:3], vcc
	s_cbranch_execz .LBB25_16
; %bb.14:
	ds_write_b32 v240, v2
	ds_write2_b32 v241, v3, v4 offset0:3 offset1:4
	ds_write2_b32 v241, v5, v6 offset0:5 offset1:6
	;; [unrolled: 1-line block ×5, first 2 shown]
	ds_read_b32 v13, v240
	s_waitcnt lgkmcnt(0)
	v_cmp_neq_f32_e32 vcc, 0, v13
	s_and_b64 exec, exec, vcc
	s_cbranch_execz .LBB25_16
; %bb.15:
	v_div_scale_f32 v25, s[4:5], v13, v13, 1.0
	v_rcp_f32_e32 v26, v25
	v_div_scale_f32 v27, vcc, 1.0, v13, 1.0
	v_fma_f32 v28, -v25, v26, 1.0
	v_fmac_f32_e32 v26, v28, v26
	v_mul_f32_e32 v28, v27, v26
	v_fma_f32 v29, -v25, v28, v27
	v_fmac_f32_e32 v28, v29, v26
	v_fma_f32 v25, -v25, v28, v27
	v_div_fmas_f32 v25, v25, v26, v28
	v_div_fixup_f32 v13, v25, v13, 1.0
	ds_write_b32 v240, v13
.LBB25_16:
	s_or_b64 exec, exec, s[2:3]
	s_waitcnt lgkmcnt(0)
	s_barrier
	ds_read_b32 v47, v240
	v_cmp_lt_u32_e32 vcc, 2, v238
	s_and_saveexec_b64 s[2:3], vcc
	s_cbranch_execz .LBB25_18
; %bb.17:
	ds_read2_b32 v[0:1], v241 offset0:3 offset1:4
	s_waitcnt lgkmcnt(1)
	v_mul_f32_e32 v194, v2, v47
	v_mov_b32_e32 v2, v3
	v_mov_b32_e32 v3, v4
	ds_read2_b32 v[14:15], v241 offset0:5 offset1:6
	ds_read2_b32 v[16:17], v241 offset0:7 offset1:8
	;; [unrolled: 1-line block ×3, first 2 shown]
	s_waitcnt lgkmcnt(3)
	v_pk_fma_f32 v[26:27], v[194:195], v[0:1], v[2:3] op_sel_hi:[0,1,1] neg_lo:[1,0,0] neg_hi:[1,0,0]
	ds_read2_b32 v[2:3], v241 offset0:11 offset1:12
	v_mov_b32_e32 v0, v5
	v_mov_b32_e32 v1, v6
	s_waitcnt lgkmcnt(3)
	v_pk_fma_f32 v[28:29], v[194:195], v[14:15], v[0:1] op_sel_hi:[0,1,1] neg_lo:[1,0,0] neg_hi:[1,0,0]
	v_mov_b32_e32 v0, v7
	v_mov_b32_e32 v1, v8
	s_waitcnt lgkmcnt(2)
	v_pk_fma_f32 v[40:41], v[194:195], v[16:17], v[0:1] op_sel_hi:[0,1,1] neg_lo:[1,0,0] neg_hi:[1,0,0]
	;; [unrolled: 4-line block ×4, first 2 shown]
	v_mov_b32_e32 v195, v26
	v_mov_b64_e32 v[158:159], v[192:193]
	v_mov_b64_e32 v[176:177], v[192:193]
	v_mov_b32_e32 v134, v192
	v_mov_b32_e32 v135, v193
	;; [unrolled: 1-line block ×69, first 2 shown]
	v_mov_b64_e32 v[160:161], v[194:195]
	v_mov_b64_e32 v[178:179], v[194:195]
	v_mov_b32_e32 v175, v26
	v_mov_b32_e32 v150, v27
	;; [unrolled: 1-line block ×8, first 2 shown]
	v_mov_b64_e32 v[162:163], v[196:197]
	v_mov_b64_e32 v[164:165], v[198:199]
	;; [unrolled: 1-line block ×12, first 2 shown]
.LBB25_18:
	s_or_b64 exec, exec, s[2:3]
	v_cmp_eq_u32_e32 vcc, 3, v238
	s_waitcnt lgkmcnt(0)
	s_barrier
	s_and_saveexec_b64 s[2:3], vcc
	s_cbranch_execz .LBB25_21
; %bb.19:
	ds_write_b32 v240, v175
	ds_write2_b32 v241, v4, v5 offset0:4 offset1:5
	ds_write2_b32 v241, v6, v7 offset0:6 offset1:7
	;; [unrolled: 1-line block ×4, first 2 shown]
	ds_write_b32 v241, v237 offset:48
	ds_read_b32 v13, v240
	s_waitcnt lgkmcnt(0)
	v_cmp_neq_f32_e32 vcc, 0, v13
	s_and_b64 exec, exec, vcc
	s_cbranch_execz .LBB25_21
; %bb.20:
	v_div_scale_f32 v25, s[4:5], v13, v13, 1.0
	v_rcp_f32_e32 v26, v25
	v_div_scale_f32 v27, vcc, 1.0, v13, 1.0
	v_fma_f32 v28, -v25, v26, 1.0
	v_fmac_f32_e32 v26, v28, v26
	v_mul_f32_e32 v28, v27, v26
	v_fma_f32 v29, -v25, v28, v27
	v_fmac_f32_e32 v28, v29, v26
	v_fma_f32 v25, -v25, v28, v27
	v_div_fmas_f32 v25, v25, v26, v28
	v_div_fixup_f32 v13, v25, v13, 1.0
	ds_write_b32 v240, v13
.LBB25_21:
	s_or_b64 exec, exec, s[2:3]
	s_waitcnt lgkmcnt(0)
	s_barrier
	ds_read_b32 v97, v240
	v_cmp_lt_u32_e32 vcc, 3, v238
	s_and_saveexec_b64 s[2:3], vcc
	s_cbranch_execz .LBB25_23
; %bb.22:
	ds_read2_b32 v[0:1], v241 offset0:4 offset1:5
	ds_read2_b32 v[2:3], v241 offset0:6 offset1:7
	;; [unrolled: 1-line block ×4, first 2 shown]
	ds_read_b32 v16, v241 offset:48
	s_waitcnt lgkmcnt(5)
	v_mul_f32_e32 v26, v175, v97
	s_waitcnt lgkmcnt(4)
	v_pk_fma_f32 v[138:139], v[26:27], v[0:1], v[4:5] op_sel_hi:[0,1,1] neg_lo:[1,0,0] neg_hi:[1,0,0]
	s_waitcnt lgkmcnt(3)
	v_pk_fma_f32 v[70:71], v[26:27], v[2:3], v[6:7] op_sel_hi:[0,1,1] neg_lo:[1,0,0] neg_hi:[1,0,0]
	;; [unrolled: 2-line block ×4, first 2 shown]
	s_waitcnt lgkmcnt(0)
	v_fma_f32 v12, -v26, v16, v237
	v_mov_b32_e32 v179, v26
	v_mov_b64_e32 v[158:159], v[176:177]
	v_mov_b32_e32 v134, v176
	v_mov_b32_e32 v135, v177
	;; [unrolled: 1-line block ×64, first 2 shown]
	v_mov_b64_e32 v[160:161], v[178:179]
	v_mov_b32_e32 v150, v138
	v_mov_b32_e32 v236, v25
	;; [unrolled: 1-line block ×9, first 2 shown]
	v_mov_b64_e32 v[162:163], v[180:181]
	v_mov_b64_e32 v[164:165], v[182:183]
	;; [unrolled: 1-line block ×6, first 2 shown]
.LBB25_23:
	s_or_b64 exec, exec, s[2:3]
	v_cmp_eq_u32_e32 vcc, 4, v238
	s_waitcnt lgkmcnt(0)
	s_barrier
	s_and_saveexec_b64 s[2:3], vcc
	s_cbranch_execz .LBB25_26
; %bb.24:
	ds_write_b32 v240, v150
	ds_write2_b32 v241, v5, v6 offset0:5 offset1:6
	ds_write2_b32 v241, v7, v8 offset0:7 offset1:8
	;; [unrolled: 1-line block ×4, first 2 shown]
	ds_read_b32 v13, v240
	s_waitcnt lgkmcnt(0)
	v_cmp_neq_f32_e32 vcc, 0, v13
	s_and_b64 exec, exec, vcc
	s_cbranch_execz .LBB25_26
; %bb.25:
	v_div_scale_f32 v25, s[4:5], v13, v13, 1.0
	v_rcp_f32_e32 v26, v25
	v_div_scale_f32 v27, vcc, 1.0, v13, 1.0
	v_fma_f32 v28, -v25, v26, 1.0
	v_fmac_f32_e32 v26, v28, v26
	v_mul_f32_e32 v28, v27, v26
	v_fma_f32 v29, -v25, v28, v27
	v_fmac_f32_e32 v28, v29, v26
	v_fma_f32 v25, -v25, v28, v27
	v_div_fmas_f32 v25, v25, v26, v28
	v_div_fixup_f32 v13, v25, v13, 1.0
	ds_write_b32 v240, v13
.LBB25_26:
	s_or_b64 exec, exec, s[2:3]
	s_waitcnt lgkmcnt(0)
	s_barrier
	ds_read_b32 v98, v240
	v_cmp_lt_u32_e32 vcc, 4, v238
	s_and_saveexec_b64 s[2:3], vcc
	s_cbranch_execz .LBB25_28
; %bb.27:
	ds_read2_b32 v[0:1], v241 offset0:5 offset1:6
	v_mov_b32_e32 v2, v5
	ds_read2_b32 v[4:5], v241 offset0:7 offset1:8
	ds_read2_b32 v[14:15], v241 offset0:9 offset1:10
	;; [unrolled: 1-line block ×3, first 2 shown]
	s_waitcnt lgkmcnt(4)
	v_mul_f32_e32 v162, v150, v98
	v_mov_b32_e32 v3, v6
	s_waitcnt lgkmcnt(3)
	v_pk_fma_f32 v[26:27], v[162:163], v[0:1], v[2:3] op_sel_hi:[0,1,1] neg_lo:[1,0,0] neg_hi:[1,0,0]
	v_mov_b32_e32 v0, v7
	v_mov_b32_e32 v1, v8
	s_waitcnt lgkmcnt(2)
	v_pk_fma_f32 v[28:29], v[162:163], v[4:5], v[0:1] op_sel_hi:[0,1,1] neg_lo:[1,0,0] neg_hi:[1,0,0]
	v_mov_b32_e32 v0, v9
	;; [unrolled: 4-line block ×4, first 2 shown]
	v_mov_b64_e32 v[116:117], v[158:159]
	v_mov_b64_e32 v[134:135], v[158:159]
	v_mov_b32_e32 v64, v158
	v_mov_b32_e32 v65, v159
	v_mov_b32_e32 v66, v160
	v_mov_b32_e32 v67, v161
	v_mov_b32_e32 v68, v162
	v_mov_b32_e32 v69, v26
	v_mov_b32_e32 v70, v27
	v_mov_b32_e32 v80, v158
	v_mov_b32_e32 v81, v159
	v_mov_b32_e32 v82, v160
	v_mov_b32_e32 v83, v161
	v_mov_b32_e32 v84, v162
	v_mov_b32_e32 v85, v26
	v_mov_b32_e32 v86, v27
	v_mov_b32_e32 v87, v28
	v_mov_b32_e32 v30, v158
	v_mov_b32_e32 v31, v159
	v_mov_b32_e32 v32, v160
	v_mov_b32_e32 v33, v161
	v_mov_b32_e32 v34, v162
	v_mov_b32_e32 v35, v26
	v_mov_b32_e32 v36, v27
	v_mov_b32_e32 v37, v28
	v_mov_b32_e32 v38, v29
	v_mov_b32_e32 v48, v158
	v_mov_b32_e32 v49, v159
	v_mov_b32_e32 v50, v160
	v_mov_b32_e32 v51, v161
	v_mov_b32_e32 v52, v162
	v_mov_b32_e32 v53, v26
	v_mov_b32_e32 v54, v27
	v_mov_b32_e32 v55, v28
	v_mov_b32_e32 v56, v29
	v_mov_b32_e32 v57, v40
	v_mov_b32_e32 v14, v158
	v_mov_b32_e32 v15, v159
	v_mov_b32_e32 v16, v160
	v_mov_b32_e32 v17, v161
	v_mov_b32_e32 v18, v162
	v_mov_b32_e32 v19, v26
	v_mov_b32_e32 v20, v27
	v_mov_b32_e32 v21, v28
	v_mov_b32_e32 v22, v29
	v_mov_b32_e32 v23, v40
	v_mov_b32_e32 v24, v41
	v_mov_b32_e32 v0, v158
	v_mov_b32_e32 v1, v159
	v_mov_b32_e32 v2, v160
	v_mov_b32_e32 v3, v161
	v_mov_b32_e32 v4, v162
	v_mov_b32_e32 v5, v26
	v_mov_b32_e32 v6, v27
	v_mov_b32_e32 v7, v28
	v_mov_b32_e32 v8, v29
	v_mov_b32_e32 v9, v40
	v_mov_b32_e32 v10, v41
	v_mov_b32_e32 v11, v236
	v_mov_b32_e32 v12, v237
	v_mov_b64_e32 v[118:119], v[160:161]
	v_mov_b64_e32 v[120:121], v[162:163]
	;; [unrolled: 1-line block ×4, first 2 shown]
	v_mov_b32_e32 v157, v26
	v_mov_b32_e32 v114, v27
	;; [unrolled: 1-line block ×6, first 2 shown]
	v_mov_b64_e32 v[122:123], v[164:165]
	v_mov_b64_e32 v[124:125], v[166:167]
	;; [unrolled: 1-line block ×10, first 2 shown]
.LBB25_28:
	s_or_b64 exec, exec, s[2:3]
	v_cmp_eq_u32_e32 vcc, 5, v238
	s_waitcnt lgkmcnt(0)
	s_barrier
	s_and_saveexec_b64 s[2:3], vcc
	s_cbranch_execz .LBB25_31
; %bb.29:
	ds_write_b32 v240, v157
	ds_write2_b32 v241, v6, v7 offset0:6 offset1:7
	ds_write2_b32 v241, v8, v9 offset0:8 offset1:9
	;; [unrolled: 1-line block ×3, first 2 shown]
	ds_write_b32 v241, v237 offset:48
	ds_read_b32 v13, v240
	s_waitcnt lgkmcnt(0)
	v_cmp_neq_f32_e32 vcc, 0, v13
	s_and_b64 exec, exec, vcc
	s_cbranch_execz .LBB25_31
; %bb.30:
	v_div_scale_f32 v25, s[4:5], v13, v13, 1.0
	v_rcp_f32_e32 v26, v25
	v_div_scale_f32 v27, vcc, 1.0, v13, 1.0
	v_fma_f32 v28, -v25, v26, 1.0
	v_fmac_f32_e32 v26, v28, v26
	v_mul_f32_e32 v28, v27, v26
	v_fma_f32 v29, -v25, v28, v27
	v_fmac_f32_e32 v28, v29, v26
	v_fma_f32 v25, -v25, v28, v27
	v_div_fmas_f32 v25, v25, v26, v28
	v_div_fixup_f32 v13, v25, v13, 1.0
	ds_write_b32 v240, v13
.LBB25_31:
	s_or_b64 exec, exec, s[2:3]
	s_waitcnt lgkmcnt(0)
	s_barrier
	ds_read_b32 v99, v240
	v_cmp_lt_u32_e32 vcc, 5, v238
	s_and_saveexec_b64 s[2:3], vcc
	s_cbranch_execz .LBB25_33
; %bb.32:
	ds_read2_b32 v[0:1], v241 offset0:6 offset1:7
	ds_read2_b32 v[2:3], v241 offset0:8 offset1:9
	;; [unrolled: 1-line block ×3, first 2 shown]
	ds_read_b32 v12, v241 offset:48
	s_waitcnt lgkmcnt(4)
	v_mul_f32_e32 v26, v157, v99
	s_waitcnt lgkmcnt(3)
	v_pk_fma_f32 v[70:71], v[26:27], v[0:1], v[6:7] op_sel_hi:[0,1,1] neg_lo:[1,0,0] neg_hi:[1,0,0]
	s_waitcnt lgkmcnt(2)
	v_pk_fma_f32 v[38:39], v[26:27], v[2:3], v[8:9] op_sel_hi:[0,1,1] neg_lo:[1,0,0] neg_hi:[1,0,0]
	;; [unrolled: 2-line block ×3, first 2 shown]
	s_waitcnt lgkmcnt(0)
	v_fma_f32 v12, -v26, v12, v237
	v_mov_b32_e32 v139, v26
	v_mov_b64_e32 v[116:117], v[134:135]
	v_mov_b32_e32 v64, v134
	v_mov_b32_e32 v65, v135
	;; [unrolled: 1-line block ×54, first 2 shown]
	v_mov_b64_e32 v[118:119], v[136:137]
	v_mov_b64_e32 v[120:121], v[138:139]
	v_mov_b32_e32 v114, v70
	v_mov_b32_e32 v133, v71
	;; [unrolled: 1-line block ×7, first 2 shown]
	v_mov_b64_e32 v[122:123], v[140:141]
	v_mov_b64_e32 v[124:125], v[142:143]
	;; [unrolled: 1-line block ×5, first 2 shown]
.LBB25_33:
	s_or_b64 exec, exec, s[2:3]
	v_cmp_eq_u32_e32 vcc, 6, v238
	s_waitcnt lgkmcnt(0)
	s_barrier
	s_and_saveexec_b64 s[2:3], vcc
	s_cbranch_execz .LBB25_36
; %bb.34:
	ds_write_b32 v240, v114
	ds_write2_b32 v241, v7, v8 offset0:7 offset1:8
	ds_write2_b32 v241, v9, v10 offset0:9 offset1:10
	;; [unrolled: 1-line block ×3, first 2 shown]
	ds_read_b32 v13, v240
	s_waitcnt lgkmcnt(0)
	v_cmp_neq_f32_e32 vcc, 0, v13
	s_and_b64 exec, exec, vcc
	s_cbranch_execz .LBB25_36
; %bb.35:
	v_div_scale_f32 v25, s[4:5], v13, v13, 1.0
	v_rcp_f32_e32 v26, v25
	v_div_scale_f32 v27, vcc, 1.0, v13, 1.0
	v_fma_f32 v28, -v25, v26, 1.0
	v_fmac_f32_e32 v26, v28, v26
	v_mul_f32_e32 v28, v27, v26
	v_fma_f32 v29, -v25, v28, v27
	v_fmac_f32_e32 v28, v29, v26
	v_fma_f32 v25, -v25, v28, v27
	v_div_fmas_f32 v25, v25, v26, v28
	v_div_fixup_f32 v13, v25, v13, 1.0
	ds_write_b32 v240, v13
.LBB25_36:
	s_or_b64 exec, exec, s[2:3]
	s_waitcnt lgkmcnt(0)
	s_barrier
	ds_read_b32 v100, v240
	v_cmp_lt_u32_e32 vcc, 6, v238
	s_and_saveexec_b64 s[2:3], vcc
	s_cbranch_execz .LBB25_38
; %bb.37:
	ds_read2_b32 v[0:1], v241 offset0:7 offset1:8
	v_mov_b32_e32 v2, v7
	ds_read2_b32 v[4:5], v241 offset0:9 offset1:10
	ds_read2_b32 v[6:7], v241 offset0:11 offset1:12
	s_waitcnt lgkmcnt(3)
	v_mul_f32_e32 v122, v114, v100
	v_mov_b32_e32 v3, v8
	s_waitcnt lgkmcnt(2)
	v_pk_fma_f32 v[26:27], v[122:123], v[0:1], v[2:3] op_sel_hi:[0,1,1] neg_lo:[1,0,0] neg_hi:[1,0,0]
	v_mov_b32_e32 v0, v9
	v_mov_b32_e32 v1, v10
	s_waitcnt lgkmcnt(1)
	v_pk_fma_f32 v[28:29], v[122:123], v[4:5], v[0:1] op_sel_hi:[0,1,1] neg_lo:[1,0,0] neg_hi:[1,0,0]
	v_mov_b32_e32 v0, v11
	;; [unrolled: 4-line block ×3, first 2 shown]
	v_mov_b64_e32 v[80:81], v[116:117]
	v_mov_b64_e32 v[64:65], v[116:117]
	v_mov_b32_e32 v30, v116
	v_mov_b32_e32 v31, v117
	;; [unrolled: 1-line block ×43, first 2 shown]
	v_mov_b64_e32 v[82:83], v[118:119]
	v_mov_b64_e32 v[84:85], v[120:121]
	;; [unrolled: 1-line block ×6, first 2 shown]
	v_mov_b32_e32 v133, v26
	v_mov_b32_e32 v96, v27
	;; [unrolled: 1-line block ×4, first 2 shown]
	v_mov_b64_e32 v[88:89], v[124:125]
	v_mov_b64_e32 v[90:91], v[126:127]
	;; [unrolled: 1-line block ×8, first 2 shown]
.LBB25_38:
	s_or_b64 exec, exec, s[2:3]
	v_cmp_eq_u32_e32 vcc, 7, v238
	s_waitcnt lgkmcnt(0)
	s_barrier
	s_and_saveexec_b64 s[2:3], vcc
	s_cbranch_execz .LBB25_41
; %bb.39:
	ds_write_b32 v240, v133
	ds_write2_b32 v241, v8, v9 offset0:8 offset1:9
	ds_write2_b32 v241, v10, v11 offset0:10 offset1:11
	ds_write_b32 v241, v237 offset:48
	ds_read_b32 v13, v240
	s_waitcnt lgkmcnt(0)
	v_cmp_neq_f32_e32 vcc, 0, v13
	s_and_b64 exec, exec, vcc
	s_cbranch_execz .LBB25_41
; %bb.40:
	v_div_scale_f32 v25, s[4:5], v13, v13, 1.0
	v_rcp_f32_e32 v26, v25
	v_div_scale_f32 v27, vcc, 1.0, v13, 1.0
	v_fma_f32 v28, -v25, v26, 1.0
	v_fmac_f32_e32 v26, v28, v26
	v_mul_f32_e32 v28, v27, v26
	v_fma_f32 v29, -v25, v28, v27
	v_fmac_f32_e32 v28, v29, v26
	v_fma_f32 v25, -v25, v28, v27
	v_div_fmas_f32 v25, v25, v26, v28
	v_div_fixup_f32 v13, v25, v13, 1.0
	ds_write_b32 v240, v13
.LBB25_41:
	s_or_b64 exec, exec, s[2:3]
	s_waitcnt lgkmcnt(0)
	s_barrier
	ds_read_b32 v72, v240
	v_cmp_lt_u32_e32 vcc, 7, v238
	s_and_saveexec_b64 s[2:3], vcc
	s_cbranch_execz .LBB25_43
; %bb.42:
	ds_read2_b32 v[0:1], v241 offset0:8 offset1:9
	ds_read2_b32 v[2:3], v241 offset0:10 offset1:11
	ds_read_b32 v4, v241 offset:48
	s_waitcnt lgkmcnt(3)
	v_mul_f32_e32 v26, v133, v72
	v_mov_b32_e32 v71, v26
	s_waitcnt lgkmcnt(2)
	v_pk_fma_f32 v[38:39], v[26:27], v[0:1], v[8:9] op_sel_hi:[0,1,1] neg_lo:[1,0,0] neg_hi:[1,0,0]
	s_waitcnt lgkmcnt(1)
	v_pk_fma_f32 v[24:25], v[26:27], v[2:3], v[10:11] op_sel_hi:[0,1,1] neg_lo:[1,0,0] neg_hi:[1,0,0]
	s_waitcnt lgkmcnt(0)
	v_fma_f32 v12, -v26, v4, v237
	v_mov_b64_e32 v[94:95], v[78:79]
	v_mov_b32_e32 v30, v64
	v_mov_b32_e32 v31, v65
	;; [unrolled: 1-line block ×40, first 2 shown]
	v_mov_b64_e32 v[86:87], v[70:71]
	v_mov_b64_e32 v[84:85], v[68:69]
	;; [unrolled: 1-line block ×4, first 2 shown]
	v_mov_b32_e32 v96, v38
	v_mov_b32_e32 v107, v39
	v_mov_b32_e32 v46, v24
	v_mov_b32_e32 v236, v25
	v_mov_b32_e32 v237, v12
	v_mov_b64_e32 v[92:93], v[76:77]
	v_mov_b64_e32 v[90:91], v[74:75]
	v_mov_b64_e32 v[88:89], v[72:73]
.LBB25_43:
	s_or_b64 exec, exec, s[2:3]
	v_cmp_eq_u32_e32 vcc, 8, v238
	s_waitcnt lgkmcnt(0)
	s_barrier
	s_and_saveexec_b64 s[2:3], vcc
	s_cbranch_execz .LBB25_46
; %bb.44:
	ds_write_b32 v240, v96
	ds_write2_b32 v241, v9, v10 offset0:9 offset1:10
	ds_write2_b32 v241, v11, v12 offset0:11 offset1:12
	ds_read_b32 v13, v240
	s_waitcnt lgkmcnt(0)
	v_cmp_neq_f32_e32 vcc, 0, v13
	s_and_b64 exec, exec, vcc
	s_cbranch_execz .LBB25_46
; %bb.45:
	v_div_scale_f32 v25, s[4:5], v13, v13, 1.0
	v_rcp_f32_e32 v26, v25
	v_div_scale_f32 v27, vcc, 1.0, v13, 1.0
	v_fma_f32 v28, -v25, v26, 1.0
	v_fmac_f32_e32 v26, v28, v26
	v_mul_f32_e32 v28, v27, v26
	v_fma_f32 v29, -v25, v28, v27
	v_fmac_f32_e32 v28, v29, v26
	v_fma_f32 v25, -v25, v28, v27
	v_div_fmas_f32 v25, v25, v26, v28
	v_div_fixup_f32 v13, v25, v13, 1.0
	ds_write_b32 v240, v13
.LBB25_46:
	s_or_b64 exec, exec, s[2:3]
	s_waitcnt lgkmcnt(0)
	s_barrier
	ds_read_b32 v64, v240
	v_cmp_lt_u32_e32 vcc, 8, v238
	s_and_saveexec_b64 s[2:3], vcc
	s_cbranch_execz .LBB25_48
; %bb.47:
	ds_read2_b32 v[0:1], v241 offset0:9 offset1:10
	ds_read2_b32 v[4:5], v241 offset0:11 offset1:12
	s_waitcnt lgkmcnt(2)
	v_mul_f32_e32 v88, v96, v64
	v_mov_b32_e32 v2, v9
	v_mov_b32_e32 v3, v10
	s_waitcnt lgkmcnt(1)
	v_pk_fma_f32 v[26:27], v[88:89], v[0:1], v[2:3] op_sel_hi:[0,1,1] neg_lo:[1,0,0] neg_hi:[1,0,0]
	v_mov_b32_e32 v0, v11
	v_mov_b32_e32 v1, v12
	s_waitcnt lgkmcnt(0)
	v_pk_fma_f32 v[236:237], v[88:89], v[4:5], v[0:1] op_sel_hi:[0,1,1] neg_lo:[1,0,0] neg_hi:[1,0,0]
	v_mov_b32_e32 v89, v26
	v_mov_b64_e32 v[48:49], v[80:81]
	v_mov_b64_e32 v[30:31], v[80:81]
	v_mov_b32_e32 v14, v80
	v_mov_b32_e32 v15, v81
	;; [unrolled: 1-line block ×24, first 2 shown]
	v_mov_b64_e32 v[50:51], v[82:83]
	v_mov_b64_e32 v[52:53], v[84:85]
	;; [unrolled: 1-line block ×8, first 2 shown]
	v_mov_b32_e32 v107, v26
	v_mov_b32_e32 v46, v27
	v_mov_b64_e32 v[58:59], v[90:91]
	v_mov_b64_e32 v[60:61], v[92:93]
	;; [unrolled: 1-line block ×6, first 2 shown]
.LBB25_48:
	s_or_b64 exec, exec, s[2:3]
	v_cmp_eq_u32_e32 vcc, 9, v238
	s_waitcnt lgkmcnt(0)
	s_barrier
	s_and_saveexec_b64 s[2:3], vcc
	s_cbranch_execz .LBB25_51
; %bb.49:
	ds_write_b32 v240, v107
	ds_write2_b32 v241, v10, v11 offset0:10 offset1:11
	ds_write_b32 v241, v237 offset:48
	ds_read_b32 v13, v240
	s_waitcnt lgkmcnt(0)
	v_cmp_neq_f32_e32 vcc, 0, v13
	s_and_b64 exec, exec, vcc
	s_cbranch_execz .LBB25_51
; %bb.50:
	v_div_scale_f32 v25, s[4:5], v13, v13, 1.0
	v_rcp_f32_e32 v26, v25
	v_div_scale_f32 v27, vcc, 1.0, v13, 1.0
	v_fma_f32 v28, -v25, v26, 1.0
	v_fmac_f32_e32 v26, v28, v26
	v_mul_f32_e32 v28, v27, v26
	v_fma_f32 v29, -v25, v28, v27
	v_fmac_f32_e32 v28, v29, v26
	v_fma_f32 v25, -v25, v28, v27
	v_div_fmas_f32 v25, v25, v26, v28
	v_div_fixup_f32 v13, v25, v13, 1.0
	ds_write_b32 v240, v13
.LBB25_51:
	s_or_b64 exec, exec, s[2:3]
	s_waitcnt lgkmcnt(0)
	s_barrier
	ds_read_b32 v40, v240
	v_cmp_lt_u32_e32 vcc, 9, v238
	s_and_saveexec_b64 s[2:3], vcc
	s_cbranch_execz .LBB25_53
; %bb.52:
	ds_read2_b32 v[0:1], v241 offset0:10 offset1:11
	ds_read_b32 v2, v241 offset:48
	s_waitcnt lgkmcnt(2)
	v_mul_f32_e32 v26, v107, v40
	v_mov_b32_e32 v39, v26
	v_mov_b64_e32 v[62:63], v[44:45]
	s_waitcnt lgkmcnt(1)
	v_pk_fma_f32 v[24:25], v[26:27], v[0:1], v[10:11] op_sel_hi:[0,1,1] neg_lo:[1,0,0] neg_hi:[1,0,0]
	s_waitcnt lgkmcnt(0)
	v_fma_f32 v12, -v26, v2, v237
	v_mov_b32_e32 v14, v30
	v_mov_b32_e32 v15, v31
	;; [unrolled: 1-line block ×22, first 2 shown]
	v_mov_b64_e32 v[56:57], v[38:39]
	v_mov_b64_e32 v[54:55], v[36:37]
	;; [unrolled: 1-line block ×5, first 2 shown]
	v_mov_b32_e32 v46, v24
	v_mov_b32_e32 v236, v25
	;; [unrolled: 1-line block ×3, first 2 shown]
	v_mov_b64_e32 v[60:61], v[42:43]
	v_mov_b64_e32 v[58:59], v[40:41]
.LBB25_53:
	s_or_b64 exec, exec, s[2:3]
	v_cmp_eq_u32_e32 vcc, 10, v238
	s_waitcnt lgkmcnt(0)
	s_barrier
	s_and_saveexec_b64 s[2:3], vcc
	s_cbranch_execz .LBB25_56
; %bb.54:
	ds_write_b32 v240, v46
	ds_write2_b32 v241, v11, v12 offset0:11 offset1:12
	ds_read_b32 v13, v240
	s_waitcnt lgkmcnt(0)
	v_cmp_neq_f32_e32 vcc, 0, v13
	s_and_b64 exec, exec, vcc
	s_cbranch_execz .LBB25_56
; %bb.55:
	v_div_scale_f32 v25, s[4:5], v13, v13, 1.0
	v_rcp_f32_e32 v26, v25
	v_div_scale_f32 v27, vcc, 1.0, v13, 1.0
	v_fma_f32 v28, -v25, v26, 1.0
	v_fmac_f32_e32 v26, v28, v26
	v_mul_f32_e32 v28, v27, v26
	v_fma_f32 v29, -v25, v28, v27
	v_fmac_f32_e32 v28, v29, v26
	v_fma_f32 v25, -v25, v28, v27
	v_div_fmas_f32 v25, v25, v26, v28
	v_div_fixup_f32 v13, v25, v13, 1.0
	ds_write_b32 v240, v13
.LBB25_56:
	s_or_b64 exec, exec, s[2:3]
	s_waitcnt lgkmcnt(0)
	s_barrier
	ds_read_b32 v30, v240
	v_cmp_lt_u32_e32 vcc, 10, v238
	s_and_saveexec_b64 s[2:3], vcc
	s_cbranch_execz .LBB25_58
; %bb.57:
	ds_read2_b32 v[0:1], v241 offset0:11 offset1:12
	s_waitcnt lgkmcnt(1)
	v_mul_f32_e32 v58, v46, v30
	v_mov_b32_e32 v2, v11
	v_mov_b32_e32 v3, v12
	s_waitcnt lgkmcnt(0)
	v_pk_fma_f32 v[236:237], v[58:59], v[0:1], v[2:3] op_sel_hi:[0,1,1] neg_lo:[1,0,0] neg_hi:[1,0,0]
	v_mov_b32_e32 v59, v236
	v_mov_b32_e32 v60, v237
	v_mov_b64_e32 v[0:1], v[48:49]
	v_mov_b64_e32 v[14:15], v[62:63]
	;; [unrolled: 1-line block ×16, first 2 shown]
.LBB25_58:
	s_or_b64 exec, exec, s[2:3]
	v_cmp_eq_u32_e32 vcc, 11, v238
	s_waitcnt lgkmcnt(0)
	s_barrier
	s_and_saveexec_b64 s[2:3], vcc
	s_cbranch_execz .LBB25_61
; %bb.59:
	ds_write_b32 v240, v236
	ds_write_b32 v241, v237 offset:48
	ds_read_b32 v13, v240
	s_waitcnt lgkmcnt(0)
	v_cmp_neq_f32_e32 vcc, 0, v13
	s_and_b64 exec, exec, vcc
	s_cbranch_execz .LBB25_61
; %bb.60:
	v_div_scale_f32 v25, s[4:5], v13, v13, 1.0
	v_rcp_f32_e32 v26, v25
	v_div_scale_f32 v27, vcc, 1.0, v13, 1.0
	v_fma_f32 v28, -v25, v26, 1.0
	v_fmac_f32_e32 v26, v28, v26
	v_mul_f32_e32 v28, v27, v26
	v_fma_f32 v29, -v25, v28, v27
	v_fmac_f32_e32 v28, v29, v26
	v_fma_f32 v25, -v25, v28, v27
	v_div_fmas_f32 v25, v25, v26, v28
	v_div_fixup_f32 v13, v25, v13, 1.0
	ds_write_b32 v240, v13
.LBB25_61:
	s_or_b64 exec, exec, s[2:3]
	s_waitcnt lgkmcnt(0)
	s_barrier
	ds_read_b32 v27, v240
	v_cmp_lt_u32_e32 vcc, 11, v238
	s_and_saveexec_b64 s[2:3], vcc
	s_cbranch_execz .LBB25_63
; %bb.62:
	ds_read_b32 v0, v241 offset:48
	s_waitcnt lgkmcnt(1)
	v_mul_f32_e32 v25, v236, v27
	s_waitcnt lgkmcnt(0)
	v_fma_f32 v26, -v25, v0, v237
	v_mov_b64_e32 v[0:1], v[14:15]
	v_mov_b64_e32 v[2:3], v[16:17]
	;; [unrolled: 1-line block ×7, first 2 shown]
	v_mov_b32_e32 v237, v26
	v_mov_b64_e32 v[14:15], v[28:29]
.LBB25_63:
	s_or_b64 exec, exec, s[2:3]
	v_cmp_eq_u32_e32 vcc, 12, v238
	s_waitcnt lgkmcnt(0)
	s_barrier
	s_and_saveexec_b64 s[2:3], vcc
	s_cbranch_execz .LBB25_66
; %bb.64:
	v_cmp_neq_f32_e32 vcc, 0, v237
	ds_write_b32 v240, v237
	s_and_b64 exec, exec, vcc
	s_cbranch_execz .LBB25_66
; %bb.65:
	v_div_scale_f32 v13, s[4:5], v237, v237, 1.0
	v_rcp_f32_e32 v14, v13
	v_div_scale_f32 v15, vcc, 1.0, v237, 1.0
	v_fma_f32 v16, -v13, v14, 1.0
	v_fmac_f32_e32 v14, v16, v14
	v_mul_f32_e32 v16, v15, v14
	v_fma_f32 v17, -v13, v16, v15
	v_fmac_f32_e32 v16, v17, v14
	v_fma_f32 v13, -v13, v16, v15
	v_div_fmas_f32 v13, v13, v14, v16
	v_div_fixup_f32 v13, v13, v237, 1.0
	ds_write_b32 v240, v13
.LBB25_66:
	s_or_b64 exec, exec, s[2:3]
	s_waitcnt lgkmcnt(0)
	s_barrier
	ds_read_b32 v13, v240
	s_waitcnt lgkmcnt(0)
	s_barrier
	s_and_saveexec_b64 s[26:27], s[0:1]
	s_cbranch_execz .LBB25_69
; %bb.67:
	v_mov_b32_e32 v14, s6
	v_mov_b32_e32 v15, s7
	v_lshl_add_u64 v[14:15], v[222:223], 2, v[14:15]
	global_load_dword v17, v[14:15], off
	v_cmp_eq_f32_e32 vcc, 0, v239
	v_cmp_neq_f32_e64 s[0:1], 0, v242
	v_cmp_eq_f32_e64 s[2:3], 0, v47
	v_cndmask_b32_e64 v16, 0, 1, vcc
	s_or_b64 vcc, s[0:1], vcc
	v_cndmask_b32_e32 v16, 2, v16, vcc
	v_cmp_eq_u32_e32 vcc, 0, v16
	s_and_b64 s[0:1], s[2:3], vcc
	v_cndmask_b32_e64 v16, v16, 3, s[0:1]
	v_cmp_eq_f32_e64 s[4:5], 0, v97
	v_cmp_eq_u32_e32 vcc, 0, v16
	s_and_b64 s[0:1], s[4:5], vcc
	v_cndmask_b32_e64 v16, v16, 4, s[0:1]
	v_cmp_eq_f32_e64 s[6:7], 0, v98
	;; [unrolled: 4-line block ×10, first 2 shown]
	v_cmp_eq_u32_e32 vcc, 0, v16
	s_and_b64 s[0:1], s[22:23], vcc
	v_cndmask_b32_e64 v16, v16, 13, s[0:1]
	v_cmp_ne_u32_e64 s[0:1], 0, v16
	s_waitcnt vmcnt(0)
	v_cmp_eq_u32_e32 vcc, 0, v17
	s_and_b64 s[0:1], vcc, s[0:1]
	s_and_b64 exec, exec, s[0:1]
	s_cbranch_execz .LBB25_69
; %bb.68:
	v_add_u32_e32 v16, s25, v16
	global_store_dword v[14:15], v16, off
.LBB25_69:
	s_or_b64 exec, exec, s[26:27]
	v_mul_f32_e32 v13, v237, v13
	v_cmp_lt_u32_e32 vcc, 12, v238
	s_nop 1
	v_cndmask_b32_e32 v12, v12, v13, vcc
	global_store_dword v[208:209], v0, off
	global_store_dword v[210:211], v1, off
	;; [unrolled: 1-line block ×13, first 2 shown]
.LBB25_70:
	s_endpgm
	.section	.rodata,"a",@progbits
	.p2align	6, 0x0
	.amdhsa_kernel _ZN9rocsolver6v33100L23getf2_npvt_small_kernelILi13EfiiPfEEvT1_T3_lS3_lPT2_S3_S3_
		.amdhsa_group_segment_fixed_size 0
		.amdhsa_private_segment_fixed_size 0
		.amdhsa_kernarg_size 312
		.amdhsa_user_sgpr_count 2
		.amdhsa_user_sgpr_dispatch_ptr 0
		.amdhsa_user_sgpr_queue_ptr 0
		.amdhsa_user_sgpr_kernarg_segment_ptr 1
		.amdhsa_user_sgpr_dispatch_id 0
		.amdhsa_user_sgpr_kernarg_preload_length 0
		.amdhsa_user_sgpr_kernarg_preload_offset 0
		.amdhsa_user_sgpr_private_segment_size 0
		.amdhsa_uses_dynamic_stack 0
		.amdhsa_enable_private_segment 0
		.amdhsa_system_sgpr_workgroup_id_x 1
		.amdhsa_system_sgpr_workgroup_id_y 1
		.amdhsa_system_sgpr_workgroup_id_z 0
		.amdhsa_system_sgpr_workgroup_info 0
		.amdhsa_system_vgpr_workitem_id 1
		.amdhsa_next_free_vgpr 243
		.amdhsa_next_free_sgpr 28
		.amdhsa_accum_offset 244
		.amdhsa_reserve_vcc 1
		.amdhsa_float_round_mode_32 0
		.amdhsa_float_round_mode_16_64 0
		.amdhsa_float_denorm_mode_32 3
		.amdhsa_float_denorm_mode_16_64 3
		.amdhsa_dx10_clamp 1
		.amdhsa_ieee_mode 1
		.amdhsa_fp16_overflow 0
		.amdhsa_tg_split 0
		.amdhsa_exception_fp_ieee_invalid_op 0
		.amdhsa_exception_fp_denorm_src 0
		.amdhsa_exception_fp_ieee_div_zero 0
		.amdhsa_exception_fp_ieee_overflow 0
		.amdhsa_exception_fp_ieee_underflow 0
		.amdhsa_exception_fp_ieee_inexact 0
		.amdhsa_exception_int_div_zero 0
	.end_amdhsa_kernel
	.section	.text._ZN9rocsolver6v33100L23getf2_npvt_small_kernelILi13EfiiPfEEvT1_T3_lS3_lPT2_S3_S3_,"axG",@progbits,_ZN9rocsolver6v33100L23getf2_npvt_small_kernelILi13EfiiPfEEvT1_T3_lS3_lPT2_S3_S3_,comdat
.Lfunc_end25:
	.size	_ZN9rocsolver6v33100L23getf2_npvt_small_kernelILi13EfiiPfEEvT1_T3_lS3_lPT2_S3_S3_, .Lfunc_end25-_ZN9rocsolver6v33100L23getf2_npvt_small_kernelILi13EfiiPfEEvT1_T3_lS3_lPT2_S3_S3_
                                        ; -- End function
	.set _ZN9rocsolver6v33100L23getf2_npvt_small_kernelILi13EfiiPfEEvT1_T3_lS3_lPT2_S3_S3_.num_vgpr, 243
	.set _ZN9rocsolver6v33100L23getf2_npvt_small_kernelILi13EfiiPfEEvT1_T3_lS3_lPT2_S3_S3_.num_agpr, 0
	.set _ZN9rocsolver6v33100L23getf2_npvt_small_kernelILi13EfiiPfEEvT1_T3_lS3_lPT2_S3_S3_.numbered_sgpr, 28
	.set _ZN9rocsolver6v33100L23getf2_npvt_small_kernelILi13EfiiPfEEvT1_T3_lS3_lPT2_S3_S3_.num_named_barrier, 0
	.set _ZN9rocsolver6v33100L23getf2_npvt_small_kernelILi13EfiiPfEEvT1_T3_lS3_lPT2_S3_S3_.private_seg_size, 0
	.set _ZN9rocsolver6v33100L23getf2_npvt_small_kernelILi13EfiiPfEEvT1_T3_lS3_lPT2_S3_S3_.uses_vcc, 1
	.set _ZN9rocsolver6v33100L23getf2_npvt_small_kernelILi13EfiiPfEEvT1_T3_lS3_lPT2_S3_S3_.uses_flat_scratch, 0
	.set _ZN9rocsolver6v33100L23getf2_npvt_small_kernelILi13EfiiPfEEvT1_T3_lS3_lPT2_S3_S3_.has_dyn_sized_stack, 0
	.set _ZN9rocsolver6v33100L23getf2_npvt_small_kernelILi13EfiiPfEEvT1_T3_lS3_lPT2_S3_S3_.has_recursion, 0
	.set _ZN9rocsolver6v33100L23getf2_npvt_small_kernelILi13EfiiPfEEvT1_T3_lS3_lPT2_S3_S3_.has_indirect_call, 0
	.section	.AMDGPU.csdata,"",@progbits
; Kernel info:
; codeLenInByte = 7880
; TotalNumSgprs: 34
; NumVgprs: 243
; NumAgprs: 0
; TotalNumVgprs: 243
; ScratchSize: 0
; MemoryBound: 0
; FloatMode: 240
; IeeeMode: 1
; LDSByteSize: 0 bytes/workgroup (compile time only)
; SGPRBlocks: 4
; VGPRBlocks: 30
; NumSGPRsForWavesPerEU: 34
; NumVGPRsForWavesPerEU: 243
; AccumOffset: 244
; Occupancy: 2
; WaveLimiterHint : 0
; COMPUTE_PGM_RSRC2:SCRATCH_EN: 0
; COMPUTE_PGM_RSRC2:USER_SGPR: 2
; COMPUTE_PGM_RSRC2:TRAP_HANDLER: 0
; COMPUTE_PGM_RSRC2:TGID_X_EN: 1
; COMPUTE_PGM_RSRC2:TGID_Y_EN: 1
; COMPUTE_PGM_RSRC2:TGID_Z_EN: 0
; COMPUTE_PGM_RSRC2:TIDIG_COMP_CNT: 1
; COMPUTE_PGM_RSRC3_GFX90A:ACCUM_OFFSET: 60
; COMPUTE_PGM_RSRC3_GFX90A:TG_SPLIT: 0
	.section	.text._ZN9rocsolver6v33100L18getf2_small_kernelILi14EfiiPfEEvT1_T3_lS3_lPS3_llPT2_S3_S3_S5_l,"axG",@progbits,_ZN9rocsolver6v33100L18getf2_small_kernelILi14EfiiPfEEvT1_T3_lS3_lPS3_llPT2_S3_S3_S5_l,comdat
	.globl	_ZN9rocsolver6v33100L18getf2_small_kernelILi14EfiiPfEEvT1_T3_lS3_lPS3_llPT2_S3_S3_S5_l ; -- Begin function _ZN9rocsolver6v33100L18getf2_small_kernelILi14EfiiPfEEvT1_T3_lS3_lPS3_llPT2_S3_S3_S5_l
	.p2align	8
	.type	_ZN9rocsolver6v33100L18getf2_small_kernelILi14EfiiPfEEvT1_T3_lS3_lPS3_llPT2_S3_S3_S5_l,@function
_ZN9rocsolver6v33100L18getf2_small_kernelILi14EfiiPfEEvT1_T3_lS3_lPS3_llPT2_S3_S3_S5_l: ; @_ZN9rocsolver6v33100L18getf2_small_kernelILi14EfiiPfEEvT1_T3_lS3_lPS3_llPT2_S3_S3_S5_l
; %bb.0:
	s_load_dword s2, s[0:1], 0x6c
	s_load_dwordx2 s[14:15], s[0:1], 0x48
	v_bfe_u32 v4, v0, 10, 10
	s_waitcnt lgkmcnt(0)
	s_lshr_b32 s2, s2, 16
	s_mul_i32 s3, s3, s2
	v_add_u32_e32 v238, s3, v4
	v_cmp_gt_i32_e32 vcc, s14, v238
	s_and_saveexec_b64 s[2:3], vcc
	s_cbranch_execz .LBB26_237
; %bb.1:
	s_load_dwordx4 s[4:7], s[0:1], 0x50
	v_ashrrev_i32_e32 v239, 31, v238
	v_mov_b64_e32 v[240:241], 0
	s_waitcnt lgkmcnt(0)
	s_cmp_eq_u64 s[4:5], 0
	s_cselect_b64 s[16:17], -1, 0
	s_and_b64 vcc, exec, s[16:17]
	s_cbranch_vccnz .LBB26_3
; %bb.2:
	v_mul_lo_u32 v1, s7, v238
	v_mul_lo_u32 v5, s6, v239
	v_mad_u64_u32 v[2:3], s[2:3], s6, v238, 0
	v_add3_u32 v3, v3, v5, v1
	v_lshl_add_u64 v[240:241], v[2:3], 2, s[4:5]
.LBB26_3:
	s_load_dwordx4 s[24:27], s[0:1], 0x8
	s_load_dwordx8 s[4:11], s[0:1], 0x20
	s_load_dword s12, s[0:1], 0x18
	s_load_dword s22, s[0:1], 0x0
	s_waitcnt lgkmcnt(0)
	v_mov_b32_e32 v2, s24
	v_mul_lo_u32 v1, s5, v238
	v_mul_lo_u32 v5, s4, v239
	v_mad_u64_u32 v[6:7], s[2:3], s4, v238, 0
	v_mov_b32_e32 v3, s25
	v_add3_u32 v7, v7, v5, v1
	v_lshl_add_u64 v[2:3], v[6:7], 2, v[2:3]
	v_and_b32_e32 v1, 0x3ff, v0
	v_lshl_add_u64 v[236:237], s[26:27], 2, v[2:3]
	v_lshlrev_b32_e32 v2, 2, v1
	v_mov_b32_e32 v3, 0
	v_lshl_add_u64 v[6:7], v[236:237], 0, v[2:3]
	global_load_dword v0, v[6:7], off
	s_load_dwordx2 s[4:5], s[0:1], 0x40
	s_max_i32 s0, s22, 14
	s_add_i32 s14, s12, s12
	v_mul_lo_u32 v22, s0, v4
	v_add_u32_e32 v4, s14, v1
	v_add_u32_e32 v8, s12, v4
	;; [unrolled: 1-line block ×6, first 2 shown]
	s_ashr_i32 s13, s12, 31
	v_add_u32_e32 v18, s12, v16
	v_ashrrev_i32_e32 v5, 31, v4
	v_ashrrev_i32_e32 v9, 31, v8
	;; [unrolled: 1-line block ×3, first 2 shown]
	v_lshl_add_u64 v[6:7], s[12:13], 2, v[6:7]
	v_ashrrev_i32_e32 v13, 31, v12
	v_ashrrev_i32_e32 v15, 31, v14
	;; [unrolled: 1-line block ×3, first 2 shown]
	v_add_u32_e32 v20, s12, v18
	v_lshl_add_u64 v[4:5], v[4:5], 2, v[236:237]
	v_lshl_add_u64 v[8:9], v[8:9], 2, v[236:237]
	;; [unrolled: 1-line block ×6, first 2 shown]
	global_load_dword v183, v[6:7], off
	global_load_dword v218, v[4:5], off
	;; [unrolled: 1-line block ×7, first 2 shown]
	v_add_u32_e32 v6, s12, v20
	v_add_u32_e32 v10, s12, v6
	v_lshl_add_u32 v246, v22, 2, 0
	v_add_u32_e32 v12, s12, v10
	v_add_u32_e32 v2, v246, v2
	v_ashrrev_i32_e32 v19, 31, v18
	v_add_u32_e32 v14, s12, v12
	v_lshl_add_u64 v[4:5], v[18:19], 2, v[236:237]
	v_ashrrev_i32_e32 v21, 31, v20
	v_ashrrev_i32_e32 v7, 31, v6
	;; [unrolled: 1-line block ×5, first 2 shown]
	v_lshl_add_u64 v[8:9], v[20:21], 2, v[236:237]
	v_lshl_add_u64 v[6:7], v[6:7], 2, v[236:237]
	;; [unrolled: 1-line block ×5, first 2 shown]
	s_cmp_lt_i32 s22, 2
	v_lshlrev_b32_e32 v247, 2, v22
	s_waitcnt vmcnt(7)
	ds_write_b32 v2, v0
	global_load_dword v102, v[4:5], off
	global_load_dword v245, v[12:13], off
	;; [unrolled: 1-line block ×6, first 2 shown]
	s_waitcnt lgkmcnt(0)
	s_barrier
	ds_read_b32 v2, v246
	s_cbranch_scc1 .LBB26_6
; %bb.4:
	v_add3_u32 v4, v247, 0, 4
	v_mov_b32_e32 v3, 0
	s_mov_b32 s0, 1
.LBB26_5:                               ; =>This Inner Loop Header: Depth=1
	ds_read_b32 v5, v4
	v_mov_b32_e32 v6, s0
	s_add_i32 s0, s0, 1
	v_add_u32_e32 v4, 4, v4
	s_cmp_eq_u32 s22, s0
	s_waitcnt lgkmcnt(0)
	v_cmp_lt_f32_e64 vcc, |v2|, |v5|
	s_nop 1
	v_cndmask_b32_e32 v2, v2, v5, vcc
	v_cndmask_b32_e32 v3, v3, v6, vcc
	s_cbranch_scc0 .LBB26_5
.LBB26_6:
	v_cmp_ne_u32_e32 vcc, v1, v3
                                        ; implicit-def: $vgpr249
	s_and_saveexec_b64 s[0:1], vcc
	s_xor_b64 s[0:1], exec, s[0:1]
	s_cbranch_execz .LBB26_12
; %bb.7:
	v_cmp_eq_u32_e32 vcc, 0, v1
	s_and_saveexec_b64 s[2:3], vcc
	s_cbranch_execz .LBB26_11
; %bb.8:
	v_cmp_ne_u32_e32 vcc, 0, v3
	s_xor_b64 s[18:19], s[16:17], -1
	s_and_b64 s[20:21], s[18:19], vcc
	s_and_saveexec_b64 s[18:19], s[20:21]
	s_cbranch_execz .LBB26_10
; %bb.9:
	v_ashrrev_i32_e32 v5, 31, v3
	v_mov_b32_e32 v4, v3
	v_lshl_add_u64 v[4:5], v[4:5], 2, v[240:241]
	global_load_dword v1, v[4:5], off
	global_load_dword v6, v[240:241], off
	s_waitcnt vmcnt(1)
	global_store_dword v[240:241], v1, off
	s_waitcnt vmcnt(1)
	global_store_dword v[4:5], v6, off
.LBB26_10:
	s_or_b64 exec, exec, s[18:19]
	v_mov_b32_e32 v1, v3
.LBB26_11:
	s_or_b64 exec, exec, s[2:3]
	v_mov_b32_e32 v249, v1
                                        ; implicit-def: $vgpr1
.LBB26_12:
	s_or_saveexec_b64 s[0:1], s[0:1]
	v_mov_b32_e32 v248, v249
	s_xor_b64 exec, exec, s[0:1]
	s_cbranch_execz .LBB26_14
; %bb.13:
	v_mov_b32_e32 v248, v1
	v_mov_b32_e32 v249, 0
	s_waitcnt vmcnt(11)
	ds_write2_b32 v246, v183, v218 offset0:1 offset1:2
	s_waitcnt vmcnt(9)
	ds_write2_b32 v246, v199, v180 offset0:3 offset1:4
	;; [unrolled: 2-line block ×6, first 2 shown]
	ds_write_b32 v246, v243 offset:52
.LBB26_14:
	s_or_b64 exec, exec, s[0:1]
	s_waitcnt lgkmcnt(0)
	v_cmp_eq_f32_e64 s[0:1], 0, v2
	v_cmp_gt_i32_e32 vcc, 1, v249
	s_barrier
	s_and_saveexec_b64 s[2:3], vcc
	s_xor_b64 s[2:3], exec, s[2:3]
; %bb.15:
                                        ; implicit-def: $vgpr2
; %bb.16:
	s_andn2_saveexec_b64 s[2:3], s[2:3]
	s_cbranch_execz .LBB26_18
; %bb.17:
	v_div_scale_f32 v1, s[18:19], v2, v2, 1.0
	v_rcp_f32_e32 v3, v1
	s_waitcnt vmcnt(12)
	v_mov_b32_e32 v4, v183
	s_waitcnt vmcnt(11)
	v_mov_b32_e32 v5, v218
	;; [unrolled: 2-line block ×3, first 2 shown]
	v_fma_f32 v14, -v1, v3, 1.0
	v_fmac_f32_e32 v3, v14, v3
	v_div_scale_f32 v14, vcc, 1.0, v2, 1.0
	v_mul_f32_e32 v15, v14, v3
	v_fma_f32 v16, -v1, v15, v14
	v_fmac_f32_e32 v15, v16, v3
	v_fma_f32 v1, -v1, v15, v14
	v_div_fmas_f32 v1, v1, v3, v15
	v_div_fixup_f32 v1, v1, v2, 1.0
	v_cndmask_b32_e64 v1, v1, v2, s[0:1]
	ds_read2_b32 v[2:3], v246 offset0:1 offset1:2
	ds_read2_b32 v[14:15], v246 offset0:3 offset1:4
	;; [unrolled: 1-line block ×4, first 2 shown]
	s_waitcnt vmcnt(9)
	v_mov_b32_e32 v7, v180
	s_waitcnt vmcnt(8)
	v_mov_b32_e32 v8, v163
	;; [unrolled: 2-line block ×3, first 2 shown]
	v_mul_f32_e32 v0, v0, v1
	s_waitcnt lgkmcnt(3)
	v_pk_fma_f32 v[2:3], v[0:1], v[2:3], v[4:5] op_sel_hi:[0,1,1] neg_lo:[1,0,0] neg_hi:[1,0,0]
	s_waitcnt lgkmcnt(2)
	v_pk_fma_f32 v[4:5], v[0:1], v[14:15], v[6:7] op_sel_hi:[0,1,1] neg_lo:[1,0,0] neg_hi:[1,0,0]
	ds_read2_b32 v[6:7], v246 offset0:9 offset1:10
	s_waitcnt lgkmcnt(2)
	v_pk_fma_f32 v[8:9], v[0:1], v[16:17], v[8:9] op_sel_hi:[0,1,1] neg_lo:[1,0,0] neg_hi:[1,0,0]
	ds_read2_b32 v[14:15], v246 offset0:11 offset1:12
	ds_read_b32 v1, v246 offset:52
	s_waitcnt vmcnt(6)
	v_mov_b32_e32 v10, v137
	s_waitcnt vmcnt(5)
	v_mov_b32_e32 v11, v102
	;; [unrolled: 2-line block ×5, first 2 shown]
	s_waitcnt lgkmcnt(0)
	v_pk_fma_f32 v[10:11], v[0:1], v[18:19], v[10:11] op_sel_hi:[0,1,1] neg_lo:[1,0,0] neg_hi:[1,0,0]
	v_pk_fma_f32 v[6:7], v[0:1], v[6:7], v[12:13] op_sel_hi:[0,1,1] neg_lo:[1,0,0] neg_hi:[1,0,0]
	;; [unrolled: 1-line block ×3, first 2 shown]
	v_fma_f32 v243, -v0, v1, v243
	v_mov_b32_e32 v183, v2
	v_mov_b32_e32 v218, v3
	;; [unrolled: 1-line block ×11, first 2 shown]
.LBB26_18:
	s_or_b64 exec, exec, s[2:3]
	v_lshl_add_u32 v1, v249, 2, v246
	s_barrier
	s_waitcnt vmcnt(12)
	ds_write_b32 v1, v183
	s_waitcnt lgkmcnt(0)
	s_barrier
	ds_read_b32 v59, v246 offset:4
	s_mov_b32 s2, 2
	s_cmp_lt_i32 s22, 3
	v_mov_b32_e32 v2, 1
	s_cbranch_scc1 .LBB26_21
; %bb.19:
	v_add3_u32 v1, v247, 0, 8
	v_mov_b32_e32 v2, 1
.LBB26_20:                              ; =>This Inner Loop Header: Depth=1
	ds_read_b32 v3, v1
	v_mov_b32_e32 v4, s2
	s_add_i32 s2, s2, 1
	v_add_u32_e32 v1, 4, v1
	s_cmp_lg_u32 s22, s2
	s_waitcnt lgkmcnt(0)
	v_cmp_lt_f32_e64 vcc, |v59|, |v3|
	s_nop 1
	v_cndmask_b32_e32 v59, v59, v3, vcc
	v_cndmask_b32_e32 v2, v2, v4, vcc
	s_cbranch_scc1 .LBB26_20
.LBB26_21:
	v_cmp_ne_u32_e32 vcc, v249, v2
	s_and_saveexec_b64 s[2:3], vcc
	s_xor_b64 s[2:3], exec, s[2:3]
	s_cbranch_execz .LBB26_27
; %bb.22:
	v_cmp_eq_u32_e32 vcc, 1, v249
	s_and_saveexec_b64 s[18:19], vcc
	s_cbranch_execz .LBB26_26
; %bb.23:
	v_cmp_ne_u32_e32 vcc, 1, v2
	s_xor_b64 s[20:21], s[16:17], -1
	s_and_b64 s[24:25], s[20:21], vcc
	s_and_saveexec_b64 s[20:21], s[24:25]
	s_cbranch_execz .LBB26_25
; %bb.24:
	v_ashrrev_i32_e32 v3, 31, v2
	v_lshl_add_u64 v[4:5], v[2:3], 2, v[240:241]
	global_load_dword v1, v[4:5], off
	global_load_dword v3, v[240:241], off offset:4
	s_waitcnt vmcnt(1)
	global_store_dword v[240:241], v1, off offset:4
	s_waitcnt vmcnt(1)
	global_store_dword v[4:5], v3, off
.LBB26_25:
	s_or_b64 exec, exec, s[20:21]
	v_mov_b32_e32 v248, v2
	v_mov_b32_e32 v249, v2
.LBB26_26:
	s_or_b64 exec, exec, s[18:19]
.LBB26_27:
	s_or_saveexec_b64 s[2:3], s[2:3]
	v_mov_b32_e32 v1, v183
	s_waitcnt vmcnt(11)
	v_mov_b32_e32 v2, v218
	s_waitcnt vmcnt(10)
	;; [unrolled: 2-line block ×10, first 2 shown]
	v_mov_b32_e32 v11, v47
	v_mov_b32_e32 v12, v245
	v_mov_b32_e32 v13, v243
	s_xor_b64 exec, exec, s[2:3]
	s_cbranch_execz .LBB26_29
; %bb.28:
	v_mov_b32_e32 v249, 1
	ds_write2_b32 v246, v218, v199 offset0:2 offset1:3
	ds_write2_b32 v246, v180, v163 offset0:4 offset1:5
	ds_write2_b32 v246, v144, v137 offset0:6 offset1:7
	ds_write2_b32 v246, v102, v93 offset0:8 offset1:9
	ds_write2_b32 v246, v58, v47 offset0:10 offset1:11
	ds_write2_b32 v246, v245, v243 offset0:12 offset1:13
.LBB26_29:
	s_or_b64 exec, exec, s[2:3]
	v_mov_b32_e32 v48, v0
	v_mov_b32_e32 v49, v183
	;; [unrolled: 1-line block ×12, first 2 shown]
	s_waitcnt lgkmcnt(0)
	v_mov_b64_e32 v[14:15], v[48:49]
	v_mov_b32_e32 v94, v0
	v_mov_b32_e32 v95, v183
	;; [unrolled: 1-line block ×13, first 2 shown]
	v_mov_b64_e32 v[16:17], v[50:51]
	v_mov_b64_e32 v[18:19], v[52:53]
	;; [unrolled: 1-line block ×8, first 2 shown]
	v_mov_b32_e32 v130, v0
	v_mov_b32_e32 v131, v183
	;; [unrolled: 1-line block ×4, first 2 shown]
	v_mov_b64_e32 v[62:63], v[86:87]
	v_mov_b64_e32 v[64:65], v[88:89]
	;; [unrolled: 1-line block ×8, first 2 shown]
	v_mov_b32_e32 v138, v0
	v_mov_b32_e32 v139, v183
	;; [unrolled: 1-line block ×11, first 2 shown]
	v_mov_b64_e32 v[78:79], v[96:97]
	v_mov_b64_e32 v[80:81], v[98:99]
	;; [unrolled: 1-line block ×8, first 2 shown]
	v_mov_b32_e32 v158, v0
	v_mov_b32_e32 v159, v183
	;; [unrolled: 1-line block ×4, first 2 shown]
	v_mov_b64_e32 v[106:107], v[132:133]
	v_mov_b64_e32 v[108:109], v[134:135]
	;; [unrolled: 1-line block ×8, first 2 shown]
	v_mov_b32_e32 v176, v0
	v_mov_b32_e32 v177, v183
	;; [unrolled: 1-line block ×15, first 2 shown]
	v_mov_b64_e32 v[122:123], v[140:141]
	v_mov_b64_e32 v[124:125], v[142:143]
	;; [unrolled: 1-line block ×8, first 2 shown]
	v_mov_b32_e32 v182, v0
	v_mov_b32_e32 v216, v0
	;; [unrolled: 1-line block ×7, first 2 shown]
	v_mov_b64_e32 v[30:31], v[36:37]
	v_mov_b64_e32 v[148:149], v[160:161]
	;; [unrolled: 1-line block ×11, first 2 shown]
	v_cmp_neq_f32_e64 s[2:3], 0, v59
	v_cmp_lt_i32_e32 vcc, 1, v249
	v_mov_b64_e32 v[32:33], v[38:39]
	v_mov_b64_e32 v[34:35], v[40:41]
	;; [unrolled: 1-line block ×21, first 2 shown]
	s_barrier
	v_mov_b64_e32 v[42:43], v[48:49]
	v_mov_b64_e32 v[44:45], v[50:51]
	;; [unrolled: 1-line block ×7, first 2 shown]
	s_and_saveexec_b64 s[18:19], vcc
	s_cbranch_execz .LBB26_31
; %bb.30:
	v_div_scale_f32 v1, s[20:21], v59, v59, 1.0
	v_rcp_f32_e32 v2, v1
	v_mov_b32_e32 v219, v199
	v_mov_b32_e32 v181, v163
	;; [unrolled: 1-line block ×3, first 2 shown]
	v_fma_f32 v3, -v1, v2, 1.0
	v_fmac_f32_e32 v2, v3, v2
	v_div_scale_f32 v3, vcc, 1.0, v59, 1.0
	v_mul_f32_e32 v4, v3, v2
	v_fma_f32 v5, -v1, v4, v3
	v_fmac_f32_e32 v4, v5, v2
	v_fma_f32 v1, -v1, v4, v3
	v_div_fmas_f32 v1, v1, v2, v4
	v_div_fixup_f32 v1, v1, v59, 1.0
	ds_read2_b32 v[2:3], v246 offset0:2 offset1:3
	ds_read2_b32 v[4:5], v246 offset0:4 offset1:5
	ds_read2_b32 v[6:7], v246 offset0:6 offset1:7
	ds_read2_b32 v[8:9], v246 offset0:8 offset1:9
	v_cndmask_b32_e64 v1, v59, v1, s[2:3]
	v_mul_f32_e32 v12, v183, v1
	s_waitcnt lgkmcnt(3)
	v_pk_fma_f32 v[218:219], v[12:13], v[2:3], v[218:219] op_sel_hi:[0,1,1] neg_lo:[1,0,0] neg_hi:[1,0,0]
	s_waitcnt lgkmcnt(2)
	v_pk_fma_f32 v[180:181], v[12:13], v[4:5], v[180:181] op_sel_hi:[0,1,1] neg_lo:[1,0,0] neg_hi:[1,0,0]
	ds_read2_b32 v[2:3], v246 offset0:10 offset1:11
	ds_read2_b32 v[4:5], v246 offset0:12 offset1:13
	v_mov_b32_e32 v59, v47
	v_mov_b32_e32 v1, v12
	s_waitcnt lgkmcnt(0)
	v_mov_b64_e32 v[196:197], v[14:15]
	v_pk_fma_f32 v[58:59], v[12:13], v[2:3], v[58:59] op_sel_hi:[0,1,1] neg_lo:[1,0,0] neg_hi:[1,0,0]
	v_mov_b64_e32 v[194:195], v[12:13]
	v_mov_b64_e32 v[192:193], v[10:11]
	;; [unrolled: 1-line block ×7, first 2 shown]
	v_mov_b32_e32 v2, v218
	v_mov_b64_e32 v[234:235], v[14:15]
	v_mov_b64_e32 v[232:233], v[12:13]
	;; [unrolled: 1-line block ×8, first 2 shown]
	v_mov_b32_e32 v3, v219
	v_mov_b64_e32 v[214:215], v[14:15]
	v_mov_b32_e32 v145, v137
	v_pk_fma_f32 v[242:243], v[12:13], v[4:5], v[242:243] op_sel_hi:[0,1,1] neg_lo:[1,0,0] neg_hi:[1,0,0]
	v_mov_b64_e32 v[212:213], v[12:13]
	v_mov_b64_e32 v[210:211], v[10:11]
	;; [unrolled: 1-line block ×7, first 2 shown]
	v_mov_b32_e32 v4, v180
	v_mov_b64_e32 v[178:179], v[14:15]
	v_pk_fma_f32 v[144:145], v[12:13], v[6:7], v[144:145] op_sel_hi:[0,1,1] neg_lo:[1,0,0] neg_hi:[1,0,0]
	v_mov_b64_e32 v[176:177], v[12:13]
	v_mov_b64_e32 v[174:175], v[10:11]
	;; [unrolled: 1-line block ×7, first 2 shown]
	v_mov_b32_e32 v5, v181
	v_mov_b64_e32 v[160:161], v[14:15]
	v_mov_b32_e32 v103, v93
	v_mov_b64_e32 v[158:159], v[12:13]
	v_mov_b64_e32 v[156:157], v[10:11]
	;; [unrolled: 1-line block ×7, first 2 shown]
	v_mov_b32_e32 v6, v144
	v_mov_b64_e32 v[134:135], v[14:15]
	v_pk_fma_f32 v[102:103], v[12:13], v[8:9], v[102:103] op_sel_hi:[0,1,1] neg_lo:[1,0,0] neg_hi:[1,0,0]
	v_mov_b64_e32 v[132:133], v[12:13]
	v_mov_b64_e32 v[130:131], v[10:11]
	v_mov_b64_e32 v[128:129], v[8:9]
	v_mov_b64_e32 v[126:127], v[6:7]
	v_mov_b64_e32 v[124:125], v[4:5]
	v_mov_b64_e32 v[122:123], v[2:3]
	v_mov_b64_e32 v[120:121], v[0:1]
	v_mov_b32_e32 v7, v145
	v_mov_b64_e32 v[118:119], v[14:15]
	v_mov_b64_e32 v[116:117], v[12:13]
	v_mov_b64_e32 v[114:115], v[10:11]
	v_mov_b64_e32 v[112:113], v[8:9]
	v_mov_b64_e32 v[110:111], v[6:7]
	v_mov_b64_e32 v[108:109], v[4:5]
	v_mov_b64_e32 v[106:107], v[2:3]
	v_mov_b64_e32 v[104:105], v[0:1]
	v_mov_b32_e32 v8, v102
	v_mov_b64_e32 v[90:91], v[14:15]
	;; [unrolled: 9-line block ×5, first 2 shown]
	v_mov_b64_e32 v[42:43], v[12:13]
	v_mov_b64_e32 v[40:41], v[10:11]
	v_mov_b64_e32 v[38:39], v[8:9]
	v_mov_b64_e32 v[36:37], v[6:7]
	v_mov_b64_e32 v[34:35], v[4:5]
	v_mov_b64_e32 v[32:33], v[2:3]
	v_mov_b64_e32 v[30:31], v[0:1]
	v_mov_b32_e32 v12, v242
	v_mov_b32_e32 v13, v243
	v_mov_b32_e32 v245, v242
	v_mov_b32_e32 v199, v219
	v_mov_b32_e32 v163, v181
	v_mov_b32_e32 v137, v145
	v_mov_b32_e32 v93, v103
	v_mov_b32_e32 v47, v59
.LBB26_31:
	s_or_b64 exec, exec, s[18:19]
	v_lshl_add_u32 v25, v249, 2, v246
	s_barrier
	ds_write_b32 v25, v218
	s_waitcnt lgkmcnt(0)
	s_barrier
	ds_read_b32 v25, v246 offset:8
	s_cmp_lt_i32 s22, 4
	v_mov_b32_e32 v26, 2
	s_cbranch_scc1 .LBB26_34
; %bb.32:
	v_mov_b32_e32 v26, 2
	v_add3_u32 v27, v247, 0, 12
	s_mov_b32 s18, 3
.LBB26_33:                              ; =>This Inner Loop Header: Depth=1
	ds_read_b32 v28, v27
	v_mov_b32_e32 v29, s18
	s_add_i32 s18, s18, 1
	v_add_u32_e32 v27, 4, v27
	s_cmp_lg_u32 s22, s18
	s_waitcnt lgkmcnt(0)
	v_cmp_lt_f32_e64 vcc, |v25|, |v28|
	s_nop 1
	v_cndmask_b32_e32 v25, v25, v28, vcc
	v_cndmask_b32_e32 v26, v26, v29, vcc
	s_cbranch_scc1 .LBB26_33
.LBB26_34:
	v_cndmask_b32_e64 v27, 2, 1, s[0:1]
	v_cndmask_b32_e64 v28, 0, 1, s[0:1]
	;; [unrolled: 1-line block ×3, first 2 shown]
	s_waitcnt lgkmcnt(0)
	v_cmp_eq_f32_e32 vcc, 0, v25
	s_and_saveexec_b64 s[0:1], vcc
	s_xor_b64 s[0:1], exec, s[0:1]
; %bb.35:
	v_cmp_ne_u32_e32 vcc, 0, v46
	s_nop 1
	v_cndmask_b32_e32 v46, 3, v46, vcc
; %bb.36:
	s_andn2_saveexec_b64 s[0:1], s[0:1]
	s_cbranch_execz .LBB26_38
; %bb.37:
	v_div_scale_f32 v27, s[2:3], v25, v25, 1.0
	v_rcp_f32_e32 v28, v27
	v_div_scale_f32 v29, vcc, 1.0, v25, 1.0
	v_fma_f32 v42, -v27, v28, 1.0
	v_fmac_f32_e32 v28, v42, v28
	v_mul_f32_e32 v42, v29, v28
	v_fma_f32 v43, -v27, v42, v29
	v_fmac_f32_e32 v42, v43, v28
	v_fma_f32 v27, -v27, v42, v29
	v_div_fmas_f32 v27, v27, v28, v42
	v_div_fixup_f32 v25, v27, v25, 1.0
.LBB26_38:
	s_or_b64 exec, exec, s[0:1]
	v_cmp_ne_u32_e32 vcc, v249, v26
	s_and_saveexec_b64 s[0:1], vcc
	s_xor_b64 s[0:1], exec, s[0:1]
	s_cbranch_execz .LBB26_44
; %bb.39:
	v_cmp_eq_u32_e32 vcc, 2, v249
	s_and_saveexec_b64 s[2:3], vcc
	s_cbranch_execz .LBB26_43
; %bb.40:
	v_cmp_ne_u32_e32 vcc, 2, v26
	s_xor_b64 s[18:19], s[16:17], -1
	s_and_b64 s[20:21], s[18:19], vcc
	s_and_saveexec_b64 s[18:19], s[20:21]
	s_cbranch_execz .LBB26_42
; %bb.41:
	v_ashrrev_i32_e32 v27, 31, v26
	v_lshl_add_u64 v[28:29], v[26:27], 2, v[240:241]
	global_load_dword v27, v[28:29], off
	global_load_dword v42, v[240:241], off offset:8
	s_waitcnt vmcnt(1)
	global_store_dword v[240:241], v27, off offset:8
	s_waitcnt vmcnt(1)
	global_store_dword v[28:29], v42, off
.LBB26_42:
	s_or_b64 exec, exec, s[18:19]
	v_mov_b32_e32 v248, v26
	v_mov_b32_e32 v249, v26
.LBB26_43:
	s_or_b64 exec, exec, s[2:3]
.LBB26_44:
	s_andn2_saveexec_b64 s[0:1], s[0:1]
	s_cbranch_execz .LBB26_46
; %bb.45:
	v_mov_b32_e32 v249, 2
	ds_write2_b32 v246, v3, v4 offset0:3 offset1:4
	ds_write2_b32 v246, v5, v6 offset0:5 offset1:6
	ds_write2_b32 v246, v7, v8 offset0:7 offset1:8
	ds_write2_b32 v246, v9, v10 offset0:9 offset1:10
	ds_write2_b32 v246, v11, v12 offset0:11 offset1:12
	ds_write_b32 v246, v243 offset:52
.LBB26_46:
	s_or_b64 exec, exec, s[0:1]
	v_cmp_lt_i32_e32 vcc, 2, v249
	s_waitcnt lgkmcnt(0)
	s_barrier
	s_and_saveexec_b64 s[0:1], vcc
	s_cbranch_execz .LBB26_48
; %bb.47:
	ds_read2_b32 v[0:1], v246 offset0:3 offset1:4
	v_mul_f32_e32 v184, v218, v25
	v_mov_b32_e32 v2, v3
	v_mov_b32_e32 v3, v4
	ds_read2_b32 v[14:15], v246 offset0:5 offset1:6
	ds_read2_b32 v[16:17], v246 offset0:7 offset1:8
	ds_read2_b32 v[18:19], v246 offset0:9 offset1:10
	s_waitcnt lgkmcnt(3)
	v_pk_fma_f32 v[26:27], v[184:185], v[0:1], v[2:3] op_sel_hi:[0,1,1] neg_lo:[1,0,0] neg_hi:[1,0,0]
	ds_read2_b32 v[2:3], v246 offset0:11 offset1:12
	ds_read_b32 v4, v246 offset:52
	v_mov_b32_e32 v0, v5
	v_mov_b32_e32 v1, v6
	s_waitcnt lgkmcnt(4)
	v_pk_fma_f32 v[28:29], v[184:185], v[14:15], v[0:1] op_sel_hi:[0,1,1] neg_lo:[1,0,0] neg_hi:[1,0,0]
	v_mov_b32_e32 v0, v7
	v_mov_b32_e32 v1, v8
	s_waitcnt lgkmcnt(3)
	v_pk_fma_f32 v[42:43], v[184:185], v[16:17], v[0:1] op_sel_hi:[0,1,1] neg_lo:[1,0,0] neg_hi:[1,0,0]
	;; [unrolled: 4-line block ×4, first 2 shown]
	v_mov_b32_e32 v185, v26
	s_waitcnt lgkmcnt(0)
	v_fma_f32 v13, -v184, v4, v243
	v_mov_b64_e32 v[214:215], v[196:197]
	v_mov_b64_e32 v[234:235], v[196:197]
	v_mov_b32_e32 v164, v182
	v_mov_b32_e32 v165, v183
	;; [unrolled: 1-line block ×81, first 2 shown]
	v_mov_b64_e32 v[202:203], v[184:185]
	v_mov_b64_e32 v[200:201], v[182:183]
	v_mov_b64_e32 v[222:223], v[184:185]
	v_mov_b64_e32 v[220:221], v[182:183]
	v_mov_b32_e32 v243, v13
	v_mov_b32_e32 v199, v26
	;; [unrolled: 1-line block ×10, first 2 shown]
	v_mov_b64_e32 v[212:213], v[194:195]
	v_mov_b64_e32 v[210:211], v[192:193]
	;; [unrolled: 1-line block ×10, first 2 shown]
.LBB26_48:
	s_or_b64 exec, exec, s[0:1]
	v_lshl_add_u32 v25, v249, 2, v246
	s_barrier
	ds_write_b32 v25, v199
	s_waitcnt lgkmcnt(0)
	s_barrier
	ds_read_b32 v25, v246 offset:12
	s_cmp_lt_i32 s22, 5
	v_mov_b32_e32 v26, 3
	s_cbranch_scc1 .LBB26_51
; %bb.49:
	v_add3_u32 v27, v247, 0, 16
	v_mov_b32_e32 v26, 3
	s_mov_b32 s0, 4
.LBB26_50:                              ; =>This Inner Loop Header: Depth=1
	ds_read_b32 v28, v27
	v_mov_b32_e32 v29, s0
	s_add_i32 s0, s0, 1
	v_add_u32_e32 v27, 4, v27
	s_cmp_lg_u32 s22, s0
	s_waitcnt lgkmcnt(0)
	v_cmp_lt_f32_e64 vcc, |v25|, |v28|
	s_nop 1
	v_cndmask_b32_e32 v25, v25, v28, vcc
	v_cndmask_b32_e32 v26, v26, v29, vcc
	s_cbranch_scc1 .LBB26_50
.LBB26_51:
	s_waitcnt lgkmcnt(0)
	v_cmp_eq_f32_e32 vcc, 0, v25
	s_and_saveexec_b64 s[0:1], vcc
	s_xor_b64 s[0:1], exec, s[0:1]
; %bb.52:
	v_cmp_ne_u32_e32 vcc, 0, v46
	s_nop 1
	v_cndmask_b32_e32 v46, 4, v46, vcc
; %bb.53:
	s_andn2_saveexec_b64 s[0:1], s[0:1]
	s_cbranch_execz .LBB26_55
; %bb.54:
	v_div_scale_f32 v27, s[2:3], v25, v25, 1.0
	v_rcp_f32_e32 v28, v27
	v_div_scale_f32 v29, vcc, 1.0, v25, 1.0
	v_fma_f32 v42, -v27, v28, 1.0
	v_fmac_f32_e32 v28, v42, v28
	v_mul_f32_e32 v42, v29, v28
	v_fma_f32 v43, -v27, v42, v29
	v_fmac_f32_e32 v42, v43, v28
	v_fma_f32 v27, -v27, v42, v29
	v_div_fmas_f32 v27, v27, v28, v42
	v_div_fixup_f32 v25, v27, v25, 1.0
.LBB26_55:
	s_or_b64 exec, exec, s[0:1]
	v_cmp_ne_u32_e32 vcc, v249, v26
	s_and_saveexec_b64 s[0:1], vcc
	s_xor_b64 s[0:1], exec, s[0:1]
	s_cbranch_execz .LBB26_61
; %bb.56:
	v_cmp_eq_u32_e32 vcc, 3, v249
	s_and_saveexec_b64 s[2:3], vcc
	s_cbranch_execz .LBB26_60
; %bb.57:
	v_cmp_ne_u32_e32 vcc, 3, v26
	s_xor_b64 s[18:19], s[16:17], -1
	s_and_b64 s[20:21], s[18:19], vcc
	s_and_saveexec_b64 s[18:19], s[20:21]
	s_cbranch_execz .LBB26_59
; %bb.58:
	v_ashrrev_i32_e32 v27, 31, v26
	v_lshl_add_u64 v[28:29], v[26:27], 2, v[240:241]
	global_load_dword v27, v[28:29], off
	global_load_dword v42, v[240:241], off offset:12
	s_waitcnt vmcnt(1)
	global_store_dword v[240:241], v27, off offset:12
	s_waitcnt vmcnt(1)
	global_store_dword v[28:29], v42, off
.LBB26_59:
	s_or_b64 exec, exec, s[18:19]
	v_mov_b32_e32 v248, v26
	v_mov_b32_e32 v249, v26
.LBB26_60:
	s_or_b64 exec, exec, s[2:3]
.LBB26_61:
	s_andn2_saveexec_b64 s[0:1], s[0:1]
	s_cbranch_execz .LBB26_63
; %bb.62:
	v_mov_b32_e32 v249, 3
	ds_write2_b32 v246, v4, v5 offset0:4 offset1:5
	ds_write2_b32 v246, v6, v7 offset0:6 offset1:7
	;; [unrolled: 1-line block ×5, first 2 shown]
.LBB26_63:
	s_or_b64 exec, exec, s[0:1]
	v_cmp_lt_i32_e32 vcc, 3, v249
	s_waitcnt lgkmcnt(0)
	s_barrier
	s_and_saveexec_b64 s[0:1], vcc
	s_cbranch_execz .LBB26_65
; %bb.64:
	ds_read2_b32 v[0:1], v246 offset0:4 offset1:5
	ds_read2_b32 v[2:3], v246 offset0:6 offset1:7
	;; [unrolled: 1-line block ×5, first 2 shown]
	v_mul_f32_e32 v26, v199, v25
	s_waitcnt lgkmcnt(4)
	v_pk_fma_f32 v[168:169], v[26:27], v[0:1], v[4:5] op_sel_hi:[0,1,1] neg_lo:[1,0,0] neg_hi:[1,0,0]
	s_waitcnt lgkmcnt(3)
	v_pk_fma_f32 v[126:127], v[26:27], v[2:3], v[6:7] op_sel_hi:[0,1,1] neg_lo:[1,0,0] neg_hi:[1,0,0]
	;; [unrolled: 2-line block ×5, first 2 shown]
	v_mov_b32_e32 v223, v26
	v_mov_b64_e32 v[200:201], v[220:221]
	v_mov_b32_e32 v164, v220
	v_mov_b32_e32 v165, v221
	;; [unrolled: 1-line block ×76, first 2 shown]
	v_mov_b64_e32 v[202:203], v[222:223]
	v_mov_b32_e32 v245, v12
	v_mov_b32_e32 v243, v13
	;; [unrolled: 1-line block ×10, first 2 shown]
	v_mov_b64_e32 v[204:205], v[224:225]
	v_mov_b64_e32 v[206:207], v[226:227]
	;; [unrolled: 1-line block ×6, first 2 shown]
.LBB26_65:
	s_or_b64 exec, exec, s[0:1]
	v_lshl_add_u32 v25, v249, 2, v246
	s_barrier
	ds_write_b32 v25, v180
	s_waitcnt lgkmcnt(0)
	s_barrier
	ds_read_b32 v25, v246 offset:16
	s_cmp_lt_i32 s22, 6
	v_mov_b32_e32 v26, 4
	s_cbranch_scc1 .LBB26_68
; %bb.66:
	v_add3_u32 v27, v247, 0, 20
	v_mov_b32_e32 v26, 4
	s_mov_b32 s0, 5
.LBB26_67:                              ; =>This Inner Loop Header: Depth=1
	ds_read_b32 v28, v27
	v_mov_b32_e32 v29, s0
	s_add_i32 s0, s0, 1
	v_add_u32_e32 v27, 4, v27
	s_cmp_lg_u32 s22, s0
	s_waitcnt lgkmcnt(0)
	v_cmp_lt_f32_e64 vcc, |v25|, |v28|
	s_nop 1
	v_cndmask_b32_e32 v25, v25, v28, vcc
	v_cndmask_b32_e32 v26, v26, v29, vcc
	s_cbranch_scc1 .LBB26_67
.LBB26_68:
	s_waitcnt lgkmcnt(0)
	v_cmp_eq_f32_e32 vcc, 0, v25
	s_and_saveexec_b64 s[0:1], vcc
	s_xor_b64 s[0:1], exec, s[0:1]
; %bb.69:
	v_cmp_ne_u32_e32 vcc, 0, v46
	s_nop 1
	v_cndmask_b32_e32 v46, 5, v46, vcc
; %bb.70:
	s_andn2_saveexec_b64 s[0:1], s[0:1]
	s_cbranch_execz .LBB26_72
; %bb.71:
	v_div_scale_f32 v27, s[2:3], v25, v25, 1.0
	v_rcp_f32_e32 v28, v27
	v_div_scale_f32 v29, vcc, 1.0, v25, 1.0
	v_fma_f32 v42, -v27, v28, 1.0
	v_fmac_f32_e32 v28, v42, v28
	v_mul_f32_e32 v42, v29, v28
	v_fma_f32 v43, -v27, v42, v29
	v_fmac_f32_e32 v42, v43, v28
	v_fma_f32 v27, -v27, v42, v29
	v_div_fmas_f32 v27, v27, v28, v42
	v_div_fixup_f32 v25, v27, v25, 1.0
.LBB26_72:
	s_or_b64 exec, exec, s[0:1]
	v_cmp_ne_u32_e32 vcc, v249, v26
	s_and_saveexec_b64 s[0:1], vcc
	s_xor_b64 s[0:1], exec, s[0:1]
	s_cbranch_execz .LBB26_78
; %bb.73:
	v_cmp_eq_u32_e32 vcc, 4, v249
	s_and_saveexec_b64 s[2:3], vcc
	s_cbranch_execz .LBB26_77
; %bb.74:
	v_cmp_ne_u32_e32 vcc, 4, v26
	s_xor_b64 s[18:19], s[16:17], -1
	s_and_b64 s[20:21], s[18:19], vcc
	s_and_saveexec_b64 s[18:19], s[20:21]
	s_cbranch_execz .LBB26_76
; %bb.75:
	v_ashrrev_i32_e32 v27, 31, v26
	v_lshl_add_u64 v[28:29], v[26:27], 2, v[240:241]
	global_load_dword v27, v[28:29], off
	global_load_dword v42, v[240:241], off offset:16
	s_waitcnt vmcnt(1)
	global_store_dword v[240:241], v27, off offset:16
	s_waitcnt vmcnt(1)
	global_store_dword v[28:29], v42, off
.LBB26_76:
	s_or_b64 exec, exec, s[18:19]
	v_mov_b32_e32 v248, v26
	v_mov_b32_e32 v249, v26
.LBB26_77:
	s_or_b64 exec, exec, s[2:3]
.LBB26_78:
	s_andn2_saveexec_b64 s[0:1], s[0:1]
	s_cbranch_execz .LBB26_80
; %bb.79:
	v_mov_b32_e32 v249, 4
	ds_write2_b32 v246, v5, v6 offset0:5 offset1:6
	ds_write2_b32 v246, v7, v8 offset0:7 offset1:8
	;; [unrolled: 1-line block ×4, first 2 shown]
	ds_write_b32 v246, v243 offset:52
.LBB26_80:
	s_or_b64 exec, exec, s[0:1]
	v_cmp_lt_i32_e32 vcc, 4, v249
	s_waitcnt lgkmcnt(0)
	s_barrier
	s_and_saveexec_b64 s[0:1], vcc
	s_cbranch_execz .LBB26_82
; %bb.81:
	ds_read2_b32 v[0:1], v246 offset0:5 offset1:6
	v_mul_f32_e32 v204, v180, v25
	v_mov_b32_e32 v2, v5
	v_mov_b32_e32 v3, v6
	ds_read2_b32 v[4:5], v246 offset0:7 offset1:8
	ds_read2_b32 v[14:15], v246 offset0:9 offset1:10
	ds_read2_b32 v[16:17], v246 offset0:11 offset1:12
	s_waitcnt lgkmcnt(3)
	v_pk_fma_f32 v[26:27], v[204:205], v[0:1], v[2:3] op_sel_hi:[0,1,1] neg_lo:[1,0,0] neg_hi:[1,0,0]
	ds_read_b32 v2, v246 offset:52
	v_mov_b32_e32 v0, v7
	v_mov_b32_e32 v1, v8
	s_waitcnt lgkmcnt(3)
	v_pk_fma_f32 v[28:29], v[204:205], v[4:5], v[0:1] op_sel_hi:[0,1,1] neg_lo:[1,0,0] neg_hi:[1,0,0]
	v_mov_b32_e32 v0, v9
	v_mov_b32_e32 v1, v10
	s_waitcnt lgkmcnt(2)
	v_pk_fma_f32 v[42:43], v[204:205], v[14:15], v[0:1] op_sel_hi:[0,1,1] neg_lo:[1,0,0] neg_hi:[1,0,0]
	;; [unrolled: 4-line block ×3, first 2 shown]
	s_waitcnt lgkmcnt(0)
	v_fma_f32 v13, -v204, v2, v243
	v_mov_b32_e32 v205, v26
	v_mov_b64_e32 v[146:147], v[200:201]
	v_mov_b64_e32 v[164:165], v[200:201]
	v_mov_b32_e32 v120, v200
	v_mov_b32_e32 v121, v201
	;; [unrolled: 1-line block ×70, first 2 shown]
	v_mov_b64_e32 v[148:149], v[202:203]
	v_mov_b64_e32 v[150:151], v[204:205]
	;; [unrolled: 1-line block ×4, first 2 shown]
	v_mov_b32_e32 v243, v13
	v_mov_b32_e32 v163, v26
	;; [unrolled: 1-line block ×8, first 2 shown]
	v_mov_b64_e32 v[152:153], v[206:207]
	v_mov_b64_e32 v[154:155], v[208:209]
	;; [unrolled: 1-line block ×10, first 2 shown]
.LBB26_82:
	s_or_b64 exec, exec, s[0:1]
	v_lshl_add_u32 v25, v249, 2, v246
	s_barrier
	ds_write_b32 v25, v163
	s_waitcnt lgkmcnt(0)
	s_barrier
	ds_read_b32 v25, v246 offset:20
	s_cmp_lt_i32 s22, 7
	v_mov_b32_e32 v26, 5
	s_cbranch_scc1 .LBB26_85
; %bb.83:
	v_add3_u32 v27, v247, 0, 24
	v_mov_b32_e32 v26, 5
	s_mov_b32 s0, 6
.LBB26_84:                              ; =>This Inner Loop Header: Depth=1
	ds_read_b32 v28, v27
	v_mov_b32_e32 v29, s0
	s_add_i32 s0, s0, 1
	v_add_u32_e32 v27, 4, v27
	s_cmp_lg_u32 s22, s0
	s_waitcnt lgkmcnt(0)
	v_cmp_lt_f32_e64 vcc, |v25|, |v28|
	s_nop 1
	v_cndmask_b32_e32 v25, v25, v28, vcc
	v_cndmask_b32_e32 v26, v26, v29, vcc
	s_cbranch_scc1 .LBB26_84
.LBB26_85:
	s_waitcnt lgkmcnt(0)
	v_cmp_eq_f32_e32 vcc, 0, v25
	s_and_saveexec_b64 s[0:1], vcc
	s_xor_b64 s[0:1], exec, s[0:1]
; %bb.86:
	v_cmp_ne_u32_e32 vcc, 0, v46
	s_nop 1
	v_cndmask_b32_e32 v46, 6, v46, vcc
; %bb.87:
	s_andn2_saveexec_b64 s[0:1], s[0:1]
	s_cbranch_execz .LBB26_89
; %bb.88:
	v_div_scale_f32 v27, s[2:3], v25, v25, 1.0
	v_rcp_f32_e32 v28, v27
	v_div_scale_f32 v29, vcc, 1.0, v25, 1.0
	v_fma_f32 v42, -v27, v28, 1.0
	v_fmac_f32_e32 v28, v42, v28
	v_mul_f32_e32 v42, v29, v28
	v_fma_f32 v43, -v27, v42, v29
	v_fmac_f32_e32 v42, v43, v28
	v_fma_f32 v27, -v27, v42, v29
	v_div_fmas_f32 v27, v27, v28, v42
	v_div_fixup_f32 v25, v27, v25, 1.0
.LBB26_89:
	s_or_b64 exec, exec, s[0:1]
	v_cmp_ne_u32_e32 vcc, v249, v26
	s_and_saveexec_b64 s[0:1], vcc
	s_xor_b64 s[0:1], exec, s[0:1]
	s_cbranch_execz .LBB26_95
; %bb.90:
	v_cmp_eq_u32_e32 vcc, 5, v249
	s_and_saveexec_b64 s[2:3], vcc
	s_cbranch_execz .LBB26_94
; %bb.91:
	v_cmp_ne_u32_e32 vcc, 5, v26
	s_xor_b64 s[18:19], s[16:17], -1
	s_and_b64 s[20:21], s[18:19], vcc
	s_and_saveexec_b64 s[18:19], s[20:21]
	s_cbranch_execz .LBB26_93
; %bb.92:
	v_ashrrev_i32_e32 v27, 31, v26
	v_lshl_add_u64 v[28:29], v[26:27], 2, v[240:241]
	global_load_dword v27, v[28:29], off
	global_load_dword v42, v[240:241], off offset:20
	s_waitcnt vmcnt(1)
	global_store_dword v[240:241], v27, off offset:20
	s_waitcnt vmcnt(1)
	global_store_dword v[28:29], v42, off
.LBB26_93:
	s_or_b64 exec, exec, s[18:19]
	v_mov_b32_e32 v248, v26
	v_mov_b32_e32 v249, v26
.LBB26_94:
	s_or_b64 exec, exec, s[2:3]
.LBB26_95:
	s_andn2_saveexec_b64 s[0:1], s[0:1]
	s_cbranch_execz .LBB26_97
; %bb.96:
	v_mov_b32_e32 v249, 5
	ds_write2_b32 v246, v6, v7 offset0:6 offset1:7
	ds_write2_b32 v246, v8, v9 offset0:8 offset1:9
	;; [unrolled: 1-line block ×4, first 2 shown]
.LBB26_97:
	s_or_b64 exec, exec, s[0:1]
	v_cmp_lt_i32_e32 vcc, 5, v249
	s_waitcnt lgkmcnt(0)
	s_barrier
	s_and_saveexec_b64 s[0:1], vcc
	s_cbranch_execz .LBB26_99
; %bb.98:
	ds_read2_b32 v[0:1], v246 offset0:6 offset1:7
	ds_read2_b32 v[2:3], v246 offset0:8 offset1:9
	;; [unrolled: 1-line block ×4, first 2 shown]
	v_mul_f32_e32 v26, v163, v25
	s_waitcnt lgkmcnt(3)
	v_pk_fma_f32 v[126:127], v[26:27], v[0:1], v[6:7] op_sel_hi:[0,1,1] neg_lo:[1,0,0] neg_hi:[1,0,0]
	s_waitcnt lgkmcnt(2)
	v_pk_fma_f32 v[84:85], v[26:27], v[2:3], v[8:9] op_sel_hi:[0,1,1] neg_lo:[1,0,0] neg_hi:[1,0,0]
	;; [unrolled: 2-line block ×4, first 2 shown]
	v_mov_b32_e32 v169, v26
	v_mov_b64_e32 v[146:147], v[164:165]
	v_mov_b32_e32 v120, v164
	v_mov_b32_e32 v121, v165
	;; [unrolled: 1-line block ×66, first 2 shown]
	v_mov_b64_e32 v[148:149], v[166:167]
	v_mov_b64_e32 v[150:151], v[168:169]
	v_mov_b32_e32 v144, v126
	v_mov_b32_e32 v137, v127
	;; [unrolled: 1-line block ×8, first 2 shown]
	v_mov_b64_e32 v[152:153], v[170:171]
	v_mov_b64_e32 v[154:155], v[172:173]
	;; [unrolled: 1-line block ×5, first 2 shown]
.LBB26_99:
	s_or_b64 exec, exec, s[0:1]
	v_lshl_add_u32 v25, v249, 2, v246
	s_barrier
	ds_write_b32 v25, v144
	s_waitcnt lgkmcnt(0)
	s_barrier
	ds_read_b32 v25, v246 offset:24
	s_cmp_lt_i32 s22, 8
	v_mov_b32_e32 v26, 6
	s_cbranch_scc1 .LBB26_102
; %bb.100:
	v_add3_u32 v27, v247, 0, 28
	v_mov_b32_e32 v26, 6
	s_mov_b32 s0, 7
.LBB26_101:                             ; =>This Inner Loop Header: Depth=1
	ds_read_b32 v28, v27
	v_mov_b32_e32 v29, s0
	s_add_i32 s0, s0, 1
	v_add_u32_e32 v27, 4, v27
	s_cmp_lg_u32 s22, s0
	s_waitcnt lgkmcnt(0)
	v_cmp_lt_f32_e64 vcc, |v25|, |v28|
	s_nop 1
	v_cndmask_b32_e32 v25, v25, v28, vcc
	v_cndmask_b32_e32 v26, v26, v29, vcc
	s_cbranch_scc1 .LBB26_101
.LBB26_102:
	s_waitcnt lgkmcnt(0)
	v_cmp_eq_f32_e32 vcc, 0, v25
	s_and_saveexec_b64 s[0:1], vcc
	s_xor_b64 s[0:1], exec, s[0:1]
; %bb.103:
	v_cmp_ne_u32_e32 vcc, 0, v46
	s_nop 1
	v_cndmask_b32_e32 v46, 7, v46, vcc
; %bb.104:
	s_andn2_saveexec_b64 s[0:1], s[0:1]
	s_cbranch_execz .LBB26_106
; %bb.105:
	v_div_scale_f32 v27, s[2:3], v25, v25, 1.0
	v_rcp_f32_e32 v28, v27
	v_div_scale_f32 v29, vcc, 1.0, v25, 1.0
	v_fma_f32 v42, -v27, v28, 1.0
	v_fmac_f32_e32 v28, v42, v28
	v_mul_f32_e32 v42, v29, v28
	v_fma_f32 v43, -v27, v42, v29
	v_fmac_f32_e32 v42, v43, v28
	v_fma_f32 v27, -v27, v42, v29
	v_div_fmas_f32 v27, v27, v28, v42
	v_div_fixup_f32 v25, v27, v25, 1.0
.LBB26_106:
	s_or_b64 exec, exec, s[0:1]
	v_cmp_ne_u32_e32 vcc, v249, v26
	s_and_saveexec_b64 s[0:1], vcc
	s_xor_b64 s[0:1], exec, s[0:1]
	s_cbranch_execz .LBB26_112
; %bb.107:
	v_cmp_eq_u32_e32 vcc, 6, v249
	s_and_saveexec_b64 s[2:3], vcc
	s_cbranch_execz .LBB26_111
; %bb.108:
	v_cmp_ne_u32_e32 vcc, 6, v26
	s_xor_b64 s[18:19], s[16:17], -1
	s_and_b64 s[20:21], s[18:19], vcc
	s_and_saveexec_b64 s[18:19], s[20:21]
	s_cbranch_execz .LBB26_110
; %bb.109:
	v_ashrrev_i32_e32 v27, 31, v26
	v_lshl_add_u64 v[28:29], v[26:27], 2, v[240:241]
	global_load_dword v27, v[28:29], off
	global_load_dword v42, v[240:241], off offset:24
	s_waitcnt vmcnt(1)
	global_store_dword v[240:241], v27, off offset:24
	s_waitcnt vmcnt(1)
	global_store_dword v[28:29], v42, off
.LBB26_110:
	s_or_b64 exec, exec, s[18:19]
	v_mov_b32_e32 v248, v26
	v_mov_b32_e32 v249, v26
.LBB26_111:
	s_or_b64 exec, exec, s[2:3]
.LBB26_112:
	s_andn2_saveexec_b64 s[0:1], s[0:1]
	s_cbranch_execz .LBB26_114
; %bb.113:
	v_mov_b32_e32 v249, 6
	ds_write2_b32 v246, v7, v8 offset0:7 offset1:8
	ds_write2_b32 v246, v9, v10 offset0:9 offset1:10
	;; [unrolled: 1-line block ×3, first 2 shown]
	ds_write_b32 v246, v243 offset:52
.LBB26_114:
	s_or_b64 exec, exec, s[0:1]
	v_cmp_lt_i32_e32 vcc, 6, v249
	s_waitcnt lgkmcnt(0)
	s_barrier
	s_and_saveexec_b64 s[0:1], vcc
	s_cbranch_execz .LBB26_116
; %bb.115:
	ds_read2_b32 v[0:1], v246 offset0:7 offset1:8
	v_mov_b32_e32 v2, v7
	v_mov_b32_e32 v3, v8
	ds_read2_b32 v[4:5], v246 offset0:9 offset1:10
	ds_read2_b32 v[6:7], v246 offset0:11 offset1:12
	ds_read_b32 v8, v246 offset:52
	v_mul_f32_e32 v152, v144, v25
	s_waitcnt lgkmcnt(3)
	v_pk_fma_f32 v[26:27], v[152:153], v[0:1], v[2:3] op_sel_hi:[0,1,1] neg_lo:[1,0,0] neg_hi:[1,0,0]
	v_mov_b32_e32 v0, v9
	v_mov_b32_e32 v1, v10
	s_waitcnt lgkmcnt(2)
	v_pk_fma_f32 v[28:29], v[152:153], v[4:5], v[0:1] op_sel_hi:[0,1,1] neg_lo:[1,0,0] neg_hi:[1,0,0]
	v_mov_b32_e32 v0, v11
	v_mov_b32_e32 v1, v12
	s_waitcnt lgkmcnt(1)
	v_pk_fma_f32 v[244:245], v[152:153], v[6:7], v[0:1] op_sel_hi:[0,1,1] neg_lo:[1,0,0] neg_hi:[1,0,0]
	s_waitcnt lgkmcnt(0)
	v_fma_f32 v13, -v152, v8, v243
	v_mov_b32_e32 v153, v26
	v_mov_b64_e32 v[104:105], v[146:147]
	v_mov_b64_e32 v[120:121], v[146:147]
	v_mov_b32_e32 v76, v146
	v_mov_b32_e32 v77, v147
	;; [unrolled: 1-line block ×55, first 2 shown]
	v_mov_b64_e32 v[106:107], v[148:149]
	v_mov_b64_e32 v[108:109], v[150:151]
	;; [unrolled: 1-line block ×6, first 2 shown]
	v_mov_b32_e32 v137, v26
	v_mov_b32_e32 v102, v27
	;; [unrolled: 1-line block ×6, first 2 shown]
	v_mov_b64_e32 v[112:113], v[154:155]
	v_mov_b64_e32 v[114:115], v[156:157]
	;; [unrolled: 1-line block ×8, first 2 shown]
.LBB26_116:
	s_or_b64 exec, exec, s[0:1]
	v_lshl_add_u32 v25, v249, 2, v246
	s_barrier
	ds_write_b32 v25, v137
	s_waitcnt lgkmcnt(0)
	s_barrier
	ds_read_b32 v25, v246 offset:28
	s_cmp_lt_i32 s22, 9
	v_mov_b32_e32 v26, 7
	s_cbranch_scc1 .LBB26_119
; %bb.117:
	v_add3_u32 v27, v247, 0, 32
	v_mov_b32_e32 v26, 7
	s_mov_b32 s0, 8
.LBB26_118:                             ; =>This Inner Loop Header: Depth=1
	ds_read_b32 v28, v27
	v_mov_b32_e32 v29, s0
	s_add_i32 s0, s0, 1
	v_add_u32_e32 v27, 4, v27
	s_cmp_lg_u32 s22, s0
	s_waitcnt lgkmcnt(0)
	v_cmp_lt_f32_e64 vcc, |v25|, |v28|
	s_nop 1
	v_cndmask_b32_e32 v25, v25, v28, vcc
	v_cndmask_b32_e32 v26, v26, v29, vcc
	s_cbranch_scc1 .LBB26_118
.LBB26_119:
	s_waitcnt lgkmcnt(0)
	v_cmp_eq_f32_e32 vcc, 0, v25
	s_and_saveexec_b64 s[0:1], vcc
	s_xor_b64 s[0:1], exec, s[0:1]
; %bb.120:
	v_cmp_ne_u32_e32 vcc, 0, v46
	s_nop 1
	v_cndmask_b32_e32 v46, 8, v46, vcc
; %bb.121:
	s_andn2_saveexec_b64 s[0:1], s[0:1]
	s_cbranch_execz .LBB26_123
; %bb.122:
	v_div_scale_f32 v27, s[2:3], v25, v25, 1.0
	v_rcp_f32_e32 v28, v27
	v_div_scale_f32 v29, vcc, 1.0, v25, 1.0
	v_fma_f32 v42, -v27, v28, 1.0
	v_fmac_f32_e32 v28, v42, v28
	v_mul_f32_e32 v42, v29, v28
	v_fma_f32 v43, -v27, v42, v29
	v_fmac_f32_e32 v42, v43, v28
	v_fma_f32 v27, -v27, v42, v29
	v_div_fmas_f32 v27, v27, v28, v42
	v_div_fixup_f32 v25, v27, v25, 1.0
.LBB26_123:
	s_or_b64 exec, exec, s[0:1]
	v_cmp_ne_u32_e32 vcc, v249, v26
	s_and_saveexec_b64 s[0:1], vcc
	s_xor_b64 s[0:1], exec, s[0:1]
	s_cbranch_execz .LBB26_129
; %bb.124:
	v_cmp_eq_u32_e32 vcc, 7, v249
	s_and_saveexec_b64 s[2:3], vcc
	s_cbranch_execz .LBB26_128
; %bb.125:
	v_cmp_ne_u32_e32 vcc, 7, v26
	s_xor_b64 s[18:19], s[16:17], -1
	s_and_b64 s[20:21], s[18:19], vcc
	s_and_saveexec_b64 s[18:19], s[20:21]
	s_cbranch_execz .LBB26_127
; %bb.126:
	v_ashrrev_i32_e32 v27, 31, v26
	v_lshl_add_u64 v[28:29], v[26:27], 2, v[240:241]
	global_load_dword v27, v[28:29], off
	global_load_dword v42, v[240:241], off offset:28
	s_waitcnt vmcnt(1)
	global_store_dword v[240:241], v27, off offset:28
	s_waitcnt vmcnt(1)
	global_store_dword v[28:29], v42, off
.LBB26_127:
	s_or_b64 exec, exec, s[18:19]
	v_mov_b32_e32 v248, v26
	v_mov_b32_e32 v249, v26
.LBB26_128:
	s_or_b64 exec, exec, s[2:3]
.LBB26_129:
	s_andn2_saveexec_b64 s[0:1], s[0:1]
	s_cbranch_execz .LBB26_131
; %bb.130:
	v_mov_b32_e32 v249, 7
	ds_write2_b32 v246, v8, v9 offset0:8 offset1:9
	ds_write2_b32 v246, v10, v11 offset0:10 offset1:11
	;; [unrolled: 1-line block ×3, first 2 shown]
.LBB26_131:
	s_or_b64 exec, exec, s[0:1]
	v_cmp_lt_i32_e32 vcc, 7, v249
	s_waitcnt lgkmcnt(0)
	s_barrier
	s_and_saveexec_b64 s[0:1], vcc
	s_cbranch_execz .LBB26_133
; %bb.132:
	ds_read2_b32 v[0:1], v246 offset0:8 offset1:9
	ds_read2_b32 v[2:3], v246 offset0:10 offset1:11
	;; [unrolled: 1-line block ×3, first 2 shown]
	v_mul_f32_e32 v26, v137, v25
	v_mov_b32_e32 v127, v26
	s_waitcnt lgkmcnt(2)
	v_pk_fma_f32 v[84:85], v[26:27], v[0:1], v[8:9] op_sel_hi:[0,1,1] neg_lo:[1,0,0] neg_hi:[1,0,0]
	s_waitcnt lgkmcnt(1)
	v_pk_fma_f32 v[24:25], v[26:27], v[2:3], v[10:11] op_sel_hi:[0,1,1] neg_lo:[1,0,0] neg_hi:[1,0,0]
	;; [unrolled: 2-line block ×3, first 2 shown]
	v_mov_b64_e32 v[104:105], v[120:121]
	v_mov_b32_e32 v76, v120
	v_mov_b32_e32 v77, v121
	;; [unrolled: 1-line block ×52, first 2 shown]
	v_mov_b64_e32 v[106:107], v[122:123]
	v_mov_b64_e32 v[108:109], v[124:125]
	;; [unrolled: 1-line block ×3, first 2 shown]
	v_mov_b32_e32 v102, v84
	v_mov_b32_e32 v93, v85
	;; [unrolled: 1-line block ×6, first 2 shown]
	v_mov_b64_e32 v[112:113], v[128:129]
	v_mov_b64_e32 v[114:115], v[130:131]
	;; [unrolled: 1-line block ×4, first 2 shown]
.LBB26_133:
	s_or_b64 exec, exec, s[0:1]
	v_lshl_add_u32 v25, v249, 2, v246
	s_barrier
	ds_write_b32 v25, v102
	s_waitcnt lgkmcnt(0)
	s_barrier
	ds_read_b32 v25, v246 offset:32
	s_cmp_lt_i32 s22, 10
	v_mov_b32_e32 v26, 8
	s_cbranch_scc1 .LBB26_136
; %bb.134:
	v_add3_u32 v27, v247, 0, 36
	v_mov_b32_e32 v26, 8
	s_mov_b32 s0, 9
.LBB26_135:                             ; =>This Inner Loop Header: Depth=1
	ds_read_b32 v28, v27
	v_mov_b32_e32 v29, s0
	s_add_i32 s0, s0, 1
	v_add_u32_e32 v27, 4, v27
	s_cmp_lg_u32 s22, s0
	s_waitcnt lgkmcnt(0)
	v_cmp_lt_f32_e64 vcc, |v25|, |v28|
	s_nop 1
	v_cndmask_b32_e32 v25, v25, v28, vcc
	v_cndmask_b32_e32 v26, v26, v29, vcc
	s_cbranch_scc1 .LBB26_135
.LBB26_136:
	s_waitcnt lgkmcnt(0)
	v_cmp_eq_f32_e32 vcc, 0, v25
	s_and_saveexec_b64 s[0:1], vcc
	s_xor_b64 s[0:1], exec, s[0:1]
; %bb.137:
	v_cmp_ne_u32_e32 vcc, 0, v46
	s_nop 1
	v_cndmask_b32_e32 v46, 9, v46, vcc
; %bb.138:
	s_andn2_saveexec_b64 s[0:1], s[0:1]
	s_cbranch_execz .LBB26_140
; %bb.139:
	v_div_scale_f32 v27, s[2:3], v25, v25, 1.0
	v_rcp_f32_e32 v28, v27
	v_div_scale_f32 v29, vcc, 1.0, v25, 1.0
	v_fma_f32 v42, -v27, v28, 1.0
	v_fmac_f32_e32 v28, v42, v28
	v_mul_f32_e32 v42, v29, v28
	v_fma_f32 v43, -v27, v42, v29
	v_fmac_f32_e32 v42, v43, v28
	v_fma_f32 v27, -v27, v42, v29
	v_div_fmas_f32 v27, v27, v28, v42
	v_div_fixup_f32 v25, v27, v25, 1.0
.LBB26_140:
	s_or_b64 exec, exec, s[0:1]
	v_cmp_ne_u32_e32 vcc, v249, v26
	s_and_saveexec_b64 s[0:1], vcc
	s_xor_b64 s[0:1], exec, s[0:1]
	s_cbranch_execz .LBB26_146
; %bb.141:
	v_cmp_eq_u32_e32 vcc, 8, v249
	s_and_saveexec_b64 s[2:3], vcc
	s_cbranch_execz .LBB26_145
; %bb.142:
	v_cmp_ne_u32_e32 vcc, 8, v26
	s_xor_b64 s[18:19], s[16:17], -1
	s_and_b64 s[20:21], s[18:19], vcc
	s_and_saveexec_b64 s[18:19], s[20:21]
	s_cbranch_execz .LBB26_144
; %bb.143:
	v_ashrrev_i32_e32 v27, 31, v26
	v_lshl_add_u64 v[28:29], v[26:27], 2, v[240:241]
	global_load_dword v27, v[28:29], off
	global_load_dword v42, v[240:241], off offset:32
	s_waitcnt vmcnt(1)
	global_store_dword v[240:241], v27, off offset:32
	s_waitcnt vmcnt(1)
	global_store_dword v[28:29], v42, off
.LBB26_144:
	s_or_b64 exec, exec, s[18:19]
	v_mov_b32_e32 v248, v26
	v_mov_b32_e32 v249, v26
.LBB26_145:
	s_or_b64 exec, exec, s[2:3]
.LBB26_146:
	s_andn2_saveexec_b64 s[0:1], s[0:1]
	s_cbranch_execz .LBB26_148
; %bb.147:
	v_mov_b32_e32 v249, 8
	ds_write2_b32 v246, v9, v10 offset0:9 offset1:10
	ds_write2_b32 v246, v11, v12 offset0:11 offset1:12
	ds_write_b32 v246, v243 offset:52
.LBB26_148:
	s_or_b64 exec, exec, s[0:1]
	v_cmp_lt_i32_e32 vcc, 8, v249
	s_waitcnt lgkmcnt(0)
	s_barrier
	s_and_saveexec_b64 s[0:1], vcc
	s_cbranch_execz .LBB26_150
; %bb.149:
	ds_read2_b32 v[0:1], v246 offset0:9 offset1:10
	ds_read2_b32 v[4:5], v246 offset0:11 offset1:12
	ds_read_b32 v6, v246 offset:52
	v_mul_f32_e32 v112, v102, v25
	v_mov_b32_e32 v2, v9
	v_mov_b32_e32 v3, v10
	s_waitcnt lgkmcnt(2)
	v_pk_fma_f32 v[26:27], v[112:113], v[0:1], v[2:3] op_sel_hi:[0,1,1] neg_lo:[1,0,0] neg_hi:[1,0,0]
	v_mov_b32_e32 v0, v11
	v_mov_b32_e32 v1, v12
	s_waitcnt lgkmcnt(1)
	v_pk_fma_f32 v[244:245], v[112:113], v[4:5], v[0:1] op_sel_hi:[0,1,1] neg_lo:[1,0,0] neg_hi:[1,0,0]
	s_waitcnt lgkmcnt(0)
	v_fma_f32 v13, -v112, v6, v243
	v_mov_b32_e32 v113, v26
	v_mov_b64_e32 v[60:61], v[104:105]
	v_mov_b64_e32 v[76:77], v[104:105]
	v_mov_b32_e32 v14, v104
	v_mov_b32_e32 v15, v105
	;; [unrolled: 1-line block ×36, first 2 shown]
	v_mov_b64_e32 v[62:63], v[106:107]
	v_mov_b64_e32 v[64:65], v[108:109]
	;; [unrolled: 1-line block ×8, first 2 shown]
	v_mov_b32_e32 v93, v26
	v_mov_b32_e32 v58, v27
	;; [unrolled: 1-line block ×4, first 2 shown]
	v_mov_b64_e32 v[70:71], v[114:115]
	v_mov_b64_e32 v[72:73], v[116:117]
	;; [unrolled: 1-line block ×6, first 2 shown]
.LBB26_150:
	s_or_b64 exec, exec, s[0:1]
	v_lshl_add_u32 v25, v249, 2, v246
	s_barrier
	ds_write_b32 v25, v93
	s_waitcnt lgkmcnt(0)
	s_barrier
	ds_read_b32 v25, v246 offset:36
	s_cmp_lt_i32 s22, 11
	v_mov_b32_e32 v26, 9
	s_cbranch_scc1 .LBB26_153
; %bb.151:
	v_add3_u32 v27, v247, 0, 40
	v_mov_b32_e32 v26, 9
	s_mov_b32 s0, 10
.LBB26_152:                             ; =>This Inner Loop Header: Depth=1
	ds_read_b32 v28, v27
	v_mov_b32_e32 v29, s0
	s_add_i32 s0, s0, 1
	v_add_u32_e32 v27, 4, v27
	s_cmp_lg_u32 s22, s0
	s_waitcnt lgkmcnt(0)
	v_cmp_lt_f32_e64 vcc, |v25|, |v28|
	s_nop 1
	v_cndmask_b32_e32 v25, v25, v28, vcc
	v_cndmask_b32_e32 v26, v26, v29, vcc
	s_cbranch_scc1 .LBB26_152
.LBB26_153:
	s_waitcnt lgkmcnt(0)
	v_cmp_eq_f32_e32 vcc, 0, v25
	s_and_saveexec_b64 s[0:1], vcc
	s_xor_b64 s[0:1], exec, s[0:1]
; %bb.154:
	v_cmp_ne_u32_e32 vcc, 0, v46
	s_nop 1
	v_cndmask_b32_e32 v46, 10, v46, vcc
; %bb.155:
	s_andn2_saveexec_b64 s[0:1], s[0:1]
	s_cbranch_execz .LBB26_157
; %bb.156:
	v_div_scale_f32 v27, s[2:3], v25, v25, 1.0
	v_rcp_f32_e32 v28, v27
	v_div_scale_f32 v29, vcc, 1.0, v25, 1.0
	v_fma_f32 v42, -v27, v28, 1.0
	v_fmac_f32_e32 v28, v42, v28
	v_mul_f32_e32 v42, v29, v28
	v_fma_f32 v43, -v27, v42, v29
	v_fmac_f32_e32 v42, v43, v28
	v_fma_f32 v27, -v27, v42, v29
	v_div_fmas_f32 v27, v27, v28, v42
	v_div_fixup_f32 v25, v27, v25, 1.0
.LBB26_157:
	s_or_b64 exec, exec, s[0:1]
	v_cmp_ne_u32_e32 vcc, v249, v26
	s_and_saveexec_b64 s[0:1], vcc
	s_xor_b64 s[0:1], exec, s[0:1]
	s_cbranch_execz .LBB26_163
; %bb.158:
	v_cmp_eq_u32_e32 vcc, 9, v249
	s_and_saveexec_b64 s[2:3], vcc
	s_cbranch_execz .LBB26_162
; %bb.159:
	v_cmp_ne_u32_e32 vcc, 9, v26
	s_xor_b64 s[18:19], s[16:17], -1
	s_and_b64 s[20:21], s[18:19], vcc
	s_and_saveexec_b64 s[18:19], s[20:21]
	s_cbranch_execz .LBB26_161
; %bb.160:
	v_ashrrev_i32_e32 v27, 31, v26
	v_lshl_add_u64 v[28:29], v[26:27], 2, v[240:241]
	global_load_dword v27, v[28:29], off
	global_load_dword v42, v[240:241], off offset:36
	s_waitcnt vmcnt(1)
	global_store_dword v[240:241], v27, off offset:36
	s_waitcnt vmcnt(1)
	global_store_dword v[28:29], v42, off
.LBB26_161:
	s_or_b64 exec, exec, s[18:19]
	v_mov_b32_e32 v248, v26
	v_mov_b32_e32 v249, v26
.LBB26_162:
	s_or_b64 exec, exec, s[2:3]
.LBB26_163:
	s_andn2_saveexec_b64 s[0:1], s[0:1]
	s_cbranch_execz .LBB26_165
; %bb.164:
	v_mov_b32_e32 v249, 9
	ds_write2_b32 v246, v10, v11 offset0:10 offset1:11
	ds_write2_b32 v246, v12, v13 offset0:12 offset1:13
.LBB26_165:
	s_or_b64 exec, exec, s[0:1]
	v_cmp_lt_i32_e32 vcc, 9, v249
	s_waitcnt lgkmcnt(0)
	s_barrier
	s_and_saveexec_b64 s[0:1], vcc
	s_cbranch_execz .LBB26_167
; %bb.166:
	ds_read2_b32 v[0:1], v246 offset0:10 offset1:11
	ds_read2_b32 v[2:3], v246 offset0:12 offset1:13
	v_mul_f32_e32 v26, v93, v25
	v_mov_b32_e32 v85, v26
	v_mov_b64_e32 v[60:61], v[76:77]
	s_waitcnt lgkmcnt(1)
	v_pk_fma_f32 v[24:25], v[26:27], v[0:1], v[10:11] op_sel_hi:[0,1,1] neg_lo:[1,0,0] neg_hi:[1,0,0]
	s_waitcnt lgkmcnt(0)
	v_pk_fma_f32 v[12:13], v[26:27], v[2:3], v[12:13] op_sel_hi:[0,1,1] neg_lo:[1,0,0] neg_hi:[1,0,0]
	v_mov_b32_e32 v14, v76
	v_mov_b32_e32 v15, v77
	;; [unrolled: 1-line block ×34, first 2 shown]
	v_mov_b64_e32 v[62:63], v[78:79]
	v_mov_b64_e32 v[64:65], v[80:81]
	;; [unrolled: 1-line block ×4, first 2 shown]
	v_mov_b32_e32 v58, v24
	v_mov_b32_e32 v47, v25
	;; [unrolled: 1-line block ×4, first 2 shown]
	v_mov_b64_e32 v[70:71], v[86:87]
	v_mov_b64_e32 v[72:73], v[88:89]
	v_mov_b64_e32 v[74:75], v[90:91]
.LBB26_167:
	s_or_b64 exec, exec, s[0:1]
	v_lshl_add_u32 v25, v249, 2, v246
	s_barrier
	ds_write_b32 v25, v58
	s_waitcnt lgkmcnt(0)
	s_barrier
	ds_read_b32 v25, v246 offset:40
	s_cmp_lt_i32 s22, 12
	v_mov_b32_e32 v26, 10
	s_cbranch_scc1 .LBB26_170
; %bb.168:
	v_add3_u32 v27, v247, 0, 44
	v_mov_b32_e32 v26, 10
	s_mov_b32 s0, 11
.LBB26_169:                             ; =>This Inner Loop Header: Depth=1
	ds_read_b32 v28, v27
	v_mov_b32_e32 v29, s0
	s_add_i32 s0, s0, 1
	v_add_u32_e32 v27, 4, v27
	s_cmp_lg_u32 s22, s0
	s_waitcnt lgkmcnt(0)
	v_cmp_lt_f32_e64 vcc, |v25|, |v28|
	s_nop 1
	v_cndmask_b32_e32 v25, v25, v28, vcc
	v_cndmask_b32_e32 v26, v26, v29, vcc
	s_cbranch_scc1 .LBB26_169
.LBB26_170:
	s_waitcnt lgkmcnt(0)
	v_cmp_eq_f32_e32 vcc, 0, v25
	s_and_saveexec_b64 s[0:1], vcc
	s_xor_b64 s[0:1], exec, s[0:1]
; %bb.171:
	v_cmp_ne_u32_e32 vcc, 0, v46
	s_nop 1
	v_cndmask_b32_e32 v46, 11, v46, vcc
; %bb.172:
	s_andn2_saveexec_b64 s[0:1], s[0:1]
	s_cbranch_execz .LBB26_174
; %bb.173:
	v_div_scale_f32 v27, s[2:3], v25, v25, 1.0
	v_rcp_f32_e32 v28, v27
	v_div_scale_f32 v29, vcc, 1.0, v25, 1.0
	v_fma_f32 v42, -v27, v28, 1.0
	v_fmac_f32_e32 v28, v42, v28
	v_mul_f32_e32 v42, v29, v28
	v_fma_f32 v43, -v27, v42, v29
	v_fmac_f32_e32 v42, v43, v28
	v_fma_f32 v27, -v27, v42, v29
	v_div_fmas_f32 v27, v27, v28, v42
	v_div_fixup_f32 v25, v27, v25, 1.0
.LBB26_174:
	s_or_b64 exec, exec, s[0:1]
	v_cmp_ne_u32_e32 vcc, v249, v26
	s_and_saveexec_b64 s[0:1], vcc
	s_xor_b64 s[0:1], exec, s[0:1]
	s_cbranch_execz .LBB26_180
; %bb.175:
	v_cmp_eq_u32_e32 vcc, 10, v249
	s_and_saveexec_b64 s[2:3], vcc
	s_cbranch_execz .LBB26_179
; %bb.176:
	v_cmp_ne_u32_e32 vcc, 10, v26
	s_xor_b64 s[18:19], s[16:17], -1
	s_and_b64 s[20:21], s[18:19], vcc
	s_and_saveexec_b64 s[18:19], s[20:21]
	s_cbranch_execz .LBB26_178
; %bb.177:
	v_ashrrev_i32_e32 v27, 31, v26
	v_lshl_add_u64 v[28:29], v[26:27], 2, v[240:241]
	global_load_dword v27, v[28:29], off
	global_load_dword v42, v[240:241], off offset:40
	s_waitcnt vmcnt(1)
	global_store_dword v[240:241], v27, off offset:40
	s_waitcnt vmcnt(1)
	global_store_dword v[28:29], v42, off
.LBB26_178:
	s_or_b64 exec, exec, s[18:19]
	v_mov_b32_e32 v248, v26
	v_mov_b32_e32 v249, v26
.LBB26_179:
	s_or_b64 exec, exec, s[2:3]
.LBB26_180:
	s_andn2_saveexec_b64 s[0:1], s[0:1]
	s_cbranch_execz .LBB26_182
; %bb.181:
	v_mov_b32_e32 v249, 10
	ds_write2_b32 v246, v11, v12 offset0:11 offset1:12
	ds_write_b32 v246, v243 offset:52
.LBB26_182:
	s_or_b64 exec, exec, s[0:1]
	v_cmp_lt_i32_e32 vcc, 10, v249
	s_waitcnt lgkmcnt(0)
	s_barrier
	s_and_saveexec_b64 s[0:1], vcc
	s_cbranch_execz .LBB26_184
; %bb.183:
	ds_read2_b32 v[0:1], v246 offset0:11 offset1:12
	ds_read_b32 v4, v246 offset:52
	v_mul_f32_e32 v70, v58, v25
	v_mov_b32_e32 v2, v11
	v_mov_b32_e32 v3, v12
	s_waitcnt lgkmcnt(1)
	v_pk_fma_f32 v[244:245], v[70:71], v[0:1], v[2:3] op_sel_hi:[0,1,1] neg_lo:[1,0,0] neg_hi:[1,0,0]
	s_waitcnt lgkmcnt(0)
	v_fma_f32 v13, -v70, v4, v243
	v_mov_b32_e32 v71, v244
	v_mov_b64_e32 v[30:31], v[60:61]
	v_mov_b64_e32 v[14:15], v[60:61]
	v_mov_b32_e32 v0, v60
	v_mov_b32_e32 v1, v61
	;; [unrolled: 1-line block ×13, first 2 shown]
	v_mov_b64_e32 v[32:33], v[62:63]
	v_mov_b64_e32 v[34:35], v[64:65]
	;; [unrolled: 1-line block ×10, first 2 shown]
	v_mov_b32_e32 v47, v244
	v_mov_b32_e32 v243, v13
	v_mov_b64_e32 v[42:43], v[72:73]
	v_mov_b64_e32 v[44:45], v[74:75]
	;; [unrolled: 1-line block ×4, first 2 shown]
.LBB26_184:
	s_or_b64 exec, exec, s[0:1]
	v_lshl_add_u32 v25, v249, 2, v246
	s_barrier
	ds_write_b32 v25, v47
	s_waitcnt lgkmcnt(0)
	s_barrier
	ds_read_b32 v25, v246 offset:44
	s_cmp_lt_i32 s22, 13
	v_mov_b32_e32 v26, 11
	s_cbranch_scc1 .LBB26_187
; %bb.185:
	v_add3_u32 v27, v247, 0, 48
	v_mov_b32_e32 v26, 11
	s_mov_b32 s0, 12
.LBB26_186:                             ; =>This Inner Loop Header: Depth=1
	ds_read_b32 v28, v27
	v_mov_b32_e32 v29, s0
	s_add_i32 s0, s0, 1
	v_add_u32_e32 v27, 4, v27
	s_cmp_lg_u32 s22, s0
	s_waitcnt lgkmcnt(0)
	v_cmp_lt_f32_e64 vcc, |v25|, |v28|
	s_nop 1
	v_cndmask_b32_e32 v25, v25, v28, vcc
	v_cndmask_b32_e32 v26, v26, v29, vcc
	s_cbranch_scc1 .LBB26_186
.LBB26_187:
	s_waitcnt lgkmcnt(0)
	v_cmp_eq_f32_e32 vcc, 0, v25
	s_and_saveexec_b64 s[0:1], vcc
	s_xor_b64 s[0:1], exec, s[0:1]
; %bb.188:
	v_cmp_ne_u32_e32 vcc, 0, v46
	s_nop 1
	v_cndmask_b32_e32 v46, 12, v46, vcc
; %bb.189:
	s_andn2_saveexec_b64 s[0:1], s[0:1]
	s_cbranch_execz .LBB26_191
; %bb.190:
	v_div_scale_f32 v27, s[2:3], v25, v25, 1.0
	v_rcp_f32_e32 v28, v27
	v_div_scale_f32 v29, vcc, 1.0, v25, 1.0
	v_fma_f32 v42, -v27, v28, 1.0
	v_fmac_f32_e32 v28, v42, v28
	v_mul_f32_e32 v42, v29, v28
	v_fma_f32 v43, -v27, v42, v29
	v_fmac_f32_e32 v42, v43, v28
	v_fma_f32 v27, -v27, v42, v29
	v_div_fmas_f32 v27, v27, v28, v42
	v_div_fixup_f32 v25, v27, v25, 1.0
.LBB26_191:
	s_or_b64 exec, exec, s[0:1]
	v_cmp_ne_u32_e32 vcc, v249, v26
	s_and_saveexec_b64 s[0:1], vcc
	s_xor_b64 s[0:1], exec, s[0:1]
	s_cbranch_execz .LBB26_197
; %bb.192:
	v_cmp_eq_u32_e32 vcc, 11, v249
	s_and_saveexec_b64 s[2:3], vcc
	s_cbranch_execz .LBB26_196
; %bb.193:
	v_cmp_ne_u32_e32 vcc, 11, v26
	s_xor_b64 s[18:19], s[16:17], -1
	s_and_b64 s[20:21], s[18:19], vcc
	s_and_saveexec_b64 s[18:19], s[20:21]
	s_cbranch_execz .LBB26_195
; %bb.194:
	v_ashrrev_i32_e32 v27, 31, v26
	v_lshl_add_u64 v[28:29], v[26:27], 2, v[240:241]
	global_load_dword v27, v[28:29], off
	global_load_dword v42, v[240:241], off offset:44
	s_waitcnt vmcnt(1)
	global_store_dword v[240:241], v27, off offset:44
	s_waitcnt vmcnt(1)
	global_store_dword v[28:29], v42, off
.LBB26_195:
	s_or_b64 exec, exec, s[18:19]
	v_mov_b32_e32 v248, v26
	v_mov_b32_e32 v249, v26
.LBB26_196:
	s_or_b64 exec, exec, s[2:3]
.LBB26_197:
	s_andn2_saveexec_b64 s[0:1], s[0:1]
; %bb.198:
	v_mov_b32_e32 v249, 11
	ds_write2_b32 v246, v12, v13 offset0:12 offset1:13
; %bb.199:
	s_or_b64 exec, exec, s[0:1]
	v_cmp_lt_i32_e32 vcc, 11, v249
	s_waitcnt lgkmcnt(0)
	s_barrier
	s_and_saveexec_b64 s[0:1], vcc
	s_cbranch_execz .LBB26_201
; %bb.200:
	ds_read2_b32 v[2:3], v246 offset0:12 offset1:13
	v_mul_f32_e32 v26, v47, v25
	v_mov_b32_e32 v25, v26
	v_mov_b64_e32 v[44:45], v[28:29]
	v_mov_b32_e32 v0, v14
	s_waitcnt lgkmcnt(0)
	v_pk_fma_f32 v[12:13], v[26:27], v[2:3], v[12:13] op_sel_hi:[0,1,1] neg_lo:[1,0,0] neg_hi:[1,0,0]
	v_mov_b32_e32 v1, v15
	v_mov_b32_e32 v2, v16
	;; [unrolled: 1-line block ×11, first 2 shown]
	v_mov_b64_e32 v[40:41], v[24:25]
	v_mov_b64_e32 v[38:39], v[22:23]
	;; [unrolled: 1-line block ×6, first 2 shown]
	v_mov_b32_e32 v245, v12
	v_mov_b32_e32 v243, v13
	v_mov_b64_e32 v[42:43], v[26:27]
.LBB26_201:
	s_or_b64 exec, exec, s[0:1]
	v_lshl_add_u32 v14, v249, 2, v246
	s_barrier
	ds_write_b32 v14, v245
	s_waitcnt lgkmcnt(0)
	s_barrier
	ds_read_b32 v16, v246 offset:48
	s_cmp_lt_i32 s22, 14
	v_mov_b32_e32 v14, 12
	s_cbranch_scc1 .LBB26_204
; %bb.202:
	v_add3_u32 v15, v247, 0, 52
	v_mov_b32_e32 v14, 12
	s_mov_b32 s0, 13
.LBB26_203:                             ; =>This Inner Loop Header: Depth=1
	ds_read_b32 v17, v15
	v_mov_b32_e32 v18, s0
	s_add_i32 s0, s0, 1
	v_add_u32_e32 v15, 4, v15
	s_cmp_lg_u32 s22, s0
	s_waitcnt lgkmcnt(0)
	v_cmp_lt_f32_e64 vcc, |v16|, |v17|
	s_nop 1
	v_cndmask_b32_e32 v16, v16, v17, vcc
	v_cndmask_b32_e32 v14, v14, v18, vcc
	s_cbranch_scc1 .LBB26_203
.LBB26_204:
	s_waitcnt lgkmcnt(0)
	v_cmp_eq_f32_e32 vcc, 0, v16
	s_and_saveexec_b64 s[0:1], vcc
	s_xor_b64 s[0:1], exec, s[0:1]
; %bb.205:
	v_cmp_ne_u32_e32 vcc, 0, v46
	s_nop 1
	v_cndmask_b32_e32 v46, 13, v46, vcc
; %bb.206:
	s_andn2_saveexec_b64 s[0:1], s[0:1]
	s_cbranch_execz .LBB26_208
; %bb.207:
	v_div_scale_f32 v15, s[2:3], v16, v16, 1.0
	v_rcp_f32_e32 v17, v15
	v_div_scale_f32 v18, vcc, 1.0, v16, 1.0
	v_fma_f32 v19, -v15, v17, 1.0
	v_fmac_f32_e32 v17, v19, v17
	v_mul_f32_e32 v19, v18, v17
	v_fma_f32 v20, -v15, v19, v18
	v_fmac_f32_e32 v19, v20, v17
	v_fma_f32 v15, -v15, v19, v18
	v_div_fmas_f32 v15, v15, v17, v19
	v_div_fixup_f32 v16, v15, v16, 1.0
.LBB26_208:
	s_or_b64 exec, exec, s[0:1]
	v_cmp_ne_u32_e32 vcc, v249, v14
	s_and_saveexec_b64 s[0:1], vcc
	s_xor_b64 s[0:1], exec, s[0:1]
	s_cbranch_execz .LBB26_214
; %bb.209:
	v_cmp_eq_u32_e32 vcc, 12, v249
	s_and_saveexec_b64 s[2:3], vcc
	s_cbranch_execz .LBB26_213
; %bb.210:
	v_cmp_ne_u32_e32 vcc, 12, v14
	s_xor_b64 s[18:19], s[16:17], -1
	s_and_b64 s[20:21], s[18:19], vcc
	s_and_saveexec_b64 s[18:19], s[20:21]
	s_cbranch_execz .LBB26_212
; %bb.211:
	v_ashrrev_i32_e32 v15, 31, v14
	v_lshl_add_u64 v[18:19], v[14:15], 2, v[240:241]
	global_load_dword v15, v[18:19], off
	global_load_dword v17, v[240:241], off offset:48
	s_waitcnt vmcnt(1)
	global_store_dword v[240:241], v15, off offset:48
	s_waitcnt vmcnt(1)
	global_store_dword v[18:19], v17, off
.LBB26_212:
	s_or_b64 exec, exec, s[18:19]
	v_mov_b32_e32 v248, v14
	v_mov_b32_e32 v249, v14
.LBB26_213:
	s_or_b64 exec, exec, s[2:3]
.LBB26_214:
	s_andn2_saveexec_b64 s[0:1], s[0:1]
; %bb.215:
	v_mov_b32_e32 v249, 12
	ds_write_b32 v246, v243 offset:52
; %bb.216:
	s_or_b64 exec, exec, s[0:1]
	v_cmp_lt_i32_e32 vcc, 12, v249
	s_waitcnt lgkmcnt(0)
	s_barrier
	s_and_saveexec_b64 s[0:1], vcc
	s_cbranch_execz .LBB26_218
; %bb.217:
	ds_read_b32 v0, v246 offset:52
	v_mul_f32_e32 v42, v245, v16
	s_waitcnt lgkmcnt(0)
	v_fma_f32 v43, -v42, v0, v243
	v_mov_b64_e32 v[0:1], v[30:31]
	v_mov_b64_e32 v[2:3], v[32:33]
	;; [unrolled: 1-line block ×7, first 2 shown]
	v_mov_b32_e32 v243, v43
	v_mov_b64_e32 v[14:15], v[44:45]
.LBB26_218:
	s_or_b64 exec, exec, s[0:1]
	v_lshl_add_u32 v14, v249, 2, v246
	s_barrier
	ds_write_b32 v14, v243
	s_waitcnt lgkmcnt(0)
	s_barrier
	ds_read_b32 v18, v246 offset:52
	s_cmp_lt_i32 s22, 15
	v_mov_b32_e32 v14, 13
	s_cbranch_scc1 .LBB26_221
; %bb.219:
	v_add3_u32 v15, v247, 0, 56
	v_mov_b32_e32 v14, 13
	s_mov_b32 s0, 14
.LBB26_220:                             ; =>This Inner Loop Header: Depth=1
	ds_read_b32 v16, v15
	v_mov_b32_e32 v17, s0
	s_add_i32 s0, s0, 1
	v_add_u32_e32 v15, 4, v15
	s_cmp_lg_u32 s22, s0
	s_waitcnt lgkmcnt(0)
	v_cmp_lt_f32_e64 vcc, |v18|, |v16|
	s_nop 1
	v_cndmask_b32_e32 v18, v18, v16, vcc
	v_cndmask_b32_e32 v14, v14, v17, vcc
	s_cbranch_scc1 .LBB26_220
.LBB26_221:
	s_waitcnt lgkmcnt(0)
	v_cmp_eq_f32_e32 vcc, 0, v18
	s_and_saveexec_b64 s[0:1], vcc
	s_xor_b64 s[0:1], exec, s[0:1]
; %bb.222:
	v_cmp_ne_u32_e32 vcc, 0, v46
	s_nop 1
	v_cndmask_b32_e32 v46, 14, v46, vcc
; %bb.223:
	s_andn2_saveexec_b64 s[0:1], s[0:1]
	s_cbranch_execz .LBB26_225
; %bb.224:
	v_div_scale_f32 v15, s[2:3], v18, v18, 1.0
	v_rcp_f32_e32 v16, v15
	v_div_scale_f32 v17, vcc, 1.0, v18, 1.0
	v_fma_f32 v19, -v15, v16, 1.0
	v_fmac_f32_e32 v16, v19, v16
	v_mul_f32_e32 v19, v17, v16
	v_fma_f32 v20, -v15, v19, v17
	v_fmac_f32_e32 v19, v20, v16
	v_fma_f32 v15, -v15, v19, v17
	v_div_fmas_f32 v15, v15, v16, v19
	v_div_fixup_f32 v18, v15, v18, 1.0
.LBB26_225:
	s_or_b64 exec, exec, s[0:1]
	v_cmp_ne_u32_e32 vcc, v249, v14
	v_mov_b32_e32 v16, 13
	s_and_saveexec_b64 s[0:1], vcc
	s_cbranch_execz .LBB26_231
; %bb.226:
	v_cmp_eq_u32_e32 vcc, 13, v249
	s_and_saveexec_b64 s[2:3], vcc
	s_cbranch_execz .LBB26_230
; %bb.227:
	v_cmp_ne_u32_e32 vcc, 13, v14
	s_xor_b64 s[16:17], s[16:17], -1
	s_and_b64 s[18:19], s[16:17], vcc
	s_and_saveexec_b64 s[16:17], s[18:19]
	s_cbranch_execz .LBB26_229
; %bb.228:
	v_ashrrev_i32_e32 v15, 31, v14
	v_lshl_add_u64 v[16:17], v[14:15], 2, v[240:241]
	global_load_dword v15, v[16:17], off
	global_load_dword v19, v[240:241], off offset:52
	s_waitcnt vmcnt(1)
	global_store_dword v[240:241], v15, off offset:52
	s_waitcnt vmcnt(1)
	global_store_dword v[16:17], v19, off
.LBB26_229:
	s_or_b64 exec, exec, s[16:17]
	v_mov_b32_e32 v248, v14
	v_mov_b32_e32 v249, v14
.LBB26_230:
	s_or_b64 exec, exec, s[2:3]
	v_mov_b32_e32 v16, v249
.LBB26_231:
	s_or_b64 exec, exec, s[0:1]
	v_cmp_gt_i32_e32 vcc, 14, v16
	v_ashrrev_i32_e32 v17, 31, v16
	s_barrier
	s_barrier
	s_and_saveexec_b64 s[0:1], vcc
	s_cbranch_execz .LBB26_233
; %bb.232:
	v_mul_lo_u32 v19, s11, v238
	v_mul_lo_u32 v22, s10, v239
	v_mad_u64_u32 v[20:21], s[2:3], s10, v238, 0
	v_mov_b32_e32 v14, s6
	v_mov_b32_e32 v15, s7
	v_add3_u32 v21, v21, v22, v19
	v_lshl_add_u64 v[14:15], v[20:21], 2, v[14:15]
	v_lshl_add_u64 v[14:15], s[8:9], 2, v[14:15]
	;; [unrolled: 1-line block ×3, first 2 shown]
	v_add3_u32 v19, v248, s15, 1
	global_store_dword v[14:15], v19, off
.LBB26_233:
	s_or_b64 exec, exec, s[0:1]
	v_cmp_eq_u32_e32 vcc, 0, v16
	s_and_saveexec_b64 s[2:3], vcc
	s_cbranch_execz .LBB26_236
; %bb.234:
	v_mov_b32_e32 v14, s4
	v_mov_b32_e32 v15, s5
	v_lshl_add_u64 v[14:15], v[238:239], 2, v[14:15]
	global_load_dword v19, v[14:15], off
	v_cmp_ne_u32_e64 s[0:1], 0, v46
	s_waitcnt vmcnt(0)
	v_cmp_eq_u32_e32 vcc, 0, v19
	s_and_b64 s[0:1], vcc, s[0:1]
	s_and_b64 exec, exec, s[0:1]
	s_cbranch_execz .LBB26_236
; %bb.235:
	v_add_u32_e32 v19, s15, v46
	global_store_dword v[14:15], v19, off
.LBB26_236:
	s_or_b64 exec, exec, s[2:3]
	v_mul_f32_e32 v14, v243, v18
	v_cmp_lt_i32_e32 vcc, 13, v16
	s_nop 1
	v_cndmask_b32_e32 v13, v13, v14, vcc
	v_lshl_add_u64 v[14:15], v[16:17], 2, v[236:237]
	global_store_dword v[14:15], v0, off
	v_lshl_add_u64 v[14:15], s[12:13], 2, v[14:15]
	v_add_u32_e32 v0, s14, v16
	global_store_dword v[14:15], v1, off
	v_ashrrev_i32_e32 v1, 31, v0
	v_lshl_add_u64 v[14:15], v[0:1], 2, v[236:237]
	v_add_u32_e32 v0, s12, v0
	v_ashrrev_i32_e32 v1, 31, v0
	global_store_dword v[14:15], v2, off
	v_lshl_add_u64 v[14:15], v[0:1], 2, v[236:237]
	v_add_u32_e32 v0, s12, v0
	v_ashrrev_i32_e32 v1, 31, v0
	global_store_dword v[14:15], v3, off
	;; [unrolled: 4-line block ×10, first 2 shown]
	v_lshl_add_u64 v[2:3], v[0:1], 2, v[236:237]
	v_add_u32_e32 v0, s12, v0
	v_ashrrev_i32_e32 v1, 31, v0
	v_lshl_add_u64 v[0:1], v[0:1], 2, v[236:237]
	global_store_dword v[2:3], v12, off
	global_store_dword v[0:1], v13, off
.LBB26_237:
	s_endpgm
	.section	.rodata,"a",@progbits
	.p2align	6, 0x0
	.amdhsa_kernel _ZN9rocsolver6v33100L18getf2_small_kernelILi14EfiiPfEEvT1_T3_lS3_lPS3_llPT2_S3_S3_S5_l
		.amdhsa_group_segment_fixed_size 0
		.amdhsa_private_segment_fixed_size 0
		.amdhsa_kernarg_size 352
		.amdhsa_user_sgpr_count 2
		.amdhsa_user_sgpr_dispatch_ptr 0
		.amdhsa_user_sgpr_queue_ptr 0
		.amdhsa_user_sgpr_kernarg_segment_ptr 1
		.amdhsa_user_sgpr_dispatch_id 0
		.amdhsa_user_sgpr_kernarg_preload_length 0
		.amdhsa_user_sgpr_kernarg_preload_offset 0
		.amdhsa_user_sgpr_private_segment_size 0
		.amdhsa_uses_dynamic_stack 0
		.amdhsa_enable_private_segment 0
		.amdhsa_system_sgpr_workgroup_id_x 1
		.amdhsa_system_sgpr_workgroup_id_y 1
		.amdhsa_system_sgpr_workgroup_id_z 0
		.amdhsa_system_sgpr_workgroup_info 0
		.amdhsa_system_vgpr_workitem_id 1
		.amdhsa_next_free_vgpr 250
		.amdhsa_next_free_sgpr 28
		.amdhsa_accum_offset 252
		.amdhsa_reserve_vcc 1
		.amdhsa_float_round_mode_32 0
		.amdhsa_float_round_mode_16_64 0
		.amdhsa_float_denorm_mode_32 3
		.amdhsa_float_denorm_mode_16_64 3
		.amdhsa_dx10_clamp 1
		.amdhsa_ieee_mode 1
		.amdhsa_fp16_overflow 0
		.amdhsa_tg_split 0
		.amdhsa_exception_fp_ieee_invalid_op 0
		.amdhsa_exception_fp_denorm_src 0
		.amdhsa_exception_fp_ieee_div_zero 0
		.amdhsa_exception_fp_ieee_overflow 0
		.amdhsa_exception_fp_ieee_underflow 0
		.amdhsa_exception_fp_ieee_inexact 0
		.amdhsa_exception_int_div_zero 0
	.end_amdhsa_kernel
	.section	.text._ZN9rocsolver6v33100L18getf2_small_kernelILi14EfiiPfEEvT1_T3_lS3_lPS3_llPT2_S3_S3_S5_l,"axG",@progbits,_ZN9rocsolver6v33100L18getf2_small_kernelILi14EfiiPfEEvT1_T3_lS3_lPS3_llPT2_S3_S3_S5_l,comdat
.Lfunc_end26:
	.size	_ZN9rocsolver6v33100L18getf2_small_kernelILi14EfiiPfEEvT1_T3_lS3_lPS3_llPT2_S3_S3_S5_l, .Lfunc_end26-_ZN9rocsolver6v33100L18getf2_small_kernelILi14EfiiPfEEvT1_T3_lS3_lPS3_llPT2_S3_S3_S5_l
                                        ; -- End function
	.set _ZN9rocsolver6v33100L18getf2_small_kernelILi14EfiiPfEEvT1_T3_lS3_lPS3_llPT2_S3_S3_S5_l.num_vgpr, 250
	.set _ZN9rocsolver6v33100L18getf2_small_kernelILi14EfiiPfEEvT1_T3_lS3_lPS3_llPT2_S3_S3_S5_l.num_agpr, 0
	.set _ZN9rocsolver6v33100L18getf2_small_kernelILi14EfiiPfEEvT1_T3_lS3_lPS3_llPT2_S3_S3_S5_l.numbered_sgpr, 28
	.set _ZN9rocsolver6v33100L18getf2_small_kernelILi14EfiiPfEEvT1_T3_lS3_lPS3_llPT2_S3_S3_S5_l.num_named_barrier, 0
	.set _ZN9rocsolver6v33100L18getf2_small_kernelILi14EfiiPfEEvT1_T3_lS3_lPS3_llPT2_S3_S3_S5_l.private_seg_size, 0
	.set _ZN9rocsolver6v33100L18getf2_small_kernelILi14EfiiPfEEvT1_T3_lS3_lPS3_llPT2_S3_S3_S5_l.uses_vcc, 1
	.set _ZN9rocsolver6v33100L18getf2_small_kernelILi14EfiiPfEEvT1_T3_lS3_lPS3_llPT2_S3_S3_S5_l.uses_flat_scratch, 0
	.set _ZN9rocsolver6v33100L18getf2_small_kernelILi14EfiiPfEEvT1_T3_lS3_lPS3_llPT2_S3_S3_S5_l.has_dyn_sized_stack, 0
	.set _ZN9rocsolver6v33100L18getf2_small_kernelILi14EfiiPfEEvT1_T3_lS3_lPS3_llPT2_S3_S3_S5_l.has_recursion, 0
	.set _ZN9rocsolver6v33100L18getf2_small_kernelILi14EfiiPfEEvT1_T3_lS3_lPS3_llPT2_S3_S3_S5_l.has_indirect_call, 0
	.section	.AMDGPU.csdata,"",@progbits
; Kernel info:
; codeLenInByte = 12040
; TotalNumSgprs: 34
; NumVgprs: 250
; NumAgprs: 0
; TotalNumVgprs: 250
; ScratchSize: 0
; MemoryBound: 0
; FloatMode: 240
; IeeeMode: 1
; LDSByteSize: 0 bytes/workgroup (compile time only)
; SGPRBlocks: 4
; VGPRBlocks: 31
; NumSGPRsForWavesPerEU: 34
; NumVGPRsForWavesPerEU: 250
; AccumOffset: 252
; Occupancy: 2
; WaveLimiterHint : 0
; COMPUTE_PGM_RSRC2:SCRATCH_EN: 0
; COMPUTE_PGM_RSRC2:USER_SGPR: 2
; COMPUTE_PGM_RSRC2:TRAP_HANDLER: 0
; COMPUTE_PGM_RSRC2:TGID_X_EN: 1
; COMPUTE_PGM_RSRC2:TGID_Y_EN: 1
; COMPUTE_PGM_RSRC2:TGID_Z_EN: 0
; COMPUTE_PGM_RSRC2:TIDIG_COMP_CNT: 1
; COMPUTE_PGM_RSRC3_GFX90A:ACCUM_OFFSET: 62
; COMPUTE_PGM_RSRC3_GFX90A:TG_SPLIT: 0
	.section	.text._ZN9rocsolver6v33100L23getf2_npvt_small_kernelILi14EfiiPfEEvT1_T3_lS3_lPT2_S3_S3_,"axG",@progbits,_ZN9rocsolver6v33100L23getf2_npvt_small_kernelILi14EfiiPfEEvT1_T3_lS3_lPT2_S3_S3_,comdat
	.globl	_ZN9rocsolver6v33100L23getf2_npvt_small_kernelILi14EfiiPfEEvT1_T3_lS3_lPT2_S3_S3_ ; -- Begin function _ZN9rocsolver6v33100L23getf2_npvt_small_kernelILi14EfiiPfEEvT1_T3_lS3_lPT2_S3_S3_
	.p2align	8
	.type	_ZN9rocsolver6v33100L23getf2_npvt_small_kernelILi14EfiiPfEEvT1_T3_lS3_lPT2_S3_S3_,@function
_ZN9rocsolver6v33100L23getf2_npvt_small_kernelILi14EfiiPfEEvT1_T3_lS3_lPT2_S3_S3_: ; @_ZN9rocsolver6v33100L23getf2_npvt_small_kernelILi14EfiiPfEEvT1_T3_lS3_lPT2_S3_S3_
; %bb.0:
	s_load_dword s2, s[0:1], 0x44
	s_load_dwordx2 s[26:27], s[0:1], 0x30
	v_bfe_u32 v1, v0, 10, 10
	s_waitcnt lgkmcnt(0)
	s_lshr_b32 s8, s2, 16
	s_mul_i32 s3, s3, s8
	v_add_u32_e32 v254, s3, v1
	v_cmp_gt_i32_e32 vcc, s26, v254
	s_and_saveexec_b64 s[2:3], vcc
	s_cbranch_execz .LBB27_75
; %bb.1:
	s_load_dwordx4 s[12:15], s[0:1], 0x8
	s_load_dword s2, s[0:1], 0x18
	s_load_dwordx4 s[4:7], s[0:1], 0x20
	v_ashrrev_i32_e32 v255, 31, v254
	v_and_b32_e32 v252, 0x3ff, v0
	s_waitcnt lgkmcnt(0)
	v_mov_b32_e32 v2, s12
	v_mov_b32_e32 v3, s13
	v_mul_lo_u32 v0, s5, v254
	v_mul_lo_u32 v6, s4, v255
	v_mad_u64_u32 v[4:5], s[0:1], s4, v254, 0
	v_add3_u32 v5, v5, v6, v0
	v_lshl_add_u64 v[2:3], v[4:5], 2, v[2:3]
	v_lshl_add_u64 v[2:3], s[14:15], 2, v[2:3]
	v_lshlrev_b32_e32 v4, 2, v252
	v_mov_b32_e32 v5, 0
	s_add_i32 s0, s2, s2
	v_lshl_add_u64 v[6:7], v[2:3], 0, v[4:5]
	v_add_u32_e32 v4, s0, v252
	v_ashrrev_i32_e32 v5, 31, v4
	v_lshl_add_u64 v[10:11], v[4:5], 2, v[2:3]
	v_add_u32_e32 v4, s2, v4
	v_ashrrev_i32_e32 v5, 31, v4
	;; [unrolled: 3-line block ×11, first 2 shown]
	v_lshl_add_u64 v[32:33], v[4:5], 2, v[2:3]
	v_add_u32_e32 v4, s2, v4
	s_ashr_i32 s3, s2, 31
	v_ashrrev_i32_e32 v5, 31, v4
	v_lshl_add_u64 v[8:9], s[2:3], 2, v[6:7]
	v_lshl_add_u64 v[34:35], v[4:5], 2, v[2:3]
	scratch_store_dwordx2 off, v[8:9], off offset:8 ; 8-byte Folded Spill
	global_load_dword v12, v[8:9], off
	global_load_dword v13, v[10:11], off
	;; [unrolled: 1-line block ×9, first 2 shown]
	s_mul_i32 s8, s8, 56
	scratch_store_dwordx2 off, v[10:11], off offset:16 ; 8-byte Folded Spill
	global_load_dword v10, v[14:15], off
	s_add_i32 s0, s8, 0
	global_load_dword v11, v[16:17], off
	v_mad_u32_u24 v250, v1, 56, 0
	scratch_store_dwordx2 off, v[6:7], off  ; 8-byte Folded Spill
	scratch_store_dwordx2 off, v[26:27], off offset:72 ; 8-byte Folded Spill
	global_load_dword v6, v[26:27], off
	v_lshl_add_u32 v253, v1, 2, s0
	global_load_dword v7, v[28:29], off
	global_load_dword v27, v[34:35], off
	v_cmp_ne_u32_e64 s[2:3], 0, v252
	v_cmp_eq_u32_e64 s[0:1], 0, v252
	scratch_store_dwordx2 off, v[14:15], off offset:24 ; 8-byte Folded Spill
	scratch_store_dwordx2 off, v[16:17], off offset:32 ; 8-byte Folded Spill
	scratch_store_dwordx2 off, v[18:19], off offset:40 ; 8-byte Folded Spill
	scratch_store_dwordx2 off, v[20:21], off offset:48 ; 8-byte Folded Spill
	scratch_store_dwordx2 off, v[22:23], off offset:56 ; 8-byte Folded Spill
	scratch_store_dwordx2 off, v[24:25], off offset:64 ; 8-byte Folded Spill
	scratch_store_dwordx2 off, v[28:29], off offset:80 ; 8-byte Folded Spill
	scratch_store_dwordx2 off, v[30:31], off offset:88 ; 8-byte Folded Spill
	scratch_store_dwordx2 off, v[32:33], off offset:96 ; 8-byte Folded Spill
	scratch_store_dwordx2 off, v[34:35], off offset:104 ; 8-byte Folded Spill
	s_and_saveexec_b64 s[4:5], s[0:1]
	s_cbranch_execz .LBB27_4
; %bb.2:
	s_waitcnt vmcnt(22)
	ds_write_b32 v253, v0
	ds_write2_b32 v250, v12, v13 offset0:1 offset1:2
	s_waitcnt vmcnt(15)
	ds_write2_b32 v250, v10, v11 offset0:3 offset1:4
	ds_write2_b32 v250, v2, v3 offset0:5 offset1:6
	;; [unrolled: 1-line block ×3, first 2 shown]
	s_waitcnt vmcnt(11)
	ds_write2_b32 v250, v6, v7 offset0:9 offset1:10
	ds_write2_b32 v250, v8, v9 offset0:11 offset1:12
	s_waitcnt vmcnt(10)
	ds_write_b32 v250, v27 offset:52
	ds_read_b32 v1, v253
	s_waitcnt lgkmcnt(0)
	v_cmp_neq_f32_e32 vcc, 0, v1
	s_and_b64 exec, exec, vcc
	s_cbranch_execz .LBB27_4
; %bb.3:
	v_div_scale_f32 v14, s[8:9], v1, v1, 1.0
	v_rcp_f32_e32 v15, v14
	v_div_scale_f32 v16, vcc, 1.0, v1, 1.0
	v_fma_f32 v17, -v14, v15, 1.0
	v_fmac_f32_e32 v15, v17, v15
	v_mul_f32_e32 v17, v16, v15
	v_fma_f32 v18, -v14, v17, v16
	v_fmac_f32_e32 v17, v18, v15
	v_fma_f32 v14, -v14, v17, v16
	v_div_fmas_f32 v14, v14, v15, v17
	v_div_fixup_f32 v1, v14, v1, 1.0
	ds_write_b32 v253, v1
.LBB27_4:
	s_or_b64 exec, exec, s[4:5]
	s_waitcnt lgkmcnt(0)
	s_barrier
	ds_read_b32 v135, v253
                                        ; implicit-def: $vgpr125
                                        ; implicit-def: $vgpr145
                                        ; implicit-def: $vgpr134
                                        ; implicit-def: $vgpr14
                                        ; implicit-def: $vgpr181
                                        ; implicit-def: $vgpr162
                                        ; implicit-def: $vgpr193
                                        ; implicit-def: $vgpr186
                                        ; implicit-def: $vgpr217
                                        ; implicit-def: $vgpr212
	s_and_saveexec_b64 s[4:5], s[2:3]
	s_xor_b64 s[2:3], exec, s[4:5]
	s_cbranch_execz .LBB27_6
; %bb.5:
	ds_read2_b32 v[14:15], v250 offset0:1 offset1:2
	ds_read2_b32 v[16:17], v250 offset0:3 offset1:4
	s_waitcnt vmcnt(22) lgkmcnt(2)
	v_mul_f32_e32 v0, v0, v135
	ds_read2_b32 v[18:19], v250 offset0:5 offset1:6
	ds_read2_b32 v[20:21], v250 offset0:7 offset1:8
	s_waitcnt lgkmcnt(3)
	v_pk_fma_f32 v[14:15], v[0:1], v[14:15], v[12:13] op_sel_hi:[0,1,1] neg_lo:[1,0,0] neg_hi:[1,0,0]
	s_waitcnt vmcnt(15) lgkmcnt(2)
	v_pk_fma_f32 v[16:17], v[0:1], v[16:17], v[10:11] op_sel_hi:[0,1,1] neg_lo:[1,0,0] neg_hi:[1,0,0]
	ds_read2_b32 v[10:11], v250 offset0:9 offset1:10
	ds_read2_b32 v[12:13], v250 offset0:11 offset1:12
	ds_read_b32 v1, v250 offset:52
	v_mov_b32_e32 v186, v17
	v_mov_b32_e32 v217, v16
	;; [unrolled: 1-line block ×3, first 2 shown]
	s_waitcnt lgkmcnt(0)
	v_pk_fma_f32 v[18:19], v[0:1], v[18:19], v[2:3] op_sel_hi:[0,1,1] neg_lo:[1,0,0] neg_hi:[1,0,0]
	v_pk_fma_f32 v[20:21], v[0:1], v[20:21], v[4:5] op_sel_hi:[0,1,1] neg_lo:[1,0,0] neg_hi:[1,0,0]
	s_waitcnt vmcnt(11)
	v_pk_fma_f32 v[22:23], v[0:1], v[10:11], v[6:7] op_sel_hi:[0,1,1] neg_lo:[1,0,0] neg_hi:[1,0,0]
	v_pk_fma_f32 v[28:29], v[0:1], v[12:13], v[8:9] op_sel_hi:[0,1,1] neg_lo:[1,0,0] neg_hi:[1,0,0]
	s_waitcnt vmcnt(10)
	v_fma_f32 v27, -v0, v1, v27
	v_mov_b32_e32 v26, v29
	v_mov_b32_e32 v24, v23
                                        ; implicit-def: $vgpr12
                                        ; implicit-def: $vgpr10
                                        ; implicit-def: $vgpr2
                                        ; implicit-def: $vgpr4
                                        ; implicit-def: $vgpr6
                                        ; implicit-def: $vgpr8
	v_mov_b32_e32 v125, v28
	v_mov_b32_e32 v145, v22
	;; [unrolled: 1-line block ×6, first 2 shown]
.LBB27_6:
	s_or_saveexec_b64 s[2:3], s[2:3]
	v_mov_b32_e32 v1, v14
	s_xor_b64 exec, exec, s[2:3]
	s_cbranch_execz .LBB27_8
; %bb.7:
	s_waitcnt vmcnt(26)
	v_mov_b32_e32 v1, v12
	s_waitcnt vmcnt(25)
	v_mov_b32_e32 v212, v13
	s_waitcnt vmcnt(11)
	v_mov_b32_e32 v24, v7
	v_mov_b32_e32 v26, v9
	v_mov_b32_e32 v217, v10
	;; [unrolled: 1-line block ×9, first 2 shown]
.LBB27_8:
	s_or_b64 exec, exec, s[2:3]
	s_waitcnt vmcnt(24)
	v_mov_b32_e32 v2, v212
	s_waitcnt vmcnt(21)
	v_mov_b32_e32 v3, v217
	v_mov_b32_e32 v4, v186
	s_waitcnt vmcnt(20)
	v_mov_b32_e32 v5, v193
	s_waitcnt vmcnt(12)
	;; [unrolled: 2-line block ×3, first 2 shown]
	v_mov_b32_e32 v7, v181
	v_mov_b32_e32 v8, v134
	;; [unrolled: 1-line block ×6, first 2 shown]
	s_waitcnt vmcnt(10)
	v_mov_b32_e32 v13, v27
	v_cmp_eq_u32_e32 vcc, 1, v252
	s_waitcnt lgkmcnt(0)
	s_barrier
	s_and_saveexec_b64 s[2:3], vcc
	s_cbranch_execz .LBB27_11
; %bb.9:
	v_mov_b32_e32 v213, v217
	v_mov_b32_e32 v14, v186
	;; [unrolled: 1-line block ×3, first 2 shown]
	ds_write_b32 v253, v1
	ds_write2_b64 v250, v[212:213], v[14:15] offset0:1 offset1:2
	v_mov_b32_e32 v163, v181
	v_mov_b32_e32 v14, v134
	;; [unrolled: 1-line block ×4, first 2 shown]
	ds_write2_b64 v250, v[162:163], v[14:15] offset0:3 offset1:4
	ds_write2_b64 v250, v[24:25], v[26:27] offset0:5 offset1:6
	ds_read_b32 v14, v253
	s_waitcnt lgkmcnt(0)
	v_cmp_neq_f32_e32 vcc, 0, v14
	s_and_b64 exec, exec, vcc
	s_cbranch_execz .LBB27_11
; %bb.10:
	v_div_scale_f32 v15, s[4:5], v14, v14, 1.0
	v_rcp_f32_e32 v16, v15
	v_div_scale_f32 v17, vcc, 1.0, v14, 1.0
	v_fma_f32 v18, -v15, v16, 1.0
	v_fmac_f32_e32 v16, v18, v16
	v_mul_f32_e32 v18, v17, v16
	v_fma_f32 v19, -v15, v18, v17
	v_fmac_f32_e32 v18, v19, v16
	v_fma_f32 v15, -v15, v18, v17
	v_div_fmas_f32 v15, v15, v16, v18
	v_div_fixup_f32 v14, v15, v14, 1.0
	ds_write_b32 v253, v14
.LBB27_11:
	s_or_b64 exec, exec, s[2:3]
	v_mov_b32_e32 v114, v0
	v_mov_b32_e32 v115, v1
	;; [unrolled: 1-line block ×21, first 2 shown]
	v_mov_b64_e32 v[76:77], v[114:115]
	v_mov_b32_e32 v182, v0
	v_mov_b32_e32 v183, v1
	;; [unrolled: 1-line block ×22, first 2 shown]
	s_waitcnt lgkmcnt(0)
	s_barrier
	ds_read_b32 v251, v253
	v_mov_b64_e32 v[78:79], v[116:117]
	v_mov_b64_e32 v[80:81], v[118:119]
	;; [unrolled: 1-line block ×10, first 2 shown]
	v_mov_b32_e32 v214, v0
	v_mov_b32_e32 v215, v1
	;; [unrolled: 1-line block ×5, first 2 shown]
	v_mov_b64_e32 v[62:63], v[138:139]
	v_mov_b64_e32 v[64:65], v[140:141]
	;; [unrolled: 1-line block ×23, first 2 shown]
	v_mov_b32_e32 v216, v212
	v_mov_b32_e32 v14, v0
	;; [unrolled: 1-line block ×3, first 2 shown]
	v_mov_b64_e32 v[148:149], v[190:191]
	v_mov_b64_e32 v[150:151], v[192:193]
	;; [unrolled: 1-line block ×15, first 2 shown]
	v_mov_b32_e32 v210, v0
	v_mov_b32_e32 v211, v1
	;; [unrolled: 1-line block ×14, first 2 shown]
	v_mov_b64_e32 v[42:43], v[28:29]
	v_mov_b64_e32 v[44:45], v[126:127]
	;; [unrolled: 1-line block ×11, first 2 shown]
	v_cmp_lt_u32_e32 vcc, 1, v252
	v_mov_b64_e32 v[40:41], v[26:27]
	v_mov_b64_e32 v[38:39], v[24:25]
	;; [unrolled: 1-line block ×28, first 2 shown]
	s_and_saveexec_b64 s[2:3], vcc
	s_cbranch_execz .LBB27_13
; %bb.12:
	ds_read2_b64 v[2:5], v250 offset0:1 offset1:2
	ds_read2_b64 v[6:9], v250 offset0:3 offset1:4
	v_mov_b32_e32 v213, v217
	v_mov_b32_e32 v187, v193
	s_waitcnt lgkmcnt(2)
	v_mul_f32_e32 v12, v1, v251
	s_waitcnt lgkmcnt(1)
	v_pk_fma_f32 v[212:213], v[12:13], v[2:3], v[212:213] op_sel_hi:[0,1,1] neg_lo:[1,0,0] neg_hi:[1,0,0]
	v_pk_fma_f32 v[186:187], v[12:13], v[4:5], v[186:187] op_sel_hi:[0,1,1] neg_lo:[1,0,0] neg_hi:[1,0,0]
	ds_read2_b64 v[2:5], v250 offset0:5 offset1:6
	v_mov_b32_e32 v14, v135
	v_mov_b32_e32 v25, v125
	;; [unrolled: 1-line block ×3, first 2 shown]
	s_waitcnt lgkmcnt(0)
	v_mov_b64_e32 v[248:249], v[14:15]
	v_pk_fma_f32 v[24:25], v[12:13], v[2:3], v[24:25] op_sel_hi:[0,1,1] neg_lo:[1,0,0] neg_hi:[1,0,0]
	v_mov_b64_e32 v[246:247], v[12:13]
	v_mov_b64_e32 v[244:245], v[10:11]
	;; [unrolled: 1-line block ×7, first 2 shown]
	v_mov_b32_e32 v2, v212
	v_mov_b64_e32 v[232:233], v[14:15]
	v_mov_b64_e32 v[230:231], v[12:13]
	;; [unrolled: 1-line block ×8, first 2 shown]
	v_mov_b32_e32 v3, v213
	v_mov_b64_e32 v[208:209], v[14:15]
	v_mov_b32_e32 v163, v181
	v_pk_fma_f32 v[26:27], v[12:13], v[4:5], v[26:27] op_sel_hi:[0,1,1] neg_lo:[1,0,0] neg_hi:[1,0,0]
	v_mov_b64_e32 v[206:207], v[12:13]
	v_mov_b64_e32 v[204:205], v[10:11]
	;; [unrolled: 1-line block ×7, first 2 shown]
	v_mov_b32_e32 v4, v186
	v_mov_b64_e32 v[178:179], v[14:15]
	v_pk_fma_f32 v[162:163], v[12:13], v[6:7], v[162:163] op_sel_hi:[0,1,1] neg_lo:[1,0,0] neg_hi:[1,0,0]
	v_mov_b64_e32 v[176:177], v[12:13]
	v_mov_b64_e32 v[174:175], v[10:11]
	;; [unrolled: 1-line block ×7, first 2 shown]
	v_mov_b32_e32 v5, v187
	v_mov_b64_e32 v[160:161], v[14:15]
	v_mov_b32_e32 v135, v145
	v_mov_b64_e32 v[158:159], v[12:13]
	v_mov_b64_e32 v[156:157], v[10:11]
	;; [unrolled: 1-line block ×7, first 2 shown]
	v_mov_b32_e32 v6, v162
	v_mov_b64_e32 v[106:107], v[14:15]
	v_pk_fma_f32 v[134:135], v[12:13], v[8:9], v[134:135] op_sel_hi:[0,1,1] neg_lo:[1,0,0] neg_hi:[1,0,0]
	v_mov_b64_e32 v[104:105], v[12:13]
	v_mov_b64_e32 v[102:103], v[10:11]
	v_mov_b64_e32 v[100:101], v[8:9]
	v_mov_b64_e32 v[98:99], v[6:7]
	v_mov_b64_e32 v[96:97], v[4:5]
	v_mov_b64_e32 v[94:95], v[2:3]
	v_mov_b64_e32 v[92:93], v[0:1]
	v_mov_b32_e32 v7, v163
	v_mov_b64_e32 v[122:123], v[14:15]
	v_mov_b64_e32 v[120:121], v[12:13]
	v_mov_b64_e32 v[118:119], v[10:11]
	v_mov_b64_e32 v[116:117], v[8:9]
	v_mov_b64_e32 v[114:115], v[6:7]
	v_mov_b64_e32 v[112:113], v[4:5]
	v_mov_b64_e32 v[110:111], v[2:3]
	v_mov_b64_e32 v[108:109], v[0:1]
	v_mov_b32_e32 v8, v134
	v_mov_b64_e32 v[58:59], v[14:15]
	;; [unrolled: 9-line block ×5, first 2 shown]
	v_mov_b64_e32 v[88:89], v[12:13]
	v_mov_b64_e32 v[86:87], v[10:11]
	;; [unrolled: 1-line block ×7, first 2 shown]
	v_mov_b32_e32 v12, v26
	v_mov_b32_e32 v13, v27
	;; [unrolled: 1-line block ×8, first 2 shown]
.LBB27_13:
	s_or_b64 exec, exec, s[2:3]
	v_cmp_eq_u32_e32 vcc, 2, v252
	s_waitcnt lgkmcnt(0)
	s_barrier
	s_and_saveexec_b64 s[2:3], vcc
	s_cbranch_execz .LBB27_16
; %bb.14:
	ds_write_b32 v253, v212
	ds_write2_b32 v250, v3, v4 offset0:3 offset1:4
	ds_write2_b32 v250, v5, v6 offset0:5 offset1:6
	;; [unrolled: 1-line block ×5, first 2 shown]
	ds_write_b32 v250, v27 offset:52
	ds_read_b32 v14, v253
	s_waitcnt lgkmcnt(0)
	v_cmp_neq_f32_e32 vcc, 0, v14
	s_and_b64 exec, exec, vcc
	s_cbranch_execz .LBB27_16
; %bb.15:
	v_div_scale_f32 v15, s[4:5], v14, v14, 1.0
	v_rcp_f32_e32 v16, v15
	v_div_scale_f32 v17, vcc, 1.0, v14, 1.0
	v_fma_f32 v18, -v15, v16, 1.0
	v_fmac_f32_e32 v16, v18, v16
	v_mul_f32_e32 v18, v17, v16
	v_fma_f32 v19, -v15, v18, v17
	v_fmac_f32_e32 v18, v19, v16
	v_fma_f32 v15, -v15, v18, v17
	v_div_fmas_f32 v15, v15, v16, v18
	v_div_fixup_f32 v14, v15, v14, 1.0
	ds_write_b32 v253, v14
.LBB27_16:
	s_or_b64 exec, exec, s[2:3]
	s_waitcnt lgkmcnt(0)
	s_barrier
	ds_read_b32 v16, v253
	v_cmp_lt_u32_e32 vcc, 2, v252
	s_and_saveexec_b64 s[2:3], vcc
	s_cbranch_execz .LBB27_18
; %bb.17:
	ds_read2_b32 v[0:1], v250 offset0:3 offset1:4
	s_waitcnt lgkmcnt(1)
	v_mul_f32_e32 v236, v212, v16
	v_mov_b32_e32 v2, v3
	v_mov_b32_e32 v3, v4
	ds_read2_b32 v[14:15], v250 offset0:5 offset1:6
	ds_read2_b32 v[18:19], v250 offset0:7 offset1:8
	;; [unrolled: 1-line block ×3, first 2 shown]
	s_waitcnt lgkmcnt(3)
	v_pk_fma_f32 v[22:23], v[236:237], v[0:1], v[2:3] op_sel_hi:[0,1,1] neg_lo:[1,0,0] neg_hi:[1,0,0]
	ds_read2_b32 v[2:3], v250 offset0:11 offset1:12
	ds_read_b32 v4, v250 offset:52
	v_mov_b32_e32 v0, v5
	v_mov_b32_e32 v1, v6
	s_waitcnt lgkmcnt(4)
	v_pk_fma_f32 v[14:15], v[236:237], v[14:15], v[0:1] op_sel_hi:[0,1,1] neg_lo:[1,0,0] neg_hi:[1,0,0]
	v_mov_b32_e32 v0, v7
	v_mov_b32_e32 v1, v8
	s_waitcnt lgkmcnt(3)
	v_pk_fma_f32 v[18:19], v[236:237], v[18:19], v[0:1] op_sel_hi:[0,1,1] neg_lo:[1,0,0] neg_hi:[1,0,0]
	;; [unrolled: 4-line block ×4, first 2 shown]
	s_waitcnt lgkmcnt(0)
	v_fma_f32 v13, -v236, v4, v27
	v_mov_b32_e32 v237, v22
	v_mov_b64_e32 v[194:195], v[234:235]
	v_mov_b64_e32 v[218:219], v[234:235]
	v_mov_b32_e32 v164, v234
	v_mov_b32_e32 v165, v235
	;; [unrolled: 1-line block ×81, first 2 shown]
	v_mov_b64_e32 v[196:197], v[236:237]
	v_mov_b64_e32 v[220:221], v[236:237]
	v_mov_b32_e32 v24, v21
	v_mov_b32_e32 v26, v41
	;; [unrolled: 1-line block ×11, first 2 shown]
	v_mov_b64_e32 v[198:199], v[238:239]
	v_mov_b64_e32 v[200:201], v[240:241]
	;; [unrolled: 1-line block ×12, first 2 shown]
.LBB27_18:
	s_or_b64 exec, exec, s[2:3]
	v_cmp_eq_u32_e32 vcc, 3, v252
	s_waitcnt lgkmcnt(0)
	s_barrier
	s_and_saveexec_b64 s[2:3], vcc
	s_cbranch_execz .LBB27_21
; %bb.19:
	ds_write_b32 v253, v217
	ds_write2_b64 v250, v[4:5], v[6:7] offset0:2 offset1:3
	ds_write2_b64 v250, v[8:9], v[10:11] offset0:4 offset1:5
	ds_write_b64 v250, v[12:13] offset:48
	ds_read_b32 v14, v253
	s_waitcnt lgkmcnt(0)
	v_cmp_neq_f32_e32 vcc, 0, v14
	s_and_b64 exec, exec, vcc
	s_cbranch_execz .LBB27_21
; %bb.20:
	v_div_scale_f32 v15, s[4:5], v14, v14, 1.0
	v_rcp_f32_e32 v17, v15
	v_div_scale_f32 v18, vcc, 1.0, v14, 1.0
	v_fma_f32 v19, -v15, v17, 1.0
	v_fmac_f32_e32 v17, v19, v17
	v_mul_f32_e32 v19, v18, v17
	v_fma_f32 v20, -v15, v19, v18
	v_fmac_f32_e32 v19, v20, v17
	v_fma_f32 v15, -v15, v19, v18
	v_div_fmas_f32 v15, v15, v17, v19
	v_div_fixup_f32 v14, v15, v14, 1.0
	ds_write_b32 v253, v14
.LBB27_21:
	s_or_b64 exec, exec, s[2:3]
	s_waitcnt lgkmcnt(0)
	s_barrier
	ds_read_b32 v17, v253
	v_cmp_lt_u32_e32 vcc, 3, v252
	s_and_saveexec_b64 s[2:3], vcc
	s_cbranch_execz .LBB27_23
; %bb.22:
	ds_read2_b64 v[0:3], v250 offset0:2 offset1:3
	ds_read2_b64 v[18:21], v250 offset0:4 offset1:5
	ds_read_b64 v[22:23], v250 offset:48
	s_waitcnt lgkmcnt(3)
	v_mul_f32_e32 v14, v217, v17
	v_mov_b32_e32 v221, v14
	s_waitcnt lgkmcnt(2)
	v_pk_fma_f32 v[168:169], v[14:15], v[0:1], v[4:5] op_sel_hi:[0,1,1] neg_lo:[1,0,0] neg_hi:[1,0,0]
	v_pk_fma_f32 v[98:99], v[14:15], v[2:3], v[6:7] op_sel_hi:[0,1,1] neg_lo:[1,0,0] neg_hi:[1,0,0]
	s_waitcnt lgkmcnt(1)
	v_pk_fma_f32 v[52:53], v[14:15], v[18:19], v[8:9] op_sel_hi:[0,1,1] neg_lo:[1,0,0] neg_hi:[1,0,0]
	v_pk_fma_f32 v[38:39], v[14:15], v[20:21], v[10:11] op_sel_hi:[0,1,1] neg_lo:[1,0,0] neg_hi:[1,0,0]
	s_waitcnt lgkmcnt(0)
	v_pk_fma_f32 v[12:13], v[14:15], v[22:23], v[12:13] op_sel_hi:[0,1,1] neg_lo:[1,0,0] neg_hi:[1,0,0]
	v_mov_b64_e32 v[194:195], v[218:219]
	v_mov_b32_e32 v164, v218
	v_mov_b32_e32 v165, v219
	;; [unrolled: 1-line block ×76, first 2 shown]
	v_mov_b64_e32 v[196:197], v[220:221]
	v_mov_b32_e32 v24, v38
	v_mov_b32_e32 v26, v12
	v_mov_b32_e32 v27, v13
	v_mov_b32_e32 v186, v168
	v_mov_b32_e32 v193, v169
	v_mov_b32_e32 v162, v98
	v_mov_b32_e32 v181, v99
	v_mov_b32_e32 v134, v52
	v_mov_b32_e32 v145, v53
	v_mov_b32_e32 v125, v39
	v_mov_b64_e32 v[198:199], v[222:223]
	v_mov_b64_e32 v[200:201], v[224:225]
	;; [unrolled: 1-line block ×6, first 2 shown]
.LBB27_23:
	s_or_b64 exec, exec, s[2:3]
	v_cmp_eq_u32_e32 vcc, 4, v252
	s_waitcnt lgkmcnt(0)
	s_barrier
	s_and_saveexec_b64 s[2:3], vcc
	s_cbranch_execz .LBB27_26
; %bb.24:
	ds_write_b32 v253, v186
	ds_write2_b32 v250, v5, v6 offset0:5 offset1:6
	ds_write2_b32 v250, v7, v8 offset0:7 offset1:8
	;; [unrolled: 1-line block ×4, first 2 shown]
	ds_write_b32 v250, v27 offset:52
	ds_read_b32 v14, v253
	s_waitcnt lgkmcnt(0)
	v_cmp_neq_f32_e32 vcc, 0, v14
	s_and_b64 exec, exec, vcc
	s_cbranch_execz .LBB27_26
; %bb.25:
	v_div_scale_f32 v15, s[4:5], v14, v14, 1.0
	v_rcp_f32_e32 v18, v15
	v_div_scale_f32 v19, vcc, 1.0, v14, 1.0
	v_fma_f32 v20, -v15, v18, 1.0
	v_fmac_f32_e32 v18, v20, v18
	v_mul_f32_e32 v20, v19, v18
	v_fma_f32 v21, -v15, v20, v19
	v_fmac_f32_e32 v20, v21, v18
	v_fma_f32 v15, -v15, v20, v19
	v_div_fmas_f32 v15, v15, v18, v20
	v_div_fixup_f32 v14, v15, v14, 1.0
	ds_write_b32 v253, v14
.LBB27_26:
	s_or_b64 exec, exec, s[2:3]
	s_waitcnt lgkmcnt(0)
	s_barrier
	ds_read_b32 v18, v253
	v_cmp_lt_u32_e32 vcc, 4, v252
	s_and_saveexec_b64 s[2:3], vcc
	s_cbranch_execz .LBB27_28
; %bb.27:
	ds_read2_b32 v[0:1], v250 offset0:5 offset1:6
	s_waitcnt lgkmcnt(1)
	v_mul_f32_e32 v198, v186, v18
	v_mov_b32_e32 v2, v5
	v_mov_b32_e32 v3, v6
	ds_read2_b32 v[4:5], v250 offset0:7 offset1:8
	ds_read2_b32 v[14:15], v250 offset0:9 offset1:10
	;; [unrolled: 1-line block ×3, first 2 shown]
	s_waitcnt lgkmcnt(3)
	v_pk_fma_f32 v[22:23], v[198:199], v[0:1], v[2:3] op_sel_hi:[0,1,1] neg_lo:[1,0,0] neg_hi:[1,0,0]
	ds_read_b32 v2, v250 offset:52
	v_mov_b32_e32 v0, v7
	v_mov_b32_e32 v1, v8
	s_waitcnt lgkmcnt(3)
	v_pk_fma_f32 v[40:41], v[198:199], v[4:5], v[0:1] op_sel_hi:[0,1,1] neg_lo:[1,0,0] neg_hi:[1,0,0]
	v_mov_b32_e32 v0, v9
	v_mov_b32_e32 v1, v10
	s_waitcnt lgkmcnt(2)
	v_pk_fma_f32 v[14:15], v[198:199], v[14:15], v[0:1] op_sel_hi:[0,1,1] neg_lo:[1,0,0] neg_hi:[1,0,0]
	;; [unrolled: 4-line block ×3, first 2 shown]
	s_waitcnt lgkmcnt(0)
	v_fma_f32 v13, -v198, v2, v27
	v_mov_b32_e32 v199, v22
	v_mov_b64_e32 v[146:147], v[194:195]
	v_mov_b64_e32 v[164:165], v[194:195]
	v_mov_b32_e32 v92, v194
	v_mov_b32_e32 v93, v195
	;; [unrolled: 1-line block ×70, first 2 shown]
	v_mov_b64_e32 v[148:149], v[196:197]
	v_mov_b64_e32 v[150:151], v[198:199]
	;; [unrolled: 1-line block ×4, first 2 shown]
	v_mov_b32_e32 v24, v15
	v_mov_b32_e32 v26, v21
	;; [unrolled: 1-line block ×9, first 2 shown]
	v_mov_b64_e32 v[152:153], v[200:201]
	v_mov_b64_e32 v[154:155], v[202:203]
	;; [unrolled: 1-line block ×10, first 2 shown]
.LBB27_28:
	s_or_b64 exec, exec, s[2:3]
	v_cmp_eq_u32_e32 vcc, 5, v252
	s_waitcnt lgkmcnt(0)
	s_barrier
	s_and_saveexec_b64 s[2:3], vcc
	s_cbranch_execz .LBB27_31
; %bb.29:
	ds_write_b32 v253, v193
	ds_write2_b64 v250, v[6:7], v[8:9] offset0:3 offset1:4
	ds_write2_b64 v250, v[10:11], v[12:13] offset0:5 offset1:6
	ds_read_b32 v14, v253
	s_waitcnt lgkmcnt(0)
	v_cmp_neq_f32_e32 vcc, 0, v14
	s_and_b64 exec, exec, vcc
	s_cbranch_execz .LBB27_31
; %bb.30:
	v_div_scale_f32 v15, s[4:5], v14, v14, 1.0
	v_rcp_f32_e32 v19, v15
	v_div_scale_f32 v20, vcc, 1.0, v14, 1.0
	v_fma_f32 v21, -v15, v19, 1.0
	v_fmac_f32_e32 v19, v21, v19
	v_mul_f32_e32 v21, v20, v19
	v_fma_f32 v22, -v15, v21, v20
	v_fmac_f32_e32 v21, v22, v19
	v_fma_f32 v15, -v15, v21, v20
	v_div_fmas_f32 v15, v15, v19, v21
	v_div_fixup_f32 v14, v15, v14, 1.0
	ds_write_b32 v253, v14
.LBB27_31:
	s_or_b64 exec, exec, s[2:3]
	s_waitcnt lgkmcnt(0)
	s_barrier
	ds_read_b32 v19, v253
	v_cmp_lt_u32_e32 vcc, 5, v252
	s_and_saveexec_b64 s[2:3], vcc
	s_cbranch_execz .LBB27_33
; %bb.32:
	ds_read2_b64 v[0:3], v250 offset0:3 offset1:4
	ds_read2_b64 v[20:23], v250 offset0:5 offset1:6
	s_waitcnt lgkmcnt(2)
	v_mul_f32_e32 v14, v193, v19
	v_mov_b32_e32 v169, v14
	v_mov_b64_e32 v[146:147], v[164:165]
	s_waitcnt lgkmcnt(1)
	v_pk_fma_f32 v[98:99], v[14:15], v[0:1], v[6:7] op_sel_hi:[0,1,1] neg_lo:[1,0,0] neg_hi:[1,0,0]
	v_pk_fma_f32 v[52:53], v[14:15], v[2:3], v[8:9] op_sel_hi:[0,1,1] neg_lo:[1,0,0] neg_hi:[1,0,0]
	s_waitcnt lgkmcnt(0)
	v_pk_fma_f32 v[38:39], v[14:15], v[20:21], v[10:11] op_sel_hi:[0,1,1] neg_lo:[1,0,0] neg_hi:[1,0,0]
	v_pk_fma_f32 v[12:13], v[14:15], v[22:23], v[12:13] op_sel_hi:[0,1,1] neg_lo:[1,0,0] neg_hi:[1,0,0]
	v_mov_b32_e32 v92, v164
	v_mov_b32_e32 v93, v165
	;; [unrolled: 1-line block ×66, first 2 shown]
	v_mov_b64_e32 v[148:149], v[166:167]
	v_mov_b64_e32 v[150:151], v[168:169]
	v_mov_b32_e32 v162, v98
	v_mov_b32_e32 v24, v38
	;; [unrolled: 1-line block ×8, first 2 shown]
	v_mov_b64_e32 v[152:153], v[170:171]
	v_mov_b64_e32 v[154:155], v[172:173]
	;; [unrolled: 1-line block ×5, first 2 shown]
.LBB27_33:
	s_or_b64 exec, exec, s[2:3]
	v_cmp_eq_u32_e32 vcc, 6, v252
	s_waitcnt lgkmcnt(0)
	s_barrier
	s_and_saveexec_b64 s[2:3], vcc
	s_cbranch_execz .LBB27_36
; %bb.34:
	ds_write_b32 v253, v162
	ds_write2_b32 v250, v7, v8 offset0:7 offset1:8
	ds_write2_b32 v250, v9, v10 offset0:9 offset1:10
	;; [unrolled: 1-line block ×3, first 2 shown]
	ds_write_b32 v250, v27 offset:52
	ds_read_b32 v14, v253
	s_waitcnt lgkmcnt(0)
	v_cmp_neq_f32_e32 vcc, 0, v14
	s_and_b64 exec, exec, vcc
	s_cbranch_execz .LBB27_36
; %bb.35:
	v_div_scale_f32 v15, s[4:5], v14, v14, 1.0
	v_rcp_f32_e32 v20, v15
	v_div_scale_f32 v21, vcc, 1.0, v14, 1.0
	v_fma_f32 v22, -v15, v20, 1.0
	v_fmac_f32_e32 v20, v22, v20
	v_mul_f32_e32 v22, v21, v20
	v_fma_f32 v23, -v15, v22, v21
	v_fmac_f32_e32 v22, v23, v20
	v_fma_f32 v15, -v15, v22, v21
	v_div_fmas_f32 v15, v15, v20, v22
	v_div_fixup_f32 v14, v15, v14, 1.0
	ds_write_b32 v253, v14
.LBB27_36:
	s_or_b64 exec, exec, s[2:3]
	s_waitcnt lgkmcnt(0)
	s_barrier
	ds_read_b32 v20, v253
	v_cmp_lt_u32_e32 vcc, 6, v252
	s_and_saveexec_b64 s[2:3], vcc
	s_cbranch_execz .LBB27_38
; %bb.37:
	ds_read2_b32 v[0:1], v250 offset0:7 offset1:8
	v_mov_b32_e32 v2, v7
	v_mov_b32_e32 v3, v8
	ds_read2_b32 v[4:5], v250 offset0:9 offset1:10
	ds_read2_b32 v[6:7], v250 offset0:11 offset1:12
	ds_read_b32 v8, v250 offset:52
	s_waitcnt lgkmcnt(4)
	v_mul_f32_e32 v152, v162, v20
	s_waitcnt lgkmcnt(3)
	v_pk_fma_f32 v[14:15], v[152:153], v[0:1], v[2:3] op_sel_hi:[0,1,1] neg_lo:[1,0,0] neg_hi:[1,0,0]
	v_mov_b32_e32 v0, v9
	v_mov_b32_e32 v1, v10
	s_waitcnt lgkmcnt(2)
	v_pk_fma_f32 v[22:23], v[152:153], v[4:5], v[0:1] op_sel_hi:[0,1,1] neg_lo:[1,0,0] neg_hi:[1,0,0]
	v_mov_b32_e32 v0, v11
	v_mov_b32_e32 v1, v12
	s_waitcnt lgkmcnt(1)
	v_pk_fma_f32 v[40:41], v[152:153], v[6:7], v[0:1] op_sel_hi:[0,1,1] neg_lo:[1,0,0] neg_hi:[1,0,0]
	s_waitcnt lgkmcnt(0)
	v_fma_f32 v13, -v152, v8, v27
	v_mov_b32_e32 v153, v14
	v_mov_b64_e32 v[108:109], v[146:147]
	v_mov_b64_e32 v[92:93], v[146:147]
	v_mov_b32_e32 v44, v146
	v_mov_b32_e32 v45, v147
	;; [unrolled: 1-line block ×55, first 2 shown]
	v_mov_b64_e32 v[110:111], v[148:149]
	v_mov_b64_e32 v[112:113], v[150:151]
	;; [unrolled: 1-line block ×6, first 2 shown]
	v_mov_b32_e32 v181, v14
	v_mov_b32_e32 v24, v23
	;; [unrolled: 1-line block ×7, first 2 shown]
	v_mov_b64_e32 v[116:117], v[154:155]
	v_mov_b64_e32 v[118:119], v[156:157]
	;; [unrolled: 1-line block ×8, first 2 shown]
.LBB27_38:
	s_or_b64 exec, exec, s[2:3]
	v_cmp_eq_u32_e32 vcc, 7, v252
	s_waitcnt lgkmcnt(0)
	s_barrier
	s_and_saveexec_b64 s[2:3], vcc
	s_cbranch_execz .LBB27_41
; %bb.39:
	ds_write_b32 v253, v181
	ds_write2_b64 v250, v[8:9], v[10:11] offset0:4 offset1:5
	ds_write_b64 v250, v[12:13] offset:48
	ds_read_b32 v14, v253
	s_waitcnt lgkmcnt(0)
	v_cmp_neq_f32_e32 vcc, 0, v14
	s_and_b64 exec, exec, vcc
	s_cbranch_execz .LBB27_41
; %bb.40:
	v_div_scale_f32 v15, s[4:5], v14, v14, 1.0
	v_rcp_f32_e32 v21, v15
	v_div_scale_f32 v22, vcc, 1.0, v14, 1.0
	v_fma_f32 v23, -v15, v21, 1.0
	v_fmac_f32_e32 v21, v23, v21
	v_mul_f32_e32 v23, v22, v21
	v_fma_f32 v25, -v15, v23, v22
	v_fmac_f32_e32 v23, v25, v21
	v_fma_f32 v15, -v15, v23, v22
	v_div_fmas_f32 v15, v15, v21, v23
	v_div_fixup_f32 v14, v15, v14, 1.0
	ds_write_b32 v253, v14
.LBB27_41:
	s_or_b64 exec, exec, s[2:3]
	s_waitcnt lgkmcnt(0)
	s_barrier
	ds_read_b32 v21, v253
	v_cmp_lt_u32_e32 vcc, 7, v252
	s_and_saveexec_b64 s[2:3], vcc
	s_cbranch_execz .LBB27_43
; %bb.42:
	ds_read2_b64 v[0:3], v250 offset0:4 offset1:5
	ds_read_b64 v[4:5], v250 offset:48
	s_waitcnt lgkmcnt(2)
	v_mul_f32_e32 v14, v181, v21
	v_mov_b32_e32 v99, v14
	v_mov_b64_e32 v[122:123], v[106:107]
	s_waitcnt lgkmcnt(1)
	v_pk_fma_f32 v[52:53], v[14:15], v[0:1], v[8:9] op_sel_hi:[0,1,1] neg_lo:[1,0,0] neg_hi:[1,0,0]
	v_pk_fma_f32 v[38:39], v[14:15], v[2:3], v[10:11] op_sel_hi:[0,1,1] neg_lo:[1,0,0] neg_hi:[1,0,0]
	s_waitcnt lgkmcnt(0)
	v_pk_fma_f32 v[12:13], v[14:15], v[4:5], v[12:13] op_sel_hi:[0,1,1] neg_lo:[1,0,0] neg_hi:[1,0,0]
	v_mov_b32_e32 v44, v92
	v_mov_b32_e32 v45, v93
	;; [unrolled: 1-line block ×52, first 2 shown]
	v_mov_b64_e32 v[114:115], v[98:99]
	v_mov_b64_e32 v[112:113], v[96:97]
	v_mov_b64_e32 v[110:111], v[94:95]
	v_mov_b64_e32 v[108:109], v[92:93]
	v_mov_b32_e32 v134, v52
	v_mov_b32_e32 v145, v53
	;; [unrolled: 1-line block ×6, first 2 shown]
	v_mov_b64_e32 v[120:121], v[104:105]
	v_mov_b64_e32 v[118:119], v[102:103]
	;; [unrolled: 1-line block ×3, first 2 shown]
.LBB27_43:
	s_or_b64 exec, exec, s[2:3]
	v_cmp_eq_u32_e32 vcc, 8, v252
	s_waitcnt lgkmcnt(0)
	s_barrier
	s_and_saveexec_b64 s[2:3], vcc
	s_cbranch_execz .LBB27_46
; %bb.44:
	ds_write_b32 v253, v134
	ds_write2_b32 v250, v9, v10 offset0:9 offset1:10
	ds_write2_b32 v250, v11, v12 offset0:11 offset1:12
	ds_write_b32 v250, v27 offset:52
	ds_read_b32 v14, v253
	s_waitcnt lgkmcnt(0)
	v_cmp_neq_f32_e32 vcc, 0, v14
	s_and_b64 exec, exec, vcc
	s_cbranch_execz .LBB27_46
; %bb.45:
	v_div_scale_f32 v15, s[4:5], v14, v14, 1.0
	v_rcp_f32_e32 v22, v15
	v_div_scale_f32 v23, vcc, 1.0, v14, 1.0
	v_fma_f32 v25, -v15, v22, 1.0
	v_fmac_f32_e32 v22, v25, v22
	v_mul_f32_e32 v25, v23, v22
	v_fma_f32 v39, -v15, v25, v23
	v_fmac_f32_e32 v25, v39, v22
	v_fma_f32 v15, -v15, v25, v23
	v_div_fmas_f32 v15, v15, v22, v25
	v_div_fixup_f32 v14, v15, v14, 1.0
	ds_write_b32 v253, v14
.LBB27_46:
	s_or_b64 exec, exec, s[2:3]
	s_waitcnt lgkmcnt(0)
	s_barrier
	ds_read_b32 v22, v253
	v_cmp_lt_u32_e32 vcc, 8, v252
	s_and_saveexec_b64 s[2:3], vcc
	s_cbranch_execz .LBB27_48
; %bb.47:
	ds_read2_b32 v[0:1], v250 offset0:9 offset1:10
	ds_read2_b32 v[4:5], v250 offset0:11 offset1:12
	ds_read_b32 v6, v250 offset:52
	s_waitcnt lgkmcnt(3)
	v_mul_f32_e32 v116, v134, v22
	v_mov_b32_e32 v2, v9
	v_mov_b32_e32 v3, v10
	s_waitcnt lgkmcnt(2)
	v_pk_fma_f32 v[14:15], v[116:117], v[0:1], v[2:3] op_sel_hi:[0,1,1] neg_lo:[1,0,0] neg_hi:[1,0,0]
	v_mov_b32_e32 v0, v11
	v_mov_b32_e32 v1, v12
	s_waitcnt lgkmcnt(1)
	v_pk_fma_f32 v[40:41], v[116:117], v[4:5], v[0:1] op_sel_hi:[0,1,1] neg_lo:[1,0,0] neg_hi:[1,0,0]
	s_waitcnt lgkmcnt(0)
	v_fma_f32 v13, -v116, v6, v27
	v_mov_b32_e32 v117, v14
	v_mov_b64_e32 v[60:61], v[108:109]
	v_mov_b64_e32 v[44:45], v[108:109]
	v_mov_b32_e32 v28, v108
	v_mov_b32_e32 v29, v109
	;; [unrolled: 1-line block ×36, first 2 shown]
	v_mov_b64_e32 v[62:63], v[110:111]
	v_mov_b64_e32 v[64:65], v[112:113]
	;; [unrolled: 1-line block ×8, first 2 shown]
	v_mov_b32_e32 v145, v14
	v_mov_b32_e32 v24, v15
	;; [unrolled: 1-line block ×5, first 2 shown]
	v_mov_b64_e32 v[70:71], v[118:119]
	v_mov_b64_e32 v[72:73], v[120:121]
	;; [unrolled: 1-line block ×6, first 2 shown]
.LBB27_48:
	s_or_b64 exec, exec, s[2:3]
	v_cmp_eq_u32_e32 vcc, 9, v252
	s_waitcnt lgkmcnt(0)
	s_barrier
	s_and_saveexec_b64 s[2:3], vcc
	s_cbranch_execz .LBB27_51
; %bb.49:
	ds_write_b32 v253, v145
	ds_write2_b64 v250, v[10:11], v[12:13] offset0:5 offset1:6
	ds_read_b32 v14, v253
	s_waitcnt lgkmcnt(0)
	v_cmp_neq_f32_e32 vcc, 0, v14
	s_and_b64 exec, exec, vcc
	s_cbranch_execz .LBB27_51
; %bb.50:
	v_div_scale_f32 v15, s[4:5], v14, v14, 1.0
	v_rcp_f32_e32 v23, v15
	v_div_scale_f32 v25, vcc, 1.0, v14, 1.0
	v_fma_f32 v39, -v15, v23, 1.0
	v_fmac_f32_e32 v23, v39, v23
	v_mul_f32_e32 v39, v25, v23
	v_fma_f32 v40, -v15, v39, v25
	v_fmac_f32_e32 v39, v40, v23
	v_fma_f32 v15, -v15, v39, v25
	v_div_fmas_f32 v15, v15, v23, v39
	v_div_fixup_f32 v14, v15, v14, 1.0
	ds_write_b32 v253, v14
.LBB27_51:
	s_or_b64 exec, exec, s[2:3]
	s_waitcnt lgkmcnt(0)
	s_barrier
	ds_read_b32 v23, v253
	v_cmp_lt_u32_e32 vcc, 9, v252
	s_and_saveexec_b64 s[2:3], vcc
	s_cbranch_execz .LBB27_53
; %bb.52:
	ds_read2_b64 v[0:3], v250 offset0:5 offset1:6
	s_waitcnt lgkmcnt(1)
	v_mul_f32_e32 v14, v145, v23
	v_mov_b32_e32 v53, v14
	v_mov_b64_e32 v[74:75], v[58:59]
	v_mov_b32_e32 v28, v44
	s_waitcnt lgkmcnt(0)
	v_pk_fma_f32 v[38:39], v[14:15], v[0:1], v[10:11] op_sel_hi:[0,1,1] neg_lo:[1,0,0] neg_hi:[1,0,0]
	v_pk_fma_f32 v[12:13], v[14:15], v[2:3], v[12:13] op_sel_hi:[0,1,1] neg_lo:[1,0,0] neg_hi:[1,0,0]
	v_mov_b32_e32 v29, v45
	v_mov_b32_e32 v30, v46
	;; [unrolled: 1-line block ×33, first 2 shown]
	v_mov_b64_e32 v[68:69], v[52:53]
	v_mov_b64_e32 v[66:67], v[50:51]
	v_mov_b64_e32 v[64:65], v[48:49]
	v_mov_b64_e32 v[62:63], v[46:47]
	v_mov_b64_e32 v[60:61], v[44:45]
	v_mov_b32_e32 v24, v38
	v_mov_b32_e32 v125, v39
	;; [unrolled: 1-line block ×4, first 2 shown]
	v_mov_b64_e32 v[72:73], v[56:57]
	v_mov_b64_e32 v[70:71], v[54:55]
.LBB27_53:
	s_or_b64 exec, exec, s[2:3]
	v_cmp_eq_u32_e32 vcc, 10, v252
	s_waitcnt lgkmcnt(0)
	s_barrier
	s_and_saveexec_b64 s[2:3], vcc
	s_cbranch_execz .LBB27_56
; %bb.54:
	ds_write_b32 v253, v24
	ds_write2_b32 v250, v11, v12 offset0:11 offset1:12
	ds_write_b32 v250, v27 offset:52
	ds_read_b32 v14, v253
	s_waitcnt lgkmcnt(0)
	v_cmp_neq_f32_e32 vcc, 0, v14
	s_and_b64 exec, exec, vcc
	s_cbranch_execz .LBB27_56
; %bb.55:
	v_div_scale_f32 v15, s[4:5], v14, v14, 1.0
	v_rcp_f32_e32 v25, v15
	v_div_scale_f32 v39, vcc, 1.0, v14, 1.0
	v_fma_f32 v40, -v15, v25, 1.0
	v_fmac_f32_e32 v25, v40, v25
	v_mul_f32_e32 v40, v39, v25
	v_fma_f32 v41, -v15, v40, v39
	v_fmac_f32_e32 v40, v41, v25
	v_fma_f32 v15, -v15, v40, v39
	v_div_fmas_f32 v15, v15, v25, v40
	v_div_fixup_f32 v14, v15, v14, 1.0
	ds_write_b32 v253, v14
.LBB27_56:
	s_or_b64 exec, exec, s[2:3]
	s_waitcnt lgkmcnt(0)
	s_barrier
	ds_read_b32 v25, v253
	v_cmp_lt_u32_e32 vcc, 10, v252
	s_and_saveexec_b64 s[2:3], vcc
	s_cbranch_execz .LBB27_58
; %bb.57:
	ds_read2_b32 v[0:1], v250 offset0:11 offset1:12
	ds_read_b32 v4, v250 offset:52
	s_waitcnt lgkmcnt(2)
	v_mul_f32_e32 v70, v24, v25
	v_mov_b32_e32 v2, v11
	v_mov_b32_e32 v3, v12
	s_waitcnt lgkmcnt(1)
	v_pk_fma_f32 v[14:15], v[70:71], v[0:1], v[2:3] op_sel_hi:[0,1,1] neg_lo:[1,0,0] neg_hi:[1,0,0]
	s_waitcnt lgkmcnt(0)
	v_fma_f32 v13, -v70, v4, v27
	v_mov_b32_e32 v71, v14
	v_mov_b64_e32 v[90:91], v[74:75]
	v_mov_b64_e32 v[28:29], v[60:61]
	v_mov_b32_e32 v0, v60
	v_mov_b32_e32 v1, v61
	;; [unrolled: 1-line block ×13, first 2 shown]
	v_mov_b64_e32 v[86:87], v[70:71]
	v_mov_b64_e32 v[84:85], v[68:69]
	;; [unrolled: 1-line block ×11, first 2 shown]
	v_mov_b32_e32 v125, v14
	v_mov_b32_e32 v26, v15
	;; [unrolled: 1-line block ×3, first 2 shown]
	v_mov_b64_e32 v[88:89], v[72:73]
	v_mov_b64_e32 v[40:41], v[72:73]
	;; [unrolled: 1-line block ×3, first 2 shown]
.LBB27_58:
	s_or_b64 exec, exec, s[2:3]
	v_cmp_eq_u32_e32 vcc, 11, v252
	s_waitcnt lgkmcnt(0)
	s_barrier
	s_and_saveexec_b64 s[2:3], vcc
	s_cbranch_execz .LBB27_61
; %bb.59:
	ds_write_b32 v253, v125
	ds_write_b64 v250, v[12:13] offset:48
	ds_read_b32 v14, v253
	s_waitcnt lgkmcnt(0)
	v_cmp_neq_f32_e32 vcc, 0, v14
	s_and_b64 exec, exec, vcc
	s_cbranch_execz .LBB27_61
; %bb.60:
	v_div_scale_f32 v15, s[4:5], v14, v14, 1.0
	v_rcp_f32_e32 v24, v15
	v_div_scale_f32 v39, vcc, 1.0, v14, 1.0
	v_fma_f32 v40, -v15, v24, 1.0
	v_fmac_f32_e32 v24, v40, v24
	v_mul_f32_e32 v40, v39, v24
	v_fma_f32 v41, -v15, v40, v39
	v_fmac_f32_e32 v40, v41, v24
	v_fma_f32 v15, -v15, v40, v39
	v_div_fmas_f32 v15, v15, v24, v40
	v_div_fixup_f32 v14, v15, v14, 1.0
	ds_write_b32 v253, v14
.LBB27_61:
	s_or_b64 exec, exec, s[2:3]
	s_waitcnt lgkmcnt(0)
	s_barrier
	ds_read_b32 v24, v253
	v_cmp_lt_u32_e32 vcc, 11, v252
	s_and_saveexec_b64 s[2:3], vcc
	s_cbranch_execz .LBB27_63
; %bb.62:
	ds_read_b64 v[2:3], v250 offset:48
	s_waitcnt lgkmcnt(1)
	v_mul_f32_e32 v14, v125, v24
	v_mov_b32_e32 v39, v14
	v_mov_b64_e32 v[90:91], v[42:43]
	v_mov_b32_e32 v0, v28
	s_waitcnt lgkmcnt(0)
	v_pk_fma_f32 v[12:13], v[14:15], v[2:3], v[12:13] op_sel_hi:[0,1,1] neg_lo:[1,0,0] neg_hi:[1,0,0]
	v_mov_b32_e32 v1, v29
	v_mov_b32_e32 v2, v30
	;; [unrolled: 1-line block ×11, first 2 shown]
	v_mov_b64_e32 v[86:87], v[38:39]
	v_mov_b64_e32 v[84:85], v[36:37]
	v_mov_b64_e32 v[82:83], v[34:35]
	v_mov_b64_e32 v[80:81], v[32:33]
	v_mov_b64_e32 v[78:79], v[30:31]
	v_mov_b64_e32 v[76:77], v[28:29]
	v_mov_b32_e32 v26, v12
	v_mov_b32_e32 v27, v13
	v_mov_b64_e32 v[88:89], v[40:41]
.LBB27_63:
	s_or_b64 exec, exec, s[2:3]
	v_cmp_eq_u32_e32 vcc, 12, v252
	s_waitcnt lgkmcnt(0)
	s_barrier
	s_and_saveexec_b64 s[2:3], vcc
	s_cbranch_execz .LBB27_66
; %bb.64:
	ds_write_b32 v253, v26
	ds_write_b32 v250, v27 offset:52
	ds_read_b32 v14, v253
	s_waitcnt lgkmcnt(0)
	v_cmp_neq_f32_e32 vcc, 0, v14
	s_and_b64 exec, exec, vcc
	s_cbranch_execz .LBB27_66
; %bb.65:
	v_div_scale_f32 v15, s[4:5], v14, v14, 1.0
	v_rcp_f32_e32 v28, v15
	v_div_scale_f32 v29, vcc, 1.0, v14, 1.0
	v_fma_f32 v30, -v15, v28, 1.0
	v_fmac_f32_e32 v28, v30, v28
	v_mul_f32_e32 v30, v29, v28
	v_fma_f32 v31, -v15, v30, v29
	v_fmac_f32_e32 v30, v31, v28
	v_fma_f32 v15, -v15, v30, v29
	v_div_fmas_f32 v15, v15, v28, v30
	v_div_fixup_f32 v14, v15, v14, 1.0
	ds_write_b32 v253, v14
.LBB27_66:
	s_or_b64 exec, exec, s[2:3]
	s_waitcnt lgkmcnt(0)
	s_barrier
	ds_read_b32 v28, v253
	v_cmp_lt_u32_e32 vcc, 12, v252
	s_and_saveexec_b64 s[2:3], vcc
	s_cbranch_execz .LBB27_68
; %bb.67:
	ds_read_b32 v0, v250 offset:52
	s_waitcnt lgkmcnt(1)
	v_mul_f32_e32 v88, v26, v28
	s_waitcnt lgkmcnt(0)
	v_fma_f32 v89, -v88, v0, v27
	v_mov_b64_e32 v[0:1], v[76:77]
	v_mov_b64_e32 v[2:3], v[78:79]
	v_mov_b64_e32 v[4:5], v[80:81]
	v_mov_b64_e32 v[6:7], v[82:83]
	v_mov_b64_e32 v[8:9], v[84:85]
	v_mov_b64_e32 v[10:11], v[86:87]
	v_mov_b64_e32 v[12:13], v[88:89]
	v_mov_b32_e32 v27, v89
	v_mov_b64_e32 v[14:15], v[90:91]
.LBB27_68:
	s_or_b64 exec, exec, s[2:3]
	v_cmp_eq_u32_e32 vcc, 13, v252
	s_waitcnt lgkmcnt(0)
	s_barrier
	s_and_saveexec_b64 s[2:3], vcc
	s_cbranch_execz .LBB27_71
; %bb.69:
	v_cmp_neq_f32_e32 vcc, 0, v27
	ds_write_b32 v253, v27
	s_and_b64 exec, exec, vcc
	s_cbranch_execz .LBB27_71
; %bb.70:
	v_div_scale_f32 v14, s[4:5], v27, v27, 1.0
	v_rcp_f32_e32 v15, v14
	v_div_scale_f32 v26, vcc, 1.0, v27, 1.0
	v_fma_f32 v29, -v14, v15, 1.0
	v_fmac_f32_e32 v15, v29, v15
	v_mul_f32_e32 v29, v26, v15
	v_fma_f32 v30, -v14, v29, v26
	v_fmac_f32_e32 v29, v30, v15
	v_fma_f32 v14, -v14, v29, v26
	v_div_fmas_f32 v14, v14, v15, v29
	v_div_fixup_f32 v14, v14, v27, 1.0
	ds_write_b32 v253, v14
.LBB27_71:
	s_or_b64 exec, exec, s[2:3]
	s_waitcnt lgkmcnt(0)
	s_barrier
	ds_read_b32 v26, v253
	s_waitcnt lgkmcnt(0)
	s_barrier
	s_and_saveexec_b64 s[28:29], s[0:1]
	s_cbranch_execz .LBB27_74
; %bb.72:
	v_mov_b32_e32 v14, s6
	v_mov_b32_e32 v15, s7
	v_lshl_add_u64 v[14:15], v[254:255], 2, v[14:15]
	global_load_dword v29, v[14:15], off
	v_cmp_eq_f32_e32 vcc, 0, v135
	v_cmp_neq_f32_e64 s[0:1], 0, v251
	v_cmp_eq_f32_e64 s[2:3], 0, v16
	v_cndmask_b32_e64 v30, 0, 1, vcc
	s_or_b64 vcc, s[0:1], vcc
	v_cndmask_b32_e32 v16, 2, v30, vcc
	v_cmp_eq_u32_e32 vcc, 0, v16
	s_and_b64 s[0:1], s[2:3], vcc
	v_cndmask_b32_e64 v16, v16, 3, s[0:1]
	v_cmp_eq_f32_e64 s[4:5], 0, v17
	v_cmp_eq_u32_e32 vcc, 0, v16
	s_and_b64 s[0:1], s[4:5], vcc
	v_cndmask_b32_e64 v16, v16, 4, s[0:1]
	v_cmp_eq_f32_e64 s[6:7], 0, v18
	;; [unrolled: 4-line block ×11, first 2 shown]
	v_cmp_eq_u32_e32 vcc, 0, v16
	s_and_b64 s[0:1], s[24:25], vcc
	v_cndmask_b32_e64 v16, v16, 14, s[0:1]
	v_cmp_ne_u32_e64 s[0:1], 0, v16
	s_waitcnt vmcnt(0)
	v_cmp_eq_u32_e32 vcc, 0, v29
	s_and_b64 s[0:1], vcc, s[0:1]
	s_and_b64 exec, exec, s[0:1]
	s_cbranch_execz .LBB27_74
; %bb.73:
	v_add_u32_e32 v16, s27, v16
	global_store_dword v[14:15], v16, off
.LBB27_74:
	s_or_b64 exec, exec, s[28:29]
	v_mul_f32_e32 v14, v27, v26
	v_cmp_lt_u32_e32 vcc, 13, v252
	s_nop 1
	v_cndmask_b32_e32 v13, v13, v14, vcc
	scratch_load_dwordx2 v[14:15], off, off ; 8-byte Folded Reload
	s_waitcnt vmcnt(0)
	global_store_dword v[14:15], v0, off
	scratch_load_dwordx2 v[14:15], off, off offset:8 ; 8-byte Folded Reload
	s_waitcnt vmcnt(0)
	global_store_dword v[14:15], v1, off
	scratch_load_dwordx2 v[0:1], off, off offset:16 ; 8-byte Folded Reload
	;; [unrolled: 3-line block ×13, first 2 shown]
	s_waitcnt vmcnt(0)
	global_store_dword v[0:1], v13, off
.LBB27_75:
	s_endpgm
	.section	.rodata,"a",@progbits
	.p2align	6, 0x0
	.amdhsa_kernel _ZN9rocsolver6v33100L23getf2_npvt_small_kernelILi14EfiiPfEEvT1_T3_lS3_lPT2_S3_S3_
		.amdhsa_group_segment_fixed_size 0
		.amdhsa_private_segment_fixed_size 116
		.amdhsa_kernarg_size 312
		.amdhsa_user_sgpr_count 2
		.amdhsa_user_sgpr_dispatch_ptr 0
		.amdhsa_user_sgpr_queue_ptr 0
		.amdhsa_user_sgpr_kernarg_segment_ptr 1
		.amdhsa_user_sgpr_dispatch_id 0
		.amdhsa_user_sgpr_kernarg_preload_length 0
		.amdhsa_user_sgpr_kernarg_preload_offset 0
		.amdhsa_user_sgpr_private_segment_size 0
		.amdhsa_uses_dynamic_stack 0
		.amdhsa_enable_private_segment 1
		.amdhsa_system_sgpr_workgroup_id_x 1
		.amdhsa_system_sgpr_workgroup_id_y 1
		.amdhsa_system_sgpr_workgroup_id_z 0
		.amdhsa_system_sgpr_workgroup_info 0
		.amdhsa_system_vgpr_workitem_id 1
		.amdhsa_next_free_vgpr 256
		.amdhsa_next_free_sgpr 30
		.amdhsa_accum_offset 256
		.amdhsa_reserve_vcc 1
		.amdhsa_float_round_mode_32 0
		.amdhsa_float_round_mode_16_64 0
		.amdhsa_float_denorm_mode_32 3
		.amdhsa_float_denorm_mode_16_64 3
		.amdhsa_dx10_clamp 1
		.amdhsa_ieee_mode 1
		.amdhsa_fp16_overflow 0
		.amdhsa_tg_split 0
		.amdhsa_exception_fp_ieee_invalid_op 0
		.amdhsa_exception_fp_denorm_src 0
		.amdhsa_exception_fp_ieee_div_zero 0
		.amdhsa_exception_fp_ieee_overflow 0
		.amdhsa_exception_fp_ieee_underflow 0
		.amdhsa_exception_fp_ieee_inexact 0
		.amdhsa_exception_int_div_zero 0
	.end_amdhsa_kernel
	.section	.text._ZN9rocsolver6v33100L23getf2_npvt_small_kernelILi14EfiiPfEEvT1_T3_lS3_lPT2_S3_S3_,"axG",@progbits,_ZN9rocsolver6v33100L23getf2_npvt_small_kernelILi14EfiiPfEEvT1_T3_lS3_lPT2_S3_S3_,comdat
.Lfunc_end27:
	.size	_ZN9rocsolver6v33100L23getf2_npvt_small_kernelILi14EfiiPfEEvT1_T3_lS3_lPT2_S3_S3_, .Lfunc_end27-_ZN9rocsolver6v33100L23getf2_npvt_small_kernelILi14EfiiPfEEvT1_T3_lS3_lPT2_S3_S3_
                                        ; -- End function
	.set _ZN9rocsolver6v33100L23getf2_npvt_small_kernelILi14EfiiPfEEvT1_T3_lS3_lPT2_S3_S3_.num_vgpr, 256
	.set _ZN9rocsolver6v33100L23getf2_npvt_small_kernelILi14EfiiPfEEvT1_T3_lS3_lPT2_S3_S3_.num_agpr, 0
	.set _ZN9rocsolver6v33100L23getf2_npvt_small_kernelILi14EfiiPfEEvT1_T3_lS3_lPT2_S3_S3_.numbered_sgpr, 30
	.set _ZN9rocsolver6v33100L23getf2_npvt_small_kernelILi14EfiiPfEEvT1_T3_lS3_lPT2_S3_S3_.num_named_barrier, 0
	.set _ZN9rocsolver6v33100L23getf2_npvt_small_kernelILi14EfiiPfEEvT1_T3_lS3_lPT2_S3_S3_.private_seg_size, 116
	.set _ZN9rocsolver6v33100L23getf2_npvt_small_kernelILi14EfiiPfEEvT1_T3_lS3_lPT2_S3_S3_.uses_vcc, 1
	.set _ZN9rocsolver6v33100L23getf2_npvt_small_kernelILi14EfiiPfEEvT1_T3_lS3_lPT2_S3_S3_.uses_flat_scratch, 0
	.set _ZN9rocsolver6v33100L23getf2_npvt_small_kernelILi14EfiiPfEEvT1_T3_lS3_lPT2_S3_S3_.has_dyn_sized_stack, 0
	.set _ZN9rocsolver6v33100L23getf2_npvt_small_kernelILi14EfiiPfEEvT1_T3_lS3_lPT2_S3_S3_.has_recursion, 0
	.set _ZN9rocsolver6v33100L23getf2_npvt_small_kernelILi14EfiiPfEEvT1_T3_lS3_lPT2_S3_S3_.has_indirect_call, 0
	.section	.AMDGPU.csdata,"",@progbits
; Kernel info:
; codeLenInByte = 9148
; TotalNumSgprs: 36
; NumVgprs: 256
; NumAgprs: 0
; TotalNumVgprs: 256
; ScratchSize: 116
; MemoryBound: 0
; FloatMode: 240
; IeeeMode: 1
; LDSByteSize: 0 bytes/workgroup (compile time only)
; SGPRBlocks: 4
; VGPRBlocks: 31
; NumSGPRsForWavesPerEU: 36
; NumVGPRsForWavesPerEU: 256
; AccumOffset: 256
; Occupancy: 2
; WaveLimiterHint : 0
; COMPUTE_PGM_RSRC2:SCRATCH_EN: 1
; COMPUTE_PGM_RSRC2:USER_SGPR: 2
; COMPUTE_PGM_RSRC2:TRAP_HANDLER: 0
; COMPUTE_PGM_RSRC2:TGID_X_EN: 1
; COMPUTE_PGM_RSRC2:TGID_Y_EN: 1
; COMPUTE_PGM_RSRC2:TGID_Z_EN: 0
; COMPUTE_PGM_RSRC2:TIDIG_COMP_CNT: 1
; COMPUTE_PGM_RSRC3_GFX90A:ACCUM_OFFSET: 63
; COMPUTE_PGM_RSRC3_GFX90A:TG_SPLIT: 0
	.section	.text._ZN9rocsolver6v33100L18getf2_small_kernelILi15EfiiPfEEvT1_T3_lS3_lPS3_llPT2_S3_S3_S5_l,"axG",@progbits,_ZN9rocsolver6v33100L18getf2_small_kernelILi15EfiiPfEEvT1_T3_lS3_lPS3_llPT2_S3_S3_S5_l,comdat
	.globl	_ZN9rocsolver6v33100L18getf2_small_kernelILi15EfiiPfEEvT1_T3_lS3_lPS3_llPT2_S3_S3_S5_l ; -- Begin function _ZN9rocsolver6v33100L18getf2_small_kernelILi15EfiiPfEEvT1_T3_lS3_lPS3_llPT2_S3_S3_S5_l
	.p2align	8
	.type	_ZN9rocsolver6v33100L18getf2_small_kernelILi15EfiiPfEEvT1_T3_lS3_lPS3_llPT2_S3_S3_S5_l,@function
_ZN9rocsolver6v33100L18getf2_small_kernelILi15EfiiPfEEvT1_T3_lS3_lPS3_llPT2_S3_S3_S5_l: ; @_ZN9rocsolver6v33100L18getf2_small_kernelILi15EfiiPfEEvT1_T3_lS3_lPS3_llPT2_S3_S3_S5_l
; %bb.0:
	s_load_dword s2, s[0:1], 0x6c
	s_load_dwordx2 s[14:15], s[0:1], 0x48
	v_bfe_u32 v4, v0, 10, 10
	s_waitcnt lgkmcnt(0)
	s_lshr_b32 s2, s2, 16
	s_mul_i32 s3, s3, s2
	v_add_u32_e32 v246, s3, v4
	v_cmp_gt_i32_e32 vcc, s14, v246
	s_and_saveexec_b64 s[2:3], vcc
	s_cbranch_execz .LBB28_254
; %bb.1:
	s_load_dwordx4 s[4:7], s[0:1], 0x50
	v_ashrrev_i32_e32 v247, 31, v246
	v_mov_b64_e32 v[248:249], 0
	s_waitcnt lgkmcnt(0)
	s_cmp_eq_u64 s[4:5], 0
	s_cselect_b64 s[16:17], -1, 0
	s_and_b64 vcc, exec, s[16:17]
	s_cbranch_vccnz .LBB28_3
; %bb.2:
	v_mul_lo_u32 v1, s7, v246
	v_mul_lo_u32 v5, s6, v247
	v_mad_u64_u32 v[2:3], s[2:3], s6, v246, 0
	v_add3_u32 v3, v3, v5, v1
	v_lshl_add_u64 v[248:249], v[2:3], 2, s[4:5]
.LBB28_3:
	s_load_dwordx4 s[24:27], s[0:1], 0x8
	s_load_dwordx8 s[4:11], s[0:1], 0x20
	s_load_dword s12, s[0:1], 0x18
	s_load_dword s22, s[0:1], 0x0
	s_waitcnt lgkmcnt(0)
	v_mov_b32_e32 v2, s24
	v_mul_lo_u32 v1, s5, v246
	v_mul_lo_u32 v5, s4, v247
	v_mad_u64_u32 v[6:7], s[2:3], s4, v246, 0
	v_mov_b32_e32 v3, s25
	v_add3_u32 v7, v7, v5, v1
	v_lshl_add_u64 v[2:3], v[6:7], 2, v[2:3]
	v_and_b32_e32 v1, 0x3ff, v0
	v_lshl_add_u64 v[244:245], s[26:27], 2, v[2:3]
	v_lshlrev_b32_e32 v2, 2, v1
	v_mov_b32_e32 v3, 0
	v_lshl_add_u64 v[6:7], v[244:245], 0, v[2:3]
	global_load_dword v0, v[6:7], off
	s_load_dwordx2 s[4:5], s[0:1], 0x40
	s_max_i32 s0, s22, 15
	s_add_i32 s14, s12, s12
	v_mul_lo_u32 v24, s0, v4
	v_add_u32_e32 v4, s14, v1
	v_add_u32_e32 v8, s12, v4
	;; [unrolled: 1-line block ×7, first 2 shown]
	s_ashr_i32 s13, s12, 31
	v_add_u32_e32 v20, s12, v18
	v_ashrrev_i32_e32 v5, 31, v4
	v_ashrrev_i32_e32 v9, 31, v8
	;; [unrolled: 1-line block ×3, first 2 shown]
	v_lshl_add_u64 v[6:7], s[12:13], 2, v[6:7]
	v_ashrrev_i32_e32 v13, 31, v12
	v_ashrrev_i32_e32 v15, 31, v14
	;; [unrolled: 1-line block ×3, first 2 shown]
	v_add_u32_e32 v22, s12, v20
	v_lshl_add_u64 v[4:5], v[4:5], 2, v[244:245]
	v_lshl_add_u64 v[8:9], v[8:9], 2, v[244:245]
	;; [unrolled: 1-line block ×6, first 2 shown]
	global_load_dword v207, v[6:7], off
	global_load_dword v242, v[4:5], off
	;; [unrolled: 1-line block ×7, first 2 shown]
	v_add_u32_e32 v6, s12, v22
	v_add_u32_e32 v10, s12, v6
	v_lshl_add_u32 v252, v24, 2, 0
	v_add_u32_e32 v14, s12, v10
	v_add_u32_e32 v2, v252, v2
	v_ashrrev_i32_e32 v15, 31, v14
	v_add_u32_e32 v16, s12, v14
	v_ashrrev_i32_e32 v19, 31, v18
	v_ashrrev_i32_e32 v21, 31, v20
	;; [unrolled: 1-line block ×5, first 2 shown]
	v_lshl_add_u64 v[14:15], v[14:15], 2, v[244:245]
	v_ashrrev_i32_e32 v17, 31, v16
	v_lshl_add_u64 v[4:5], v[18:19], 2, v[244:245]
	v_lshl_add_u64 v[8:9], v[20:21], 2, v[244:245]
	;; [unrolled: 1-line block ×6, first 2 shown]
	s_cmp_lt_i32 s22, 2
	v_lshlrev_b32_e32 v253, 2, v24
	s_waitcnt vmcnt(7)
	ds_write_b32 v2, v0
	global_load_dword v250, v[14:15], off
	global_load_dword v251, v[16:17], off
	;; [unrolled: 1-line block ×7, first 2 shown]
	s_waitcnt lgkmcnt(0)
	s_barrier
	ds_read_b32 v2, v252
	s_cbranch_scc1 .LBB28_6
; %bb.4:
	v_add3_u32 v4, v253, 0, 4
	v_mov_b32_e32 v3, 0
	s_mov_b32 s0, 1
.LBB28_5:                               ; =>This Inner Loop Header: Depth=1
	ds_read_b32 v5, v4
	v_mov_b32_e32 v6, s0
	s_add_i32 s0, s0, 1
	v_add_u32_e32 v4, 4, v4
	s_cmp_eq_u32 s22, s0
	s_waitcnt lgkmcnt(0)
	v_cmp_lt_f32_e64 vcc, |v2|, |v5|
	s_nop 1
	v_cndmask_b32_e32 v2, v2, v5, vcc
	v_cndmask_b32_e32 v3, v3, v6, vcc
	s_cbranch_scc0 .LBB28_5
.LBB28_6:
	v_cmp_ne_u32_e32 vcc, v1, v3
                                        ; implicit-def: $vgpr255
	s_and_saveexec_b64 s[0:1], vcc
	s_xor_b64 s[0:1], exec, s[0:1]
	s_cbranch_execz .LBB28_12
; %bb.7:
	v_cmp_eq_u32_e32 vcc, 0, v1
	s_and_saveexec_b64 s[2:3], vcc
	s_cbranch_execz .LBB28_11
; %bb.8:
	v_cmp_ne_u32_e32 vcc, 0, v3
	s_xor_b64 s[18:19], s[16:17], -1
	s_and_b64 s[20:21], s[18:19], vcc
	s_and_saveexec_b64 s[18:19], s[20:21]
	s_cbranch_execz .LBB28_10
; %bb.9:
	v_ashrrev_i32_e32 v5, 31, v3
	v_mov_b32_e32 v4, v3
	v_lshl_add_u64 v[4:5], v[4:5], 2, v[248:249]
	global_load_dword v1, v[4:5], off
	global_load_dword v6, v[248:249], off
	s_waitcnt vmcnt(1)
	global_store_dword v[248:249], v1, off
	s_waitcnt vmcnt(1)
	global_store_dword v[4:5], v6, off
.LBB28_10:
	s_or_b64 exec, exec, s[18:19]
	v_mov_b32_e32 v1, v3
.LBB28_11:
	s_or_b64 exec, exec, s[2:3]
	v_mov_b32_e32 v255, v1
                                        ; implicit-def: $vgpr1
.LBB28_12:
	s_or_saveexec_b64 s[0:1], s[0:1]
	v_mov_b32_e32 v254, v255
	s_xor_b64 exec, exec, s[0:1]
	s_cbranch_execz .LBB28_14
; %bb.13:
	v_mov_b32_e32 v254, v1
	v_mov_b32_e32 v255, 0
	s_waitcnt vmcnt(12)
	ds_write2_b32 v252, v207, v242 offset0:1 offset1:2
	s_waitcnt vmcnt(10)
	ds_write2_b32 v252, v239, v204 offset0:3 offset1:4
	;; [unrolled: 2-line block ×6, first 2 shown]
	ds_write2_b32 v252, v250, v251 offset0:13 offset1:14
.LBB28_14:
	s_or_b64 exec, exec, s[0:1]
	s_waitcnt lgkmcnt(0)
	v_cmp_eq_f32_e64 s[0:1], 0, v2
	v_cmp_gt_i32_e32 vcc, 1, v255
	s_barrier
	s_and_saveexec_b64 s[2:3], vcc
	s_xor_b64 s[2:3], exec, s[2:3]
; %bb.15:
                                        ; implicit-def: $vgpr2
; %bb.16:
	s_andn2_saveexec_b64 s[2:3], s[2:3]
	s_cbranch_execz .LBB28_18
; %bb.17:
	v_div_scale_f32 v1, s[18:19], v2, v2, 1.0
	v_rcp_f32_e32 v3, v1
	s_waitcnt vmcnt(13)
	v_mov_b32_e32 v4, v207
	s_waitcnt vmcnt(12)
	v_mov_b32_e32 v5, v242
	;; [unrolled: 2-line block ×3, first 2 shown]
	v_fma_f32 v15, -v1, v3, 1.0
	v_fmac_f32_e32 v3, v15, v3
	v_div_scale_f32 v15, vcc, 1.0, v2, 1.0
	v_mul_f32_e32 v16, v15, v3
	v_fma_f32 v17, -v1, v16, v15
	v_fmac_f32_e32 v16, v17, v3
	v_fma_f32 v1, -v1, v16, v15
	v_div_fmas_f32 v1, v1, v3, v16
	v_div_fixup_f32 v1, v1, v2, 1.0
	v_cndmask_b32_e64 v1, v1, v2, s[0:1]
	ds_read2_b32 v[2:3], v252 offset0:1 offset1:2
	ds_read2_b32 v[16:17], v252 offset0:3 offset1:4
	;; [unrolled: 1-line block ×4, first 2 shown]
	s_waitcnt vmcnt(10)
	v_mov_b32_e32 v7, v204
	v_mul_f32_e32 v0, v0, v1
	s_waitcnt vmcnt(9)
	v_mov_b32_e32 v8, v199
	s_waitcnt vmcnt(8)
	v_mov_b32_e32 v9, v164
	s_waitcnt lgkmcnt(3)
	v_pk_fma_f32 v[2:3], v[0:1], v[2:3], v[4:5] op_sel_hi:[0,1,1] neg_lo:[1,0,0] neg_hi:[1,0,0]
	s_waitcnt lgkmcnt(2)
	v_pk_fma_f32 v[4:5], v[0:1], v[16:17], v[6:7] op_sel_hi:[0,1,1] neg_lo:[1,0,0] neg_hi:[1,0,0]
	ds_read2_b32 v[6:7], v252 offset0:9 offset1:10
	s_waitcnt lgkmcnt(2)
	v_pk_fma_f32 v[8:9], v[0:1], v[18:19], v[8:9] op_sel_hi:[0,1,1] neg_lo:[1,0,0] neg_hi:[1,0,0]
	ds_read2_b32 v[16:17], v252 offset0:11 offset1:12
	ds_read2_b32 v[18:19], v252 offset0:13 offset1:14
	s_waitcnt vmcnt(7)
	v_mov_b32_e32 v10, v157
	s_waitcnt vmcnt(4)
	v_mov_b32_e32 v11, v122
	;; [unrolled: 2-line block ×6, first 2 shown]
	s_waitcnt lgkmcnt(3)
	v_pk_fma_f32 v[10:11], v[0:1], v[20:21], v[10:11] op_sel_hi:[0,1,1] neg_lo:[1,0,0] neg_hi:[1,0,0]
	s_waitcnt lgkmcnt(2)
	v_pk_fma_f32 v[6:7], v[0:1], v[6:7], v[12:13] op_sel_hi:[0,1,1] neg_lo:[1,0,0] neg_hi:[1,0,0]
	s_waitcnt lgkmcnt(1)
	v_pk_fma_f32 v[12:13], v[0:1], v[16:17], v[14:15] op_sel_hi:[0,1,1] neg_lo:[1,0,0] neg_hi:[1,0,0]
	s_waitcnt lgkmcnt(0)
	v_pk_fma_f32 v[250:251], v[0:1], v[18:19], v[250:251] op_sel_hi:[0,1,1] neg_lo:[1,0,0] neg_hi:[1,0,0]
	v_mov_b32_e32 v207, v2
	v_mov_b32_e32 v242, v3
	;; [unrolled: 1-line block ×12, first 2 shown]
.LBB28_18:
	s_or_b64 exec, exec, s[2:3]
	v_lshl_add_u32 v1, v255, 2, v252
	s_barrier
	s_waitcnt vmcnt(13)
	ds_write_b32 v1, v207
	s_waitcnt lgkmcnt(0)
	s_barrier
	ds_read_b32 v15, v252 offset:4
	s_mov_b32 s2, 2
	s_cmp_lt_i32 s22, 3
	v_mov_b32_e32 v2, 1
	s_cbranch_scc1 .LBB28_21
; %bb.19:
	v_add3_u32 v1, v253, 0, 8
	v_mov_b32_e32 v2, 1
.LBB28_20:                              ; =>This Inner Loop Header: Depth=1
	ds_read_b32 v3, v1
	v_mov_b32_e32 v4, s2
	s_add_i32 s2, s2, 1
	v_add_u32_e32 v1, 4, v1
	s_cmp_lg_u32 s22, s2
	s_waitcnt lgkmcnt(0)
	v_cmp_lt_f32_e64 vcc, |v15|, |v3|
	s_nop 1
	v_cndmask_b32_e32 v15, v15, v3, vcc
	v_cndmask_b32_e32 v2, v2, v4, vcc
	s_cbranch_scc1 .LBB28_20
.LBB28_21:
	v_cmp_ne_u32_e32 vcc, v255, v2
	s_and_saveexec_b64 s[2:3], vcc
	s_xor_b64 s[2:3], exec, s[2:3]
	s_cbranch_execz .LBB28_27
; %bb.22:
	v_cmp_eq_u32_e32 vcc, 1, v255
	s_and_saveexec_b64 s[18:19], vcc
	s_cbranch_execz .LBB28_26
; %bb.23:
	v_cmp_ne_u32_e32 vcc, 1, v2
	s_xor_b64 s[20:21], s[16:17], -1
	s_and_b64 s[24:25], s[20:21], vcc
	s_and_saveexec_b64 s[20:21], s[24:25]
	s_cbranch_execz .LBB28_25
; %bb.24:
	v_ashrrev_i32_e32 v3, 31, v2
	v_lshl_add_u64 v[4:5], v[2:3], 2, v[248:249]
	global_load_dword v1, v[4:5], off
	global_load_dword v3, v[248:249], off offset:4
	s_waitcnt vmcnt(1)
	global_store_dword v[248:249], v1, off offset:4
	s_waitcnt vmcnt(1)
	global_store_dword v[4:5], v3, off
.LBB28_25:
	s_or_b64 exec, exec, s[20:21]
	v_mov_b32_e32 v254, v2
	v_mov_b32_e32 v255, v2
.LBB28_26:
	s_or_b64 exec, exec, s[18:19]
.LBB28_27:
	s_or_saveexec_b64 s[2:3], s[2:3]
	v_mov_b32_e32 v1, v207
	s_waitcnt vmcnt(12)
	v_mov_b32_e32 v2, v242
	s_waitcnt vmcnt(11)
	;; [unrolled: 2-line block ×11, first 2 shown]
	v_mov_b32_e32 v12, v32
	v_mov_b32_e32 v13, v250
	;; [unrolled: 1-line block ×3, first 2 shown]
	s_xor_b64 exec, exec, s[2:3]
	s_cbranch_execz .LBB28_29
; %bb.28:
	v_mov_b32_e32 v255, 1
	ds_write2_b32 v252, v242, v239 offset0:2 offset1:3
	ds_write2_b32 v252, v204, v199 offset0:4 offset1:5
	;; [unrolled: 1-line block ×6, first 2 shown]
	ds_write_b32 v252, v251 offset:56
.LBB28_29:
	s_or_b64 exec, exec, s[2:3]
	v_mov_b32_e32 v20, v0
	v_mov_b32_e32 v21, v207
	;; [unrolled: 1-line block ×14, first 2 shown]
	v_mov_b64_e32 v[16:17], v[20:21]
	v_mov_b32_e32 v104, v0
	v_mov_b32_e32 v105, v207
	;; [unrolled: 1-line block ×10, first 2 shown]
	v_mov_b64_e32 v[18:19], v[22:23]
	v_mov_b64_e32 v[20:21], v[24:25]
	;; [unrolled: 1-line block ×8, first 2 shown]
	v_mov_b32_e32 v114, v0
	v_mov_b32_e32 v115, v207
	;; [unrolled: 1-line block ×13, first 2 shown]
	v_mov_b64_e32 v[36:37], v[70:71]
	v_mov_b64_e32 v[38:39], v[72:73]
	;; [unrolled: 1-line block ×8, first 2 shown]
	v_mov_b32_e32 v150, v0
	v_mov_b32_e32 v151, v207
	;; [unrolled: 1-line block ×4, first 2 shown]
	v_mov_b64_e32 v[82:83], v[106:107]
	v_mov_b64_e32 v[84:85], v[108:109]
	v_mov_b64_e32 v[86:87], v[110:111]
	v_mov_b64_e32 v[88:89], v[112:113]
	v_mov_b64_e32 v[90:91], v[114:115]
	v_mov_b64_e32 v[92:93], v[116:117]
	v_mov_b64_e32 v[94:95], v[118:119]
	v_mov_b64_e32 v[96:97], v[114:115]
	v_mov_b32_e32 v158, v0
	v_mov_b32_e32 v159, v207
	v_mov_b32_e32 v160, v242
	v_mov_b32_e32 v161, v239
	v_mov_b32_e32 v162, v204
	v_mov_b32_e32 v163, v199
	v_mov_b32_e32 v152, v242
	v_mov_b32_e32 v153, v239
	v_mov_b32_e32 v154, v204
	v_mov_b32_e32 v155, v199
	v_mov_b32_e32 v156, v164
	v_mov_b64_e32 v[98:99], v[116:117]
	v_mov_b64_e32 v[100:101], v[118:119]
	;; [unrolled: 1-line block ×8, first 2 shown]
	v_mov_b32_e32 v194, v0
	v_mov_b32_e32 v195, v207
	v_mov_b64_e32 v[126:127], v[152:153]
	v_mov_b64_e32 v[128:129], v[154:155]
	;; [unrolled: 1-line block ×8, first 2 shown]
	v_mov_b32_e32 v206, v0
	v_mov_b32_e32 v236, v0
	;; [unrolled: 1-line block ×20, first 2 shown]
	v_mov_b64_e32 v[142:143], v[160:161]
	v_mov_b64_e32 v[144:145], v[162:163]
	;; [unrolled: 1-line block ×8, first 2 shown]
	v_mov_b32_e32 v240, v0
	v_mov_b32_e32 v241, v207
	;; [unrolled: 1-line block ×4, first 2 shown]
	v_mov_b64_e32 v[50:51], v[56:57]
	v_mov_b64_e32 v[168:169], v[196:197]
	;; [unrolled: 1-line block ×10, first 2 shown]
	s_waitcnt lgkmcnt(0)
	v_cmp_neq_f32_e64 s[2:3], 0, v15
	v_cmp_lt_i32_e32 vcc, 1, v255
	v_mov_b64_e32 v[52:53], v[58:59]
	v_mov_b64_e32 v[54:55], v[60:61]
	;; [unrolled: 1-line block ×8, first 2 shown]
	s_barrier
	v_mov_b64_e32 v[62:63], v[68:69]
	v_mov_b64_e32 v[64:65], v[70:71]
	;; [unrolled: 1-line block ×13, first 2 shown]
	scratch_store_dwordx4 off, v[240:243], off ; 16-byte Folded Spill
	s_nop 0
	scratch_store_dwordx4 off, v[244:247], off offset:16 ; 16-byte Folded Spill
	scratch_store_dwordx4 off, v[248:251], off offset:32 ; 16-byte Folded Spill
	;; [unrolled: 1-line block ×3, first 2 shown]
	s_and_saveexec_b64 s[18:19], vcc
	s_cbranch_execz .LBB28_31
; %bb.30:
	v_div_scale_f32 v1, s[20:21], v15, v15, 1.0
	v_rcp_f32_e32 v2, v1
	v_mov_b32_e32 v243, v239
	v_mov_b32_e32 v205, v199
	;; [unrolled: 1-line block ×3, first 2 shown]
	v_fma_f32 v3, -v1, v2, 1.0
	v_fmac_f32_e32 v2, v3, v2
	v_div_scale_f32 v3, vcc, 1.0, v15, 1.0
	v_mul_f32_e32 v4, v3, v2
	v_fma_f32 v5, -v1, v4, v3
	v_fmac_f32_e32 v4, v5, v2
	v_fma_f32 v1, -v1, v4, v3
	v_div_fmas_f32 v1, v1, v2, v4
	v_div_fixup_f32 v1, v1, v15, 1.0
	ds_read2_b32 v[2:3], v252 offset0:2 offset1:3
	ds_read2_b32 v[4:5], v252 offset0:4 offset1:5
	;; [unrolled: 1-line block ×4, first 2 shown]
	v_cndmask_b32_e64 v1, v15, v1, s[2:3]
	v_mul_f32_e32 v14, v207, v1
	s_waitcnt lgkmcnt(3)
	v_pk_fma_f32 v[242:243], v[14:15], v[2:3], v[242:243] op_sel_hi:[0,1,1] neg_lo:[1,0,0] neg_hi:[1,0,0]
	s_waitcnt lgkmcnt(2)
	v_pk_fma_f32 v[204:205], v[14:15], v[4:5], v[204:205] op_sel_hi:[0,1,1] neg_lo:[1,0,0] neg_hi:[1,0,0]
	ds_read2_b32 v[2:3], v252 offset0:10 offset1:11
	ds_read2_b32 v[4:5], v252 offset0:12 offset1:13
	ds_read_b32 v1, v252 offset:56
	v_mov_b32_e32 v165, v157
	v_mov_b32_e32 v123, v113
	;; [unrolled: 1-line block ×3, first 2 shown]
	s_waitcnt lgkmcnt(2)
	v_pk_fma_f32 v[78:79], v[14:15], v[2:3], v[78:79] op_sel_hi:[0,1,1] neg_lo:[1,0,0] neg_hi:[1,0,0]
	s_waitcnt lgkmcnt(0)
	v_fma_f32 v251, -v14, v1, v251
	v_mov_b32_e32 v1, v14
	v_mov_b64_e32 v[220:221], v[14:15]
	v_mov_b64_e32 v[218:219], v[12:13]
	;; [unrolled: 1-line block ×8, first 2 shown]
	v_mov_b32_e32 v2, v242
	v_pk_fma_f32 v[164:165], v[14:15], v[6:7], v[164:165] op_sel_hi:[0,1,1] neg_lo:[1,0,0] neg_hi:[1,0,0]
	v_pk_fma_f32 v[122:123], v[14:15], v[8:9], v[122:123] op_sel_hi:[0,1,1] neg_lo:[1,0,0] neg_hi:[1,0,0]
	;; [unrolled: 1-line block ×3, first 2 shown]
	scratch_store_dwordx4 off, v[0:3], off  ; 16-byte Folded Spill
	s_nop 0
	scratch_store_dwordx4 off, v[4:7], off offset:16 ; 16-byte Folded Spill
	scratch_store_dwordx4 off, v[8:11], off offset:32 ; 16-byte Folded Spill
	;; [unrolled: 1-line block ×3, first 2 shown]
	v_mov_b32_e32 v3, v243
	v_mov_b32_e32 v250, v33
	;; [unrolled: 1-line block ×7, first 2 shown]
	v_mov_b64_e32 v[236:237], v[14:15]
	v_mov_b64_e32 v[234:235], v[12:13]
	v_mov_b64_e32 v[232:233], v[10:11]
	v_mov_b64_e32 v[230:231], v[8:9]
	v_mov_b64_e32 v[228:229], v[6:7]
	v_mov_b64_e32 v[226:227], v[4:5]
	v_mov_b64_e32 v[224:225], v[2:3]
	v_mov_b64_e32 v[222:223], v[0:1]
	v_mov_b32_e32 v4, v204
	v_mov_b64_e32 v[196:197], v[14:15]
	v_mov_b64_e32 v[194:195], v[12:13]
	v_mov_b64_e32 v[192:193], v[10:11]
	v_mov_b64_e32 v[190:191], v[8:9]
	v_mov_b64_e32 v[188:189], v[6:7]
	v_mov_b64_e32 v[186:187], v[4:5]
	v_mov_b64_e32 v[184:185], v[2:3]
	v_mov_b64_e32 v[182:183], v[0:1]
	v_mov_b32_e32 v5, v205
	;; [unrolled: 9-line block ×10, first 2 shown]
	v_mov_b32_e32 v14, v251
.LBB28_31:
	s_or_b64 exec, exec, s[18:19]
	v_lshl_add_u32 v15, v255, 2, v252
	s_barrier
	ds_write_b32 v15, v242
	s_waitcnt lgkmcnt(0)
	s_barrier
	ds_read_b32 v15, v252 offset:8
	s_cmp_lt_i32 s22, 4
	v_mov_b32_e32 v30, 2
	s_cbranch_scc1 .LBB28_34
; %bb.32:
	v_mov_b32_e32 v30, 2
	v_add3_u32 v29, v253, 0, 12
	s_mov_b32 s18, 3
.LBB28_33:                              ; =>This Inner Loop Header: Depth=1
	ds_read_b32 v31, v29
	v_mov_b32_e32 v33, s18
	s_add_i32 s18, s18, 1
	v_add_u32_e32 v29, 4, v29
	s_cmp_lg_u32 s22, s18
	s_waitcnt lgkmcnt(0)
	v_cmp_lt_f32_e64 vcc, |v15|, |v31|
	s_nop 1
	v_cndmask_b32_e32 v15, v15, v31, vcc
	v_cndmask_b32_e32 v30, v30, v33, vcc
	s_cbranch_scc1 .LBB28_33
.LBB28_34:
	v_cndmask_b32_e64 v29, 2, 1, s[0:1]
	v_cndmask_b32_e64 v31, 0, 1, s[0:1]
	;; [unrolled: 1-line block ×3, first 2 shown]
	s_waitcnt lgkmcnt(0)
	v_cmp_eq_f32_e32 vcc, 0, v15
	s_and_saveexec_b64 s[0:1], vcc
	s_xor_b64 s[0:1], exec, s[0:1]
; %bb.35:
	v_cmp_ne_u32_e32 vcc, 0, v33
	s_nop 1
	v_cndmask_b32_e32 v33, 3, v33, vcc
; %bb.36:
	s_andn2_saveexec_b64 s[0:1], s[0:1]
	s_cbranch_execz .LBB28_38
; %bb.37:
	v_div_scale_f32 v29, s[2:3], v15, v15, 1.0
	v_rcp_f32_e32 v31, v29
	v_div_scale_f32 v45, vcc, 1.0, v15, 1.0
	v_fma_f32 v46, -v29, v31, 1.0
	v_fmac_f32_e32 v31, v46, v31
	v_mul_f32_e32 v46, v45, v31
	v_fma_f32 v47, -v29, v46, v45
	v_fmac_f32_e32 v46, v47, v31
	v_fma_f32 v29, -v29, v46, v45
	v_div_fmas_f32 v29, v29, v31, v46
	v_div_fixup_f32 v15, v29, v15, 1.0
.LBB28_38:
	s_or_b64 exec, exec, s[0:1]
	v_cmp_ne_u32_e32 vcc, v255, v30
	s_and_saveexec_b64 s[0:1], vcc
	s_xor_b64 s[0:1], exec, s[0:1]
	s_cbranch_execz .LBB28_44
; %bb.39:
	v_cmp_eq_u32_e32 vcc, 2, v255
	s_and_saveexec_b64 s[2:3], vcc
	s_cbranch_execz .LBB28_43
; %bb.40:
	v_cmp_ne_u32_e32 vcc, 2, v30
	s_xor_b64 s[18:19], s[16:17], -1
	s_and_b64 s[20:21], s[18:19], vcc
	s_and_saveexec_b64 s[18:19], s[20:21]
	s_cbranch_execz .LBB28_42
; %bb.41:
	v_ashrrev_i32_e32 v31, 31, v30
	v_lshl_add_u64 v[46:47], v[30:31], 2, v[248:249]
	global_load_dword v29, v[46:47], off
	global_load_dword v31, v[248:249], off offset:8
	s_waitcnt vmcnt(1)
	global_store_dword v[248:249], v29, off offset:8
	s_waitcnt vmcnt(1)
	global_store_dword v[46:47], v31, off
.LBB28_42:
	s_or_b64 exec, exec, s[18:19]
	v_mov_b32_e32 v254, v30
	v_mov_b32_e32 v255, v30
.LBB28_43:
	s_or_b64 exec, exec, s[2:3]
.LBB28_44:
	s_andn2_saveexec_b64 s[0:1], s[0:1]
	s_cbranch_execz .LBB28_46
; %bb.45:
	v_mov_b32_e32 v255, 2
	ds_write2_b32 v252, v3, v4 offset0:3 offset1:4
	ds_write2_b32 v252, v5, v6 offset0:5 offset1:6
	;; [unrolled: 1-line block ×6, first 2 shown]
.LBB28_46:
	s_or_b64 exec, exec, s[0:1]
	v_cmp_lt_i32_e32 vcc, 2, v255
	s_waitcnt lgkmcnt(0)
	s_barrier
	s_and_saveexec_b64 s[0:1], vcc
	s_cbranch_execz .LBB28_48
; %bb.47:
	ds_read2_b32 v[0:1], v252 offset0:3 offset1:4
	v_mul_f32_e32 v208, v242, v15
	v_mov_b32_e32 v2, v3
	v_mov_b32_e32 v3, v4
	ds_read2_b32 v[16:17], v252 offset0:5 offset1:6
	ds_read2_b32 v[18:19], v252 offset0:7 offset1:8
	;; [unrolled: 1-line block ×3, first 2 shown]
	s_waitcnt lgkmcnt(3)
	v_pk_fma_f32 v[30:31], v[208:209], v[0:1], v[2:3] op_sel_hi:[0,1,1] neg_lo:[1,0,0] neg_hi:[1,0,0]
	ds_read2_b32 v[2:3], v252 offset0:11 offset1:12
	v_mov_b32_e32 v0, v5
	v_mov_b32_e32 v1, v6
	ds_read2_b32 v[4:5], v252 offset0:13 offset1:14
	s_waitcnt lgkmcnt(4)
	v_pk_fma_f32 v[46:47], v[208:209], v[16:17], v[0:1] op_sel_hi:[0,1,1] neg_lo:[1,0,0] neg_hi:[1,0,0]
	v_mov_b32_e32 v0, v7
	v_mov_b32_e32 v1, v8
	s_waitcnt lgkmcnt(3)
	v_pk_fma_f32 v[48:49], v[208:209], v[18:19], v[0:1] op_sel_hi:[0,1,1] neg_lo:[1,0,0] neg_hi:[1,0,0]
	v_mov_b32_e32 v0, v9
	v_mov_b32_e32 v1, v10
	;; [unrolled: 4-line block ×4, first 2 shown]
	s_waitcnt lgkmcnt(0)
	v_pk_fma_f32 v[250:251], v[208:209], v[4:5], v[0:1] op_sel_hi:[0,1,1] neg_lo:[1,0,0] neg_hi:[1,0,0]
	v_mov_b32_e32 v209, v30
	v_mov_b64_e32 v[236:237], v[220:221]
	v_mov_b32_e32 v182, v206
	v_mov_b32_e32 v183, v207
	;; [unrolled: 1-line block ×96, first 2 shown]
	v_mov_b64_e32 v[224:225], v[208:209]
	v_mov_b64_e32 v[222:223], v[206:207]
	v_mov_b32_e32 v239, v30
	v_mov_b32_e32 v204, v31
	;; [unrolled: 1-line block ×10, first 2 shown]
	v_mov_b64_e32 v[234:235], v[218:219]
	v_mov_b64_e32 v[232:233], v[216:217]
	;; [unrolled: 1-line block ×5, first 2 shown]
	scratch_store_dwordx4 off, v[206:209], off ; 16-byte Folded Spill
	s_nop 0
	scratch_store_dwordx4 off, v[210:213], off offset:16 ; 16-byte Folded Spill
	scratch_store_dwordx4 off, v[214:217], off offset:32 ; 16-byte Folded Spill
	;; [unrolled: 1-line block ×3, first 2 shown]
.LBB28_48:
	s_or_b64 exec, exec, s[0:1]
	v_lshl_add_u32 v15, v255, 2, v252
	s_barrier
	ds_write_b32 v15, v239
	s_waitcnt lgkmcnt(0)
	s_barrier
	ds_read_b32 v15, v252 offset:12
	s_cmp_lt_i32 s22, 5
	v_mov_b32_e32 v30, 3
	s_cbranch_scc1 .LBB28_51
; %bb.49:
	v_add3_u32 v29, v253, 0, 16
	v_mov_b32_e32 v30, 3
	s_mov_b32 s0, 4
.LBB28_50:                              ; =>This Inner Loop Header: Depth=1
	ds_read_b32 v31, v29
	v_mov_b32_e32 v45, s0
	s_add_i32 s0, s0, 1
	v_add_u32_e32 v29, 4, v29
	s_cmp_lg_u32 s22, s0
	s_waitcnt lgkmcnt(0)
	v_cmp_lt_f32_e64 vcc, |v15|, |v31|
	s_nop 1
	v_cndmask_b32_e32 v15, v15, v31, vcc
	v_cndmask_b32_e32 v30, v30, v45, vcc
	s_cbranch_scc1 .LBB28_50
.LBB28_51:
	s_waitcnt lgkmcnt(0)
	v_cmp_eq_f32_e32 vcc, 0, v15
	s_and_saveexec_b64 s[0:1], vcc
	s_xor_b64 s[0:1], exec, s[0:1]
; %bb.52:
	v_cmp_ne_u32_e32 vcc, 0, v33
	s_nop 1
	v_cndmask_b32_e32 v33, 4, v33, vcc
; %bb.53:
	s_andn2_saveexec_b64 s[0:1], s[0:1]
	s_cbranch_execz .LBB28_55
; %bb.54:
	v_div_scale_f32 v29, s[2:3], v15, v15, 1.0
	v_rcp_f32_e32 v31, v29
	v_div_scale_f32 v45, vcc, 1.0, v15, 1.0
	v_fma_f32 v46, -v29, v31, 1.0
	v_fmac_f32_e32 v31, v46, v31
	v_mul_f32_e32 v46, v45, v31
	v_fma_f32 v47, -v29, v46, v45
	v_fmac_f32_e32 v46, v47, v31
	v_fma_f32 v29, -v29, v46, v45
	v_div_fmas_f32 v29, v29, v31, v46
	v_div_fixup_f32 v15, v29, v15, 1.0
.LBB28_55:
	s_or_b64 exec, exec, s[0:1]
	v_cmp_ne_u32_e32 vcc, v255, v30
	s_and_saveexec_b64 s[0:1], vcc
	s_xor_b64 s[0:1], exec, s[0:1]
	s_cbranch_execz .LBB28_61
; %bb.56:
	v_cmp_eq_u32_e32 vcc, 3, v255
	s_and_saveexec_b64 s[2:3], vcc
	s_cbranch_execz .LBB28_60
; %bb.57:
	v_cmp_ne_u32_e32 vcc, 3, v30
	s_xor_b64 s[18:19], s[16:17], -1
	s_and_b64 s[20:21], s[18:19], vcc
	s_and_saveexec_b64 s[18:19], s[20:21]
	s_cbranch_execz .LBB28_59
; %bb.58:
	v_ashrrev_i32_e32 v31, 31, v30
	v_lshl_add_u64 v[46:47], v[30:31], 2, v[248:249]
	global_load_dword v29, v[46:47], off
	global_load_dword v31, v[248:249], off offset:12
	s_waitcnt vmcnt(1)
	global_store_dword v[248:249], v29, off offset:12
	s_waitcnt vmcnt(1)
	global_store_dword v[46:47], v31, off
.LBB28_59:
	s_or_b64 exec, exec, s[18:19]
	v_mov_b32_e32 v254, v30
	v_mov_b32_e32 v255, v30
.LBB28_60:
	s_or_b64 exec, exec, s[2:3]
.LBB28_61:
	s_andn2_saveexec_b64 s[0:1], s[0:1]
	s_cbranch_execz .LBB28_63
; %bb.62:
	v_mov_b32_e32 v255, 3
	ds_write2_b32 v252, v4, v5 offset0:4 offset1:5
	ds_write2_b32 v252, v6, v7 offset0:6 offset1:7
	;; [unrolled: 1-line block ×5, first 2 shown]
	ds_write_b32 v252, v251 offset:56
.LBB28_63:
	s_or_b64 exec, exec, s[0:1]
	v_cmp_lt_i32_e32 vcc, 3, v255
	s_waitcnt lgkmcnt(0)
	s_barrier
	s_and_saveexec_b64 s[0:1], vcc
	s_cbranch_execz .LBB28_65
; %bb.64:
	ds_read2_b32 v[0:1], v252 offset0:4 offset1:5
	v_mul_f32_e32 v2, v239, v15
	ds_read2_b32 v[14:15], v252 offset0:6 offset1:7
	ds_read2_b32 v[16:17], v252 offset0:8 offset1:9
	ds_read2_b32 v[18:19], v252 offset0:10 offset1:11
	v_mov_b32_e32 v185, v2
	v_mov_b32_e32 v169, v2
	s_waitcnt lgkmcnt(3)
	v_pk_fma_f32 v[186:187], v[2:3], v[0:1], v[4:5] op_sel_hi:[0,1,1] neg_lo:[1,0,0] neg_hi:[1,0,0]
	ds_read2_b32 v[0:1], v252 offset0:12 offset1:13
	ds_read_b32 v3, v252 offset:56
	scratch_load_dwordx4 v[222:225], off, off ; 16-byte Folded Reload
	scratch_load_dwordx4 v[226:229], off, off offset:16 ; 16-byte Folded Reload
	scratch_load_dwordx4 v[230:233], off, off offset:32 ; 16-byte Folded Reload
	;; [unrolled: 1-line block ×3, first 2 shown]
	s_waitcnt vmcnt(3)
	v_mov_b32_e32 v225, v2
	v_mov_b32_e32 v170, v186
	;; [unrolled: 1-line block ×3, first 2 shown]
	s_waitcnt lgkmcnt(0)
	v_pk_fma_f32 v[146:147], v[2:3], v[14:15], v[6:7] op_sel_hi:[0,1,1] neg_lo:[1,0,0] neg_hi:[1,0,0]
	v_pk_fma_f32 v[104:105], v[2:3], v[16:17], v[8:9] op_sel_hi:[0,1,1] neg_lo:[1,0,0] neg_hi:[1,0,0]
	;; [unrolled: 1-line block ×4, first 2 shown]
	v_fma_f32 v14, -v2, v3, v251
	v_mov_b32_e32 v143, v2
	v_mov_b32_e32 v144, v186
	;; [unrolled: 1-line block ×97, first 2 shown]
.LBB28_65:
	s_or_b64 exec, exec, s[0:1]
	v_lshl_add_u32 v15, v255, 2, v252
	s_barrier
	ds_write_b32 v15, v204
	s_waitcnt lgkmcnt(0)
	s_barrier
	ds_read_b32 v15, v252 offset:16
	s_cmp_lt_i32 s22, 6
	v_mov_b32_e32 v30, 4
	s_cbranch_scc1 .LBB28_68
; %bb.66:
	v_add3_u32 v29, v253, 0, 20
	v_mov_b32_e32 v30, 4
	s_mov_b32 s0, 5
.LBB28_67:                              ; =>This Inner Loop Header: Depth=1
	ds_read_b32 v31, v29
	v_mov_b32_e32 v45, s0
	s_add_i32 s0, s0, 1
	v_add_u32_e32 v29, 4, v29
	s_cmp_lg_u32 s22, s0
	s_waitcnt lgkmcnt(0)
	v_cmp_lt_f32_e64 vcc, |v15|, |v31|
	s_nop 1
	v_cndmask_b32_e32 v15, v15, v31, vcc
	v_cndmask_b32_e32 v30, v30, v45, vcc
	s_cbranch_scc1 .LBB28_67
.LBB28_68:
	s_waitcnt lgkmcnt(0)
	v_cmp_eq_f32_e32 vcc, 0, v15
	s_and_saveexec_b64 s[0:1], vcc
	s_xor_b64 s[0:1], exec, s[0:1]
; %bb.69:
	v_cmp_ne_u32_e32 vcc, 0, v33
	s_nop 1
	v_cndmask_b32_e32 v33, 5, v33, vcc
; %bb.70:
	s_andn2_saveexec_b64 s[0:1], s[0:1]
	s_cbranch_execz .LBB28_72
; %bb.71:
	v_div_scale_f32 v29, s[2:3], v15, v15, 1.0
	v_rcp_f32_e32 v31, v29
	v_div_scale_f32 v45, vcc, 1.0, v15, 1.0
	v_fma_f32 v46, -v29, v31, 1.0
	v_fmac_f32_e32 v31, v46, v31
	v_mul_f32_e32 v46, v45, v31
	v_fma_f32 v47, -v29, v46, v45
	v_fmac_f32_e32 v46, v47, v31
	v_fma_f32 v29, -v29, v46, v45
	v_div_fmas_f32 v29, v29, v31, v46
	v_div_fixup_f32 v15, v29, v15, 1.0
.LBB28_72:
	s_or_b64 exec, exec, s[0:1]
	v_cmp_ne_u32_e32 vcc, v255, v30
	s_and_saveexec_b64 s[0:1], vcc
	s_xor_b64 s[0:1], exec, s[0:1]
	s_cbranch_execz .LBB28_78
; %bb.73:
	v_cmp_eq_u32_e32 vcc, 4, v255
	s_and_saveexec_b64 s[2:3], vcc
	s_cbranch_execz .LBB28_77
; %bb.74:
	v_cmp_ne_u32_e32 vcc, 4, v30
	s_xor_b64 s[18:19], s[16:17], -1
	s_and_b64 s[20:21], s[18:19], vcc
	s_and_saveexec_b64 s[18:19], s[20:21]
	s_cbranch_execz .LBB28_76
; %bb.75:
	v_ashrrev_i32_e32 v31, 31, v30
	v_lshl_add_u64 v[46:47], v[30:31], 2, v[248:249]
	global_load_dword v29, v[46:47], off
	global_load_dword v31, v[248:249], off offset:16
	s_waitcnt vmcnt(1)
	global_store_dword v[248:249], v29, off offset:16
	s_waitcnt vmcnt(1)
	global_store_dword v[46:47], v31, off
.LBB28_76:
	s_or_b64 exec, exec, s[18:19]
	v_mov_b32_e32 v254, v30
	v_mov_b32_e32 v255, v30
.LBB28_77:
	s_or_b64 exec, exec, s[2:3]
.LBB28_78:
	s_andn2_saveexec_b64 s[0:1], s[0:1]
	s_cbranch_execz .LBB28_80
; %bb.79:
	v_mov_b32_e32 v255, 4
	ds_write2_b32 v252, v5, v6 offset0:5 offset1:6
	ds_write2_b32 v252, v7, v8 offset0:7 offset1:8
	;; [unrolled: 1-line block ×5, first 2 shown]
.LBB28_80:
	s_or_b64 exec, exec, s[0:1]
	v_cmp_lt_i32_e32 vcc, 4, v255
	s_waitcnt lgkmcnt(0)
	s_barrier
	s_and_saveexec_b64 s[0:1], vcc
	s_cbranch_execz .LBB28_82
; %bb.81:
	ds_read2_b32 v[0:1], v252 offset0:5 offset1:6
	s_waitcnt vmcnt(2)
	v_mul_f32_e32 v226, v204, v15
	v_mov_b32_e32 v2, v5
	v_mov_b32_e32 v3, v6
	ds_read2_b32 v[4:5], v252 offset0:7 offset1:8
	ds_read2_b32 v[16:17], v252 offset0:9 offset1:10
	;; [unrolled: 1-line block ×3, first 2 shown]
	s_waitcnt lgkmcnt(3)
	v_pk_fma_f32 v[30:31], v[226:227], v[0:1], v[2:3] op_sel_hi:[0,1,1] neg_lo:[1,0,0] neg_hi:[1,0,0]
	ds_read2_b32 v[2:3], v252 offset0:13 offset1:14
	v_mov_b32_e32 v0, v7
	v_mov_b32_e32 v1, v8
	s_waitcnt lgkmcnt(3)
	v_pk_fma_f32 v[46:47], v[226:227], v[4:5], v[0:1] op_sel_hi:[0,1,1] neg_lo:[1,0,0] neg_hi:[1,0,0]
	v_mov_b32_e32 v0, v9
	v_mov_b32_e32 v1, v10
	s_waitcnt lgkmcnt(2)
	v_pk_fma_f32 v[48:49], v[226:227], v[16:17], v[0:1] op_sel_hi:[0,1,1] neg_lo:[1,0,0] neg_hi:[1,0,0]
	v_mov_b32_e32 v0, v11
	v_mov_b32_e32 v1, v12
	s_waitcnt lgkmcnt(1)
	v_pk_fma_f32 v[62:63], v[226:227], v[18:19], v[0:1] op_sel_hi:[0,1,1] neg_lo:[1,0,0] neg_hi:[1,0,0]
	v_mov_b32_e32 v0, v13
	v_mov_b32_e32 v1, v14
	s_waitcnt lgkmcnt(0)
	v_pk_fma_f32 v[250:251], v[226:227], v[2:3], v[0:1] op_sel_hi:[0,1,1] neg_lo:[1,0,0] neg_hi:[1,0,0]
	v_mov_b32_e32 v227, v30
	s_waitcnt vmcnt(0)
	v_mov_b64_e32 v[166:167], v[222:223]
	v_mov_b64_e32 v[182:183], v[222:223]
	v_mov_b32_e32 v140, v222
	v_mov_b32_e32 v141, v223
	v_mov_b32_e32 v142, v224
	v_mov_b32_e32 v143, v225
	v_mov_b32_e32 v144, v226
	v_mov_b32_e32 v145, v30
	v_mov_b32_e32 v146, v31
	v_mov_b32_e32 v124, v222
	v_mov_b32_e32 v125, v223
	v_mov_b32_e32 v126, v224
	v_mov_b32_e32 v127, v225
	v_mov_b32_e32 v128, v226
	v_mov_b32_e32 v129, v30
	v_mov_b32_e32 v130, v31
	v_mov_b32_e32 v131, v46
	v_mov_b32_e32 v96, v222
	v_mov_b32_e32 v97, v223
	v_mov_b32_e32 v98, v224
	v_mov_b32_e32 v99, v225
	v_mov_b32_e32 v100, v226
	v_mov_b32_e32 v101, v30
	v_mov_b32_e32 v102, v31
	v_mov_b32_e32 v103, v46
	v_mov_b32_e32 v104, v47
	v_mov_b32_e32 v80, v222
	v_mov_b32_e32 v81, v223
	v_mov_b32_e32 v82, v224
	v_mov_b32_e32 v83, v225
	v_mov_b32_e32 v84, v226
	v_mov_b32_e32 v85, v30
	v_mov_b32_e32 v86, v31
	v_mov_b32_e32 v87, v46
	v_mov_b32_e32 v88, v47
	v_mov_b32_e32 v89, v48
	v_mov_b32_e32 v34, v222
	v_mov_b32_e32 v35, v223
	v_mov_b32_e32 v36, v224
	v_mov_b32_e32 v37, v225
	v_mov_b32_e32 v38, v226
	v_mov_b32_e32 v39, v30
	v_mov_b32_e32 v40, v31
	v_mov_b32_e32 v41, v46
	v_mov_b32_e32 v42, v47
	v_mov_b32_e32 v43, v48
	v_mov_b32_e32 v44, v49
	v_mov_b32_e32 v50, v222
	v_mov_b32_e32 v51, v223
	v_mov_b32_e32 v52, v224
	v_mov_b32_e32 v53, v225
	v_mov_b32_e32 v54, v226
	v_mov_b32_e32 v55, v30
	v_mov_b32_e32 v56, v31
	v_mov_b32_e32 v57, v46
	v_mov_b32_e32 v58, v47
	v_mov_b32_e32 v59, v48
	v_mov_b32_e32 v60, v49
	v_mov_b32_e32 v61, v62
	v_mov_b32_e32 v16, v222
	v_mov_b32_e32 v17, v223
	v_mov_b32_e32 v18, v224
	v_mov_b32_e32 v19, v225
	v_mov_b32_e32 v20, v226
	v_mov_b32_e32 v21, v30
	v_mov_b32_e32 v22, v31
	v_mov_b32_e32 v23, v46
	v_mov_b32_e32 v24, v47
	v_mov_b32_e32 v25, v48
	v_mov_b32_e32 v26, v49
	v_mov_b32_e32 v27, v62
	v_mov_b32_e32 v28, v63
	v_mov_b32_e32 v0, v222
	v_mov_b32_e32 v1, v223
	v_mov_b32_e32 v2, v224
	v_mov_b32_e32 v3, v225
	v_mov_b32_e32 v4, v226
	v_mov_b32_e32 v5, v30
	v_mov_b32_e32 v6, v31
	v_mov_b32_e32 v7, v46
	v_mov_b32_e32 v8, v47
	v_mov_b32_e32 v9, v48
	v_mov_b32_e32 v10, v49
	v_mov_b32_e32 v11, v62
	v_mov_b32_e32 v12, v63
	v_mov_b32_e32 v13, v250
	v_mov_b32_e32 v14, v251
	v_mov_b64_e32 v[168:169], v[224:225]
	v_mov_b64_e32 v[170:171], v[226:227]
	v_mov_b64_e32 v[184:185], v[224:225]
	v_mov_b64_e32 v[186:187], v[226:227]
	v_mov_b32_e32 v199, v30
	v_mov_b32_e32 v164, v31
	;; [unrolled: 1-line block ×8, first 2 shown]
	v_mov_b64_e32 v[172:173], v[228:229]
	v_mov_b64_e32 v[174:175], v[230:231]
	;; [unrolled: 1-line block ×10, first 2 shown]
.LBB28_82:
	s_or_b64 exec, exec, s[0:1]
	v_lshl_add_u32 v15, v255, 2, v252
	s_barrier
	ds_write_b32 v15, v199
	s_waitcnt lgkmcnt(0)
	s_barrier
	ds_read_b32 v15, v252 offset:20
	s_cmp_lt_i32 s22, 7
	v_mov_b32_e32 v30, 5
	s_cbranch_scc1 .LBB28_85
; %bb.83:
	v_add3_u32 v29, v253, 0, 24
	v_mov_b32_e32 v30, 5
	s_mov_b32 s0, 6
.LBB28_84:                              ; =>This Inner Loop Header: Depth=1
	ds_read_b32 v31, v29
	v_mov_b32_e32 v45, s0
	s_add_i32 s0, s0, 1
	v_add_u32_e32 v29, 4, v29
	s_cmp_lg_u32 s22, s0
	s_waitcnt lgkmcnt(0)
	v_cmp_lt_f32_e64 vcc, |v15|, |v31|
	s_nop 1
	v_cndmask_b32_e32 v15, v15, v31, vcc
	v_cndmask_b32_e32 v30, v30, v45, vcc
	s_cbranch_scc1 .LBB28_84
.LBB28_85:
	s_waitcnt lgkmcnt(0)
	v_cmp_eq_f32_e32 vcc, 0, v15
	s_and_saveexec_b64 s[0:1], vcc
	s_xor_b64 s[0:1], exec, s[0:1]
; %bb.86:
	v_cmp_ne_u32_e32 vcc, 0, v33
	s_nop 1
	v_cndmask_b32_e32 v33, 6, v33, vcc
; %bb.87:
	s_andn2_saveexec_b64 s[0:1], s[0:1]
	s_cbranch_execz .LBB28_89
; %bb.88:
	v_div_scale_f32 v29, s[2:3], v15, v15, 1.0
	v_rcp_f32_e32 v31, v29
	v_div_scale_f32 v45, vcc, 1.0, v15, 1.0
	v_fma_f32 v46, -v29, v31, 1.0
	v_fmac_f32_e32 v31, v46, v31
	v_mul_f32_e32 v46, v45, v31
	v_fma_f32 v47, -v29, v46, v45
	v_fmac_f32_e32 v46, v47, v31
	v_fma_f32 v29, -v29, v46, v45
	v_div_fmas_f32 v29, v29, v31, v46
	v_div_fixup_f32 v15, v29, v15, 1.0
.LBB28_89:
	s_or_b64 exec, exec, s[0:1]
	v_cmp_ne_u32_e32 vcc, v255, v30
	s_and_saveexec_b64 s[0:1], vcc
	s_xor_b64 s[0:1], exec, s[0:1]
	s_cbranch_execz .LBB28_95
; %bb.90:
	v_cmp_eq_u32_e32 vcc, 5, v255
	s_and_saveexec_b64 s[2:3], vcc
	s_cbranch_execz .LBB28_94
; %bb.91:
	v_cmp_ne_u32_e32 vcc, 5, v30
	s_xor_b64 s[18:19], s[16:17], -1
	s_and_b64 s[20:21], s[18:19], vcc
	s_and_saveexec_b64 s[18:19], s[20:21]
	s_cbranch_execz .LBB28_93
; %bb.92:
	v_ashrrev_i32_e32 v31, 31, v30
	v_lshl_add_u64 v[46:47], v[30:31], 2, v[248:249]
	global_load_dword v29, v[46:47], off
	global_load_dword v31, v[248:249], off offset:20
	s_waitcnt vmcnt(1)
	global_store_dword v[248:249], v29, off offset:20
	s_waitcnt vmcnt(1)
	global_store_dword v[46:47], v31, off
.LBB28_93:
	s_or_b64 exec, exec, s[18:19]
	v_mov_b32_e32 v254, v30
	v_mov_b32_e32 v255, v30
.LBB28_94:
	s_or_b64 exec, exec, s[2:3]
.LBB28_95:
	s_andn2_saveexec_b64 s[0:1], s[0:1]
	s_cbranch_execz .LBB28_97
; %bb.96:
	v_mov_b32_e32 v255, 5
	ds_write2_b32 v252, v6, v7 offset0:6 offset1:7
	ds_write2_b32 v252, v8, v9 offset0:8 offset1:9
	;; [unrolled: 1-line block ×4, first 2 shown]
	ds_write_b32 v252, v251 offset:56
.LBB28_97:
	s_or_b64 exec, exec, s[0:1]
	v_cmp_lt_i32_e32 vcc, 5, v255
	s_waitcnt lgkmcnt(0)
	s_barrier
	s_and_saveexec_b64 s[0:1], vcc
	s_cbranch_execz .LBB28_99
; %bb.98:
	v_mul_f32_e32 v30, v199, v15
	ds_read2_b32 v[0:1], v252 offset0:6 offset1:7
	ds_read2_b32 v[2:3], v252 offset0:8 offset1:9
	;; [unrolled: 1-line block ×4, first 2 shown]
	ds_read_b32 v16, v252 offset:56
	s_waitcnt lgkmcnt(4)
	v_pk_fma_f32 v[146:147], v[30:31], v[0:1], v[6:7] op_sel_hi:[0,1,1] neg_lo:[1,0,0] neg_hi:[1,0,0]
	s_waitcnt lgkmcnt(3)
	v_pk_fma_f32 v[104:105], v[30:31], v[2:3], v[8:9] op_sel_hi:[0,1,1] neg_lo:[1,0,0] neg_hi:[1,0,0]
	;; [unrolled: 2-line block ×4, first 2 shown]
	s_waitcnt lgkmcnt(0)
	v_fma_f32 v14, -v30, v16, v251
	v_mov_b32_e32 v187, v30
	v_mov_b64_e32 v[166:167], v[182:183]
	v_mov_b32_e32 v140, v182
	v_mov_b32_e32 v141, v183
	;; [unrolled: 1-line block ×80, first 2 shown]
	v_mov_b64_e32 v[168:169], v[184:185]
	v_mov_b64_e32 v[170:171], v[186:187]
	v_mov_b32_e32 v164, v146
	v_mov_b32_e32 v250, v29
	;; [unrolled: 1-line block ×9, first 2 shown]
	v_mov_b64_e32 v[172:173], v[188:189]
	v_mov_b64_e32 v[174:175], v[190:191]
	;; [unrolled: 1-line block ×5, first 2 shown]
.LBB28_99:
	s_or_b64 exec, exec, s[0:1]
	v_lshl_add_u32 v15, v255, 2, v252
	s_barrier
	ds_write_b32 v15, v164
	s_waitcnt lgkmcnt(0)
	s_barrier
	ds_read_b32 v15, v252 offset:24
	s_cmp_lt_i32 s22, 8
	v_mov_b32_e32 v30, 6
	s_cbranch_scc1 .LBB28_102
; %bb.100:
	v_add3_u32 v29, v253, 0, 28
	v_mov_b32_e32 v30, 6
	s_mov_b32 s0, 7
.LBB28_101:                             ; =>This Inner Loop Header: Depth=1
	ds_read_b32 v31, v29
	v_mov_b32_e32 v45, s0
	s_add_i32 s0, s0, 1
	v_add_u32_e32 v29, 4, v29
	s_cmp_lg_u32 s22, s0
	s_waitcnt lgkmcnt(0)
	v_cmp_lt_f32_e64 vcc, |v15|, |v31|
	s_nop 1
	v_cndmask_b32_e32 v15, v15, v31, vcc
	v_cndmask_b32_e32 v30, v30, v45, vcc
	s_cbranch_scc1 .LBB28_101
.LBB28_102:
	s_waitcnt lgkmcnt(0)
	v_cmp_eq_f32_e32 vcc, 0, v15
	s_and_saveexec_b64 s[0:1], vcc
	s_xor_b64 s[0:1], exec, s[0:1]
; %bb.103:
	v_cmp_ne_u32_e32 vcc, 0, v33
	s_nop 1
	v_cndmask_b32_e32 v33, 7, v33, vcc
; %bb.104:
	s_andn2_saveexec_b64 s[0:1], s[0:1]
	s_cbranch_execz .LBB28_106
; %bb.105:
	v_div_scale_f32 v29, s[2:3], v15, v15, 1.0
	v_rcp_f32_e32 v31, v29
	v_div_scale_f32 v45, vcc, 1.0, v15, 1.0
	v_fma_f32 v46, -v29, v31, 1.0
	v_fmac_f32_e32 v31, v46, v31
	v_mul_f32_e32 v46, v45, v31
	v_fma_f32 v47, -v29, v46, v45
	v_fmac_f32_e32 v46, v47, v31
	v_fma_f32 v29, -v29, v46, v45
	v_div_fmas_f32 v29, v29, v31, v46
	v_div_fixup_f32 v15, v29, v15, 1.0
.LBB28_106:
	s_or_b64 exec, exec, s[0:1]
	v_cmp_ne_u32_e32 vcc, v255, v30
	s_and_saveexec_b64 s[0:1], vcc
	s_xor_b64 s[0:1], exec, s[0:1]
	s_cbranch_execz .LBB28_112
; %bb.107:
	v_cmp_eq_u32_e32 vcc, 6, v255
	s_and_saveexec_b64 s[2:3], vcc
	s_cbranch_execz .LBB28_111
; %bb.108:
	v_cmp_ne_u32_e32 vcc, 6, v30
	s_xor_b64 s[18:19], s[16:17], -1
	s_and_b64 s[20:21], s[18:19], vcc
	s_and_saveexec_b64 s[18:19], s[20:21]
	s_cbranch_execz .LBB28_110
; %bb.109:
	v_ashrrev_i32_e32 v31, 31, v30
	v_lshl_add_u64 v[46:47], v[30:31], 2, v[248:249]
	global_load_dword v29, v[46:47], off
	global_load_dword v31, v[248:249], off offset:24
	s_waitcnt vmcnt(1)
	global_store_dword v[248:249], v29, off offset:24
	s_waitcnt vmcnt(1)
	global_store_dword v[46:47], v31, off
.LBB28_110:
	s_or_b64 exec, exec, s[18:19]
	v_mov_b32_e32 v254, v30
	v_mov_b32_e32 v255, v30
.LBB28_111:
	s_or_b64 exec, exec, s[2:3]
.LBB28_112:
	s_andn2_saveexec_b64 s[0:1], s[0:1]
	s_cbranch_execz .LBB28_114
; %bb.113:
	v_mov_b32_e32 v255, 6
	ds_write2_b32 v252, v7, v8 offset0:7 offset1:8
	ds_write2_b32 v252, v9, v10 offset0:9 offset1:10
	;; [unrolled: 1-line block ×4, first 2 shown]
.LBB28_114:
	s_or_b64 exec, exec, s[0:1]
	v_cmp_lt_i32_e32 vcc, 6, v255
	s_waitcnt lgkmcnt(0)
	s_barrier
	s_and_saveexec_b64 s[0:1], vcc
	s_cbranch_execz .LBB28_116
; %bb.115:
	ds_read2_b32 v[0:1], v252 offset0:7 offset1:8
	v_mov_b32_e32 v2, v7
	ds_read2_b32 v[4:5], v252 offset0:9 offset1:10
	ds_read2_b32 v[6:7], v252 offset0:11 offset1:12
	;; [unrolled: 1-line block ×3, first 2 shown]
	v_mul_f32_e32 v172, v164, v15
	v_mov_b32_e32 v3, v8
	s_waitcnt lgkmcnt(3)
	v_pk_fma_f32 v[30:31], v[172:173], v[0:1], v[2:3] op_sel_hi:[0,1,1] neg_lo:[1,0,0] neg_hi:[1,0,0]
	v_mov_b32_e32 v0, v9
	v_mov_b32_e32 v1, v10
	s_waitcnt lgkmcnt(2)
	v_pk_fma_f32 v[46:47], v[172:173], v[4:5], v[0:1] op_sel_hi:[0,1,1] neg_lo:[1,0,0] neg_hi:[1,0,0]
	v_mov_b32_e32 v0, v11
	;; [unrolled: 4-line block ×4, first 2 shown]
	v_mov_b64_e32 v[124:125], v[166:167]
	v_mov_b64_e32 v[140:141], v[166:167]
	v_mov_b32_e32 v96, v166
	v_mov_b32_e32 v97, v167
	v_mov_b32_e32 v98, v168
	v_mov_b32_e32 v99, v169
	v_mov_b32_e32 v100, v170
	v_mov_b32_e32 v101, v171
	v_mov_b32_e32 v102, v172
	v_mov_b32_e32 v103, v30
	v_mov_b32_e32 v104, v31
	v_mov_b32_e32 v80, v166
	v_mov_b32_e32 v81, v167
	v_mov_b32_e32 v82, v168
	v_mov_b32_e32 v83, v169
	v_mov_b32_e32 v84, v170
	v_mov_b32_e32 v85, v171
	v_mov_b32_e32 v86, v172
	v_mov_b32_e32 v87, v30
	v_mov_b32_e32 v88, v31
	v_mov_b32_e32 v89, v46
	v_mov_b32_e32 v34, v166
	v_mov_b32_e32 v35, v167
	v_mov_b32_e32 v36, v168
	v_mov_b32_e32 v37, v169
	v_mov_b32_e32 v38, v170
	v_mov_b32_e32 v39, v171
	v_mov_b32_e32 v40, v172
	v_mov_b32_e32 v41, v30
	v_mov_b32_e32 v42, v31
	v_mov_b32_e32 v43, v46
	v_mov_b32_e32 v44, v47
	v_mov_b32_e32 v50, v166
	v_mov_b32_e32 v51, v167
	v_mov_b32_e32 v52, v168
	v_mov_b32_e32 v53, v169
	v_mov_b32_e32 v54, v170
	v_mov_b32_e32 v55, v171
	v_mov_b32_e32 v56, v172
	v_mov_b32_e32 v57, v30
	v_mov_b32_e32 v58, v31
	v_mov_b32_e32 v59, v46
	v_mov_b32_e32 v60, v47
	v_mov_b32_e32 v61, v48
	v_mov_b32_e32 v16, v166
	v_mov_b32_e32 v17, v167
	v_mov_b32_e32 v18, v168
	v_mov_b32_e32 v19, v169
	v_mov_b32_e32 v20, v170
	v_mov_b32_e32 v21, v171
	v_mov_b32_e32 v22, v172
	v_mov_b32_e32 v23, v30
	v_mov_b32_e32 v24, v31
	v_mov_b32_e32 v25, v46
	v_mov_b32_e32 v26, v47
	v_mov_b32_e32 v27, v48
	v_mov_b32_e32 v28, v49
	v_mov_b32_e32 v0, v166
	v_mov_b32_e32 v1, v167
	v_mov_b32_e32 v2, v168
	v_mov_b32_e32 v3, v169
	v_mov_b32_e32 v4, v170
	v_mov_b32_e32 v5, v171
	v_mov_b32_e32 v6, v172
	v_mov_b32_e32 v7, v30
	v_mov_b32_e32 v8, v31
	v_mov_b32_e32 v9, v46
	v_mov_b32_e32 v10, v47
	v_mov_b32_e32 v11, v48
	v_mov_b32_e32 v12, v49
	v_mov_b32_e32 v13, v250
	v_mov_b32_e32 v14, v251
	v_mov_b64_e32 v[126:127], v[168:169]
	v_mov_b64_e32 v[128:129], v[170:171]
	;; [unrolled: 1-line block ×6, first 2 shown]
	v_mov_b32_e32 v157, v30
	v_mov_b32_e32 v122, v31
	;; [unrolled: 1-line block ×6, first 2 shown]
	v_mov_b64_e32 v[132:133], v[174:175]
	v_mov_b64_e32 v[134:135], v[176:177]
	;; [unrolled: 1-line block ×8, first 2 shown]
.LBB28_116:
	s_or_b64 exec, exec, s[0:1]
	v_lshl_add_u32 v15, v255, 2, v252
	s_barrier
	ds_write_b32 v15, v157
	s_waitcnt lgkmcnt(0)
	s_barrier
	ds_read_b32 v15, v252 offset:28
	s_cmp_lt_i32 s22, 9
	v_mov_b32_e32 v30, 7
	s_cbranch_scc1 .LBB28_119
; %bb.117:
	v_add3_u32 v29, v253, 0, 32
	v_mov_b32_e32 v30, 7
	s_mov_b32 s0, 8
.LBB28_118:                             ; =>This Inner Loop Header: Depth=1
	ds_read_b32 v31, v29
	v_mov_b32_e32 v45, s0
	s_add_i32 s0, s0, 1
	v_add_u32_e32 v29, 4, v29
	s_cmp_lg_u32 s22, s0
	s_waitcnt lgkmcnt(0)
	v_cmp_lt_f32_e64 vcc, |v15|, |v31|
	s_nop 1
	v_cndmask_b32_e32 v15, v15, v31, vcc
	v_cndmask_b32_e32 v30, v30, v45, vcc
	s_cbranch_scc1 .LBB28_118
.LBB28_119:
	s_waitcnt lgkmcnt(0)
	v_cmp_eq_f32_e32 vcc, 0, v15
	s_and_saveexec_b64 s[0:1], vcc
	s_xor_b64 s[0:1], exec, s[0:1]
; %bb.120:
	v_cmp_ne_u32_e32 vcc, 0, v33
	s_nop 1
	v_cndmask_b32_e32 v33, 8, v33, vcc
; %bb.121:
	s_andn2_saveexec_b64 s[0:1], s[0:1]
	s_cbranch_execz .LBB28_123
; %bb.122:
	v_div_scale_f32 v29, s[2:3], v15, v15, 1.0
	v_rcp_f32_e32 v31, v29
	v_div_scale_f32 v45, vcc, 1.0, v15, 1.0
	v_fma_f32 v46, -v29, v31, 1.0
	v_fmac_f32_e32 v31, v46, v31
	v_mul_f32_e32 v46, v45, v31
	v_fma_f32 v47, -v29, v46, v45
	v_fmac_f32_e32 v46, v47, v31
	v_fma_f32 v29, -v29, v46, v45
	v_div_fmas_f32 v29, v29, v31, v46
	v_div_fixup_f32 v15, v29, v15, 1.0
.LBB28_123:
	s_or_b64 exec, exec, s[0:1]
	v_cmp_ne_u32_e32 vcc, v255, v30
	s_and_saveexec_b64 s[0:1], vcc
	s_xor_b64 s[0:1], exec, s[0:1]
	s_cbranch_execz .LBB28_129
; %bb.124:
	v_cmp_eq_u32_e32 vcc, 7, v255
	s_and_saveexec_b64 s[2:3], vcc
	s_cbranch_execz .LBB28_128
; %bb.125:
	v_cmp_ne_u32_e32 vcc, 7, v30
	s_xor_b64 s[18:19], s[16:17], -1
	s_and_b64 s[20:21], s[18:19], vcc
	s_and_saveexec_b64 s[18:19], s[20:21]
	s_cbranch_execz .LBB28_127
; %bb.126:
	v_ashrrev_i32_e32 v31, 31, v30
	v_lshl_add_u64 v[46:47], v[30:31], 2, v[248:249]
	global_load_dword v29, v[46:47], off
	global_load_dword v31, v[248:249], off offset:28
	s_waitcnt vmcnt(1)
	global_store_dword v[248:249], v29, off offset:28
	s_waitcnt vmcnt(1)
	global_store_dword v[46:47], v31, off
.LBB28_127:
	s_or_b64 exec, exec, s[18:19]
	v_mov_b32_e32 v254, v30
	v_mov_b32_e32 v255, v30
.LBB28_128:
	s_or_b64 exec, exec, s[2:3]
.LBB28_129:
	s_andn2_saveexec_b64 s[0:1], s[0:1]
	s_cbranch_execz .LBB28_131
; %bb.130:
	v_mov_b32_e32 v255, 7
	ds_write2_b32 v252, v8, v9 offset0:8 offset1:9
	ds_write2_b32 v252, v10, v11 offset0:10 offset1:11
	;; [unrolled: 1-line block ×3, first 2 shown]
	ds_write_b32 v252, v251 offset:56
.LBB28_131:
	s_or_b64 exec, exec, s[0:1]
	v_cmp_lt_i32_e32 vcc, 7, v255
	s_waitcnt lgkmcnt(0)
	s_barrier
	s_and_saveexec_b64 s[0:1], vcc
	s_cbranch_execz .LBB28_133
; %bb.132:
	ds_read2_b32 v[0:1], v252 offset0:8 offset1:9
	ds_read2_b32 v[2:3], v252 offset0:10 offset1:11
	;; [unrolled: 1-line block ×3, first 2 shown]
	ds_read_b32 v6, v252 offset:56
	v_mul_f32_e32 v30, v157, v15
	s_waitcnt lgkmcnt(3)
	v_pk_fma_f32 v[104:105], v[30:31], v[0:1], v[8:9] op_sel_hi:[0,1,1] neg_lo:[1,0,0] neg_hi:[1,0,0]
	s_waitcnt lgkmcnt(2)
	v_pk_fma_f32 v[44:45], v[30:31], v[2:3], v[10:11] op_sel_hi:[0,1,1] neg_lo:[1,0,0] neg_hi:[1,0,0]
	;; [unrolled: 2-line block ×3, first 2 shown]
	s_waitcnt lgkmcnt(0)
	v_fma_f32 v14, -v30, v6, v251
	v_mov_b32_e32 v147, v30
	v_mov_b64_e32 v[124:125], v[140:141]
	v_mov_b32_e32 v96, v140
	v_mov_b32_e32 v97, v141
	;; [unrolled: 1-line block ×66, first 2 shown]
	v_mov_b64_e32 v[126:127], v[142:143]
	v_mov_b64_e32 v[128:129], v[144:145]
	;; [unrolled: 1-line block ×3, first 2 shown]
	v_mov_b32_e32 v122, v104
	v_mov_b32_e32 v113, v105
	;; [unrolled: 1-line block ×7, first 2 shown]
	v_mov_b64_e32 v[132:133], v[148:149]
	v_mov_b64_e32 v[134:135], v[150:151]
	;; [unrolled: 1-line block ×4, first 2 shown]
.LBB28_133:
	s_or_b64 exec, exec, s[0:1]
	v_lshl_add_u32 v15, v255, 2, v252
	s_barrier
	ds_write_b32 v15, v122
	s_waitcnt lgkmcnt(0)
	s_barrier
	ds_read_b32 v15, v252 offset:32
	s_cmp_lt_i32 s22, 10
	v_mov_b32_e32 v30, 8
	s_cbranch_scc1 .LBB28_136
; %bb.134:
	v_add3_u32 v29, v253, 0, 36
	v_mov_b32_e32 v30, 8
	s_mov_b32 s0, 9
.LBB28_135:                             ; =>This Inner Loop Header: Depth=1
	ds_read_b32 v31, v29
	v_mov_b32_e32 v45, s0
	s_add_i32 s0, s0, 1
	v_add_u32_e32 v29, 4, v29
	s_cmp_lg_u32 s22, s0
	s_waitcnt lgkmcnt(0)
	v_cmp_lt_f32_e64 vcc, |v15|, |v31|
	s_nop 1
	v_cndmask_b32_e32 v15, v15, v31, vcc
	v_cndmask_b32_e32 v30, v30, v45, vcc
	s_cbranch_scc1 .LBB28_135
.LBB28_136:
	s_waitcnt lgkmcnt(0)
	v_cmp_eq_f32_e32 vcc, 0, v15
	s_and_saveexec_b64 s[0:1], vcc
	s_xor_b64 s[0:1], exec, s[0:1]
; %bb.137:
	v_cmp_ne_u32_e32 vcc, 0, v33
	s_nop 1
	v_cndmask_b32_e32 v33, 9, v33, vcc
; %bb.138:
	s_andn2_saveexec_b64 s[0:1], s[0:1]
	s_cbranch_execz .LBB28_140
; %bb.139:
	v_div_scale_f32 v29, s[2:3], v15, v15, 1.0
	v_rcp_f32_e32 v31, v29
	v_div_scale_f32 v45, vcc, 1.0, v15, 1.0
	v_fma_f32 v46, -v29, v31, 1.0
	v_fmac_f32_e32 v31, v46, v31
	v_mul_f32_e32 v46, v45, v31
	v_fma_f32 v47, -v29, v46, v45
	v_fmac_f32_e32 v46, v47, v31
	v_fma_f32 v29, -v29, v46, v45
	v_div_fmas_f32 v29, v29, v31, v46
	v_div_fixup_f32 v15, v29, v15, 1.0
.LBB28_140:
	s_or_b64 exec, exec, s[0:1]
	v_cmp_ne_u32_e32 vcc, v255, v30
	s_and_saveexec_b64 s[0:1], vcc
	s_xor_b64 s[0:1], exec, s[0:1]
	s_cbranch_execz .LBB28_146
; %bb.141:
	v_cmp_eq_u32_e32 vcc, 8, v255
	s_and_saveexec_b64 s[2:3], vcc
	s_cbranch_execz .LBB28_145
; %bb.142:
	v_cmp_ne_u32_e32 vcc, 8, v30
	s_xor_b64 s[18:19], s[16:17], -1
	s_and_b64 s[20:21], s[18:19], vcc
	s_and_saveexec_b64 s[18:19], s[20:21]
	s_cbranch_execz .LBB28_144
; %bb.143:
	v_ashrrev_i32_e32 v31, 31, v30
	v_lshl_add_u64 v[46:47], v[30:31], 2, v[248:249]
	global_load_dword v29, v[46:47], off
	global_load_dword v31, v[248:249], off offset:32
	s_waitcnt vmcnt(1)
	global_store_dword v[248:249], v29, off offset:32
	s_waitcnt vmcnt(1)
	global_store_dword v[46:47], v31, off
.LBB28_144:
	s_or_b64 exec, exec, s[18:19]
	v_mov_b32_e32 v254, v30
	v_mov_b32_e32 v255, v30
.LBB28_145:
	s_or_b64 exec, exec, s[2:3]
.LBB28_146:
	s_andn2_saveexec_b64 s[0:1], s[0:1]
	s_cbranch_execz .LBB28_148
; %bb.147:
	v_mov_b32_e32 v255, 8
	ds_write2_b32 v252, v9, v10 offset0:9 offset1:10
	ds_write2_b32 v252, v11, v12 offset0:11 offset1:12
	;; [unrolled: 1-line block ×3, first 2 shown]
.LBB28_148:
	s_or_b64 exec, exec, s[0:1]
	v_cmp_lt_i32_e32 vcc, 8, v255
	s_waitcnt lgkmcnt(0)
	s_barrier
	s_and_saveexec_b64 s[0:1], vcc
	s_cbranch_execz .LBB28_150
; %bb.149:
	ds_read2_b32 v[0:1], v252 offset0:9 offset1:10
	ds_read2_b32 v[4:5], v252 offset0:11 offset1:12
	;; [unrolled: 1-line block ×3, first 2 shown]
	v_mul_f32_e32 v132, v122, v15
	v_mov_b32_e32 v2, v9
	v_mov_b32_e32 v3, v10
	s_waitcnt lgkmcnt(2)
	v_pk_fma_f32 v[30:31], v[132:133], v[0:1], v[2:3] op_sel_hi:[0,1,1] neg_lo:[1,0,0] neg_hi:[1,0,0]
	v_mov_b32_e32 v0, v11
	v_mov_b32_e32 v1, v12
	s_waitcnt lgkmcnt(1)
	v_pk_fma_f32 v[46:47], v[132:133], v[4:5], v[0:1] op_sel_hi:[0,1,1] neg_lo:[1,0,0] neg_hi:[1,0,0]
	;; [unrolled: 4-line block ×3, first 2 shown]
	v_mov_b32_e32 v133, v30
	v_mov_b64_e32 v[80:81], v[124:125]
	v_mov_b64_e32 v[96:97], v[124:125]
	v_mov_b32_e32 v34, v124
	v_mov_b32_e32 v35, v125
	;; [unrolled: 1-line block ×51, first 2 shown]
	v_mov_b64_e32 v[82:83], v[126:127]
	v_mov_b64_e32 v[84:85], v[128:129]
	;; [unrolled: 1-line block ×8, first 2 shown]
	v_mov_b32_e32 v113, v30
	v_mov_b32_e32 v78, v31
	v_mov_b32_e32 v67, v46
	v_mov_b32_e32 v32, v47
	v_mov_b64_e32 v[90:91], v[134:135]
	v_mov_b64_e32 v[92:93], v[136:137]
	;; [unrolled: 1-line block ×6, first 2 shown]
.LBB28_150:
	s_or_b64 exec, exec, s[0:1]
	v_lshl_add_u32 v15, v255, 2, v252
	s_barrier
	ds_write_b32 v15, v113
	s_waitcnt lgkmcnt(0)
	s_barrier
	ds_read_b32 v15, v252 offset:36
	s_cmp_lt_i32 s22, 11
	v_mov_b32_e32 v30, 9
	s_cbranch_scc1 .LBB28_153
; %bb.151:
	v_add3_u32 v29, v253, 0, 40
	v_mov_b32_e32 v30, 9
	s_mov_b32 s0, 10
.LBB28_152:                             ; =>This Inner Loop Header: Depth=1
	ds_read_b32 v31, v29
	v_mov_b32_e32 v45, s0
	s_add_i32 s0, s0, 1
	v_add_u32_e32 v29, 4, v29
	s_cmp_lg_u32 s22, s0
	s_waitcnt lgkmcnt(0)
	v_cmp_lt_f32_e64 vcc, |v15|, |v31|
	s_nop 1
	v_cndmask_b32_e32 v15, v15, v31, vcc
	v_cndmask_b32_e32 v30, v30, v45, vcc
	s_cbranch_scc1 .LBB28_152
.LBB28_153:
	s_waitcnt lgkmcnt(0)
	v_cmp_eq_f32_e32 vcc, 0, v15
	s_and_saveexec_b64 s[0:1], vcc
	s_xor_b64 s[0:1], exec, s[0:1]
; %bb.154:
	v_cmp_ne_u32_e32 vcc, 0, v33
	s_nop 1
	v_cndmask_b32_e32 v33, 10, v33, vcc
; %bb.155:
	s_andn2_saveexec_b64 s[0:1], s[0:1]
	s_cbranch_execz .LBB28_157
; %bb.156:
	v_div_scale_f32 v29, s[2:3], v15, v15, 1.0
	v_rcp_f32_e32 v31, v29
	v_div_scale_f32 v45, vcc, 1.0, v15, 1.0
	v_fma_f32 v46, -v29, v31, 1.0
	v_fmac_f32_e32 v31, v46, v31
	v_mul_f32_e32 v46, v45, v31
	v_fma_f32 v47, -v29, v46, v45
	v_fmac_f32_e32 v46, v47, v31
	v_fma_f32 v29, -v29, v46, v45
	v_div_fmas_f32 v29, v29, v31, v46
	v_div_fixup_f32 v15, v29, v15, 1.0
.LBB28_157:
	s_or_b64 exec, exec, s[0:1]
	v_cmp_ne_u32_e32 vcc, v255, v30
	s_and_saveexec_b64 s[0:1], vcc
	s_xor_b64 s[0:1], exec, s[0:1]
	s_cbranch_execz .LBB28_163
; %bb.158:
	v_cmp_eq_u32_e32 vcc, 9, v255
	s_and_saveexec_b64 s[2:3], vcc
	s_cbranch_execz .LBB28_162
; %bb.159:
	v_cmp_ne_u32_e32 vcc, 9, v30
	s_xor_b64 s[18:19], s[16:17], -1
	s_and_b64 s[20:21], s[18:19], vcc
	s_and_saveexec_b64 s[18:19], s[20:21]
	s_cbranch_execz .LBB28_161
; %bb.160:
	v_ashrrev_i32_e32 v31, 31, v30
	v_lshl_add_u64 v[46:47], v[30:31], 2, v[248:249]
	global_load_dword v29, v[46:47], off
	global_load_dword v31, v[248:249], off offset:36
	s_waitcnt vmcnt(1)
	global_store_dword v[248:249], v29, off offset:36
	s_waitcnt vmcnt(1)
	global_store_dword v[46:47], v31, off
.LBB28_161:
	s_or_b64 exec, exec, s[18:19]
	v_mov_b32_e32 v254, v30
	v_mov_b32_e32 v255, v30
.LBB28_162:
	s_or_b64 exec, exec, s[2:3]
.LBB28_163:
	s_andn2_saveexec_b64 s[0:1], s[0:1]
	s_cbranch_execz .LBB28_165
; %bb.164:
	v_mov_b32_e32 v255, 9
	ds_write2_b32 v252, v10, v11 offset0:10 offset1:11
	ds_write2_b32 v252, v12, v13 offset0:12 offset1:13
	ds_write_b32 v252, v251 offset:56
.LBB28_165:
	s_or_b64 exec, exec, s[0:1]
	v_cmp_lt_i32_e32 vcc, 9, v255
	s_waitcnt lgkmcnt(0)
	s_barrier
	s_and_saveexec_b64 s[0:1], vcc
	s_cbranch_execz .LBB28_167
; %bb.166:
	ds_read2_b32 v[0:1], v252 offset0:10 offset1:11
	ds_read2_b32 v[2:3], v252 offset0:12 offset1:13
	ds_read_b32 v4, v252 offset:56
	v_mul_f32_e32 v30, v113, v15
	v_mov_b32_e32 v105, v30
	s_waitcnt lgkmcnt(2)
	v_pk_fma_f32 v[44:45], v[30:31], v[0:1], v[10:11] op_sel_hi:[0,1,1] neg_lo:[1,0,0] neg_hi:[1,0,0]
	s_waitcnt lgkmcnt(1)
	v_pk_fma_f32 v[28:29], v[30:31], v[2:3], v[12:13] op_sel_hi:[0,1,1] neg_lo:[1,0,0] neg_hi:[1,0,0]
	s_waitcnt lgkmcnt(0)
	v_fma_f32 v14, -v30, v4, v251
	v_mov_b64_e32 v[80:81], v[96:97]
	v_mov_b32_e32 v34, v96
	v_mov_b32_e32 v35, v97
	;; [unrolled: 1-line block ×48, first 2 shown]
	v_mov_b64_e32 v[82:83], v[98:99]
	v_mov_b64_e32 v[84:85], v[100:101]
	;; [unrolled: 1-line block ×4, first 2 shown]
	v_mov_b32_e32 v78, v44
	v_mov_b32_e32 v67, v45
	;; [unrolled: 1-line block ×5, first 2 shown]
	v_mov_b64_e32 v[90:91], v[106:107]
	v_mov_b64_e32 v[92:93], v[108:109]
	;; [unrolled: 1-line block ×3, first 2 shown]
.LBB28_167:
	s_or_b64 exec, exec, s[0:1]
	v_lshl_add_u32 v15, v255, 2, v252
	s_barrier
	ds_write_b32 v15, v78
	s_waitcnt lgkmcnt(0)
	s_barrier
	ds_read_b32 v15, v252 offset:40
	s_cmp_lt_i32 s22, 12
	v_mov_b32_e32 v30, 10
	s_cbranch_scc1 .LBB28_170
; %bb.168:
	v_add3_u32 v29, v253, 0, 44
	v_mov_b32_e32 v30, 10
	s_mov_b32 s0, 11
.LBB28_169:                             ; =>This Inner Loop Header: Depth=1
	ds_read_b32 v31, v29
	v_mov_b32_e32 v45, s0
	s_add_i32 s0, s0, 1
	v_add_u32_e32 v29, 4, v29
	s_cmp_lg_u32 s22, s0
	s_waitcnt lgkmcnt(0)
	v_cmp_lt_f32_e64 vcc, |v15|, |v31|
	s_nop 1
	v_cndmask_b32_e32 v15, v15, v31, vcc
	v_cndmask_b32_e32 v30, v30, v45, vcc
	s_cbranch_scc1 .LBB28_169
.LBB28_170:
	s_waitcnt lgkmcnt(0)
	v_cmp_eq_f32_e32 vcc, 0, v15
	s_and_saveexec_b64 s[0:1], vcc
	s_xor_b64 s[0:1], exec, s[0:1]
; %bb.171:
	v_cmp_ne_u32_e32 vcc, 0, v33
	s_nop 1
	v_cndmask_b32_e32 v33, 11, v33, vcc
; %bb.172:
	s_andn2_saveexec_b64 s[0:1], s[0:1]
	s_cbranch_execz .LBB28_174
; %bb.173:
	v_div_scale_f32 v29, s[2:3], v15, v15, 1.0
	v_rcp_f32_e32 v31, v29
	v_div_scale_f32 v45, vcc, 1.0, v15, 1.0
	v_fma_f32 v46, -v29, v31, 1.0
	v_fmac_f32_e32 v31, v46, v31
	v_mul_f32_e32 v46, v45, v31
	v_fma_f32 v47, -v29, v46, v45
	v_fmac_f32_e32 v46, v47, v31
	v_fma_f32 v29, -v29, v46, v45
	v_div_fmas_f32 v29, v29, v31, v46
	v_div_fixup_f32 v15, v29, v15, 1.0
.LBB28_174:
	s_or_b64 exec, exec, s[0:1]
	v_cmp_ne_u32_e32 vcc, v255, v30
	s_and_saveexec_b64 s[0:1], vcc
	s_xor_b64 s[0:1], exec, s[0:1]
	s_cbranch_execz .LBB28_180
; %bb.175:
	v_cmp_eq_u32_e32 vcc, 10, v255
	s_and_saveexec_b64 s[2:3], vcc
	s_cbranch_execz .LBB28_179
; %bb.176:
	v_cmp_ne_u32_e32 vcc, 10, v30
	s_xor_b64 s[18:19], s[16:17], -1
	s_and_b64 s[20:21], s[18:19], vcc
	s_and_saveexec_b64 s[18:19], s[20:21]
	s_cbranch_execz .LBB28_178
; %bb.177:
	v_ashrrev_i32_e32 v31, 31, v30
	v_lshl_add_u64 v[46:47], v[30:31], 2, v[248:249]
	global_load_dword v29, v[46:47], off
	global_load_dword v31, v[248:249], off offset:40
	s_waitcnt vmcnt(1)
	global_store_dword v[248:249], v29, off offset:40
	s_waitcnt vmcnt(1)
	global_store_dword v[46:47], v31, off
.LBB28_178:
	s_or_b64 exec, exec, s[18:19]
	v_mov_b32_e32 v254, v30
	v_mov_b32_e32 v255, v30
.LBB28_179:
	s_or_b64 exec, exec, s[2:3]
.LBB28_180:
	s_andn2_saveexec_b64 s[0:1], s[0:1]
	s_cbranch_execz .LBB28_182
; %bb.181:
	v_mov_b32_e32 v255, 10
	ds_write2_b32 v252, v11, v12 offset0:11 offset1:12
	ds_write2_b32 v252, v13, v14 offset0:13 offset1:14
.LBB28_182:
	s_or_b64 exec, exec, s[0:1]
	v_cmp_lt_i32_e32 vcc, 10, v255
	s_waitcnt lgkmcnt(0)
	s_barrier
	s_and_saveexec_b64 s[0:1], vcc
	s_cbranch_execz .LBB28_184
; %bb.183:
	ds_read2_b32 v[0:1], v252 offset0:11 offset1:12
	ds_read2_b32 v[4:5], v252 offset0:13 offset1:14
	v_mul_f32_e32 v90, v78, v15
	v_mov_b32_e32 v2, v11
	v_mov_b32_e32 v3, v12
	s_waitcnt lgkmcnt(1)
	v_pk_fma_f32 v[30:31], v[90:91], v[0:1], v[2:3] op_sel_hi:[0,1,1] neg_lo:[1,0,0] neg_hi:[1,0,0]
	v_mov_b32_e32 v0, v13
	v_mov_b32_e32 v1, v14
	s_waitcnt lgkmcnt(0)
	v_pk_fma_f32 v[250:251], v[90:91], v[4:5], v[0:1] op_sel_hi:[0,1,1] neg_lo:[1,0,0] neg_hi:[1,0,0]
	v_mov_b32_e32 v91, v30
	v_mov_b64_e32 v[50:51], v[80:81]
	v_mov_b64_e32 v[34:35], v[80:81]
	v_mov_b32_e32 v16, v80
	v_mov_b32_e32 v17, v81
	v_mov_b32_e32 v18, v82
	v_mov_b32_e32 v19, v83
	v_mov_b32_e32 v20, v84
	v_mov_b32_e32 v21, v85
	v_mov_b32_e32 v22, v86
	v_mov_b32_e32 v23, v87
	v_mov_b32_e32 v24, v88
	v_mov_b32_e32 v25, v89
	v_mov_b32_e32 v26, v90
	v_mov_b32_e32 v27, v30
	v_mov_b32_e32 v28, v31
	v_mov_b32_e32 v0, v80
	v_mov_b32_e32 v1, v81
	v_mov_b32_e32 v2, v82
	v_mov_b32_e32 v3, v83
	v_mov_b32_e32 v4, v84
	v_mov_b32_e32 v5, v85
	v_mov_b32_e32 v6, v86
	v_mov_b32_e32 v7, v87
	v_mov_b32_e32 v8, v88
	v_mov_b32_e32 v9, v89
	v_mov_b32_e32 v10, v90
	v_mov_b32_e32 v11, v30
	v_mov_b32_e32 v12, v31
	v_mov_b32_e32 v13, v250
	v_mov_b32_e32 v14, v251
	v_mov_b64_e32 v[52:53], v[82:83]
	v_mov_b64_e32 v[54:55], v[84:85]
	;; [unrolled: 1-line block ×10, first 2 shown]
	v_mov_b32_e32 v67, v30
	v_mov_b32_e32 v32, v31
	v_mov_b64_e32 v[62:63], v[92:93]
	v_mov_b64_e32 v[64:65], v[94:95]
	;; [unrolled: 1-line block ×4, first 2 shown]
.LBB28_184:
	s_or_b64 exec, exec, s[0:1]
	v_lshl_add_u32 v15, v255, 2, v252
	s_barrier
	ds_write_b32 v15, v67
	s_waitcnt lgkmcnt(0)
	s_barrier
	ds_read_b32 v15, v252 offset:44
	s_cmp_lt_i32 s22, 13
	v_mov_b32_e32 v30, 11
	s_cbranch_scc1 .LBB28_187
; %bb.185:
	v_add3_u32 v29, v253, 0, 48
	v_mov_b32_e32 v30, 11
	s_mov_b32 s0, 12
.LBB28_186:                             ; =>This Inner Loop Header: Depth=1
	ds_read_b32 v31, v29
	v_mov_b32_e32 v45, s0
	s_add_i32 s0, s0, 1
	v_add_u32_e32 v29, 4, v29
	s_cmp_lg_u32 s22, s0
	s_waitcnt lgkmcnt(0)
	v_cmp_lt_f32_e64 vcc, |v15|, |v31|
	s_nop 1
	v_cndmask_b32_e32 v15, v15, v31, vcc
	v_cndmask_b32_e32 v30, v30, v45, vcc
	s_cbranch_scc1 .LBB28_186
.LBB28_187:
	s_waitcnt lgkmcnt(0)
	v_cmp_eq_f32_e32 vcc, 0, v15
	s_and_saveexec_b64 s[0:1], vcc
	s_xor_b64 s[0:1], exec, s[0:1]
; %bb.188:
	v_cmp_ne_u32_e32 vcc, 0, v33
	s_nop 1
	v_cndmask_b32_e32 v33, 12, v33, vcc
; %bb.189:
	s_andn2_saveexec_b64 s[0:1], s[0:1]
	s_cbranch_execz .LBB28_191
; %bb.190:
	v_div_scale_f32 v29, s[2:3], v15, v15, 1.0
	v_rcp_f32_e32 v31, v29
	v_div_scale_f32 v45, vcc, 1.0, v15, 1.0
	v_fma_f32 v46, -v29, v31, 1.0
	v_fmac_f32_e32 v31, v46, v31
	v_mul_f32_e32 v46, v45, v31
	v_fma_f32 v47, -v29, v46, v45
	v_fmac_f32_e32 v46, v47, v31
	v_fma_f32 v29, -v29, v46, v45
	v_div_fmas_f32 v29, v29, v31, v46
	v_div_fixup_f32 v15, v29, v15, 1.0
.LBB28_191:
	s_or_b64 exec, exec, s[0:1]
	v_cmp_ne_u32_e32 vcc, v255, v30
	s_and_saveexec_b64 s[0:1], vcc
	s_xor_b64 s[0:1], exec, s[0:1]
	s_cbranch_execz .LBB28_197
; %bb.192:
	v_cmp_eq_u32_e32 vcc, 11, v255
	s_and_saveexec_b64 s[2:3], vcc
	s_cbranch_execz .LBB28_196
; %bb.193:
	v_cmp_ne_u32_e32 vcc, 11, v30
	s_xor_b64 s[18:19], s[16:17], -1
	s_and_b64 s[20:21], s[18:19], vcc
	s_and_saveexec_b64 s[18:19], s[20:21]
	s_cbranch_execz .LBB28_195
; %bb.194:
	v_ashrrev_i32_e32 v31, 31, v30
	v_lshl_add_u64 v[46:47], v[30:31], 2, v[248:249]
	global_load_dword v29, v[46:47], off
	global_load_dword v31, v[248:249], off offset:44
	s_waitcnt vmcnt(1)
	global_store_dword v[248:249], v29, off offset:44
	s_waitcnt vmcnt(1)
	global_store_dword v[46:47], v31, off
.LBB28_195:
	s_or_b64 exec, exec, s[18:19]
	v_mov_b32_e32 v254, v30
	v_mov_b32_e32 v255, v30
.LBB28_196:
	s_or_b64 exec, exec, s[2:3]
.LBB28_197:
	s_andn2_saveexec_b64 s[0:1], s[0:1]
	s_cbranch_execz .LBB28_199
; %bb.198:
	v_mov_b32_e32 v255, 11
	ds_write2_b32 v252, v12, v13 offset0:12 offset1:13
	ds_write_b32 v252, v251 offset:56
.LBB28_199:
	s_or_b64 exec, exec, s[0:1]
	v_cmp_lt_i32_e32 vcc, 11, v255
	s_waitcnt lgkmcnt(0)
	s_barrier
	s_and_saveexec_b64 s[0:1], vcc
	s_cbranch_execz .LBB28_201
; %bb.200:
	ds_read2_b32 v[0:1], v252 offset0:12 offset1:13
	ds_read_b32 v2, v252 offset:56
	v_mul_f32_e32 v30, v67, v15
	v_mov_b32_e32 v45, v30
	v_mov_b64_e32 v[64:65], v[48:49]
	s_waitcnt lgkmcnt(1)
	v_pk_fma_f32 v[28:29], v[30:31], v[0:1], v[12:13] op_sel_hi:[0,1,1] neg_lo:[1,0,0] neg_hi:[1,0,0]
	s_waitcnt lgkmcnt(0)
	v_fma_f32 v14, -v30, v2, v251
	v_mov_b32_e32 v16, v34
	v_mov_b32_e32 v17, v35
	v_mov_b32_e32 v18, v36
	v_mov_b32_e32 v19, v37
	v_mov_b32_e32 v20, v38
	v_mov_b32_e32 v21, v39
	v_mov_b32_e32 v22, v40
	v_mov_b32_e32 v23, v41
	v_mov_b32_e32 v24, v42
	v_mov_b32_e32 v25, v43
	v_mov_b32_e32 v26, v44
	v_mov_b32_e32 v27, v30
	v_mov_b32_e32 v0, v34
	v_mov_b32_e32 v1, v35
	v_mov_b32_e32 v2, v36
	v_mov_b32_e32 v3, v37
	v_mov_b32_e32 v4, v38
	v_mov_b32_e32 v5, v39
	v_mov_b32_e32 v6, v40
	v_mov_b32_e32 v7, v41
	v_mov_b32_e32 v8, v42
	v_mov_b32_e32 v9, v43
	v_mov_b32_e32 v10, v44
	v_mov_b32_e32 v11, v30
	v_mov_b32_e32 v12, v28
	v_mov_b32_e32 v13, v29
	v_mov_b64_e32 v[60:61], v[44:45]
	v_mov_b64_e32 v[58:59], v[42:43]
	;; [unrolled: 1-line block ×6, first 2 shown]
	v_mov_b32_e32 v32, v28
	v_mov_b32_e32 v250, v29
	;; [unrolled: 1-line block ×3, first 2 shown]
	v_mov_b64_e32 v[62:63], v[46:47]
.LBB28_201:
	s_or_b64 exec, exec, s[0:1]
	v_lshl_add_u32 v15, v255, 2, v252
	s_barrier
	ds_write_b32 v15, v32
	s_waitcnt lgkmcnt(0)
	s_barrier
	ds_read_b32 v15, v252 offset:48
	s_cmp_lt_i32 s22, 14
	v_mov_b32_e32 v30, 12
	s_cbranch_scc1 .LBB28_204
; %bb.202:
	v_add3_u32 v29, v253, 0, 52
	v_mov_b32_e32 v30, 12
	s_mov_b32 s0, 13
.LBB28_203:                             ; =>This Inner Loop Header: Depth=1
	ds_read_b32 v31, v29
	v_mov_b32_e32 v34, s0
	s_add_i32 s0, s0, 1
	v_add_u32_e32 v29, 4, v29
	s_cmp_lg_u32 s22, s0
	s_waitcnt lgkmcnt(0)
	v_cmp_lt_f32_e64 vcc, |v15|, |v31|
	s_nop 1
	v_cndmask_b32_e32 v15, v15, v31, vcc
	v_cndmask_b32_e32 v30, v30, v34, vcc
	s_cbranch_scc1 .LBB28_203
.LBB28_204:
	s_waitcnt lgkmcnt(0)
	v_cmp_eq_f32_e32 vcc, 0, v15
	s_and_saveexec_b64 s[0:1], vcc
	s_xor_b64 s[0:1], exec, s[0:1]
; %bb.205:
	v_cmp_ne_u32_e32 vcc, 0, v33
	s_nop 1
	v_cndmask_b32_e32 v33, 13, v33, vcc
; %bb.206:
	s_andn2_saveexec_b64 s[0:1], s[0:1]
	s_cbranch_execz .LBB28_208
; %bb.207:
	v_div_scale_f32 v29, s[2:3], v15, v15, 1.0
	v_rcp_f32_e32 v31, v29
	v_div_scale_f32 v34, vcc, 1.0, v15, 1.0
	v_fma_f32 v35, -v29, v31, 1.0
	v_fmac_f32_e32 v31, v35, v31
	v_mul_f32_e32 v35, v34, v31
	v_fma_f32 v36, -v29, v35, v34
	v_fmac_f32_e32 v35, v36, v31
	v_fma_f32 v29, -v29, v35, v34
	v_div_fmas_f32 v29, v29, v31, v35
	v_div_fixup_f32 v15, v29, v15, 1.0
.LBB28_208:
	s_or_b64 exec, exec, s[0:1]
	v_cmp_ne_u32_e32 vcc, v255, v30
	s_and_saveexec_b64 s[0:1], vcc
	s_xor_b64 s[0:1], exec, s[0:1]
	s_cbranch_execz .LBB28_214
; %bb.209:
	v_cmp_eq_u32_e32 vcc, 12, v255
	s_and_saveexec_b64 s[2:3], vcc
	s_cbranch_execz .LBB28_213
; %bb.210:
	v_cmp_ne_u32_e32 vcc, 12, v30
	s_xor_b64 s[18:19], s[16:17], -1
	s_and_b64 s[20:21], s[18:19], vcc
	s_and_saveexec_b64 s[18:19], s[20:21]
	s_cbranch_execz .LBB28_212
; %bb.211:
	v_ashrrev_i32_e32 v31, 31, v30
	v_lshl_add_u64 v[34:35], v[30:31], 2, v[248:249]
	global_load_dword v29, v[34:35], off
	global_load_dword v31, v[248:249], off offset:48
	s_waitcnt vmcnt(1)
	global_store_dword v[248:249], v29, off offset:48
	s_waitcnt vmcnt(1)
	global_store_dword v[34:35], v31, off
.LBB28_212:
	s_or_b64 exec, exec, s[18:19]
	v_mov_b32_e32 v254, v30
	v_mov_b32_e32 v255, v30
.LBB28_213:
	s_or_b64 exec, exec, s[2:3]
.LBB28_214:
	s_andn2_saveexec_b64 s[0:1], s[0:1]
; %bb.215:
	v_mov_b32_e32 v255, 12
	ds_write2_b32 v252, v13, v14 offset0:13 offset1:14
; %bb.216:
	s_or_b64 exec, exec, s[0:1]
	v_cmp_lt_i32_e32 vcc, 12, v255
	s_waitcnt lgkmcnt(0)
	s_barrier
	s_and_saveexec_b64 s[0:1], vcc
	s_cbranch_execz .LBB28_218
; %bb.217:
	ds_read2_b32 v[0:1], v252 offset0:13 offset1:14
	v_mul_f32_e32 v62, v32, v15
	v_mov_b32_e32 v2, v13
	v_mov_b32_e32 v3, v14
	s_waitcnt lgkmcnt(0)
	v_pk_fma_f32 v[250:251], v[62:63], v[0:1], v[2:3] op_sel_hi:[0,1,1] neg_lo:[1,0,0] neg_hi:[1,0,0]
	v_mov_b32_e32 v63, v250
	v_mov_b32_e32 v64, v251
	v_mov_b64_e32 v[0:1], v[50:51]
	v_mov_b64_e32 v[16:17], v[50:51]
	;; [unrolled: 1-line block ×16, first 2 shown]
.LBB28_218:
	s_or_b64 exec, exec, s[0:1]
	v_lshl_add_u32 v15, v255, 2, v252
	s_barrier
	ds_write_b32 v15, v250
	s_waitcnt lgkmcnt(0)
	s_barrier
	ds_read_b32 v15, v252 offset:52
	s_cmp_lt_i32 s22, 15
	v_mov_b32_e32 v30, 13
	s_cbranch_scc1 .LBB28_221
; %bb.219:
	v_add3_u32 v29, v253, 0, 56
	v_mov_b32_e32 v30, 13
	s_mov_b32 s0, 14
.LBB28_220:                             ; =>This Inner Loop Header: Depth=1
	ds_read_b32 v31, v29
	v_mov_b32_e32 v32, s0
	s_add_i32 s0, s0, 1
	v_add_u32_e32 v29, 4, v29
	s_cmp_lg_u32 s22, s0
	s_waitcnt lgkmcnt(0)
	v_cmp_lt_f32_e64 vcc, |v15|, |v31|
	s_nop 1
	v_cndmask_b32_e32 v15, v15, v31, vcc
	v_cndmask_b32_e32 v30, v30, v32, vcc
	s_cbranch_scc1 .LBB28_220
.LBB28_221:
	s_waitcnt lgkmcnt(0)
	v_cmp_eq_f32_e32 vcc, 0, v15
	s_and_saveexec_b64 s[0:1], vcc
	s_xor_b64 s[0:1], exec, s[0:1]
; %bb.222:
	v_cmp_ne_u32_e32 vcc, 0, v33
	s_nop 1
	v_cndmask_b32_e32 v33, 14, v33, vcc
; %bb.223:
	s_andn2_saveexec_b64 s[0:1], s[0:1]
	s_cbranch_execz .LBB28_225
; %bb.224:
	v_div_scale_f32 v29, s[2:3], v15, v15, 1.0
	v_rcp_f32_e32 v31, v29
	v_div_scale_f32 v32, vcc, 1.0, v15, 1.0
	v_fma_f32 v34, -v29, v31, 1.0
	v_fmac_f32_e32 v31, v34, v31
	v_mul_f32_e32 v34, v32, v31
	v_fma_f32 v35, -v29, v34, v32
	v_fmac_f32_e32 v34, v35, v31
	v_fma_f32 v29, -v29, v34, v32
	v_div_fmas_f32 v29, v29, v31, v34
	v_div_fixup_f32 v15, v29, v15, 1.0
.LBB28_225:
	s_or_b64 exec, exec, s[0:1]
	v_cmp_ne_u32_e32 vcc, v255, v30
	s_and_saveexec_b64 s[0:1], vcc
	s_xor_b64 s[0:1], exec, s[0:1]
	s_cbranch_execz .LBB28_231
; %bb.226:
	v_cmp_eq_u32_e32 vcc, 13, v255
	s_and_saveexec_b64 s[2:3], vcc
	s_cbranch_execz .LBB28_230
; %bb.227:
	v_cmp_ne_u32_e32 vcc, 13, v30
	s_xor_b64 s[18:19], s[16:17], -1
	s_and_b64 s[20:21], s[18:19], vcc
	s_and_saveexec_b64 s[18:19], s[20:21]
	s_cbranch_execz .LBB28_229
; %bb.228:
	v_ashrrev_i32_e32 v31, 31, v30
	v_lshl_add_u64 v[34:35], v[30:31], 2, v[248:249]
	global_load_dword v29, v[34:35], off
	global_load_dword v31, v[248:249], off offset:52
	s_waitcnt vmcnt(1)
	global_store_dword v[248:249], v29, off offset:52
	s_waitcnt vmcnt(1)
	global_store_dword v[34:35], v31, off
.LBB28_229:
	s_or_b64 exec, exec, s[18:19]
	v_mov_b32_e32 v254, v30
	v_mov_b32_e32 v255, v30
.LBB28_230:
	s_or_b64 exec, exec, s[2:3]
.LBB28_231:
	s_andn2_saveexec_b64 s[0:1], s[0:1]
; %bb.232:
	v_mov_b32_e32 v255, 13
	ds_write_b32 v252, v251 offset:56
; %bb.233:
	s_or_b64 exec, exec, s[0:1]
	v_cmp_lt_i32_e32 vcc, 13, v255
	s_waitcnt lgkmcnt(0)
	s_barrier
	s_and_saveexec_b64 s[0:1], vcc
	s_cbranch_execz .LBB28_235
; %bb.234:
	ds_read_b32 v0, v252 offset:56
	v_mul_f32_e32 v29, v250, v15
	s_waitcnt lgkmcnt(0)
	v_fma_f32 v30, -v29, v0, v251
	v_mov_b64_e32 v[0:1], v[16:17]
	v_mov_b64_e32 v[2:3], v[18:19]
	;; [unrolled: 1-line block ×8, first 2 shown]
	v_mov_b32_e32 v251, v30
.LBB28_235:
	s_or_b64 exec, exec, s[0:1]
	v_lshl_add_u32 v15, v255, 2, v252
	s_barrier
	ds_write_b32 v15, v251
	s_waitcnt lgkmcnt(0)
	s_barrier
	ds_read_b32 v15, v252 offset:56
	s_cmp_lt_i32 s22, 16
	v_mov_b32_e32 v16, 14
	s_cbranch_scc1 .LBB28_238
; %bb.236:
	v_add3_u32 v17, v253, 0, 60
	v_mov_b32_e32 v16, 14
	s_mov_b32 s0, 15
.LBB28_237:                             ; =>This Inner Loop Header: Depth=1
	ds_read_b32 v18, v17
	v_mov_b32_e32 v19, s0
	s_add_i32 s0, s0, 1
	v_add_u32_e32 v17, 4, v17
	s_cmp_lg_u32 s22, s0
	s_waitcnt lgkmcnt(0)
	v_cmp_lt_f32_e64 vcc, |v15|, |v18|
	s_nop 1
	v_cndmask_b32_e32 v15, v15, v18, vcc
	v_cndmask_b32_e32 v16, v16, v19, vcc
	s_cbranch_scc1 .LBB28_237
.LBB28_238:
	s_waitcnt lgkmcnt(0)
	v_cmp_eq_f32_e32 vcc, 0, v15
	s_and_saveexec_b64 s[0:1], vcc
	s_xor_b64 s[0:1], exec, s[0:1]
; %bb.239:
	v_cmp_ne_u32_e32 vcc, 0, v33
	s_nop 1
	v_cndmask_b32_e32 v33, 15, v33, vcc
; %bb.240:
	s_andn2_saveexec_b64 s[0:1], s[0:1]
	s_cbranch_execz .LBB28_242
; %bb.241:
	v_div_scale_f32 v17, s[2:3], v15, v15, 1.0
	v_rcp_f32_e32 v18, v17
	v_div_scale_f32 v19, vcc, 1.0, v15, 1.0
	v_fma_f32 v20, -v17, v18, 1.0
	v_fmac_f32_e32 v18, v20, v18
	v_mul_f32_e32 v20, v19, v18
	v_fma_f32 v21, -v17, v20, v19
	v_fmac_f32_e32 v20, v21, v18
	v_fma_f32 v17, -v17, v20, v19
	v_div_fmas_f32 v17, v17, v18, v20
	v_div_fixup_f32 v15, v17, v15, 1.0
.LBB28_242:
	s_or_b64 exec, exec, s[0:1]
	v_cmp_ne_u32_e32 vcc, v255, v16
	v_mov_b32_e32 v18, 14
	s_and_saveexec_b64 s[0:1], vcc
	s_cbranch_execz .LBB28_248
; %bb.243:
	v_cmp_eq_u32_e32 vcc, 14, v255
	s_and_saveexec_b64 s[2:3], vcc
	s_cbranch_execz .LBB28_247
; %bb.244:
	v_cmp_ne_u32_e32 vcc, 14, v16
	s_xor_b64 s[16:17], s[16:17], -1
	s_and_b64 s[18:19], s[16:17], vcc
	s_and_saveexec_b64 s[16:17], s[18:19]
	s_cbranch_execz .LBB28_246
; %bb.245:
	v_ashrrev_i32_e32 v17, 31, v16
	v_lshl_add_u64 v[18:19], v[16:17], 2, v[248:249]
	global_load_dword v17, v[18:19], off
	global_load_dword v20, v[248:249], off offset:56
	s_waitcnt vmcnt(1)
	global_store_dword v[248:249], v17, off offset:56
	s_waitcnt vmcnt(1)
	global_store_dword v[18:19], v20, off
.LBB28_246:
	s_or_b64 exec, exec, s[16:17]
	v_mov_b32_e32 v254, v16
	v_mov_b32_e32 v255, v16
.LBB28_247:
	s_or_b64 exec, exec, s[2:3]
	v_mov_b32_e32 v18, v255
.LBB28_248:
	s_or_b64 exec, exec, s[0:1]
	v_cmp_gt_i32_e32 vcc, 15, v18
	v_ashrrev_i32_e32 v19, 31, v18
	s_barrier
	s_barrier
	s_and_saveexec_b64 s[0:1], vcc
	s_cbranch_execz .LBB28_250
; %bb.249:
	v_mul_lo_u32 v22, s11, v246
	v_mul_lo_u32 v23, s10, v247
	v_mad_u64_u32 v[20:21], s[2:3], s10, v246, 0
	v_mov_b32_e32 v16, s6
	v_mov_b32_e32 v17, s7
	v_add3_u32 v21, v21, v23, v22
	v_lshl_add_u64 v[16:17], v[20:21], 2, v[16:17]
	v_lshl_add_u64 v[16:17], s[8:9], 2, v[16:17]
	;; [unrolled: 1-line block ×3, first 2 shown]
	v_add3_u32 v20, v254, s15, 1
	global_store_dword v[16:17], v20, off
.LBB28_250:
	s_or_b64 exec, exec, s[0:1]
	v_cmp_eq_u32_e32 vcc, 0, v18
	s_and_saveexec_b64 s[2:3], vcc
	s_cbranch_execz .LBB28_253
; %bb.251:
	v_mov_b32_e32 v16, s4
	v_mov_b32_e32 v17, s5
	v_lshl_add_u64 v[16:17], v[246:247], 2, v[16:17]
	global_load_dword v20, v[16:17], off
	v_cmp_ne_u32_e64 s[0:1], 0, v33
	s_waitcnt vmcnt(0)
	v_cmp_eq_u32_e32 vcc, 0, v20
	s_and_b64 s[0:1], vcc, s[0:1]
	s_and_b64 exec, exec, s[0:1]
	s_cbranch_execz .LBB28_253
; %bb.252:
	v_add_u32_e32 v20, s15, v33
	global_store_dword v[16:17], v20, off
.LBB28_253:
	s_or_b64 exec, exec, s[2:3]
	v_mul_f32_e32 v15, v251, v15
	v_cmp_lt_i32_e32 vcc, 14, v18
	s_nop 1
	v_cndmask_b32_e32 v16, v14, v15, vcc
	v_lshl_add_u64 v[14:15], v[18:19], 2, v[244:245]
	global_store_dword v[14:15], v0, off
	v_lshl_add_u64 v[14:15], s[12:13], 2, v[14:15]
	v_add_u32_e32 v0, s14, v18
	global_store_dword v[14:15], v1, off
	v_ashrrev_i32_e32 v1, 31, v0
	v_lshl_add_u64 v[14:15], v[0:1], 2, v[244:245]
	v_add_u32_e32 v0, s12, v0
	v_ashrrev_i32_e32 v1, 31, v0
	global_store_dword v[14:15], v2, off
	v_lshl_add_u64 v[14:15], v[0:1], 2, v[244:245]
	v_add_u32_e32 v0, s12, v0
	v_ashrrev_i32_e32 v1, 31, v0
	global_store_dword v[14:15], v3, off
	;; [unrolled: 4-line block ×11, first 2 shown]
	v_lshl_add_u64 v[2:3], v[0:1], 2, v[244:245]
	v_add_u32_e32 v0, s12, v0
	v_ashrrev_i32_e32 v1, 31, v0
	v_lshl_add_u64 v[0:1], v[0:1], 2, v[244:245]
	global_store_dword v[2:3], v13, off
	global_store_dword v[0:1], v16, off
.LBB28_254:
	s_endpgm
	.section	.rodata,"a",@progbits
	.p2align	6, 0x0
	.amdhsa_kernel _ZN9rocsolver6v33100L18getf2_small_kernelILi15EfiiPfEEvT1_T3_lS3_lPS3_llPT2_S3_S3_S5_l
		.amdhsa_group_segment_fixed_size 0
		.amdhsa_private_segment_fixed_size 68
		.amdhsa_kernarg_size 352
		.amdhsa_user_sgpr_count 2
		.amdhsa_user_sgpr_dispatch_ptr 0
		.amdhsa_user_sgpr_queue_ptr 0
		.amdhsa_user_sgpr_kernarg_segment_ptr 1
		.amdhsa_user_sgpr_dispatch_id 0
		.amdhsa_user_sgpr_kernarg_preload_length 0
		.amdhsa_user_sgpr_kernarg_preload_offset 0
		.amdhsa_user_sgpr_private_segment_size 0
		.amdhsa_uses_dynamic_stack 0
		.amdhsa_enable_private_segment 1
		.amdhsa_system_sgpr_workgroup_id_x 1
		.amdhsa_system_sgpr_workgroup_id_y 1
		.amdhsa_system_sgpr_workgroup_id_z 0
		.amdhsa_system_sgpr_workgroup_info 0
		.amdhsa_system_vgpr_workitem_id 1
		.amdhsa_next_free_vgpr 256
		.amdhsa_next_free_sgpr 28
		.amdhsa_accum_offset 256
		.amdhsa_reserve_vcc 1
		.amdhsa_float_round_mode_32 0
		.amdhsa_float_round_mode_16_64 0
		.amdhsa_float_denorm_mode_32 3
		.amdhsa_float_denorm_mode_16_64 3
		.amdhsa_dx10_clamp 1
		.amdhsa_ieee_mode 1
		.amdhsa_fp16_overflow 0
		.amdhsa_tg_split 0
		.amdhsa_exception_fp_ieee_invalid_op 0
		.amdhsa_exception_fp_denorm_src 0
		.amdhsa_exception_fp_ieee_div_zero 0
		.amdhsa_exception_fp_ieee_overflow 0
		.amdhsa_exception_fp_ieee_underflow 0
		.amdhsa_exception_fp_ieee_inexact 0
		.amdhsa_exception_int_div_zero 0
	.end_amdhsa_kernel
	.section	.text._ZN9rocsolver6v33100L18getf2_small_kernelILi15EfiiPfEEvT1_T3_lS3_lPS3_llPT2_S3_S3_S5_l,"axG",@progbits,_ZN9rocsolver6v33100L18getf2_small_kernelILi15EfiiPfEEvT1_T3_lS3_lPS3_llPT2_S3_S3_S5_l,comdat
.Lfunc_end28:
	.size	_ZN9rocsolver6v33100L18getf2_small_kernelILi15EfiiPfEEvT1_T3_lS3_lPS3_llPT2_S3_S3_S5_l, .Lfunc_end28-_ZN9rocsolver6v33100L18getf2_small_kernelILi15EfiiPfEEvT1_T3_lS3_lPS3_llPT2_S3_S3_S5_l
                                        ; -- End function
	.set _ZN9rocsolver6v33100L18getf2_small_kernelILi15EfiiPfEEvT1_T3_lS3_lPS3_llPT2_S3_S3_S5_l.num_vgpr, 256
	.set _ZN9rocsolver6v33100L18getf2_small_kernelILi15EfiiPfEEvT1_T3_lS3_lPS3_llPT2_S3_S3_S5_l.num_agpr, 0
	.set _ZN9rocsolver6v33100L18getf2_small_kernelILi15EfiiPfEEvT1_T3_lS3_lPS3_llPT2_S3_S3_S5_l.numbered_sgpr, 28
	.set _ZN9rocsolver6v33100L18getf2_small_kernelILi15EfiiPfEEvT1_T3_lS3_lPS3_llPT2_S3_S3_S5_l.num_named_barrier, 0
	.set _ZN9rocsolver6v33100L18getf2_small_kernelILi15EfiiPfEEvT1_T3_lS3_lPS3_llPT2_S3_S3_S5_l.private_seg_size, 68
	.set _ZN9rocsolver6v33100L18getf2_small_kernelILi15EfiiPfEEvT1_T3_lS3_lPS3_llPT2_S3_S3_S5_l.uses_vcc, 1
	.set _ZN9rocsolver6v33100L18getf2_small_kernelILi15EfiiPfEEvT1_T3_lS3_lPS3_llPT2_S3_S3_S5_l.uses_flat_scratch, 0
	.set _ZN9rocsolver6v33100L18getf2_small_kernelILi15EfiiPfEEvT1_T3_lS3_lPS3_llPT2_S3_S3_S5_l.has_dyn_sized_stack, 0
	.set _ZN9rocsolver6v33100L18getf2_small_kernelILi15EfiiPfEEvT1_T3_lS3_lPS3_llPT2_S3_S3_S5_l.has_recursion, 0
	.set _ZN9rocsolver6v33100L18getf2_small_kernelILi15EfiiPfEEvT1_T3_lS3_lPS3_llPT2_S3_S3_S5_l.has_indirect_call, 0
	.section	.AMDGPU.csdata,"",@progbits
; Kernel info:
; codeLenInByte = 13548
; TotalNumSgprs: 34
; NumVgprs: 256
; NumAgprs: 0
; TotalNumVgprs: 256
; ScratchSize: 68
; MemoryBound: 0
; FloatMode: 240
; IeeeMode: 1
; LDSByteSize: 0 bytes/workgroup (compile time only)
; SGPRBlocks: 4
; VGPRBlocks: 31
; NumSGPRsForWavesPerEU: 34
; NumVGPRsForWavesPerEU: 256
; AccumOffset: 256
; Occupancy: 2
; WaveLimiterHint : 0
; COMPUTE_PGM_RSRC2:SCRATCH_EN: 1
; COMPUTE_PGM_RSRC2:USER_SGPR: 2
; COMPUTE_PGM_RSRC2:TRAP_HANDLER: 0
; COMPUTE_PGM_RSRC2:TGID_X_EN: 1
; COMPUTE_PGM_RSRC2:TGID_Y_EN: 1
; COMPUTE_PGM_RSRC2:TGID_Z_EN: 0
; COMPUTE_PGM_RSRC2:TIDIG_COMP_CNT: 1
; COMPUTE_PGM_RSRC3_GFX90A:ACCUM_OFFSET: 63
; COMPUTE_PGM_RSRC3_GFX90A:TG_SPLIT: 0
	.section	.text._ZN9rocsolver6v33100L23getf2_npvt_small_kernelILi15EfiiPfEEvT1_T3_lS3_lPT2_S3_S3_,"axG",@progbits,_ZN9rocsolver6v33100L23getf2_npvt_small_kernelILi15EfiiPfEEvT1_T3_lS3_lPT2_S3_S3_,comdat
	.globl	_ZN9rocsolver6v33100L23getf2_npvt_small_kernelILi15EfiiPfEEvT1_T3_lS3_lPT2_S3_S3_ ; -- Begin function _ZN9rocsolver6v33100L23getf2_npvt_small_kernelILi15EfiiPfEEvT1_T3_lS3_lPT2_S3_S3_
	.p2align	8
	.type	_ZN9rocsolver6v33100L23getf2_npvt_small_kernelILi15EfiiPfEEvT1_T3_lS3_lPT2_S3_S3_,@function
_ZN9rocsolver6v33100L23getf2_npvt_small_kernelILi15EfiiPfEEvT1_T3_lS3_lPT2_S3_S3_: ; @_ZN9rocsolver6v33100L23getf2_npvt_small_kernelILi15EfiiPfEEvT1_T3_lS3_lPT2_S3_S3_
; %bb.0:
	s_load_dword s2, s[0:1], 0x44
	s_load_dwordx2 s[28:29], s[0:1], 0x30
	v_bfe_u32 v1, v0, 10, 10
	s_waitcnt lgkmcnt(0)
	s_lshr_b32 s8, s2, 16
	s_mul_i32 s3, s3, s8
	v_add_u32_e32 v4, s3, v1
	v_cmp_gt_i32_e32 vcc, s28, v4
	s_and_saveexec_b64 s[2:3], vcc
	s_cbranch_execz .LBB29_80
; %bb.1:
	s_load_dwordx4 s[12:15], s[0:1], 0x8
	s_load_dword s2, s[0:1], 0x18
	s_load_dwordx4 s[4:7], s[0:1], 0x20
	v_ashrrev_i32_e32 v5, 31, v4
	v_and_b32_e32 v143, 0x3ff, v0
	scratch_store_dwordx2 off, v[4:5], off offset:124 ; 8-byte Folded Spill
	s_waitcnt lgkmcnt(0)
	v_mov_b32_e32 v2, s12
	v_mul_lo_u32 v0, s5, v4
	v_mul_lo_u32 v6, s4, v5
	v_mad_u64_u32 v[4:5], s[0:1], s4, v4, 0
	v_mov_b32_e32 v3, s13
	v_add3_u32 v5, v5, v6, v0
	v_lshl_add_u64 v[2:3], v[4:5], 2, v[2:3]
	v_lshl_add_u64 v[2:3], s[14:15], 2, v[2:3]
	v_lshlrev_b32_e32 v4, 2, v143
	v_mov_b32_e32 v5, 0
	s_add_i32 s0, s2, s2
	v_lshl_add_u64 v[16:17], v[2:3], 0, v[4:5]
	v_add_u32_e32 v4, s0, v143
	v_ashrrev_i32_e32 v5, 31, v4
	v_lshl_add_u64 v[14:15], v[4:5], 2, v[2:3]
	v_add_u32_e32 v4, s2, v4
	v_ashrrev_i32_e32 v5, 31, v4
	;; [unrolled: 3-line block ×12, first 2 shown]
	v_lshl_add_u64 v[32:33], v[4:5], 2, v[2:3]
	v_add_u32_e32 v4, s2, v4
	s_ashr_i32 s3, s2, 31
	v_ashrrev_i32_e32 v5, 31, v4
	v_lshl_add_u64 v[10:11], s[2:3], 2, v[16:17]
	v_lshl_add_u64 v[2:3], v[4:5], 2, v[2:3]
	scratch_store_dwordx2 off, v[6:7], off offset:64 ; 8-byte Folded Spill
	global_load_dword v7, v[6:7], off
	s_mul_i32 s8, s8, 60
	scratch_store_dwordx2 off, v[8:9], off offset:72 ; 8-byte Folded Spill
	global_load_dword v4, v[8:9], off
	global_load_dword v252, v[32:33], off
	;; [unrolled: 1-line block ×4, first 2 shown]
	s_add_i32 s0, s8, 0
	scratch_store_dwordx2 off, v[12:13], off offset:80 ; 8-byte Folded Spill
	scratch_store_dwordx2 off, v[10:11], off offset:8 ; 8-byte Folded Spill
	global_load_dword v12, v[10:11], off
	v_mad_u32_u24 v254, v1, 60, 0
	scratch_store_dwordx2 off, v[14:15], off offset:16 ; 8-byte Folded Spill
	global_load_dword v13, v[14:15], off
	global_load_dword v253, v[2:3], off
	;; [unrolled: 1-line block ×9, first 2 shown]
	v_lshl_add_u32 v255, v1, 2, s0
	v_cmp_ne_u32_e64 s[2:3], 0, v143
	v_cmp_eq_u32_e64 s[0:1], 0, v143
	scratch_store_dwordx2 off, v[28:29], off offset:88 ; 8-byte Folded Spill
	scratch_store_dwordx2 off, v[30:31], off offset:96 ; 8-byte Folded Spill
	;; [unrolled: 1-line block ×9, first 2 shown]
	scratch_store_dwordx2 off, v[16:17], off ; 8-byte Folded Spill
	s_and_saveexec_b64 s[4:5], s[0:1]
	s_cbranch_execz .LBB29_4
; %bb.2:
	s_waitcnt vmcnt(23)
	ds_write_b32 v255, v0
	s_waitcnt vmcnt(18)
	ds_write2_b32 v254, v12, v13 offset0:1 offset1:2
	s_waitcnt vmcnt(11)
	ds_write2_b32 v254, v14, v15 offset0:3 offset1:4
	ds_write2_b32 v254, v10, v11 offset0:5 offset1:6
	s_waitcnt vmcnt(10)
	ds_write2_b32 v254, v6, v7 offset0:7 offset1:8
	ds_write2_b32 v254, v4, v5 offset0:9 offset1:10
	;; [unrolled: 1-line block ×4, first 2 shown]
	ds_read_b32 v1, v255
	s_waitcnt lgkmcnt(0)
	v_cmp_neq_f32_e32 vcc, 0, v1
	s_and_b64 exec, exec, vcc
	s_cbranch_execz .LBB29_4
; %bb.3:
	v_div_scale_f32 v2, s[8:9], v1, v1, 1.0
	v_rcp_f32_e32 v3, v2
	v_div_scale_f32 v16, vcc, 1.0, v1, 1.0
	v_fma_f32 v17, -v2, v3, 1.0
	v_fmac_f32_e32 v3, v17, v3
	v_mul_f32_e32 v17, v16, v3
	v_fma_f32 v18, -v2, v17, v16
	v_fmac_f32_e32 v17, v18, v3
	v_fma_f32 v2, -v2, v17, v16
	v_div_fmas_f32 v2, v2, v3, v17
	v_div_fixup_f32 v1, v2, v1, 1.0
	ds_write_b32 v255, v1
.LBB29_4:
	s_or_b64 exec, exec, s[4:5]
	s_waitcnt lgkmcnt(0)
	s_barrier
	ds_read_b32 v171, v255
                                        ; implicit-def: $vgpr96
                                        ; implicit-def: $vgpr133
                                        ; implicit-def: $vgpr114
                                        ; implicit-def: $vgpr16
                                        ; implicit-def: $vgpr153
                                        ; implicit-def: $vgpr142
                                        ; implicit-def: $vgpr189
                                        ; implicit-def: $vgpr170
                                        ; implicit-def: $vgpr201
                                        ; implicit-def: $vgpr194
                                        ; implicit-def: $vgpr235
	s_and_saveexec_b64 s[4:5], s[2:3]
	s_xor_b64 s[2:3], exec, s[4:5]
	s_cbranch_execz .LBB29_6
; %bb.5:
	ds_read2_b32 v[2:3], v254 offset0:1 offset1:2
	ds_read2_b32 v[18:19], v254 offset0:3 offset1:4
	s_waitcnt vmcnt(23) lgkmcnt(2)
	v_mul_f32_e32 v0, v0, v171
	ds_read2_b32 v[20:21], v254 offset0:5 offset1:6
	ds_read2_b32 v[22:23], v254 offset0:7 offset1:8
	s_waitcnt vmcnt(18) lgkmcnt(3)
	v_pk_fma_f32 v[16:17], v[0:1], v[2:3], v[12:13] op_sel_hi:[0,1,1] neg_lo:[1,0,0] neg_hi:[1,0,0]
	s_waitcnt vmcnt(11) lgkmcnt(2)
	v_pk_fma_f32 v[18:19], v[0:1], v[18:19], v[14:15] op_sel_hi:[0,1,1] neg_lo:[1,0,0] neg_hi:[1,0,0]
	ds_read2_b32 v[2:3], v254 offset0:9 offset1:10
	ds_read2_b32 v[12:13], v254 offset0:11 offset1:12
	;; [unrolled: 1-line block ×3, first 2 shown]
	s_waitcnt lgkmcnt(4)
	v_pk_fma_f32 v[20:21], v[0:1], v[20:21], v[10:11] op_sel_hi:[0,1,1] neg_lo:[1,0,0] neg_hi:[1,0,0]
	s_waitcnt vmcnt(10) lgkmcnt(3)
	v_pk_fma_f32 v[22:23], v[0:1], v[22:23], v[6:7] op_sel_hi:[0,1,1] neg_lo:[1,0,0] neg_hi:[1,0,0]
	s_waitcnt lgkmcnt(2)
	v_pk_fma_f32 v[24:25], v[0:1], v[2:3], v[4:5] op_sel_hi:[0,1,1] neg_lo:[1,0,0] neg_hi:[1,0,0]
	s_waitcnt lgkmcnt(1)
	;; [unrolled: 2-line block ×3, first 2 shown]
	v_pk_fma_f32 v[252:253], v[0:1], v[14:15], v[252:253] op_sel_hi:[0,1,1] neg_lo:[1,0,0] neg_hi:[1,0,0]
	v_mov_b32_e32 v96, v27
	v_mov_b32_e32 v2, v17
                                        ; implicit-def: $vgpr12
                                        ; implicit-def: $vgpr14
                                        ; implicit-def: $vgpr10
                                        ; implicit-def: $vgpr6
                                        ; implicit-def: $vgpr4
                                        ; implicit-def: $vgpr8
	v_mov_b32_e32 v133, v26
	v_mov_b32_e32 v114, v25
	;; [unrolled: 1-line block ×9, first 2 shown]
.LBB29_6:
	s_or_saveexec_b64 s[2:3], s[2:3]
	v_mov_b32_e32 v1, v16
	s_xor_b64 exec, exec, s[2:3]
	s_cbranch_execz .LBB29_8
; %bb.7:
	s_waitcnt vmcnt(20)
	v_mov_b32_e32 v1, v12
	s_waitcnt vmcnt(18)
	v_mov_b32_e32 v2, v13
	;; [unrolled: 2-line block ×4, first 2 shown]
	v_mov_b32_e32 v201, v10
	v_mov_b32_e32 v170, v11
	s_waitcnt vmcnt(10)
	v_mov_b32_e32 v189, v6
	v_mov_b32_e32 v142, v7
	;; [unrolled: 1-line block ×6, first 2 shown]
.LBB29_8:
	s_or_b64 exec, exec, s[2:3]
	v_mov_b32_e32 v3, v235
	s_waitcnt vmcnt(26)
	v_mov_b32_e32 v4, v194
	s_waitcnt vmcnt(24)
	;; [unrolled: 2-line block ×3, first 2 shown]
	v_mov_b32_e32 v6, v170
	v_mov_b32_e32 v7, v189
	;; [unrolled: 1-line block ×9, first 2 shown]
	v_cmp_eq_u32_e32 vcc, 1, v143
	s_waitcnt lgkmcnt(0)
	s_barrier
	s_and_saveexec_b64 s[2:3], vcc
	s_cbranch_execz .LBB29_11
; %bb.9:
	ds_write_b32 v255, v1
	ds_write2_b32 v254, v2, v235 offset0:2 offset1:3
	ds_write2_b32 v254, v194, v201 offset0:4 offset1:5
	;; [unrolled: 1-line block ×6, first 2 shown]
	ds_write_b32 v254, v253 offset:56
	ds_read_b32 v15, v255
	s_waitcnt lgkmcnt(0)
	v_cmp_neq_f32_e32 vcc, 0, v15
	s_and_b64 exec, exec, vcc
	s_cbranch_execz .LBB29_11
; %bb.10:
	v_div_scale_f32 v16, s[4:5], v15, v15, 1.0
	v_rcp_f32_e32 v17, v16
	v_div_scale_f32 v18, vcc, 1.0, v15, 1.0
	v_fma_f32 v19, -v16, v17, 1.0
	v_fmac_f32_e32 v17, v19, v17
	v_mul_f32_e32 v19, v18, v17
	v_fma_f32 v20, -v16, v19, v18
	v_fmac_f32_e32 v19, v20, v17
	v_fma_f32 v16, -v16, v19, v18
	v_div_fmas_f32 v16, v16, v17, v19
	v_div_fixup_f32 v15, v16, v15, 1.0
	ds_write_b32 v255, v15
.LBB29_11:
	s_or_b64 exec, exec, s[2:3]
	v_mov_b32_e32 v104, v0
	v_mov_b32_e32 v105, v1
	;; [unrolled: 1-line block ×6, first 2 shown]
	s_waitcnt lgkmcnt(0)
	s_barrier
	ds_read_b32 v15, v255
	v_mov_b32_e32 v164, v0
	v_mov_b32_e32 v165, v1
	;; [unrolled: 1-line block ×37, first 2 shown]
	v_mov_b64_e32 v[16:17], v[84:85]
	v_mov_b64_e32 v[64:65], v[122:123]
	;; [unrolled: 1-line block ×3, first 2 shown]
	v_mov_b32_e32 v190, v0
	v_mov_b32_e32 v191, v1
	;; [unrolled: 1-line block ×22, first 2 shown]
	v_mov_b64_e32 v[18:19], v[86:87]
	v_mov_b64_e32 v[20:21], v[88:89]
	;; [unrolled: 1-line block ×24, first 2 shown]
	v_mov_b32_e32 v232, v0
	v_mov_b32_e32 v233, v1
	;; [unrolled: 1-line block ×5, first 2 shown]
	v_mov_b64_e32 v[82:83], v[146:147]
	v_mov_b64_e32 v[84:85], v[148:149]
	;; [unrolled: 1-line block ×23, first 2 shown]
	v_mov_b32_e32 v234, v2
	v_mov_b64_e32 v[156:157], v[198:199]
	v_mov_b64_e32 v[158:159], v[200:201]
	;; [unrolled: 1-line block ×15, first 2 shown]
	v_mov_b32_e32 v138, v194
	v_mov_b32_e32 v139, v201
	;; [unrolled: 1-line block ×4, first 2 shown]
	v_mov_b64_e32 v[48:49], v[134:135]
	v_mov_b64_e32 v[204:205], v[234:235]
	;; [unrolled: 1-line block ×8, first 2 shown]
	s_waitcnt lgkmcnt(0)
	v_mov_b64_e32 v[232:233], v[14:15]
	v_mov_b64_e32 v[250:251], v[14:15]
	v_cmp_lt_u32_e32 vcc, 1, v143
	v_mov_b64_e32 v[50:51], v[136:137]
	v_mov_b64_e32 v[52:53], v[138:139]
	;; [unrolled: 1-line block ×7, first 2 shown]
	scratch_store_dword off, v15, off offset:120 ; 4-byte Folded Spill
	v_mov_b64_e32 v[58:59], v[144:145]
	v_mov_b64_e32 v[60:61], v[146:147]
	;; [unrolled: 1-line block ×14, first 2 shown]
	s_and_saveexec_b64 s[2:3], vcc
	s_cbranch_execz .LBB29_13
; %bb.12:
	ds_read2_b32 v[4:5], v254 offset0:2 offset1:3
	ds_read2_b32 v[6:7], v254 offset0:4 offset1:5
	scratch_load_dword v8, off, off offset:120 ; 4-byte Folded Reload
	v_mov_b32_e32 v3, v235
	v_mov_b32_e32 v195, v201
	;; [unrolled: 1-line block ×6, first 2 shown]
	s_waitcnt vmcnt(0)
	v_mul_f32_e32 v14, v1, v8
	ds_read2_b32 v[8:9], v254 offset0:6 offset1:7
	ds_read2_b32 v[10:11], v254 offset0:8 offset1:9
	s_waitcnt lgkmcnt(3)
	v_pk_fma_f32 v[2:3], v[14:15], v[4:5], v[2:3] op_sel_hi:[0,1,1] neg_lo:[1,0,0] neg_hi:[1,0,0]
	s_waitcnt lgkmcnt(2)
	v_pk_fma_f32 v[194:195], v[14:15], v[6:7], v[194:195] op_sel_hi:[0,1,1] neg_lo:[1,0,0] neg_hi:[1,0,0]
	ds_read2_b32 v[4:5], v254 offset0:10 offset1:11
	ds_read2_b32 v[6:7], v254 offset0:12 offset1:13
	ds_read_b32 v1, v254 offset:56
	s_waitcnt lgkmcnt(4)
	v_pk_fma_f32 v[170:171], v[14:15], v[8:9], v[170:171] op_sel_hi:[0,1,1] neg_lo:[1,0,0] neg_hi:[1,0,0]
	v_mov_b32_e32 v15, v143
	v_mov_b32_e32 v143, v153
	s_waitcnt lgkmcnt(2)
	v_pk_fma_f32 v[114:115], v[14:15], v[4:5], v[114:115] op_sel_hi:[0,1,1] neg_lo:[1,0,0] neg_hi:[1,0,0]
	s_waitcnt lgkmcnt(0)
	v_fma_f32 v253, -v14, v1, v253
	v_mov_b32_e32 v1, v14
	v_mov_b64_e32 v[250:251], v[14:15]
	v_mov_b64_e32 v[232:233], v[14:15]
	;; [unrolled: 1-line block ×24, first 2 shown]
	v_mov_b32_e32 v4, v194
	v_mov_b64_e32 v[186:187], v[14:15]
	v_mov_b64_e32 v[184:185], v[12:13]
	;; [unrolled: 1-line block ×8, first 2 shown]
	v_mov_b32_e32 v5, v195
	v_mov_b64_e32 v[168:169], v[14:15]
	v_pk_fma_f32 v[96:97], v[14:15], v[6:7], v[96:97] op_sel_hi:[0,1,1] neg_lo:[1,0,0] neg_hi:[1,0,0]
	v_mov_b64_e32 v[166:167], v[12:13]
	v_mov_b64_e32 v[164:165], v[10:11]
	;; [unrolled: 1-line block ×7, first 2 shown]
	v_mov_b32_e32 v6, v170
	v_mov_b64_e32 v[112:113], v[14:15]
	v_pk_fma_f32 v[142:143], v[14:15], v[10:11], v[142:143] op_sel_hi:[0,1,1] neg_lo:[1,0,0] neg_hi:[1,0,0]
	v_mov_b64_e32 v[110:111], v[12:13]
	v_mov_b64_e32 v[108:109], v[10:11]
	v_mov_b64_e32 v[106:107], v[8:9]
	v_mov_b64_e32 v[104:105], v[6:7]
	v_mov_b64_e32 v[102:103], v[4:5]
	v_mov_b64_e32 v[100:101], v[2:3]
	v_mov_b64_e32 v[98:99], v[0:1]
	v_mov_b32_e32 v7, v171
	v_mov_b64_e32 v[130:131], v[14:15]
	v_mov_b64_e32 v[128:129], v[12:13]
	v_mov_b64_e32 v[126:127], v[10:11]
	v_mov_b64_e32 v[124:125], v[8:9]
	v_mov_b64_e32 v[122:123], v[6:7]
	v_mov_b64_e32 v[120:121], v[4:5]
	v_mov_b64_e32 v[118:119], v[2:3]
	v_mov_b64_e32 v[116:117], v[0:1]
	v_mov_b32_e32 v8, v142
	v_mov_b64_e32 v[62:63], v[14:15]
	;; [unrolled: 9-line block ×6, first 2 shown]
	v_mov_b64_e32 v[28:29], v[12:13]
	v_mov_b64_e32 v[26:27], v[10:11]
	;; [unrolled: 1-line block ×7, first 2 shown]
	v_mov_b32_e32 v13, v97
	v_mov_b32_e32 v14, v253
	;; [unrolled: 1-line block ×10, first 2 shown]
.LBB29_13:
	s_or_b64 exec, exec, s[2:3]
	v_cmp_eq_u32_e32 vcc, 2, v143
	s_barrier
	s_and_saveexec_b64 s[2:3], vcc
	s_cbranch_execz .LBB29_16
; %bb.14:
	ds_write_b32 v255, v2
	ds_write2_b32 v254, v3, v4 offset0:3 offset1:4
	ds_write2_b32 v254, v5, v6 offset0:5 offset1:6
	;; [unrolled: 1-line block ×6, first 2 shown]
	ds_read_b32 v15, v255
	s_waitcnt lgkmcnt(0)
	v_cmp_neq_f32_e32 vcc, 0, v15
	s_and_b64 exec, exec, vcc
	s_cbranch_execz .LBB29_16
; %bb.15:
	v_div_scale_f32 v29, s[4:5], v15, v15, 1.0
	v_rcp_f32_e32 v30, v29
	v_div_scale_f32 v31, vcc, 1.0, v15, 1.0
	v_fma_f32 v43, -v29, v30, 1.0
	v_fmac_f32_e32 v30, v43, v30
	v_mul_f32_e32 v43, v31, v30
	v_fma_f32 v44, -v29, v43, v31
	v_fmac_f32_e32 v43, v44, v30
	v_fma_f32 v29, -v29, v43, v31
	v_div_fmas_f32 v29, v29, v30, v43
	v_div_fixup_f32 v15, v29, v15, 1.0
	ds_write_b32 v255, v15
.LBB29_16:
	s_or_b64 exec, exec, s[2:3]
	s_waitcnt lgkmcnt(0)
	s_barrier
	ds_read_b32 v97, v255
	v_cmp_lt_u32_e32 vcc, 2, v143
	s_and_saveexec_b64 s[2:3], vcc
	s_cbranch_execz .LBB29_18
; %bb.17:
	ds_read2_b32 v[0:1], v254 offset0:3 offset1:4
	s_waitcnt lgkmcnt(1)
	v_mul_f32_e32 v238, v2, v97
	v_mov_b32_e32 v2, v3
	v_mov_b32_e32 v3, v4
	ds_read2_b32 v[16:17], v254 offset0:5 offset1:6
	ds_read2_b32 v[18:19], v254 offset0:7 offset1:8
	;; [unrolled: 1-line block ×3, first 2 shown]
	s_waitcnt lgkmcnt(3)
	v_pk_fma_f32 v[30:31], v[238:239], v[0:1], v[2:3] op_sel_hi:[0,1,1] neg_lo:[1,0,0] neg_hi:[1,0,0]
	ds_read2_b32 v[2:3], v254 offset0:11 offset1:12
	v_mov_b32_e32 v0, v5
	v_mov_b32_e32 v1, v6
	ds_read2_b32 v[4:5], v254 offset0:13 offset1:14
	s_waitcnt lgkmcnt(4)
	v_pk_fma_f32 v[44:45], v[238:239], v[16:17], v[0:1] op_sel_hi:[0,1,1] neg_lo:[1,0,0] neg_hi:[1,0,0]
	v_mov_b32_e32 v0, v7
	v_mov_b32_e32 v1, v8
	s_waitcnt lgkmcnt(3)
	v_pk_fma_f32 v[46:47], v[238:239], v[18:19], v[0:1] op_sel_hi:[0,1,1] neg_lo:[1,0,0] neg_hi:[1,0,0]
	v_mov_b32_e32 v0, v9
	v_mov_b32_e32 v1, v10
	;; [unrolled: 4-line block ×4, first 2 shown]
	s_waitcnt lgkmcnt(0)
	v_pk_fma_f32 v[252:253], v[238:239], v[4:5], v[0:1] op_sel_hi:[0,1,1] neg_lo:[1,0,0] neg_hi:[1,0,0]
	v_mov_b32_e32 v239, v30
	v_mov_b64_e32 v[202:203], v[236:237]
	v_mov_b64_e32 v[218:219], v[236:237]
	v_mov_b32_e32 v172, v236
	v_mov_b32_e32 v173, v237
	;; [unrolled: 1-line block ×96, first 2 shown]
	v_mov_b64_e32 v[204:205], v[238:239]
	v_mov_b64_e32 v[220:221], v[238:239]
	v_mov_b32_e32 v235, v30
	v_mov_b32_e32 v194, v31
	;; [unrolled: 1-line block ×10, first 2 shown]
	v_mov_b64_e32 v[206:207], v[240:241]
	v_mov_b64_e32 v[208:209], v[242:243]
	;; [unrolled: 1-line block ×12, first 2 shown]
.LBB29_18:
	s_or_b64 exec, exec, s[2:3]
	v_cmp_eq_u32_e32 vcc, 3, v143
	s_waitcnt lgkmcnt(0)
	s_barrier
	s_and_saveexec_b64 s[2:3], vcc
	s_cbranch_execz .LBB29_21
; %bb.19:
	ds_write_b32 v255, v235
	ds_write2_b32 v254, v4, v5 offset0:4 offset1:5
	ds_write2_b32 v254, v6, v7 offset0:6 offset1:7
	;; [unrolled: 1-line block ×5, first 2 shown]
	ds_write_b32 v254, v253 offset:56
	ds_read_b32 v15, v255
	s_waitcnt lgkmcnt(0)
	v_cmp_neq_f32_e32 vcc, 0, v15
	s_and_b64 exec, exec, vcc
	s_cbranch_execz .LBB29_21
; %bb.20:
	v_div_scale_f32 v29, s[4:5], v15, v15, 1.0
	v_rcp_f32_e32 v30, v29
	v_div_scale_f32 v31, vcc, 1.0, v15, 1.0
	v_fma_f32 v43, -v29, v30, 1.0
	v_fmac_f32_e32 v30, v43, v30
	v_mul_f32_e32 v43, v31, v30
	v_fma_f32 v44, -v29, v43, v31
	v_fmac_f32_e32 v43, v44, v30
	v_fma_f32 v29, -v29, v43, v31
	v_div_fmas_f32 v29, v29, v30, v43
	v_div_fixup_f32 v15, v29, v15, 1.0
	ds_write_b32 v255, v15
.LBB29_21:
	s_or_b64 exec, exec, s[2:3]
	s_waitcnt lgkmcnt(0)
	s_barrier
	ds_read_b32 v115, v255
	v_cmp_lt_u32_e32 vcc, 3, v143
	s_and_saveexec_b64 s[2:3], vcc
	s_cbranch_execz .LBB29_23
; %bb.22:
	ds_read2_b32 v[0:1], v254 offset0:4 offset1:5
	s_waitcnt lgkmcnt(1)
	v_mul_f32_e32 v30, v235, v115
	ds_read2_b32 v[2:3], v254 offset0:6 offset1:7
	ds_read2_b32 v[14:15], v254 offset0:8 offset1:9
	;; [unrolled: 1-line block ×3, first 2 shown]
	v_mov_b32_e32 v221, v30
	v_mov_b64_e32 v[202:203], v[218:219]
	s_waitcnt lgkmcnt(3)
	v_pk_fma_f32 v[176:177], v[30:31], v[0:1], v[4:5] op_sel_hi:[0,1,1] neg_lo:[1,0,0] neg_hi:[1,0,0]
	ds_read2_b32 v[0:1], v254 offset0:12 offset1:13
	ds_read_b32 v4, v254 offset:56
	s_waitcnt lgkmcnt(4)
	v_pk_fma_f32 v[104:105], v[30:31], v[2:3], v[6:7] op_sel_hi:[0,1,1] neg_lo:[1,0,0] neg_hi:[1,0,0]
	s_waitcnt lgkmcnt(3)
	v_pk_fma_f32 v[56:57], v[30:31], v[14:15], v[8:9] op_sel_hi:[0,1,1] neg_lo:[1,0,0] neg_hi:[1,0,0]
	;; [unrolled: 2-line block ×4, first 2 shown]
	s_waitcnt lgkmcnt(0)
	v_fma_f32 v14, -v30, v4, v253
	v_mov_b32_e32 v172, v218
	v_mov_b32_e32 v173, v219
	;; [unrolled: 1-line block ×90, first 2 shown]
	v_mov_b64_e32 v[204:205], v[220:221]
	v_mov_b32_e32 v194, v176
	v_mov_b32_e32 v201, v177
	;; [unrolled: 1-line block ×11, first 2 shown]
	v_mov_b64_e32 v[206:207], v[222:223]
	v_mov_b64_e32 v[208:209], v[224:225]
	;; [unrolled: 1-line block ×6, first 2 shown]
.LBB29_23:
	s_or_b64 exec, exec, s[2:3]
	v_cmp_eq_u32_e32 vcc, 4, v143
	s_waitcnt lgkmcnt(0)
	s_barrier
	s_and_saveexec_b64 s[2:3], vcc
	s_cbranch_execz .LBB29_26
; %bb.24:
	ds_write_b32 v255, v194
	ds_write2_b32 v254, v5, v6 offset0:5 offset1:6
	ds_write2_b32 v254, v7, v8 offset0:7 offset1:8
	ds_write2_b32 v254, v9, v10 offset0:9 offset1:10
	ds_write2_b32 v254, v11, v12 offset0:11 offset1:12
	ds_write2_b32 v254, v13, v14 offset0:13 offset1:14
	ds_read_b32 v15, v255
	s_waitcnt lgkmcnt(0)
	v_cmp_neq_f32_e32 vcc, 0, v15
	s_and_b64 exec, exec, vcc
	s_cbranch_execz .LBB29_26
; %bb.25:
	v_div_scale_f32 v29, s[4:5], v15, v15, 1.0
	v_rcp_f32_e32 v30, v29
	v_div_scale_f32 v31, vcc, 1.0, v15, 1.0
	v_fma_f32 v43, -v29, v30, 1.0
	v_fmac_f32_e32 v30, v43, v30
	v_mul_f32_e32 v43, v31, v30
	v_fma_f32 v44, -v29, v43, v31
	v_fmac_f32_e32 v43, v44, v30
	v_fma_f32 v29, -v29, v43, v31
	v_div_fmas_f32 v29, v29, v30, v43
	v_div_fixup_f32 v15, v29, v15, 1.0
	ds_write_b32 v255, v15
.LBB29_26:
	s_or_b64 exec, exec, s[2:3]
	s_waitcnt lgkmcnt(0)
	s_barrier
	ds_read_b32 v132, v255
	v_cmp_lt_u32_e32 vcc, 4, v143
	s_and_saveexec_b64 s[2:3], vcc
	s_cbranch_execz .LBB29_28
; %bb.27:
	ds_read2_b32 v[0:1], v254 offset0:5 offset1:6
	s_waitcnt lgkmcnt(1)
	v_mul_f32_e32 v206, v194, v132
	v_mov_b32_e32 v2, v5
	v_mov_b32_e32 v3, v6
	ds_read2_b32 v[4:5], v254 offset0:7 offset1:8
	ds_read2_b32 v[16:17], v254 offset0:9 offset1:10
	;; [unrolled: 1-line block ×3, first 2 shown]
	s_waitcnt lgkmcnt(3)
	v_pk_fma_f32 v[30:31], v[206:207], v[0:1], v[2:3] op_sel_hi:[0,1,1] neg_lo:[1,0,0] neg_hi:[1,0,0]
	ds_read2_b32 v[2:3], v254 offset0:13 offset1:14
	v_mov_b32_e32 v0, v7
	v_mov_b32_e32 v1, v8
	s_waitcnt lgkmcnt(3)
	v_pk_fma_f32 v[44:45], v[206:207], v[4:5], v[0:1] op_sel_hi:[0,1,1] neg_lo:[1,0,0] neg_hi:[1,0,0]
	v_mov_b32_e32 v0, v9
	v_mov_b32_e32 v1, v10
	s_waitcnt lgkmcnt(2)
	v_pk_fma_f32 v[46:47], v[206:207], v[16:17], v[0:1] op_sel_hi:[0,1,1] neg_lo:[1,0,0] neg_hi:[1,0,0]
	;; [unrolled: 4-line block ×4, first 2 shown]
	v_mov_b32_e32 v207, v30
	v_mov_b64_e32 v[154:155], v[202:203]
	v_mov_b64_e32 v[172:173], v[202:203]
	v_mov_b32_e32 v98, v202
	v_mov_b32_e32 v99, v203
	;; [unrolled: 1-line block ×85, first 2 shown]
	v_mov_b64_e32 v[156:157], v[204:205]
	v_mov_b64_e32 v[158:159], v[206:207]
	;; [unrolled: 1-line block ×4, first 2 shown]
	v_mov_b32_e32 v201, v30
	v_mov_b32_e32 v170, v31
	;; [unrolled: 1-line block ×8, first 2 shown]
	v_mov_b64_e32 v[160:161], v[208:209]
	v_mov_b64_e32 v[162:163], v[210:211]
	;; [unrolled: 1-line block ×10, first 2 shown]
.LBB29_28:
	s_or_b64 exec, exec, s[2:3]
	v_cmp_eq_u32_e32 vcc, 5, v143
	s_waitcnt lgkmcnt(0)
	s_barrier
	s_and_saveexec_b64 s[2:3], vcc
	s_cbranch_execz .LBB29_31
; %bb.29:
	ds_write_b32 v255, v201
	ds_write2_b32 v254, v6, v7 offset0:6 offset1:7
	ds_write2_b32 v254, v8, v9 offset0:8 offset1:9
	;; [unrolled: 1-line block ×4, first 2 shown]
	ds_write_b32 v254, v253 offset:56
	ds_read_b32 v15, v255
	s_waitcnt lgkmcnt(0)
	v_cmp_neq_f32_e32 vcc, 0, v15
	s_and_b64 exec, exec, vcc
	s_cbranch_execz .LBB29_31
; %bb.30:
	v_div_scale_f32 v29, s[4:5], v15, v15, 1.0
	v_rcp_f32_e32 v30, v29
	v_div_scale_f32 v31, vcc, 1.0, v15, 1.0
	v_fma_f32 v43, -v29, v30, 1.0
	v_fmac_f32_e32 v30, v43, v30
	v_mul_f32_e32 v43, v31, v30
	v_fma_f32 v44, -v29, v43, v31
	v_fmac_f32_e32 v43, v44, v30
	v_fma_f32 v29, -v29, v43, v31
	v_div_fmas_f32 v29, v29, v30, v43
	v_div_fixup_f32 v15, v29, v15, 1.0
	ds_write_b32 v255, v15
.LBB29_31:
	s_or_b64 exec, exec, s[2:3]
	s_waitcnt lgkmcnt(0)
	s_barrier
	ds_read_b32 v134, v255
	v_cmp_lt_u32_e32 vcc, 5, v143
	s_and_saveexec_b64 s[2:3], vcc
	s_cbranch_execz .LBB29_33
; %bb.32:
	ds_read2_b32 v[0:1], v254 offset0:6 offset1:7
	ds_read2_b32 v[2:3], v254 offset0:8 offset1:9
	;; [unrolled: 1-line block ×4, first 2 shown]
	ds_read_b32 v16, v254 offset:56
	s_waitcnt lgkmcnt(5)
	v_mul_f32_e32 v30, v201, v134
	s_waitcnt lgkmcnt(4)
	v_pk_fma_f32 v[104:105], v[30:31], v[0:1], v[6:7] op_sel_hi:[0,1,1] neg_lo:[1,0,0] neg_hi:[1,0,0]
	s_waitcnt lgkmcnt(3)
	v_pk_fma_f32 v[56:57], v[30:31], v[2:3], v[8:9] op_sel_hi:[0,1,1] neg_lo:[1,0,0] neg_hi:[1,0,0]
	s_waitcnt lgkmcnt(2)
	v_pk_fma_f32 v[42:43], v[30:31], v[4:5], v[10:11] op_sel_hi:[0,1,1] neg_lo:[1,0,0] neg_hi:[1,0,0]
	s_waitcnt lgkmcnt(1)
	v_pk_fma_f32 v[28:29], v[30:31], v[14:15], v[12:13] op_sel_hi:[0,1,1] neg_lo:[1,0,0] neg_hi:[1,0,0]
	s_waitcnt lgkmcnt(0)
	v_fma_f32 v14, -v30, v16, v253
	v_mov_b32_e32 v177, v30
	v_mov_b64_e32 v[154:155], v[172:173]
	v_mov_b32_e32 v98, v172
	v_mov_b32_e32 v99, v173
	;; [unrolled: 1-line block ×80, first 2 shown]
	v_mov_b64_e32 v[156:157], v[174:175]
	v_mov_b64_e32 v[158:159], v[176:177]
	v_mov_b32_e32 v170, v104
	v_mov_b32_e32 v189, v105
	;; [unrolled: 1-line block ×9, first 2 shown]
	v_mov_b64_e32 v[160:161], v[178:179]
	v_mov_b64_e32 v[162:163], v[180:181]
	;; [unrolled: 1-line block ×5, first 2 shown]
.LBB29_33:
	s_or_b64 exec, exec, s[2:3]
	v_cmp_eq_u32_e32 vcc, 6, v143
	s_waitcnt lgkmcnt(0)
	s_barrier
	s_and_saveexec_b64 s[2:3], vcc
	s_cbranch_execz .LBB29_36
; %bb.34:
	ds_write_b32 v255, v170
	ds_write2_b32 v254, v7, v8 offset0:7 offset1:8
	ds_write2_b32 v254, v9, v10 offset0:9 offset1:10
	;; [unrolled: 1-line block ×4, first 2 shown]
	ds_read_b32 v15, v255
	s_waitcnt lgkmcnt(0)
	v_cmp_neq_f32_e32 vcc, 0, v15
	s_and_b64 exec, exec, vcc
	s_cbranch_execz .LBB29_36
; %bb.35:
	v_div_scale_f32 v29, s[4:5], v15, v15, 1.0
	v_rcp_f32_e32 v30, v29
	v_div_scale_f32 v31, vcc, 1.0, v15, 1.0
	v_fma_f32 v43, -v29, v30, 1.0
	v_fmac_f32_e32 v30, v43, v30
	v_mul_f32_e32 v43, v31, v30
	v_fma_f32 v44, -v29, v43, v31
	v_fmac_f32_e32 v43, v44, v30
	v_fma_f32 v29, -v29, v43, v31
	v_div_fmas_f32 v29, v29, v30, v43
	v_div_fixup_f32 v15, v29, v15, 1.0
	ds_write_b32 v255, v15
.LBB29_36:
	s_or_b64 exec, exec, s[2:3]
	s_waitcnt lgkmcnt(0)
	s_barrier
	ds_read_b32 v135, v255
	v_cmp_lt_u32_e32 vcc, 6, v143
	s_and_saveexec_b64 s[2:3], vcc
	s_cbranch_execz .LBB29_38
; %bb.37:
	ds_read2_b32 v[0:1], v254 offset0:7 offset1:8
	v_mov_b32_e32 v2, v7
	ds_read2_b32 v[4:5], v254 offset0:9 offset1:10
	ds_read2_b32 v[6:7], v254 offset0:11 offset1:12
	;; [unrolled: 1-line block ×3, first 2 shown]
	s_waitcnt lgkmcnt(4)
	v_mul_f32_e32 v160, v170, v135
	v_mov_b32_e32 v3, v8
	s_waitcnt lgkmcnt(3)
	v_pk_fma_f32 v[30:31], v[160:161], v[0:1], v[2:3] op_sel_hi:[0,1,1] neg_lo:[1,0,0] neg_hi:[1,0,0]
	v_mov_b32_e32 v0, v9
	v_mov_b32_e32 v1, v10
	s_waitcnt lgkmcnt(2)
	v_pk_fma_f32 v[44:45], v[160:161], v[4:5], v[0:1] op_sel_hi:[0,1,1] neg_lo:[1,0,0] neg_hi:[1,0,0]
	v_mov_b32_e32 v0, v11
	;; [unrolled: 4-line block ×4, first 2 shown]
	v_mov_b64_e32 v[116:117], v[154:155]
	v_mov_b64_e32 v[98:99], v[154:155]
	v_mov_b32_e32 v48, v154
	v_mov_b32_e32 v49, v155
	;; [unrolled: 1-line block ×70, first 2 shown]
	v_mov_b64_e32 v[118:119], v[156:157]
	v_mov_b64_e32 v[120:121], v[158:159]
	;; [unrolled: 1-line block ×6, first 2 shown]
	v_mov_b32_e32 v189, v30
	v_mov_b32_e32 v142, v31
	v_mov_b32_e32 v153, v44
	v_mov_b32_e32 v114, v45
	v_mov_b32_e32 v133, v46
	v_mov_b32_e32 v96, v47
	v_mov_b64_e32 v[124:125], v[162:163]
	v_mov_b64_e32 v[126:127], v[164:165]
	;; [unrolled: 1-line block ×8, first 2 shown]
.LBB29_38:
	s_or_b64 exec, exec, s[2:3]
	v_cmp_eq_u32_e32 vcc, 7, v143
	s_waitcnt lgkmcnt(0)
	s_barrier
	s_and_saveexec_b64 s[2:3], vcc
	s_cbranch_execz .LBB29_41
; %bb.39:
	ds_write_b32 v255, v189
	ds_write2_b32 v254, v8, v9 offset0:8 offset1:9
	ds_write2_b32 v254, v10, v11 offset0:10 offset1:11
	ds_write2_b32 v254, v12, v13 offset0:12 offset1:13
	ds_write_b32 v254, v253 offset:56
	ds_read_b32 v15, v255
	s_waitcnt lgkmcnt(0)
	v_cmp_neq_f32_e32 vcc, 0, v15
	s_and_b64 exec, exec, vcc
	s_cbranch_execz .LBB29_41
; %bb.40:
	v_div_scale_f32 v29, s[4:5], v15, v15, 1.0
	v_rcp_f32_e32 v30, v29
	v_div_scale_f32 v31, vcc, 1.0, v15, 1.0
	v_fma_f32 v43, -v29, v30, 1.0
	v_fmac_f32_e32 v30, v43, v30
	v_mul_f32_e32 v43, v31, v30
	v_fma_f32 v44, -v29, v43, v31
	v_fmac_f32_e32 v43, v44, v30
	v_fma_f32 v29, -v29, v43, v31
	v_div_fmas_f32 v29, v29, v30, v43
	v_div_fixup_f32 v15, v29, v15, 1.0
	ds_write_b32 v255, v15
.LBB29_41:
	s_or_b64 exec, exec, s[2:3]
	s_waitcnt lgkmcnt(0)
	s_barrier
	ds_read_b32 v106, v255
	v_cmp_lt_u32_e32 vcc, 7, v143
	s_and_saveexec_b64 s[2:3], vcc
	s_cbranch_execz .LBB29_43
; %bb.42:
	ds_read2_b32 v[0:1], v254 offset0:8 offset1:9
	ds_read2_b32 v[2:3], v254 offset0:10 offset1:11
	ds_read2_b32 v[4:5], v254 offset0:12 offset1:13
	ds_read_b32 v6, v254 offset:56
	s_waitcnt lgkmcnt(4)
	v_mul_f32_e32 v30, v189, v106
	s_waitcnt lgkmcnt(3)
	v_pk_fma_f32 v[56:57], v[30:31], v[0:1], v[8:9] op_sel_hi:[0,1,1] neg_lo:[1,0,0] neg_hi:[1,0,0]
	s_waitcnt lgkmcnt(2)
	v_pk_fma_f32 v[42:43], v[30:31], v[2:3], v[10:11] op_sel_hi:[0,1,1] neg_lo:[1,0,0] neg_hi:[1,0,0]
	;; [unrolled: 2-line block ×3, first 2 shown]
	s_waitcnt lgkmcnt(0)
	v_fma_f32 v14, -v30, v6, v253
	v_mov_b32_e32 v105, v30
	v_mov_b64_e32 v[130:131], v[112:113]
	v_mov_b32_e32 v48, v98
	v_mov_b32_e32 v49, v99
	;; [unrolled: 1-line block ×66, first 2 shown]
	v_mov_b64_e32 v[122:123], v[104:105]
	v_mov_b64_e32 v[120:121], v[102:103]
	;; [unrolled: 1-line block ×4, first 2 shown]
	v_mov_b32_e32 v142, v56
	v_mov_b32_e32 v153, v57
	;; [unrolled: 1-line block ×7, first 2 shown]
	v_mov_b64_e32 v[128:129], v[110:111]
	v_mov_b64_e32 v[126:127], v[108:109]
	;; [unrolled: 1-line block ×3, first 2 shown]
.LBB29_43:
	s_or_b64 exec, exec, s[2:3]
	v_cmp_eq_u32_e32 vcc, 8, v143
	s_waitcnt lgkmcnt(0)
	s_barrier
	s_and_saveexec_b64 s[2:3], vcc
	s_cbranch_execz .LBB29_46
; %bb.44:
	ds_write_b32 v255, v142
	ds_write2_b32 v254, v9, v10 offset0:9 offset1:10
	ds_write2_b32 v254, v11, v12 offset0:11 offset1:12
	;; [unrolled: 1-line block ×3, first 2 shown]
	ds_read_b32 v15, v255
	s_waitcnt lgkmcnt(0)
	v_cmp_neq_f32_e32 vcc, 0, v15
	s_and_b64 exec, exec, vcc
	s_cbranch_execz .LBB29_46
; %bb.45:
	v_div_scale_f32 v29, s[4:5], v15, v15, 1.0
	v_rcp_f32_e32 v30, v29
	v_div_scale_f32 v31, vcc, 1.0, v15, 1.0
	v_fma_f32 v43, -v29, v30, 1.0
	v_fmac_f32_e32 v30, v43, v30
	v_mul_f32_e32 v43, v31, v30
	v_fma_f32 v44, -v29, v43, v31
	v_fmac_f32_e32 v43, v44, v30
	v_fma_f32 v29, -v29, v43, v31
	v_div_fmas_f32 v29, v29, v30, v43
	v_div_fixup_f32 v15, v29, v15, 1.0
	ds_write_b32 v255, v15
.LBB29_46:
	s_or_b64 exec, exec, s[2:3]
	s_waitcnt lgkmcnt(0)
	s_barrier
	ds_read_b32 v98, v255
	v_cmp_lt_u32_e32 vcc, 8, v143
	s_and_saveexec_b64 s[2:3], vcc
	s_cbranch_execz .LBB29_48
; %bb.47:
	ds_read2_b32 v[0:1], v254 offset0:9 offset1:10
	ds_read2_b32 v[4:5], v254 offset0:11 offset1:12
	;; [unrolled: 1-line block ×3, first 2 shown]
	s_waitcnt lgkmcnt(3)
	v_mul_f32_e32 v124, v142, v98
	v_mov_b32_e32 v2, v9
	v_mov_b32_e32 v3, v10
	s_waitcnt lgkmcnt(2)
	v_pk_fma_f32 v[30:31], v[124:125], v[0:1], v[2:3] op_sel_hi:[0,1,1] neg_lo:[1,0,0] neg_hi:[1,0,0]
	v_mov_b32_e32 v0, v11
	v_mov_b32_e32 v1, v12
	s_waitcnt lgkmcnt(1)
	v_pk_fma_f32 v[44:45], v[124:125], v[4:5], v[0:1] op_sel_hi:[0,1,1] neg_lo:[1,0,0] neg_hi:[1,0,0]
	;; [unrolled: 4-line block ×3, first 2 shown]
	v_mov_b32_e32 v125, v30
	v_mov_b64_e32 v[80:81], v[116:117]
	v_mov_b64_e32 v[48:49], v[116:117]
	v_mov_b32_e32 v32, v116
	v_mov_b32_e32 v33, v117
	;; [unrolled: 1-line block ×51, first 2 shown]
	v_mov_b64_e32 v[82:83], v[118:119]
	v_mov_b64_e32 v[84:85], v[120:121]
	;; [unrolled: 1-line block ×8, first 2 shown]
	v_mov_b32_e32 v153, v30
	v_mov_b32_e32 v114, v31
	;; [unrolled: 1-line block ×4, first 2 shown]
	v_mov_b64_e32 v[90:91], v[126:127]
	v_mov_b64_e32 v[92:93], v[128:129]
	;; [unrolled: 1-line block ×6, first 2 shown]
.LBB29_48:
	s_or_b64 exec, exec, s[2:3]
	v_cmp_eq_u32_e32 vcc, 9, v143
	s_waitcnt lgkmcnt(0)
	s_barrier
	s_and_saveexec_b64 s[2:3], vcc
	s_cbranch_execz .LBB29_51
; %bb.49:
	ds_write_b32 v255, v153
	ds_write2_b32 v254, v10, v11 offset0:10 offset1:11
	ds_write2_b32 v254, v12, v13 offset0:12 offset1:13
	ds_write_b32 v254, v253 offset:56
	ds_read_b32 v15, v255
	s_waitcnt lgkmcnt(0)
	v_cmp_neq_f32_e32 vcc, 0, v15
	s_and_b64 exec, exec, vcc
	s_cbranch_execz .LBB29_51
; %bb.50:
	v_div_scale_f32 v29, s[4:5], v15, v15, 1.0
	v_rcp_f32_e32 v30, v29
	v_div_scale_f32 v31, vcc, 1.0, v15, 1.0
	v_fma_f32 v43, -v29, v30, 1.0
	v_fmac_f32_e32 v30, v43, v30
	v_mul_f32_e32 v43, v31, v30
	v_fma_f32 v44, -v29, v43, v31
	v_fmac_f32_e32 v43, v44, v30
	v_fma_f32 v29, -v29, v43, v31
	v_div_fmas_f32 v29, v29, v30, v43
	v_div_fixup_f32 v15, v29, v15, 1.0
	ds_write_b32 v255, v15
.LBB29_51:
	s_or_b64 exec, exec, s[2:3]
	s_waitcnt lgkmcnt(0)
	s_barrier
	ds_read_b32 v58, v255
	v_cmp_lt_u32_e32 vcc, 9, v143
	s_and_saveexec_b64 s[2:3], vcc
	s_cbranch_execz .LBB29_53
; %bb.52:
	ds_read2_b32 v[0:1], v254 offset0:10 offset1:11
	ds_read2_b32 v[2:3], v254 offset0:12 offset1:13
	ds_read_b32 v4, v254 offset:56
	s_waitcnt lgkmcnt(3)
	v_mul_f32_e32 v30, v153, v58
	v_mov_b32_e32 v57, v30
	s_waitcnt lgkmcnt(2)
	v_pk_fma_f32 v[42:43], v[30:31], v[0:1], v[10:11] op_sel_hi:[0,1,1] neg_lo:[1,0,0] neg_hi:[1,0,0]
	s_waitcnt lgkmcnt(1)
	v_pk_fma_f32 v[28:29], v[30:31], v[2:3], v[12:13] op_sel_hi:[0,1,1] neg_lo:[1,0,0] neg_hi:[1,0,0]
	s_waitcnt lgkmcnt(0)
	v_fma_f32 v14, -v30, v4, v253
	v_mov_b64_e32 v[94:95], v[62:63]
	v_mov_b32_e32 v32, v48
	v_mov_b32_e32 v33, v49
	v_mov_b32_e32 v34, v50
	v_mov_b32_e32 v35, v51
	v_mov_b32_e32 v36, v52
	v_mov_b32_e32 v37, v53
	v_mov_b32_e32 v38, v54
	v_mov_b32_e32 v39, v55
	v_mov_b32_e32 v40, v56
	v_mov_b32_e32 v41, v30
	v_mov_b32_e32 v64, v48
	v_mov_b32_e32 v65, v49
	v_mov_b32_e32 v66, v50
	v_mov_b32_e32 v67, v51
	v_mov_b32_e32 v68, v52
	v_mov_b32_e32 v69, v53
	v_mov_b32_e32 v70, v54
	v_mov_b32_e32 v71, v55
	v_mov_b32_e32 v72, v56
	v_mov_b32_e32 v73, v30
	v_mov_b32_e32 v74, v42
	v_mov_b32_e32 v75, v43
	v_mov_b32_e32 v16, v48
	v_mov_b32_e32 v17, v49
	v_mov_b32_e32 v18, v50
	v_mov_b32_e32 v19, v51
	v_mov_b32_e32 v20, v52
	v_mov_b32_e32 v21, v53
	v_mov_b32_e32 v22, v54
	v_mov_b32_e32 v23, v55
	v_mov_b32_e32 v24, v56
	v_mov_b32_e32 v25, v30
	v_mov_b32_e32 v26, v42
	v_mov_b32_e32 v27, v43
	v_mov_b32_e32 v0, v48
	v_mov_b32_e32 v1, v49
	v_mov_b32_e32 v2, v50
	v_mov_b32_e32 v3, v51
	v_mov_b32_e32 v4, v52
	v_mov_b32_e32 v5, v53
	v_mov_b32_e32 v6, v54
	v_mov_b32_e32 v7, v55
	v_mov_b32_e32 v8, v56
	v_mov_b32_e32 v9, v30
	v_mov_b32_e32 v10, v42
	v_mov_b32_e32 v11, v43
	v_mov_b32_e32 v12, v28
	v_mov_b32_e32 v13, v29
	v_mov_b64_e32 v[88:89], v[56:57]
	v_mov_b64_e32 v[86:87], v[54:55]
	;; [unrolled: 1-line block ×5, first 2 shown]
	v_mov_b32_e32 v114, v42
	v_mov_b32_e32 v133, v43
	;; [unrolled: 1-line block ×5, first 2 shown]
	v_mov_b64_e32 v[92:93], v[60:61]
	v_mov_b64_e32 v[90:91], v[58:59]
.LBB29_53:
	s_or_b64 exec, exec, s[2:3]
	v_cmp_eq_u32_e32 vcc, 10, v143
	s_waitcnt lgkmcnt(0)
	s_barrier
	s_and_saveexec_b64 s[2:3], vcc
	s_cbranch_execz .LBB29_56
; %bb.54:
	ds_write_b32 v255, v114
	ds_write2_b32 v254, v11, v12 offset0:11 offset1:12
	ds_write2_b32 v254, v13, v14 offset0:13 offset1:14
	ds_read_b32 v15, v255
	s_waitcnt lgkmcnt(0)
	v_cmp_neq_f32_e32 vcc, 0, v15
	s_and_b64 exec, exec, vcc
	s_cbranch_execz .LBB29_56
; %bb.55:
	v_div_scale_f32 v29, s[4:5], v15, v15, 1.0
	v_rcp_f32_e32 v30, v29
	v_div_scale_f32 v31, vcc, 1.0, v15, 1.0
	v_fma_f32 v43, -v29, v30, 1.0
	v_fmac_f32_e32 v30, v43, v30
	v_mul_f32_e32 v43, v31, v30
	v_fma_f32 v44, -v29, v43, v31
	v_fmac_f32_e32 v43, v44, v30
	v_fma_f32 v29, -v29, v43, v31
	v_div_fmas_f32 v29, v29, v30, v43
	v_div_fixup_f32 v15, v29, v15, 1.0
	ds_write_b32 v255, v15
.LBB29_56:
	s_or_b64 exec, exec, s[2:3]
	s_waitcnt lgkmcnt(0)
	s_barrier
	ds_read_b32 v48, v255
	v_cmp_lt_u32_e32 vcc, 10, v143
	s_and_saveexec_b64 s[2:3], vcc
	s_cbranch_execz .LBB29_58
; %bb.57:
	ds_read2_b32 v[0:1], v254 offset0:11 offset1:12
	ds_read2_b32 v[4:5], v254 offset0:13 offset1:14
	s_waitcnt lgkmcnt(2)
	v_mul_f32_e32 v90, v114, v48
	v_mov_b32_e32 v2, v11
	v_mov_b32_e32 v3, v12
	s_waitcnt lgkmcnt(1)
	v_pk_fma_f32 v[30:31], v[90:91], v[0:1], v[2:3] op_sel_hi:[0,1,1] neg_lo:[1,0,0] neg_hi:[1,0,0]
	v_mov_b32_e32 v0, v13
	v_mov_b32_e32 v1, v14
	s_waitcnt lgkmcnt(0)
	v_pk_fma_f32 v[252:253], v[90:91], v[4:5], v[0:1] op_sel_hi:[0,1,1] neg_lo:[1,0,0] neg_hi:[1,0,0]
	v_mov_b32_e32 v91, v30
	v_mov_b64_e32 v[64:65], v[80:81]
	v_mov_b64_e32 v[32:33], v[80:81]
	v_mov_b32_e32 v16, v80
	v_mov_b32_e32 v17, v81
	;; [unrolled: 1-line block ×28, first 2 shown]
	v_mov_b64_e32 v[66:67], v[82:83]
	v_mov_b64_e32 v[68:69], v[84:85]
	;; [unrolled: 1-line block ×10, first 2 shown]
	v_mov_b32_e32 v133, v30
	v_mov_b32_e32 v96, v31
	v_mov_b64_e32 v[76:77], v[92:93]
	v_mov_b64_e32 v[78:79], v[94:95]
	;; [unrolled: 1-line block ×4, first 2 shown]
.LBB29_58:
	s_or_b64 exec, exec, s[2:3]
	v_cmp_eq_u32_e32 vcc, 11, v143
	s_waitcnt lgkmcnt(0)
	s_barrier
	s_and_saveexec_b64 s[2:3], vcc
	s_cbranch_execz .LBB29_61
; %bb.59:
	ds_write_b32 v255, v133
	ds_write2_b32 v254, v12, v13 offset0:12 offset1:13
	ds_write_b32 v254, v253 offset:56
	ds_read_b32 v15, v255
	s_waitcnt lgkmcnt(0)
	v_cmp_neq_f32_e32 vcc, 0, v15
	s_and_b64 exec, exec, vcc
	s_cbranch_execz .LBB29_61
; %bb.60:
	v_div_scale_f32 v29, s[4:5], v15, v15, 1.0
	v_rcp_f32_e32 v30, v29
	v_div_scale_f32 v31, vcc, 1.0, v15, 1.0
	v_fma_f32 v43, -v29, v30, 1.0
	v_fmac_f32_e32 v30, v43, v30
	v_mul_f32_e32 v43, v31, v30
	v_fma_f32 v44, -v29, v43, v31
	v_fmac_f32_e32 v43, v44, v30
	v_fma_f32 v29, -v29, v43, v31
	v_div_fmas_f32 v29, v29, v30, v43
	v_div_fixup_f32 v15, v29, v15, 1.0
	ds_write_b32 v255, v15
.LBB29_61:
	s_or_b64 exec, exec, s[2:3]
	s_waitcnt lgkmcnt(0)
	s_barrier
	ds_read_b32 v44, v255
	v_cmp_lt_u32_e32 vcc, 11, v143
	s_and_saveexec_b64 s[2:3], vcc
	s_cbranch_execz .LBB29_63
; %bb.62:
	ds_read2_b32 v[0:1], v254 offset0:12 offset1:13
	ds_read_b32 v2, v254 offset:56
	s_waitcnt lgkmcnt(2)
	v_mul_f32_e32 v30, v133, v44
	v_mov_b32_e32 v43, v30
	v_mov_b64_e32 v[78:79], v[46:47]
	s_waitcnt lgkmcnt(1)
	v_pk_fma_f32 v[28:29], v[30:31], v[0:1], v[12:13] op_sel_hi:[0,1,1] neg_lo:[1,0,0] neg_hi:[1,0,0]
	s_waitcnt lgkmcnt(0)
	v_fma_f32 v14, -v30, v2, v253
	v_mov_b32_e32 v16, v32
	v_mov_b32_e32 v17, v33
	;; [unrolled: 1-line block ×26, first 2 shown]
	v_mov_b64_e32 v[74:75], v[42:43]
	v_mov_b64_e32 v[72:73], v[40:41]
	;; [unrolled: 1-line block ×6, first 2 shown]
	v_mov_b32_e32 v96, v28
	v_mov_b32_e32 v252, v29
	;; [unrolled: 1-line block ×3, first 2 shown]
	v_mov_b64_e32 v[76:77], v[44:45]
.LBB29_63:
	s_or_b64 exec, exec, s[2:3]
	v_cmp_eq_u32_e32 vcc, 12, v143
	s_waitcnt lgkmcnt(0)
	s_barrier
	s_and_saveexec_b64 s[2:3], vcc
	s_cbranch_execz .LBB29_66
; %bb.64:
	ds_write_b32 v255, v96
	ds_write2_b32 v254, v13, v14 offset0:13 offset1:14
	ds_read_b32 v15, v255
	s_waitcnt lgkmcnt(0)
	v_cmp_neq_f32_e32 vcc, 0, v15
	s_and_b64 exec, exec, vcc
	s_cbranch_execz .LBB29_66
; %bb.65:
	v_div_scale_f32 v29, s[4:5], v15, v15, 1.0
	v_rcp_f32_e32 v30, v29
	v_div_scale_f32 v31, vcc, 1.0, v15, 1.0
	v_fma_f32 v32, -v29, v30, 1.0
	v_fmac_f32_e32 v30, v32, v30
	v_mul_f32_e32 v32, v31, v30
	v_fma_f32 v33, -v29, v32, v31
	v_fmac_f32_e32 v32, v33, v30
	v_fma_f32 v29, -v29, v32, v31
	v_div_fmas_f32 v29, v29, v30, v32
	v_div_fixup_f32 v15, v29, v15, 1.0
	ds_write_b32 v255, v15
.LBB29_66:
	s_or_b64 exec, exec, s[2:3]
	s_waitcnt lgkmcnt(0)
	s_barrier
	ds_read_b32 v32, v255
	v_cmp_lt_u32_e32 vcc, 12, v143
	s_and_saveexec_b64 s[2:3], vcc
	s_cbranch_execz .LBB29_68
; %bb.67:
	ds_read2_b32 v[0:1], v254 offset0:13 offset1:14
	s_waitcnt lgkmcnt(1)
	v_mul_f32_e32 v76, v96, v32
	v_mov_b32_e32 v2, v13
	v_mov_b32_e32 v3, v14
	s_waitcnt lgkmcnt(0)
	v_pk_fma_f32 v[252:253], v[76:77], v[0:1], v[2:3] op_sel_hi:[0,1,1] neg_lo:[1,0,0] neg_hi:[1,0,0]
	v_mov_b32_e32 v77, v252
	v_mov_b32_e32 v78, v253
	v_mov_b64_e32 v[0:1], v[64:65]
	v_mov_b64_e32 v[16:17], v[64:65]
	;; [unrolled: 1-line block ×16, first 2 shown]
.LBB29_68:
	s_or_b64 exec, exec, s[2:3]
	v_cmp_eq_u32_e32 vcc, 13, v143
	s_waitcnt lgkmcnt(0)
	s_barrier
	s_and_saveexec_b64 s[2:3], vcc
	s_cbranch_execz .LBB29_71
; %bb.69:
	ds_write_b32 v255, v252
	ds_write_b32 v254, v253 offset:56
	ds_read_b32 v15, v255
	s_waitcnt lgkmcnt(0)
	v_cmp_neq_f32_e32 vcc, 0, v15
	s_and_b64 exec, exec, vcc
	s_cbranch_execz .LBB29_71
; %bb.70:
	v_div_scale_f32 v29, s[4:5], v15, v15, 1.0
	v_rcp_f32_e32 v30, v29
	v_div_scale_f32 v31, vcc, 1.0, v15, 1.0
	v_fma_f32 v33, -v29, v30, 1.0
	v_fmac_f32_e32 v30, v33, v30
	v_mul_f32_e32 v33, v31, v30
	v_fma_f32 v34, -v29, v33, v31
	v_fmac_f32_e32 v33, v34, v30
	v_fma_f32 v29, -v29, v33, v31
	v_div_fmas_f32 v29, v29, v30, v33
	v_div_fixup_f32 v15, v29, v15, 1.0
	ds_write_b32 v255, v15
.LBB29_71:
	s_or_b64 exec, exec, s[2:3]
	s_waitcnt lgkmcnt(0)
	s_barrier
	ds_read_b32 v31, v255
	v_cmp_lt_u32_e32 vcc, 13, v143
	s_and_saveexec_b64 s[2:3], vcc
	s_cbranch_execz .LBB29_73
; %bb.72:
	ds_read_b32 v0, v254 offset:56
	s_waitcnt lgkmcnt(1)
	v_mul_f32_e32 v29, v252, v31
	s_waitcnt lgkmcnt(0)
	v_fma_f32 v30, -v29, v0, v253
	v_mov_b64_e32 v[0:1], v[16:17]
	v_mov_b64_e32 v[2:3], v[18:19]
	;; [unrolled: 1-line block ×8, first 2 shown]
	v_mov_b32_e32 v253, v30
.LBB29_73:
	s_or_b64 exec, exec, s[2:3]
	v_cmp_eq_u32_e32 vcc, 14, v143
	s_waitcnt lgkmcnt(0)
	s_barrier
	s_and_saveexec_b64 s[2:3], vcc
	s_cbranch_execz .LBB29_76
; %bb.74:
	v_cmp_neq_f32_e32 vcc, 0, v253
	ds_write_b32 v255, v253
	s_and_b64 exec, exec, vcc
	s_cbranch_execz .LBB29_76
; %bb.75:
	v_div_scale_f32 v15, s[4:5], v253, v253, 1.0
	v_rcp_f32_e32 v16, v15
	v_div_scale_f32 v17, vcc, 1.0, v253, 1.0
	v_fma_f32 v18, -v15, v16, 1.0
	v_fmac_f32_e32 v16, v18, v16
	v_mul_f32_e32 v18, v17, v16
	v_fma_f32 v19, -v15, v18, v17
	v_fmac_f32_e32 v18, v19, v16
	v_fma_f32 v15, -v15, v18, v17
	v_div_fmas_f32 v15, v15, v16, v18
	v_div_fixup_f32 v15, v15, v253, 1.0
	ds_write_b32 v255, v15
.LBB29_76:
	s_or_b64 exec, exec, s[2:3]
	s_waitcnt lgkmcnt(0)
	s_barrier
	ds_read_b32 v15, v255
	s_waitcnt lgkmcnt(0)
	s_barrier
	s_and_saveexec_b64 s[30:31], s[0:1]
	s_cbranch_execz .LBB29_79
; %bb.77:
	scratch_load_dwordx2 v[18:19], off, off offset:124 ; 8-byte Folded Reload
	scratch_load_dword v20, off, off offset:120 ; 4-byte Folded Reload
	v_mov_b32_e32 v16, s6
	v_mov_b32_e32 v17, s7
	v_cmp_eq_f32_e32 vcc, 0, v171
	v_cmp_eq_f32_e64 s[2:3], 0, v97
	v_cmp_eq_f32_e64 s[4:5], 0, v115
	;; [unrolled: 1-line block ×13, first 2 shown]
	s_waitcnt vmcnt(1)
	v_lshl_add_u64 v[16:17], v[18:19], 2, v[16:17]
	global_load_dword v19, v[16:17], off
	s_waitcnt vmcnt(1)
	v_cmp_neq_f32_e64 s[0:1], 0, v20
	v_cndmask_b32_e64 v18, 0, 1, vcc
	s_or_b64 vcc, s[0:1], vcc
	v_cndmask_b32_e32 v18, 2, v18, vcc
	v_cmp_eq_u32_e32 vcc, 0, v18
	s_and_b64 s[0:1], s[2:3], vcc
	v_cndmask_b32_e64 v18, v18, 3, s[0:1]
	v_cmp_eq_u32_e32 vcc, 0, v18
	s_and_b64 s[0:1], s[4:5], vcc
	v_cndmask_b32_e64 v18, v18, 4, s[0:1]
	;; [unrolled: 3-line block ×13, first 2 shown]
	v_cmp_ne_u32_e64 s[0:1], 0, v18
	s_waitcnt vmcnt(0)
	v_cmp_eq_u32_e32 vcc, 0, v19
	s_and_b64 s[0:1], vcc, s[0:1]
	s_and_b64 exec, exec, s[0:1]
	s_cbranch_execz .LBB29_79
; %bb.78:
	v_add_u32_e32 v18, s29, v18
	global_store_dword v[16:17], v18, off
.LBB29_79:
	s_or_b64 exec, exec, s[30:31]
	scratch_load_dwordx2 v[16:17], off, off ; 8-byte Folded Reload
	v_mul_f32_e32 v15, v253, v15
	v_cmp_lt_u32_e32 vcc, 14, v143
	s_waitcnt vmcnt(0)
	global_store_dword v[16:17], v0, off
	scratch_load_dwordx2 v[16:17], off, off offset:8 ; 8-byte Folded Reload
	v_cndmask_b32_e32 v14, v14, v15, vcc
	s_waitcnt vmcnt(0)
	global_store_dword v[16:17], v1, off
	scratch_load_dwordx2 v[0:1], off, off offset:16 ; 8-byte Folded Reload
	s_waitcnt vmcnt(0)
	global_store_dword v[0:1], v2, off
	scratch_load_dwordx2 v[0:1], off, off offset:24 ; 8-byte Folded Reload
	;; [unrolled: 3-line block ×13, first 2 shown]
	s_waitcnt vmcnt(0)
	global_store_dword v[0:1], v14, off
.LBB29_80:
	s_endpgm
	.section	.rodata,"a",@progbits
	.p2align	6, 0x0
	.amdhsa_kernel _ZN9rocsolver6v33100L23getf2_npvt_small_kernelILi15EfiiPfEEvT1_T3_lS3_lPT2_S3_S3_
		.amdhsa_group_segment_fixed_size 0
		.amdhsa_private_segment_fixed_size 136
		.amdhsa_kernarg_size 312
		.amdhsa_user_sgpr_count 2
		.amdhsa_user_sgpr_dispatch_ptr 0
		.amdhsa_user_sgpr_queue_ptr 0
		.amdhsa_user_sgpr_kernarg_segment_ptr 1
		.amdhsa_user_sgpr_dispatch_id 0
		.amdhsa_user_sgpr_kernarg_preload_length 0
		.amdhsa_user_sgpr_kernarg_preload_offset 0
		.amdhsa_user_sgpr_private_segment_size 0
		.amdhsa_uses_dynamic_stack 0
		.amdhsa_enable_private_segment 1
		.amdhsa_system_sgpr_workgroup_id_x 1
		.amdhsa_system_sgpr_workgroup_id_y 1
		.amdhsa_system_sgpr_workgroup_id_z 0
		.amdhsa_system_sgpr_workgroup_info 0
		.amdhsa_system_vgpr_workitem_id 1
		.amdhsa_next_free_vgpr 256
		.amdhsa_next_free_sgpr 32
		.amdhsa_accum_offset 256
		.amdhsa_reserve_vcc 1
		.amdhsa_float_round_mode_32 0
		.amdhsa_float_round_mode_16_64 0
		.amdhsa_float_denorm_mode_32 3
		.amdhsa_float_denorm_mode_16_64 3
		.amdhsa_dx10_clamp 1
		.amdhsa_ieee_mode 1
		.amdhsa_fp16_overflow 0
		.amdhsa_tg_split 0
		.amdhsa_exception_fp_ieee_invalid_op 0
		.amdhsa_exception_fp_denorm_src 0
		.amdhsa_exception_fp_ieee_div_zero 0
		.amdhsa_exception_fp_ieee_overflow 0
		.amdhsa_exception_fp_ieee_underflow 0
		.amdhsa_exception_fp_ieee_inexact 0
		.amdhsa_exception_int_div_zero 0
	.end_amdhsa_kernel
	.section	.text._ZN9rocsolver6v33100L23getf2_npvt_small_kernelILi15EfiiPfEEvT1_T3_lS3_lPT2_S3_S3_,"axG",@progbits,_ZN9rocsolver6v33100L23getf2_npvt_small_kernelILi15EfiiPfEEvT1_T3_lS3_lPT2_S3_S3_,comdat
.Lfunc_end29:
	.size	_ZN9rocsolver6v33100L23getf2_npvt_small_kernelILi15EfiiPfEEvT1_T3_lS3_lPT2_S3_S3_, .Lfunc_end29-_ZN9rocsolver6v33100L23getf2_npvt_small_kernelILi15EfiiPfEEvT1_T3_lS3_lPT2_S3_S3_
                                        ; -- End function
	.set _ZN9rocsolver6v33100L23getf2_npvt_small_kernelILi15EfiiPfEEvT1_T3_lS3_lPT2_S3_S3_.num_vgpr, 256
	.set _ZN9rocsolver6v33100L23getf2_npvt_small_kernelILi15EfiiPfEEvT1_T3_lS3_lPT2_S3_S3_.num_agpr, 0
	.set _ZN9rocsolver6v33100L23getf2_npvt_small_kernelILi15EfiiPfEEvT1_T3_lS3_lPT2_S3_S3_.numbered_sgpr, 32
	.set _ZN9rocsolver6v33100L23getf2_npvt_small_kernelILi15EfiiPfEEvT1_T3_lS3_lPT2_S3_S3_.num_named_barrier, 0
	.set _ZN9rocsolver6v33100L23getf2_npvt_small_kernelILi15EfiiPfEEvT1_T3_lS3_lPT2_S3_S3_.private_seg_size, 136
	.set _ZN9rocsolver6v33100L23getf2_npvt_small_kernelILi15EfiiPfEEvT1_T3_lS3_lPT2_S3_S3_.uses_vcc, 1
	.set _ZN9rocsolver6v33100L23getf2_npvt_small_kernelILi15EfiiPfEEvT1_T3_lS3_lPT2_S3_S3_.uses_flat_scratch, 0
	.set _ZN9rocsolver6v33100L23getf2_npvt_small_kernelILi15EfiiPfEEvT1_T3_lS3_lPT2_S3_S3_.has_dyn_sized_stack, 0
	.set _ZN9rocsolver6v33100L23getf2_npvt_small_kernelILi15EfiiPfEEvT1_T3_lS3_lPT2_S3_S3_.has_recursion, 0
	.set _ZN9rocsolver6v33100L23getf2_npvt_small_kernelILi15EfiiPfEEvT1_T3_lS3_lPT2_S3_S3_.has_indirect_call, 0
	.section	.AMDGPU.csdata,"",@progbits
; Kernel info:
; codeLenInByte = 10608
; TotalNumSgprs: 38
; NumVgprs: 256
; NumAgprs: 0
; TotalNumVgprs: 256
; ScratchSize: 136
; MemoryBound: 0
; FloatMode: 240
; IeeeMode: 1
; LDSByteSize: 0 bytes/workgroup (compile time only)
; SGPRBlocks: 4
; VGPRBlocks: 31
; NumSGPRsForWavesPerEU: 38
; NumVGPRsForWavesPerEU: 256
; AccumOffset: 256
; Occupancy: 2
; WaveLimiterHint : 0
; COMPUTE_PGM_RSRC2:SCRATCH_EN: 1
; COMPUTE_PGM_RSRC2:USER_SGPR: 2
; COMPUTE_PGM_RSRC2:TRAP_HANDLER: 0
; COMPUTE_PGM_RSRC2:TGID_X_EN: 1
; COMPUTE_PGM_RSRC2:TGID_Y_EN: 1
; COMPUTE_PGM_RSRC2:TGID_Z_EN: 0
; COMPUTE_PGM_RSRC2:TIDIG_COMP_CNT: 1
; COMPUTE_PGM_RSRC3_GFX90A:ACCUM_OFFSET: 63
; COMPUTE_PGM_RSRC3_GFX90A:TG_SPLIT: 0
	.section	.text._ZN9rocsolver6v33100L18getf2_small_kernelILi16EfiiPfEEvT1_T3_lS3_lPS3_llPT2_S3_S3_S5_l,"axG",@progbits,_ZN9rocsolver6v33100L18getf2_small_kernelILi16EfiiPfEEvT1_T3_lS3_lPS3_llPT2_S3_S3_S5_l,comdat
	.globl	_ZN9rocsolver6v33100L18getf2_small_kernelILi16EfiiPfEEvT1_T3_lS3_lPS3_llPT2_S3_S3_S5_l ; -- Begin function _ZN9rocsolver6v33100L18getf2_small_kernelILi16EfiiPfEEvT1_T3_lS3_lPS3_llPT2_S3_S3_S5_l
	.p2align	8
	.type	_ZN9rocsolver6v33100L18getf2_small_kernelILi16EfiiPfEEvT1_T3_lS3_lPS3_llPT2_S3_S3_S5_l,@function
_ZN9rocsolver6v33100L18getf2_small_kernelILi16EfiiPfEEvT1_T3_lS3_lPS3_llPT2_S3_S3_S5_l: ; @_ZN9rocsolver6v33100L18getf2_small_kernelILi16EfiiPfEEvT1_T3_lS3_lPS3_llPT2_S3_S3_S5_l
; %bb.0:
	s_load_dword s2, s[0:1], 0x6c
	s_load_dwordx2 s[14:15], s[0:1], 0x48
	v_bfe_u32 v3, v0, 10, 10
	s_waitcnt lgkmcnt(0)
	s_lshr_b32 s2, s2, 16
	s_mul_i32 s3, s3, s2
	v_add_u32_e32 v212, s3, v3
	v_cmp_gt_i32_e32 vcc, s14, v212
	s_and_saveexec_b64 s[2:3], vcc
	s_cbranch_execz .LBB30_271
; %bb.1:
	s_load_dwordx4 s[4:7], s[0:1], 0x50
	v_ashrrev_i32_e32 v213, 31, v212
	v_mov_b64_e32 v[214:215], 0
	s_waitcnt lgkmcnt(0)
	s_cmp_eq_u64 s[4:5], 0
	s_cselect_b64 s[16:17], -1, 0
	s_and_b64 vcc, exec, s[16:17]
	s_cbranch_vccnz .LBB30_3
; %bb.2:
	v_mul_lo_u32 v1, s7, v212
	v_mul_lo_u32 v2, s6, v213
	v_mad_u64_u32 v[4:5], s[2:3], s6, v212, 0
	v_add3_u32 v5, v5, v2, v1
	v_lshl_add_u64 v[214:215], v[4:5], 2, s[4:5]
.LBB30_3:
	s_load_dwordx4 s[20:23], s[0:1], 0x8
	s_load_dwordx8 s[4:11], s[0:1], 0x20
	s_load_dword s12, s[0:1], 0x18
	s_waitcnt lgkmcnt(0)
	v_mov_b32_e32 v4, s20
	v_mul_lo_u32 v1, s5, v212
	v_mul_lo_u32 v2, s4, v213
	v_mad_u64_u32 v[6:7], s[2:3], s4, v212, 0
	v_mov_b32_e32 v5, s21
	v_add3_u32 v7, v7, v2, v1
	v_and_b32_e32 v2, 0x3ff, v0
	s_add_i32 s14, s12, s12
	v_lshl_add_u64 v[4:5], v[6:7], 2, v[4:5]
	v_add_u32_e32 v8, s14, v2
	v_lshl_add_u64 v[210:211], s[22:23], 2, v[4:5]
	v_ashrrev_i32_e32 v9, 31, v8
	v_lshl_add_u64 v[10:11], v[8:9], 2, v[210:211]
	v_add_u32_e32 v8, s12, v8
	v_ashrrev_i32_e32 v9, 31, v8
	v_lshl_add_u64 v[12:13], v[8:9], 2, v[210:211]
	v_add_u32_e32 v8, s12, v8
	;; [unrolled: 3-line block ×4, first 2 shown]
	v_ashrrev_i32_e32 v9, 31, v8
	v_lshlrev_b32_e32 v0, 2, v2
	v_mov_b32_e32 v1, 0
	v_lshl_add_u64 v[18:19], v[8:9], 2, v[210:211]
	v_add_u32_e32 v8, s12, v8
	v_lshl_add_u64 v[4:5], v[210:211], 0, v[0:1]
	s_ashr_i32 s13, s12, 31
	v_ashrrev_i32_e32 v9, 31, v8
	v_lshl_add_u64 v[6:7], s[12:13], 2, v[4:5]
	v_lshl_add_u64 v[20:21], v[8:9], 2, v[210:211]
	global_load_dword v192, v[4:5], off
	global_load_dword v230, v[6:7], off
	;; [unrolled: 1-line block ×8, first 2 shown]
	v_add_u32_e32 v4, s12, v8
	v_ashrrev_i32_e32 v5, 31, v4
	v_lshl_add_u64 v[6:7], v[4:5], 2, v[210:211]
	v_add_u32_e32 v4, s12, v4
	v_ashrrev_i32_e32 v5, 31, v4
	v_lshl_add_u64 v[8:9], v[4:5], 2, v[210:211]
	;; [unrolled: 3-line block ×8, first 2 shown]
	global_load_dword v225, v[6:7], off
	global_load_dword v222, v[8:9], off
	;; [unrolled: 1-line block ×8, first 2 shown]
	s_load_dword s22, s[0:1], 0x0
	s_load_dwordx2 s[4:5], s[0:1], 0x40
	s_waitcnt lgkmcnt(0)
	s_max_i32 s0, s22, 16
	v_mul_lo_u32 v3, s0, v3
	v_lshl_add_u32 v234, v3, 2, 0
	v_add_u32_e32 v0, v234, v0
	s_cmp_lt_i32 s22, 2
	v_lshlrev_b32_e32 v235, 2, v3
	s_waitcnt vmcnt(15)
	ds_write_b32 v0, v192
	s_waitcnt lgkmcnt(0)
	s_barrier
	ds_read_b32 v0, v234
	s_cbranch_scc1 .LBB30_6
; %bb.4:
	v_add3_u32 v3, v235, 0, 4
	v_mov_b32_e32 v1, 0
	s_mov_b32 s0, 1
.LBB30_5:                               ; =>This Inner Loop Header: Depth=1
	ds_read_b32 v4, v3
	v_mov_b32_e32 v5, s0
	s_add_i32 s0, s0, 1
	v_add_u32_e32 v3, 4, v3
	s_cmp_eq_u32 s22, s0
	s_waitcnt lgkmcnt(0)
	v_cmp_lt_f32_e64 vcc, |v0|, |v4|
	s_nop 1
	v_cndmask_b32_e32 v0, v0, v4, vcc
	v_cndmask_b32_e32 v1, v1, v5, vcc
	s_cbranch_scc0 .LBB30_5
.LBB30_6:
	v_cmp_ne_u32_e32 vcc, v2, v1
                                        ; implicit-def: $vgpr236
	s_and_saveexec_b64 s[0:1], vcc
	s_xor_b64 s[0:1], exec, s[0:1]
	s_cbranch_execz .LBB30_12
; %bb.7:
	v_cmp_eq_u32_e32 vcc, 0, v2
	s_and_saveexec_b64 s[2:3], vcc
	s_cbranch_execz .LBB30_11
; %bb.8:
	v_cmp_ne_u32_e32 vcc, 0, v1
	s_xor_b64 s[18:19], s[16:17], -1
	s_and_b64 s[20:21], s[18:19], vcc
	s_and_saveexec_b64 s[18:19], s[20:21]
	s_cbranch_execz .LBB30_10
; %bb.9:
	v_ashrrev_i32_e32 v3, 31, v1
	v_mov_b32_e32 v2, v1
	v_lshl_add_u64 v[2:3], v[2:3], 2, v[214:215]
	global_load_dword v4, v[2:3], off
	global_load_dword v5, v[214:215], off
	s_waitcnt vmcnt(1)
	global_store_dword v[214:215], v4, off
	s_waitcnt vmcnt(1)
	global_store_dword v[2:3], v5, off
.LBB30_10:
	s_or_b64 exec, exec, s[18:19]
	v_mov_b32_e32 v2, v1
.LBB30_11:
	s_or_b64 exec, exec, s[2:3]
	v_mov_b32_e32 v236, v2
                                        ; implicit-def: $vgpr2
.LBB30_12:
	s_or_saveexec_b64 s[0:1], s[0:1]
	v_mov_b32_e32 v233, v236
	s_xor_b64 exec, exec, s[0:1]
	s_cbranch_execz .LBB30_14
; %bb.13:
	v_mov_b32_e32 v236, 0
	v_mov_b32_e32 v233, v2
	s_waitcnt vmcnt(13)
	ds_write2_b32 v234, v230, v231 offset0:1 offset1:2
	s_waitcnt vmcnt(11)
	ds_write2_b32 v234, v228, v229 offset0:3 offset1:4
	;; [unrolled: 2-line block ×7, first 2 shown]
	s_waitcnt vmcnt(0)
	ds_write_b32 v234, v217 offset:60
.LBB30_14:
	s_or_b64 exec, exec, s[0:1]
	s_waitcnt lgkmcnt(0)
	v_cmp_eq_f32_e64 s[0:1], 0, v0
	v_cmp_gt_i32_e32 vcc, 1, v236
	s_barrier
	s_and_saveexec_b64 s[2:3], vcc
	s_xor_b64 s[2:3], exec, s[2:3]
; %bb.15:
                                        ; implicit-def: $vgpr0
; %bb.16:
	s_andn2_saveexec_b64 s[2:3], s[2:3]
	s_cbranch_execz .LBB30_18
; %bb.17:
	v_div_scale_f32 v1, s[18:19], v0, v0, 1.0
	v_rcp_f32_e32 v2, v1
	v_div_scale_f32 v3, vcc, 1.0, v0, 1.0
	v_fma_f32 v4, -v1, v2, 1.0
	v_fmac_f32_e32 v2, v4, v2
	v_mul_f32_e32 v4, v3, v2
	v_fma_f32 v5, -v1, v4, v3
	v_fmac_f32_e32 v4, v5, v2
	v_fma_f32 v1, -v1, v4, v3
	v_div_fmas_f32 v1, v1, v2, v4
	v_div_fixup_f32 v1, v1, v0, 1.0
	v_cndmask_b32_e64 v6, v1, v0, s[0:1]
	ds_read2_b32 v[0:1], v234 offset0:1 offset1:2
	ds_read2_b32 v[2:3], v234 offset0:3 offset1:4
	;; [unrolled: 1-line block ×3, first 2 shown]
	v_mul_f32_e32 v192, v192, v6
	ds_read2_b32 v[6:7], v234 offset0:7 offset1:8
	s_waitcnt vmcnt(13) lgkmcnt(3)
	v_pk_fma_f32 v[230:231], v[192:193], v[0:1], v[230:231] op_sel_hi:[0,1,1] neg_lo:[1,0,0] neg_hi:[1,0,0]
	s_waitcnt vmcnt(11) lgkmcnt(2)
	v_pk_fma_f32 v[228:229], v[192:193], v[2:3], v[228:229] op_sel_hi:[0,1,1] neg_lo:[1,0,0] neg_hi:[1,0,0]
	;; [unrolled: 2-line block ×3, first 2 shown]
	ds_read2_b32 v[0:1], v234 offset0:9 offset1:10
	ds_read2_b32 v[2:3], v234 offset0:11 offset1:12
	;; [unrolled: 1-line block ×3, first 2 shown]
	ds_read_b32 v8, v234 offset:60
	s_waitcnt vmcnt(7) lgkmcnt(4)
	v_pk_fma_f32 v[224:225], v[192:193], v[6:7], v[224:225] op_sel_hi:[0,1,1] neg_lo:[1,0,0] neg_hi:[1,0,0]
	s_waitcnt vmcnt(5) lgkmcnt(3)
	v_pk_fma_f32 v[222:223], v[192:193], v[0:1], v[222:223] op_sel_hi:[0,1,1] neg_lo:[1,0,0] neg_hi:[1,0,0]
	;; [unrolled: 2-line block ×4, first 2 shown]
	s_waitcnt vmcnt(0) lgkmcnt(0)
	v_fma_f32 v217, -v192, v8, v217
.LBB30_18:
	s_or_b64 exec, exec, s[2:3]
	v_lshl_add_u32 v0, v236, 2, v234
	s_barrier
	s_waitcnt vmcnt(14)
	ds_write_b32 v0, v230
	s_waitcnt lgkmcnt(0)
	s_barrier
	ds_read_b32 v216, v234 offset:4
	s_mov_b32 s2, 2
	s_cmp_lt_i32 s22, 3
	v_mov_b32_e32 v232, 1
	s_cbranch_scc1 .LBB30_21
; %bb.19:
	v_add3_u32 v0, v235, 0, 8
	v_mov_b32_e32 v232, 1
.LBB30_20:                              ; =>This Inner Loop Header: Depth=1
	ds_read_b32 v1, v0
	v_mov_b32_e32 v2, s2
	s_add_i32 s2, s2, 1
	v_add_u32_e32 v0, 4, v0
	s_cmp_lg_u32 s22, s2
	s_waitcnt lgkmcnt(0)
	v_cmp_lt_f32_e64 vcc, |v216|, |v1|
	s_nop 1
	v_cndmask_b32_e32 v216, v216, v1, vcc
	v_cndmask_b32_e32 v232, v232, v2, vcc
	s_cbranch_scc1 .LBB30_20
.LBB30_21:
	v_mov_b32_e32 v193, v230
	v_mov_b64_e32 v[208:209], v[206:207]
	v_mov_b64_e32 v[206:207], v[204:205]
	v_mov_b64_e32 v[204:205], v[202:203]
	v_mov_b64_e32 v[202:203], v[200:201]
	v_mov_b64_e32 v[200:201], v[198:199]
	v_mov_b64_e32 v[198:199], v[196:197]
	v_mov_b64_e32 v[196:197], v[194:195]
	v_mov_b64_e32 v[194:195], v[192:193]
	s_waitcnt vmcnt(13)
	v_mov_b32_e32 v196, v231
	v_mov_b64_e32 v[176:177], v[194:195]
	v_mov_b64_e32 v[178:179], v[196:197]
	v_mov_b64_e32 v[180:181], v[198:199]
	v_mov_b64_e32 v[182:183], v[200:201]
	v_mov_b64_e32 v[184:185], v[202:203]
	v_mov_b64_e32 v[186:187], v[204:205]
	v_mov_b64_e32 v[188:189], v[206:207]
	v_mov_b64_e32 v[190:191], v[208:209]
	s_waitcnt vmcnt(12)
	;; [unrolled: 10-line block ×13, first 2 shown]
	v_mov_b32_e32 v14, v219
	v_cmp_ne_u32_e32 vcc, v236, v232
	s_and_saveexec_b64 s[2:3], vcc
	s_xor_b64 s[2:3], exec, s[2:3]
	s_cbranch_execz .LBB30_27
; %bb.22:
	v_cmp_eq_u32_e32 vcc, 1, v236
	s_and_saveexec_b64 s[18:19], vcc
	s_cbranch_execz .LBB30_26
; %bb.23:
	v_cmp_ne_u32_e32 vcc, 1, v232
	s_xor_b64 s[20:21], s[16:17], -1
	s_and_b64 s[24:25], s[20:21], vcc
	s_and_saveexec_b64 s[20:21], s[24:25]
	s_cbranch_execz .LBB30_25
; %bb.24:
	v_ashrrev_i32_e32 v233, 31, v232
	v_lshl_add_u64 v[30:31], v[232:233], 2, v[214:215]
	global_load_dword v15, v[30:31], off
	global_load_dword v45, v[214:215], off offset:4
	s_waitcnt vmcnt(1)
	global_store_dword v[214:215], v15, off offset:4
	s_waitcnt vmcnt(1)
	global_store_dword v[30:31], v45, off
.LBB30_25:
	s_or_b64 exec, exec, s[20:21]
	v_mov_b32_e32 v233, v232
	v_mov_b32_e32 v236, v232
.LBB30_26:
	s_or_b64 exec, exec, s[18:19]
.LBB30_27:
	s_or_saveexec_b64 s[2:3], s[2:3]
	s_waitcnt vmcnt(0)
	v_mov_b32_e32 v15, v217
	s_xor_b64 exec, exec, s[2:3]
	s_cbranch_execz .LBB30_29
; %bb.28:
	v_mov_b32_e32 v236, 1
	ds_write2_b32 v234, v2, v3 offset0:2 offset1:3
	ds_write2_b32 v234, v4, v5 offset0:4 offset1:5
	;; [unrolled: 1-line block ×7, first 2 shown]
.LBB30_29:
	s_or_b64 exec, exec, s[2:3]
	s_waitcnt lgkmcnt(0)
	v_cmp_neq_f32_e64 s[2:3], 0, v216
	v_cmp_lt_i32_e32 vcc, 1, v236
	s_barrier
	s_and_saveexec_b64 s[18:19], vcc
	s_cbranch_execz .LBB30_31
; %bb.30:
	v_div_scale_f32 v0, s[20:21], v216, v216, 1.0
	v_rcp_f32_e32 v1, v0
	v_div_scale_f32 v15, vcc, 1.0, v216, 1.0
	v_fma_f32 v16, -v0, v1, 1.0
	v_fmac_f32_e32 v1, v16, v1
	v_mul_f32_e32 v16, v15, v1
	v_fma_f32 v17, -v0, v16, v15
	v_fmac_f32_e32 v16, v17, v1
	v_fma_f32 v0, -v0, v16, v15
	v_div_fmas_f32 v0, v0, v1, v16
	v_div_fixup_f32 v0, v0, v216, 1.0
	v_cndmask_b32_e64 v15, v216, v0, s[2:3]
	ds_read2_b32 v[0:1], v234 offset0:2 offset1:3
	ds_read2_b32 v[16:17], v234 offset0:4 offset1:5
	v_mul_f32_e32 v18, v230, v15
	v_mov_b32_e32 v193, v18
	v_mov_b64_e32 v[208:209], v[206:207]
	s_waitcnt lgkmcnt(1)
	v_pk_fma_f32 v[218:219], v[18:19], v[0:1], v[2:3] op_sel_hi:[0,1,1] neg_lo:[1,0,0] neg_hi:[1,0,0]
	v_mov_b64_e32 v[206:207], v[204:205]
	v_mov_b64_e32 v[204:205], v[202:203]
	;; [unrolled: 1-line block ×7, first 2 shown]
	v_mov_b32_e32 v196, v218
	v_mov_b64_e32 v[176:177], v[194:195]
	v_mov_b64_e32 v[178:179], v[196:197]
	;; [unrolled: 1-line block ×8, first 2 shown]
	v_mov_b32_e32 v179, v219
	v_mov_b64_e32 v[160:161], v[176:177]
	ds_read2_b32 v[20:21], v234 offset0:6 offset1:7
	ds_read2_b32 v[22:23], v234 offset0:8 offset1:9
	s_waitcnt lgkmcnt(2)
	v_pk_fma_f32 v[220:221], v[18:19], v[16:17], v[4:5] op_sel_hi:[0,1,1] neg_lo:[1,0,0] neg_hi:[1,0,0]
	v_mov_b64_e32 v[164:165], v[180:181]
	v_mov_b64_e32 v[162:163], v[178:179]
	;; [unrolled: 1-line block ×7, first 2 shown]
	v_mov_b32_e32 v164, v220
	v_mov_b64_e32 v[144:145], v[160:161]
	v_mov_b64_e32 v[148:149], v[164:165]
	;; [unrolled: 1-line block ×8, first 2 shown]
	v_mov_b32_e32 v149, v221
	v_mov_b64_e32 v[128:129], v[144:145]
	s_waitcnt lgkmcnt(1)
	v_pk_fma_f32 v[222:223], v[18:19], v[20:21], v[6:7] op_sel_hi:[0,1,1] neg_lo:[1,0,0] neg_hi:[1,0,0]
	v_mov_b64_e32 v[134:135], v[150:151]
	v_mov_b64_e32 v[130:131], v[146:147]
	;; [unrolled: 1-line block ×7, first 2 shown]
	v_mov_b32_e32 v134, v222
	v_mov_b64_e32 v[112:113], v[128:129]
	v_mov_b64_e32 v[118:119], v[134:135]
	;; [unrolled: 1-line block ×8, first 2 shown]
	v_mov_b32_e32 v119, v223
	v_mov_b64_e32 v[96:97], v[112:113]
	ds_read2_b32 v[0:1], v234 offset0:10 offset1:11
	ds_read2_b32 v[2:3], v234 offset0:12 offset1:13
	s_waitcnt lgkmcnt(2)
	v_pk_fma_f32 v[238:239], v[18:19], v[22:23], v[8:9] op_sel_hi:[0,1,1] neg_lo:[1,0,0] neg_hi:[1,0,0]
	v_mov_b64_e32 v[104:105], v[120:121]
	v_mov_b64_e32 v[98:99], v[114:115]
	;; [unrolled: 1-line block ×7, first 2 shown]
	v_mov_b32_e32 v104, v238
	v_mov_b64_e32 v[80:81], v[96:97]
	v_mov_b64_e32 v[88:89], v[104:105]
	;; [unrolled: 1-line block ×8, first 2 shown]
	v_mov_b32_e32 v89, v239
	v_mov_b64_e32 v[64:65], v[80:81]
	ds_read2_b32 v[4:5], v234 offset0:14 offset1:15
	s_waitcnt lgkmcnt(2)
	v_pk_fma_f32 v[240:241], v[18:19], v[0:1], v[10:11] op_sel_hi:[0,1,1] neg_lo:[1,0,0] neg_hi:[1,0,0]
	v_mov_b64_e32 v[74:75], v[90:91]
	v_mov_b64_e32 v[66:67], v[82:83]
	;; [unrolled: 1-line block ×7, first 2 shown]
	v_mov_b32_e32 v74, v240
	v_mov_b64_e32 v[48:49], v[64:65]
	v_mov_b64_e32 v[58:59], v[74:75]
	;; [unrolled: 1-line block ×8, first 2 shown]
	v_mov_b32_e32 v59, v241
	v_mov_b64_e32 v[32:33], v[48:49]
	s_waitcnt lgkmcnt(1)
	v_pk_fma_f32 v[242:243], v[18:19], v[2:3], v[12:13] op_sel_hi:[0,1,1] neg_lo:[1,0,0] neg_hi:[1,0,0]
	v_mov_b32_e32 v15, v217
	v_mov_b64_e32 v[44:45], v[60:61]
	s_waitcnt lgkmcnt(0)
	v_pk_fma_f32 v[216:217], v[18:19], v[4:5], v[14:15] op_sel_hi:[0,1,1] neg_lo:[1,0,0] neg_hi:[1,0,0]
	v_mov_b64_e32 v[34:35], v[50:51]
	v_mov_b64_e32 v[36:37], v[52:53]
	;; [unrolled: 1-line block ×6, first 2 shown]
	v_mov_b32_e32 v44, v242
	v_mov_b64_e32 v[16:17], v[32:33]
	v_mov_b64_e32 v[28:29], v[44:45]
	;; [unrolled: 1-line block ×8, first 2 shown]
	v_mov_b32_e32 v29, v243
	v_mov_b64_e32 v[0:1], v[16:17]
	v_mov_b64_e32 v[14:15], v[30:31]
	;; [unrolled: 1-line block ×8, first 2 shown]
	v_mov_b32_e32 v14, v216
	v_mov_b32_e32 v15, v217
	;; [unrolled: 1-line block ×15, first 2 shown]
.LBB30_31:
	s_or_b64 exec, exec, s[18:19]
	v_lshl_add_u32 v30, v236, 2, v234
	s_barrier
	ds_write_b32 v30, v231
	s_waitcnt lgkmcnt(0)
	s_barrier
	ds_read_b32 v45, v234 offset:8
	s_cmp_lt_i32 s22, 4
	v_mov_b32_e32 v30, 2
	s_cbranch_scc1 .LBB30_34
; %bb.32:
	v_mov_b32_e32 v30, 2
	v_add3_u32 v31, v235, 0, 12
	s_mov_b32 s18, 3
.LBB30_33:                              ; =>This Inner Loop Header: Depth=1
	ds_read_b32 v60, v31
	v_mov_b32_e32 v75, s18
	s_add_i32 s18, s18, 1
	v_add_u32_e32 v31, 4, v31
	s_cmp_lg_u32 s22, s18
	s_waitcnt lgkmcnt(0)
	v_cmp_lt_f32_e64 vcc, |v45|, |v60|
	s_nop 1
	v_cndmask_b32_e32 v45, v45, v60, vcc
	v_cndmask_b32_e32 v30, v30, v75, vcc
	s_cbranch_scc1 .LBB30_33
.LBB30_34:
	v_cndmask_b32_e64 v31, 2, 1, s[0:1]
	v_cndmask_b32_e64 v60, 0, 1, s[0:1]
	;; [unrolled: 1-line block ×3, first 2 shown]
	s_waitcnt lgkmcnt(0)
	v_cmp_eq_f32_e32 vcc, 0, v45
	s_and_saveexec_b64 s[0:1], vcc
	s_xor_b64 s[0:1], exec, s[0:1]
; %bb.35:
	v_cmp_ne_u32_e32 vcc, 0, v230
	s_nop 1
	v_cndmask_b32_e32 v230, 3, v230, vcc
; %bb.36:
	s_andn2_saveexec_b64 s[0:1], s[0:1]
	s_cbranch_execz .LBB30_38
; %bb.37:
	v_div_scale_f32 v31, s[2:3], v45, v45, 1.0
	v_rcp_f32_e32 v60, v31
	v_div_scale_f32 v75, vcc, 1.0, v45, 1.0
	v_fma_f32 v90, -v31, v60, 1.0
	v_fmac_f32_e32 v60, v90, v60
	v_mul_f32_e32 v90, v75, v60
	v_fma_f32 v105, -v31, v90, v75
	v_fmac_f32_e32 v90, v105, v60
	v_fma_f32 v31, -v31, v90, v75
	v_div_fmas_f32 v31, v31, v60, v90
	v_div_fixup_f32 v45, v31, v45, 1.0
.LBB30_38:
	s_or_b64 exec, exec, s[0:1]
	v_cmp_ne_u32_e32 vcc, v236, v30
	s_and_saveexec_b64 s[0:1], vcc
	s_xor_b64 s[0:1], exec, s[0:1]
	s_cbranch_execz .LBB30_44
; %bb.39:
	v_cmp_eq_u32_e32 vcc, 2, v236
	s_and_saveexec_b64 s[2:3], vcc
	s_cbranch_execz .LBB30_43
; %bb.40:
	v_cmp_ne_u32_e32 vcc, 2, v30
	s_xor_b64 s[18:19], s[16:17], -1
	s_and_b64 s[20:21], s[18:19], vcc
	s_and_saveexec_b64 s[18:19], s[20:21]
	s_cbranch_execz .LBB30_42
; %bb.41:
	v_ashrrev_i32_e32 v31, 31, v30
	v_lshl_add_u64 v[232:233], v[30:31], 2, v[214:215]
	global_load_dword v31, v[232:233], off
	global_load_dword v60, v[214:215], off offset:8
	s_waitcnt vmcnt(1)
	global_store_dword v[214:215], v31, off offset:8
	s_waitcnt vmcnt(1)
	global_store_dword v[232:233], v60, off
.LBB30_42:
	s_or_b64 exec, exec, s[18:19]
	v_mov_b32_e32 v233, v30
	v_mov_b32_e32 v236, v30
.LBB30_43:
	s_or_b64 exec, exec, s[2:3]
.LBB30_44:
	s_andn2_saveexec_b64 s[0:1], s[0:1]
	s_cbranch_execz .LBB30_46
; %bb.45:
	v_mov_b32_e32 v236, 2
	ds_write2_b32 v234, v3, v4 offset0:3 offset1:4
	ds_write2_b32 v234, v5, v6 offset0:5 offset1:6
	;; [unrolled: 1-line block ×6, first 2 shown]
	ds_write_b32 v234, v217 offset:60
.LBB30_46:
	s_or_b64 exec, exec, s[0:1]
	v_cmp_lt_i32_e32 vcc, 2, v236
	s_waitcnt lgkmcnt(0)
	s_barrier
	s_and_saveexec_b64 s[0:1], vcc
	s_cbranch_execz .LBB30_48
; %bb.47:
	ds_read2_b32 v[0:1], v234 offset0:3 offset1:4
	v_mul_f32_e32 v194, v231, v45
	v_mov_b32_e32 v2, v3
	v_mov_b32_e32 v3, v4
	v_mov_b64_e32 v[176:177], v[192:193]
	s_waitcnt lgkmcnt(0)
	v_pk_fma_f32 v[228:229], v[194:195], v[0:1], v[2:3] op_sel_hi:[0,1,1] neg_lo:[1,0,0] neg_hi:[1,0,0]
	v_mov_b64_e32 v[178:179], v[194:195]
	ds_read2_b32 v[16:17], v234 offset0:5 offset1:6
	ds_read2_b32 v[18:19], v234 offset0:7 offset1:8
	;; [unrolled: 1-line block ×3, first 2 shown]
	v_mov_b64_e32 v[180:181], v[196:197]
	v_mov_b64_e32 v[182:183], v[198:199]
	;; [unrolled: 1-line block ×6, first 2 shown]
	v_mov_b32_e32 v179, v228
	v_mov_b64_e32 v[160:161], v[176:177]
	v_mov_b64_e32 v[164:165], v[180:181]
	v_mov_b32_e32 v0, v5
	v_mov_b32_e32 v1, v6
	v_mov_b64_e32 v[162:163], v[178:179]
	v_mov_b64_e32 v[166:167], v[182:183]
	;; [unrolled: 1-line block ×6, first 2 shown]
	v_mov_b32_e32 v164, v229
	v_mov_b64_e32 v[144:145], v[160:161]
	s_waitcnt lgkmcnt(2)
	v_pk_fma_f32 v[226:227], v[194:195], v[16:17], v[0:1] op_sel_hi:[0,1,1] neg_lo:[1,0,0] neg_hi:[1,0,0]
	v_mov_b64_e32 v[148:149], v[164:165]
	v_mov_b64_e32 v[146:147], v[162:163]
	;; [unrolled: 1-line block ×7, first 2 shown]
	v_mov_b32_e32 v149, v226
	v_mov_b64_e32 v[128:129], v[144:145]
	v_mov_b64_e32 v[134:135], v[150:151]
	v_mov_b32_e32 v0, v7
	v_mov_b32_e32 v1, v8
	v_mov_b64_e32 v[130:131], v[146:147]
	v_mov_b64_e32 v[132:133], v[148:149]
	;; [unrolled: 1-line block ×6, first 2 shown]
	v_mov_b32_e32 v134, v227
	v_mov_b64_e32 v[112:113], v[128:129]
	s_waitcnt lgkmcnt(1)
	v_pk_fma_f32 v[224:225], v[194:195], v[18:19], v[0:1] op_sel_hi:[0,1,1] neg_lo:[1,0,0] neg_hi:[1,0,0]
	v_mov_b64_e32 v[118:119], v[134:135]
	v_mov_b64_e32 v[114:115], v[130:131]
	;; [unrolled: 1-line block ×7, first 2 shown]
	v_mov_b32_e32 v119, v224
	v_mov_b64_e32 v[96:97], v[112:113]
	v_mov_b32_e32 v0, v9
	v_mov_b32_e32 v1, v10
	v_mov_b64_e32 v[104:105], v[120:121]
	s_waitcnt lgkmcnt(0)
	v_pk_fma_f32 v[222:223], v[194:195], v[20:21], v[0:1] op_sel_hi:[0,1,1] neg_lo:[1,0,0] neg_hi:[1,0,0]
	ds_read2_b32 v[0:1], v234 offset0:11 offset1:12
	v_mov_b64_e32 v[98:99], v[114:115]
	v_mov_b64_e32 v[100:101], v[116:117]
	;; [unrolled: 1-line block ×6, first 2 shown]
	v_mov_b32_e32 v104, v225
	v_mov_b64_e32 v[80:81], v[96:97]
	v_mov_b64_e32 v[88:89], v[104:105]
	;; [unrolled: 1-line block ×8, first 2 shown]
	v_mov_b32_e32 v89, v222
	v_mov_b64_e32 v[64:65], v[80:81]
	v_mov_b64_e32 v[74:75], v[90:91]
	v_mov_b32_e32 v2, v11
	v_mov_b32_e32 v3, v12
	v_mov_b64_e32 v[66:67], v[82:83]
	v_mov_b64_e32 v[68:69], v[84:85]
	;; [unrolled: 1-line block ×6, first 2 shown]
	v_mov_b32_e32 v74, v223
	v_mov_b64_e32 v[48:49], v[64:65]
	ds_read2_b32 v[4:5], v234 offset0:13 offset1:14
	ds_read_b32 v6, v234 offset:60
	s_waitcnt lgkmcnt(2)
	v_pk_fma_f32 v[220:221], v[194:195], v[0:1], v[2:3] op_sel_hi:[0,1,1] neg_lo:[1,0,0] neg_hi:[1,0,0]
	v_mov_b64_e32 v[58:59], v[74:75]
	v_mov_b64_e32 v[50:51], v[66:67]
	;; [unrolled: 1-line block ×7, first 2 shown]
	v_mov_b32_e32 v59, v220
	v_mov_b64_e32 v[32:33], v[48:49]
	v_mov_b64_e32 v[44:45], v[60:61]
	v_mov_b32_e32 v0, v13
	v_mov_b32_e32 v1, v14
	v_mov_b64_e32 v[34:35], v[50:51]
	v_mov_b64_e32 v[36:37], v[52:53]
	;; [unrolled: 1-line block ×6, first 2 shown]
	v_mov_b32_e32 v44, v221
	v_mov_b64_e32 v[16:17], v[32:33]
	s_waitcnt lgkmcnt(1)
	v_pk_fma_f32 v[218:219], v[194:195], v[4:5], v[0:1] op_sel_hi:[0,1,1] neg_lo:[1,0,0] neg_hi:[1,0,0]
	v_mov_b64_e32 v[28:29], v[44:45]
	s_waitcnt lgkmcnt(0)
	v_fma_f32 v217, -v194, v6, v217
	v_mov_b64_e32 v[18:19], v[34:35]
	v_mov_b64_e32 v[20:21], v[36:37]
	;; [unrolled: 1-line block ×6, first 2 shown]
	v_mov_b32_e32 v29, v218
	v_mov_b64_e32 v[0:1], v[16:17]
	v_mov_b64_e32 v[14:15], v[30:31]
	;; [unrolled: 1-line block ×9, first 2 shown]
	v_mov_b32_e32 v14, v219
	v_mov_b32_e32 v15, v217
	v_mov_b64_e32 v[206:207], v[204:205]
	v_mov_b64_e32 v[204:205], v[202:203]
	;; [unrolled: 1-line block ×7, first 2 shown]
.LBB30_48:
	s_or_b64 exec, exec, s[0:1]
	v_lshl_add_u32 v30, v236, 2, v234
	s_barrier
	ds_write_b32 v30, v228
	s_waitcnt lgkmcnt(0)
	s_barrier
	ds_read_b32 v45, v234 offset:12
	s_cmp_lt_i32 s22, 5
	v_mov_b32_e32 v30, 3
	s_cbranch_scc1 .LBB30_51
; %bb.49:
	v_add3_u32 v31, v235, 0, 16
	v_mov_b32_e32 v30, 3
	s_mov_b32 s0, 4
.LBB30_50:                              ; =>This Inner Loop Header: Depth=1
	ds_read_b32 v60, v31
	v_mov_b32_e32 v75, s0
	s_add_i32 s0, s0, 1
	v_add_u32_e32 v31, 4, v31
	s_cmp_lg_u32 s22, s0
	s_waitcnt lgkmcnt(0)
	v_cmp_lt_f32_e64 vcc, |v45|, |v60|
	s_nop 1
	v_cndmask_b32_e32 v45, v45, v60, vcc
	v_cndmask_b32_e32 v30, v30, v75, vcc
	s_cbranch_scc1 .LBB30_50
.LBB30_51:
	s_waitcnt lgkmcnt(0)
	v_cmp_eq_f32_e32 vcc, 0, v45
	s_and_saveexec_b64 s[0:1], vcc
	s_xor_b64 s[0:1], exec, s[0:1]
; %bb.52:
	v_cmp_ne_u32_e32 vcc, 0, v230
	s_nop 1
	v_cndmask_b32_e32 v230, 4, v230, vcc
; %bb.53:
	s_andn2_saveexec_b64 s[0:1], s[0:1]
	s_cbranch_execz .LBB30_55
; %bb.54:
	v_div_scale_f32 v31, s[2:3], v45, v45, 1.0
	v_rcp_f32_e32 v60, v31
	v_div_scale_f32 v75, vcc, 1.0, v45, 1.0
	v_fma_f32 v90, -v31, v60, 1.0
	v_fmac_f32_e32 v60, v90, v60
	v_mul_f32_e32 v90, v75, v60
	v_fma_f32 v105, -v31, v90, v75
	v_fmac_f32_e32 v90, v105, v60
	v_fma_f32 v31, -v31, v90, v75
	v_div_fmas_f32 v31, v31, v60, v90
	v_div_fixup_f32 v45, v31, v45, 1.0
.LBB30_55:
	s_or_b64 exec, exec, s[0:1]
	v_cmp_ne_u32_e32 vcc, v236, v30
	s_and_saveexec_b64 s[0:1], vcc
	s_xor_b64 s[0:1], exec, s[0:1]
	s_cbranch_execz .LBB30_61
; %bb.56:
	v_cmp_eq_u32_e32 vcc, 3, v236
	s_and_saveexec_b64 s[2:3], vcc
	s_cbranch_execz .LBB30_60
; %bb.57:
	v_cmp_ne_u32_e32 vcc, 3, v30
	s_xor_b64 s[18:19], s[16:17], -1
	s_and_b64 s[20:21], s[18:19], vcc
	s_and_saveexec_b64 s[18:19], s[20:21]
	s_cbranch_execz .LBB30_59
; %bb.58:
	v_ashrrev_i32_e32 v31, 31, v30
	v_lshl_add_u64 v[192:193], v[30:31], 2, v[214:215]
	global_load_dword v31, v[192:193], off
	global_load_dword v60, v[214:215], off offset:12
	s_waitcnt vmcnt(1)
	global_store_dword v[214:215], v31, off offset:12
	s_waitcnt vmcnt(1)
	global_store_dword v[192:193], v60, off
.LBB30_59:
	s_or_b64 exec, exec, s[18:19]
	v_mov_b32_e32 v233, v30
	v_mov_b32_e32 v236, v30
.LBB30_60:
	s_or_b64 exec, exec, s[2:3]
.LBB30_61:
	s_andn2_saveexec_b64 s[0:1], s[0:1]
	s_cbranch_execz .LBB30_63
; %bb.62:
	v_mov_b32_e32 v236, 3
	ds_write2_b32 v234, v4, v5 offset0:4 offset1:5
	ds_write2_b32 v234, v6, v7 offset0:6 offset1:7
	;; [unrolled: 1-line block ×6, first 2 shown]
.LBB30_63:
	s_or_b64 exec, exec, s[0:1]
	v_cmp_lt_i32_e32 vcc, 3, v236
	s_waitcnt lgkmcnt(0)
	s_barrier
	s_and_saveexec_b64 s[0:1], vcc
	s_cbranch_execz .LBB30_65
; %bb.64:
	ds_read2_b32 v[0:1], v234 offset0:4 offset1:5
	v_mul_f32_e32 v2, v228, v45
	v_mov_b32_e32 v197, v2
	v_mov_b64_e32 v[160:161], v[194:195]
	v_mov_b64_e32 v[164:165], v[198:199]
	s_waitcnt lgkmcnt(0)
	v_pk_fma_f32 v[192:193], v[2:3], v[0:1], v[4:5] op_sel_hi:[0,1,1] neg_lo:[1,0,0] neg_hi:[1,0,0]
	ds_read2_b32 v[16:17], v234 offset0:6 offset1:7
	ds_read2_b32 v[18:19], v234 offset0:8 offset1:9
	;; [unrolled: 1-line block ×3, first 2 shown]
	v_mov_b64_e32 v[162:163], v[196:197]
	v_mov_b64_e32 v[166:167], v[200:201]
	;; [unrolled: 1-line block ×6, first 2 shown]
	v_mov_b32_e32 v164, v192
	v_mov_b64_e32 v[144:145], v[160:161]
	v_mov_b64_e32 v[148:149], v[164:165]
	;; [unrolled: 1-line block ×8, first 2 shown]
	v_mov_b32_e32 v149, v193
	v_mov_b64_e32 v[128:129], v[144:145]
	s_waitcnt lgkmcnt(2)
	v_pk_fma_f32 v[218:219], v[2:3], v[16:17], v[6:7] op_sel_hi:[0,1,1] neg_lo:[1,0,0] neg_hi:[1,0,0]
	v_mov_b64_e32 v[134:135], v[150:151]
	v_mov_b64_e32 v[130:131], v[146:147]
	;; [unrolled: 1-line block ×7, first 2 shown]
	v_mov_b32_e32 v134, v218
	v_mov_b64_e32 v[112:113], v[128:129]
	v_mov_b64_e32 v[118:119], v[134:135]
	;; [unrolled: 1-line block ×8, first 2 shown]
	v_mov_b32_e32 v119, v219
	v_mov_b64_e32 v[96:97], v[112:113]
	s_waitcnt lgkmcnt(1)
	v_pk_fma_f32 v[220:221], v[2:3], v[18:19], v[8:9] op_sel_hi:[0,1,1] neg_lo:[1,0,0] neg_hi:[1,0,0]
	v_mov_b64_e32 v[104:105], v[120:121]
	v_mov_b64_e32 v[98:99], v[114:115]
	v_mov_b64_e32 v[100:101], v[116:117]
	v_mov_b64_e32 v[102:103], v[118:119]
	v_mov_b64_e32 v[106:107], v[122:123]
	v_mov_b64_e32 v[108:109], v[124:125]
	v_mov_b64_e32 v[110:111], v[126:127]
	v_mov_b32_e32 v104, v220
	v_mov_b64_e32 v[80:81], v[96:97]
	v_mov_b64_e32 v[88:89], v[104:105]
	;; [unrolled: 1-line block ×8, first 2 shown]
	v_mov_b32_e32 v89, v221
	v_mov_b64_e32 v[64:65], v[80:81]
	ds_read2_b32 v[0:1], v234 offset0:12 offset1:13
	ds_read2_b32 v[4:5], v234 offset0:14 offset1:15
	s_waitcnt lgkmcnt(2)
	v_pk_fma_f32 v[238:239], v[2:3], v[20:21], v[10:11] op_sel_hi:[0,1,1] neg_lo:[1,0,0] neg_hi:[1,0,0]
	v_mov_b64_e32 v[74:75], v[90:91]
	v_mov_b64_e32 v[66:67], v[82:83]
	v_mov_b64_e32 v[68:69], v[84:85]
	v_mov_b64_e32 v[70:71], v[86:87]
	v_mov_b64_e32 v[72:73], v[88:89]
	v_mov_b64_e32 v[76:77], v[92:93]
	v_mov_b64_e32 v[78:79], v[94:95]
	v_mov_b32_e32 v74, v238
	v_mov_b64_e32 v[48:49], v[64:65]
	v_mov_b64_e32 v[58:59], v[74:75]
	;; [unrolled: 1-line block ×8, first 2 shown]
	v_mov_b32_e32 v59, v239
	v_mov_b64_e32 v[32:33], v[48:49]
	s_waitcnt lgkmcnt(1)
	v_pk_fma_f32 v[240:241], v[2:3], v[0:1], v[12:13] op_sel_hi:[0,1,1] neg_lo:[1,0,0] neg_hi:[1,0,0]
	v_mov_b64_e32 v[44:45], v[60:61]
	v_mov_b64_e32 v[34:35], v[50:51]
	;; [unrolled: 1-line block ×7, first 2 shown]
	v_mov_b32_e32 v44, v240
	v_mov_b64_e32 v[16:17], v[32:33]
	v_mov_b64_e32 v[28:29], v[44:45]
	s_waitcnt lgkmcnt(0)
	v_pk_fma_f32 v[216:217], v[2:3], v[4:5], v[14:15] op_sel_hi:[0,1,1] neg_lo:[1,0,0] neg_hi:[1,0,0]
	v_mov_b64_e32 v[18:19], v[34:35]
	v_mov_b64_e32 v[20:21], v[36:37]
	;; [unrolled: 1-line block ×6, first 2 shown]
	v_mov_b32_e32 v29, v241
	v_mov_b64_e32 v[0:1], v[16:17]
	v_mov_b64_e32 v[14:15], v[30:31]
	;; [unrolled: 1-line block ×9, first 2 shown]
	v_mov_b32_e32 v14, v216
	v_mov_b32_e32 v15, v217
	v_mov_b64_e32 v[178:179], v[196:197]
	v_mov_b64_e32 v[180:181], v[198:199]
	;; [unrolled: 1-line block ×7, first 2 shown]
	v_mov_b32_e32 v229, v192
	v_mov_b32_e32 v226, v193
	;; [unrolled: 1-line block ×11, first 2 shown]
.LBB30_65:
	s_or_b64 exec, exec, s[0:1]
	v_lshl_add_u32 v30, v236, 2, v234
	s_barrier
	ds_write_b32 v30, v229
	s_waitcnt lgkmcnt(0)
	s_barrier
	ds_read_b32 v45, v234 offset:16
	s_cmp_lt_i32 s22, 6
	v_mov_b32_e32 v30, 4
	s_cbranch_scc1 .LBB30_68
; %bb.66:
	v_add3_u32 v31, v235, 0, 20
	v_mov_b32_e32 v30, 4
	s_mov_b32 s0, 5
.LBB30_67:                              ; =>This Inner Loop Header: Depth=1
	ds_read_b32 v60, v31
	v_mov_b32_e32 v75, s0
	s_add_i32 s0, s0, 1
	v_add_u32_e32 v31, 4, v31
	s_cmp_lg_u32 s22, s0
	s_waitcnt lgkmcnt(0)
	v_cmp_lt_f32_e64 vcc, |v45|, |v60|
	s_nop 1
	v_cndmask_b32_e32 v45, v45, v60, vcc
	v_cndmask_b32_e32 v30, v30, v75, vcc
	s_cbranch_scc1 .LBB30_67
.LBB30_68:
	s_waitcnt lgkmcnt(0)
	v_cmp_eq_f32_e32 vcc, 0, v45
	s_and_saveexec_b64 s[0:1], vcc
	s_xor_b64 s[0:1], exec, s[0:1]
; %bb.69:
	v_cmp_ne_u32_e32 vcc, 0, v230
	s_nop 1
	v_cndmask_b32_e32 v230, 5, v230, vcc
; %bb.70:
	s_andn2_saveexec_b64 s[0:1], s[0:1]
	s_cbranch_execz .LBB30_72
; %bb.71:
	v_div_scale_f32 v31, s[2:3], v45, v45, 1.0
	v_rcp_f32_e32 v60, v31
	v_div_scale_f32 v75, vcc, 1.0, v45, 1.0
	v_fma_f32 v90, -v31, v60, 1.0
	v_fmac_f32_e32 v60, v90, v60
	v_mul_f32_e32 v90, v75, v60
	v_fma_f32 v105, -v31, v90, v75
	v_fmac_f32_e32 v90, v105, v60
	v_fma_f32 v31, -v31, v90, v75
	v_div_fmas_f32 v31, v31, v60, v90
	v_div_fixup_f32 v45, v31, v45, 1.0
.LBB30_72:
	s_or_b64 exec, exec, s[0:1]
	v_cmp_ne_u32_e32 vcc, v236, v30
	s_and_saveexec_b64 s[0:1], vcc
	s_xor_b64 s[0:1], exec, s[0:1]
	s_cbranch_execz .LBB30_78
; %bb.73:
	v_cmp_eq_u32_e32 vcc, 4, v236
	s_and_saveexec_b64 s[2:3], vcc
	s_cbranch_execz .LBB30_77
; %bb.74:
	v_cmp_ne_u32_e32 vcc, 4, v30
	s_xor_b64 s[18:19], s[16:17], -1
	s_and_b64 s[20:21], s[18:19], vcc
	s_and_saveexec_b64 s[18:19], s[20:21]
	s_cbranch_execz .LBB30_76
; %bb.75:
	v_ashrrev_i32_e32 v31, 31, v30
	v_lshl_add_u64 v[192:193], v[30:31], 2, v[214:215]
	global_load_dword v31, v[192:193], off
	global_load_dword v60, v[214:215], off offset:16
	s_waitcnt vmcnt(1)
	global_store_dword v[214:215], v31, off offset:16
	s_waitcnt vmcnt(1)
	global_store_dword v[192:193], v60, off
.LBB30_76:
	s_or_b64 exec, exec, s[18:19]
	v_mov_b32_e32 v233, v30
	v_mov_b32_e32 v236, v30
.LBB30_77:
	s_or_b64 exec, exec, s[2:3]
.LBB30_78:
	s_andn2_saveexec_b64 s[0:1], s[0:1]
	s_cbranch_execz .LBB30_80
; %bb.79:
	v_mov_b32_e32 v236, 4
	ds_write2_b32 v234, v5, v6 offset0:5 offset1:6
	ds_write2_b32 v234, v7, v8 offset0:7 offset1:8
	;; [unrolled: 1-line block ×5, first 2 shown]
	ds_write_b32 v234, v217 offset:60
.LBB30_80:
	s_or_b64 exec, exec, s[0:1]
	v_cmp_lt_i32_e32 vcc, 4, v236
	s_waitcnt lgkmcnt(0)
	s_barrier
	s_and_saveexec_b64 s[0:1], vcc
	s_cbranch_execz .LBB30_82
; %bb.81:
	ds_read2_b32 v[0:1], v234 offset0:5 offset1:6
	v_mul_f32_e32 v180, v229, v45
	v_mov_b32_e32 v2, v5
	v_mov_b32_e32 v3, v6
	v_mov_b64_e32 v[144:145], v[176:177]
	s_waitcnt lgkmcnt(0)
	v_pk_fma_f32 v[226:227], v[180:181], v[0:1], v[2:3] op_sel_hi:[0,1,1] neg_lo:[1,0,0] neg_hi:[1,0,0]
	v_mov_b64_e32 v[148:149], v[180:181]
	ds_read2_b32 v[4:5], v234 offset0:7 offset1:8
	ds_read2_b32 v[16:17], v234 offset0:9 offset1:10
	;; [unrolled: 1-line block ×3, first 2 shown]
	v_mov_b64_e32 v[146:147], v[178:179]
	v_mov_b64_e32 v[150:151], v[182:183]
	;; [unrolled: 1-line block ×6, first 2 shown]
	v_mov_b32_e32 v149, v226
	v_mov_b64_e32 v[128:129], v[144:145]
	v_mov_b64_e32 v[134:135], v[150:151]
	v_mov_b32_e32 v0, v7
	v_mov_b32_e32 v1, v8
	v_mov_b64_e32 v[130:131], v[146:147]
	v_mov_b64_e32 v[132:133], v[148:149]
	;; [unrolled: 1-line block ×6, first 2 shown]
	v_mov_b32_e32 v134, v227
	v_mov_b64_e32 v[112:113], v[128:129]
	s_waitcnt lgkmcnt(2)
	v_pk_fma_f32 v[224:225], v[180:181], v[4:5], v[0:1] op_sel_hi:[0,1,1] neg_lo:[1,0,0] neg_hi:[1,0,0]
	v_mov_b64_e32 v[118:119], v[134:135]
	v_mov_b64_e32 v[114:115], v[130:131]
	;; [unrolled: 1-line block ×7, first 2 shown]
	v_mov_b32_e32 v119, v224
	v_mov_b64_e32 v[96:97], v[112:113]
	v_mov_b64_e32 v[104:105], v[120:121]
	v_mov_b32_e32 v0, v9
	v_mov_b32_e32 v1, v10
	v_mov_b64_e32 v[98:99], v[114:115]
	v_mov_b64_e32 v[100:101], v[116:117]
	;; [unrolled: 1-line block ×6, first 2 shown]
	v_mov_b32_e32 v104, v225
	v_mov_b64_e32 v[80:81], v[96:97]
	s_waitcnt lgkmcnt(1)
	v_pk_fma_f32 v[222:223], v[180:181], v[16:17], v[0:1] op_sel_hi:[0,1,1] neg_lo:[1,0,0] neg_hi:[1,0,0]
	v_mov_b64_e32 v[88:89], v[104:105]
	v_mov_b64_e32 v[82:83], v[98:99]
	;; [unrolled: 1-line block ×7, first 2 shown]
	v_mov_b32_e32 v89, v222
	v_mov_b64_e32 v[64:65], v[80:81]
	v_mov_b64_e32 v[74:75], v[90:91]
	v_mov_b32_e32 v0, v11
	v_mov_b32_e32 v1, v12
	v_mov_b64_e32 v[66:67], v[82:83]
	v_mov_b64_e32 v[68:69], v[84:85]
	v_mov_b64_e32 v[70:71], v[86:87]
	v_mov_b64_e32 v[72:73], v[88:89]
	v_mov_b64_e32 v[76:77], v[92:93]
	v_mov_b64_e32 v[78:79], v[94:95]
	v_mov_b32_e32 v74, v223
	v_mov_b64_e32 v[48:49], v[64:65]
	ds_read2_b32 v[2:3], v234 offset0:13 offset1:14
	ds_read_b32 v4, v234 offset:60
	s_waitcnt lgkmcnt(2)
	v_pk_fma_f32 v[220:221], v[180:181], v[18:19], v[0:1] op_sel_hi:[0,1,1] neg_lo:[1,0,0] neg_hi:[1,0,0]
	v_mov_b64_e32 v[58:59], v[74:75]
	v_mov_b64_e32 v[50:51], v[66:67]
	v_mov_b64_e32 v[52:53], v[68:69]
	v_mov_b64_e32 v[54:55], v[70:71]
	v_mov_b64_e32 v[56:57], v[72:73]
	v_mov_b64_e32 v[60:61], v[76:77]
	v_mov_b64_e32 v[62:63], v[78:79]
	v_mov_b32_e32 v59, v220
	v_mov_b64_e32 v[32:33], v[48:49]
	v_mov_b64_e32 v[44:45], v[60:61]
	v_mov_b32_e32 v0, v13
	v_mov_b32_e32 v1, v14
	v_mov_b64_e32 v[34:35], v[50:51]
	v_mov_b64_e32 v[36:37], v[52:53]
	;; [unrolled: 1-line block ×6, first 2 shown]
	v_mov_b32_e32 v44, v221
	v_mov_b64_e32 v[16:17], v[32:33]
	s_waitcnt lgkmcnt(1)
	v_pk_fma_f32 v[218:219], v[180:181], v[2:3], v[0:1] op_sel_hi:[0,1,1] neg_lo:[1,0,0] neg_hi:[1,0,0]
	v_mov_b64_e32 v[28:29], v[44:45]
	s_waitcnt lgkmcnt(0)
	v_fma_f32 v217, -v180, v4, v217
	v_mov_b64_e32 v[18:19], v[34:35]
	v_mov_b64_e32 v[20:21], v[36:37]
	;; [unrolled: 1-line block ×6, first 2 shown]
	v_mov_b32_e32 v29, v218
	v_mov_b64_e32 v[0:1], v[16:17]
	v_mov_b64_e32 v[14:15], v[30:31]
	;; [unrolled: 1-line block ×9, first 2 shown]
	v_mov_b32_e32 v14, v219
	v_mov_b32_e32 v15, v217
	v_mov_b64_e32 v[162:163], v[178:179]
	v_mov_b64_e32 v[164:165], v[180:181]
	;; [unrolled: 1-line block ×7, first 2 shown]
.LBB30_82:
	s_or_b64 exec, exec, s[0:1]
	v_lshl_add_u32 v30, v236, 2, v234
	s_barrier
	ds_write_b32 v30, v226
	s_waitcnt lgkmcnt(0)
	s_barrier
	ds_read_b32 v45, v234 offset:20
	s_cmp_lt_i32 s22, 7
	v_mov_b32_e32 v30, 5
	s_cbranch_scc1 .LBB30_85
; %bb.83:
	v_add3_u32 v31, v235, 0, 24
	v_mov_b32_e32 v30, 5
	s_mov_b32 s0, 6
.LBB30_84:                              ; =>This Inner Loop Header: Depth=1
	ds_read_b32 v60, v31
	v_mov_b32_e32 v75, s0
	s_add_i32 s0, s0, 1
	v_add_u32_e32 v31, 4, v31
	s_cmp_lg_u32 s22, s0
	s_waitcnt lgkmcnt(0)
	v_cmp_lt_f32_e64 vcc, |v45|, |v60|
	s_nop 1
	v_cndmask_b32_e32 v45, v45, v60, vcc
	v_cndmask_b32_e32 v30, v30, v75, vcc
	s_cbranch_scc1 .LBB30_84
.LBB30_85:
	s_waitcnt lgkmcnt(0)
	v_cmp_eq_f32_e32 vcc, 0, v45
	s_and_saveexec_b64 s[0:1], vcc
	s_xor_b64 s[0:1], exec, s[0:1]
; %bb.86:
	v_cmp_ne_u32_e32 vcc, 0, v230
	s_nop 1
	v_cndmask_b32_e32 v230, 6, v230, vcc
; %bb.87:
	s_andn2_saveexec_b64 s[0:1], s[0:1]
	s_cbranch_execz .LBB30_89
; %bb.88:
	v_div_scale_f32 v31, s[2:3], v45, v45, 1.0
	v_rcp_f32_e32 v60, v31
	v_div_scale_f32 v75, vcc, 1.0, v45, 1.0
	v_fma_f32 v90, -v31, v60, 1.0
	v_fmac_f32_e32 v60, v90, v60
	v_mul_f32_e32 v90, v75, v60
	v_fma_f32 v105, -v31, v90, v75
	v_fmac_f32_e32 v90, v105, v60
	v_fma_f32 v31, -v31, v90, v75
	v_div_fmas_f32 v31, v31, v60, v90
	v_div_fixup_f32 v45, v31, v45, 1.0
.LBB30_89:
	s_or_b64 exec, exec, s[0:1]
	v_cmp_ne_u32_e32 vcc, v236, v30
	s_and_saveexec_b64 s[0:1], vcc
	s_xor_b64 s[0:1], exec, s[0:1]
	s_cbranch_execz .LBB30_95
; %bb.90:
	v_cmp_eq_u32_e32 vcc, 5, v236
	s_and_saveexec_b64 s[2:3], vcc
	s_cbranch_execz .LBB30_94
; %bb.91:
	v_cmp_ne_u32_e32 vcc, 5, v30
	s_xor_b64 s[18:19], s[16:17], -1
	s_and_b64 s[20:21], s[18:19], vcc
	s_and_saveexec_b64 s[18:19], s[20:21]
	s_cbranch_execz .LBB30_93
; %bb.92:
	v_ashrrev_i32_e32 v31, 31, v30
	v_lshl_add_u64 v[176:177], v[30:31], 2, v[214:215]
	global_load_dword v31, v[176:177], off
	global_load_dword v60, v[214:215], off offset:20
	s_waitcnt vmcnt(1)
	global_store_dword v[214:215], v31, off offset:20
	s_waitcnt vmcnt(1)
	global_store_dword v[176:177], v60, off
.LBB30_93:
	s_or_b64 exec, exec, s[18:19]
	v_mov_b32_e32 v233, v30
	v_mov_b32_e32 v236, v30
.LBB30_94:
	s_or_b64 exec, exec, s[2:3]
.LBB30_95:
	s_andn2_saveexec_b64 s[0:1], s[0:1]
	s_cbranch_execz .LBB30_97
; %bb.96:
	v_mov_b32_e32 v236, 5
	ds_write2_b32 v234, v6, v7 offset0:6 offset1:7
	ds_write2_b32 v234, v8, v9 offset0:8 offset1:9
	;; [unrolled: 1-line block ×5, first 2 shown]
.LBB30_97:
	s_or_b64 exec, exec, s[0:1]
	v_cmp_lt_i32_e32 vcc, 5, v236
	s_waitcnt lgkmcnt(0)
	s_barrier
	s_and_saveexec_b64 s[0:1], vcc
	s_cbranch_execz .LBB30_99
; %bb.98:
	v_mul_f32_e32 v0, v226, v45
	ds_read2_b32 v[2:3], v234 offset0:6 offset1:7
	ds_read2_b32 v[4:5], v234 offset0:8 offset1:9
	;; [unrolled: 1-line block ×5, first 2 shown]
	v_mov_b32_e32 v165, v0
	v_mov_b64_e32 v[128:129], v[160:161]
	s_waitcnt lgkmcnt(4)
	v_pk_fma_f32 v[176:177], v[0:1], v[2:3], v[6:7] op_sel_hi:[0,1,1] neg_lo:[1,0,0] neg_hi:[1,0,0]
	v_mov_b64_e32 v[134:135], v[166:167]
	v_mov_b64_e32 v[130:131], v[162:163]
	v_mov_b64_e32 v[132:133], v[164:165]
	v_mov_b64_e32 v[136:137], v[168:169]
	v_mov_b64_e32 v[138:139], v[170:171]
	v_mov_b64_e32 v[140:141], v[172:173]
	v_mov_b64_e32 v[142:143], v[174:175]
	v_mov_b32_e32 v134, v176
	v_mov_b64_e32 v[112:113], v[128:129]
	v_mov_b64_e32 v[118:119], v[134:135]
	v_mov_b64_e32 v[114:115], v[130:131]
	v_mov_b64_e32 v[116:117], v[132:133]
	v_mov_b64_e32 v[120:121], v[136:137]
	v_mov_b64_e32 v[122:123], v[138:139]
	v_mov_b64_e32 v[124:125], v[140:141]
	v_mov_b64_e32 v[126:127], v[142:143]
	v_mov_b32_e32 v119, v177
	v_mov_b64_e32 v[96:97], v[112:113]
	s_waitcnt lgkmcnt(3)
	v_pk_fma_f32 v[178:179], v[0:1], v[4:5], v[8:9] op_sel_hi:[0,1,1] neg_lo:[1,0,0] neg_hi:[1,0,0]
	v_mov_b64_e32 v[104:105], v[120:121]
	v_mov_b64_e32 v[98:99], v[114:115]
	v_mov_b64_e32 v[100:101], v[116:117]
	v_mov_b64_e32 v[102:103], v[118:119]
	v_mov_b64_e32 v[106:107], v[122:123]
	v_mov_b64_e32 v[108:109], v[124:125]
	v_mov_b64_e32 v[110:111], v[126:127]
	v_mov_b32_e32 v104, v178
	v_mov_b64_e32 v[80:81], v[96:97]
	v_mov_b64_e32 v[88:89], v[104:105]
	v_mov_b64_e32 v[82:83], v[98:99]
	v_mov_b64_e32 v[84:85], v[100:101]
	v_mov_b64_e32 v[86:87], v[102:103]
	v_mov_b64_e32 v[90:91], v[106:107]
	v_mov_b64_e32 v[92:93], v[108:109]
	v_mov_b64_e32 v[94:95], v[110:111]
	;; [unrolled: 20-line block ×3, first 2 shown]
	v_mov_b32_e32 v59, v181
	v_mov_b64_e32 v[32:33], v[48:49]
	s_waitcnt lgkmcnt(1)
	v_pk_fma_f32 v[182:183], v[0:1], v[18:19], v[12:13] op_sel_hi:[0,1,1] neg_lo:[1,0,0] neg_hi:[1,0,0]
	v_mov_b64_e32 v[44:45], v[60:61]
	s_waitcnt lgkmcnt(0)
	v_pk_fma_f32 v[216:217], v[0:1], v[20:21], v[14:15] op_sel_hi:[0,1,1] neg_lo:[1,0,0] neg_hi:[1,0,0]
	v_mov_b64_e32 v[34:35], v[50:51]
	v_mov_b64_e32 v[36:37], v[52:53]
	;; [unrolled: 1-line block ×6, first 2 shown]
	v_mov_b32_e32 v44, v182
	v_mov_b64_e32 v[16:17], v[32:33]
	v_mov_b64_e32 v[28:29], v[44:45]
	;; [unrolled: 1-line block ×8, first 2 shown]
	v_mov_b32_e32 v29, v183
	v_mov_b64_e32 v[0:1], v[16:17]
	v_mov_b64_e32 v[14:15], v[30:31]
	;; [unrolled: 1-line block ×9, first 2 shown]
	v_mov_b32_e32 v14, v216
	v_mov_b32_e32 v15, v217
	v_mov_b64_e32 v[146:147], v[162:163]
	v_mov_b64_e32 v[148:149], v[164:165]
	;; [unrolled: 1-line block ×7, first 2 shown]
	v_mov_b32_e32 v227, v176
	v_mov_b32_e32 v224, v177
	v_mov_b32_e32 v225, v178
	v_mov_b32_e32 v222, v179
	v_mov_b32_e32 v223, v180
	v_mov_b32_e32 v220, v181
	v_mov_b32_e32 v221, v182
	v_mov_b32_e32 v218, v183
	v_mov_b32_e32 v219, v216
.LBB30_99:
	s_or_b64 exec, exec, s[0:1]
	v_lshl_add_u32 v30, v236, 2, v234
	s_barrier
	ds_write_b32 v30, v227
	s_waitcnt lgkmcnt(0)
	s_barrier
	ds_read_b32 v45, v234 offset:24
	s_cmp_lt_i32 s22, 8
	v_mov_b32_e32 v30, 6
	s_cbranch_scc1 .LBB30_102
; %bb.100:
	v_add3_u32 v31, v235, 0, 28
	v_mov_b32_e32 v30, 6
	s_mov_b32 s0, 7
.LBB30_101:                             ; =>This Inner Loop Header: Depth=1
	ds_read_b32 v60, v31
	v_mov_b32_e32 v75, s0
	s_add_i32 s0, s0, 1
	v_add_u32_e32 v31, 4, v31
	s_cmp_lg_u32 s22, s0
	s_waitcnt lgkmcnt(0)
	v_cmp_lt_f32_e64 vcc, |v45|, |v60|
	s_nop 1
	v_cndmask_b32_e32 v45, v45, v60, vcc
	v_cndmask_b32_e32 v30, v30, v75, vcc
	s_cbranch_scc1 .LBB30_101
.LBB30_102:
	s_waitcnt lgkmcnt(0)
	v_cmp_eq_f32_e32 vcc, 0, v45
	s_and_saveexec_b64 s[0:1], vcc
	s_xor_b64 s[0:1], exec, s[0:1]
; %bb.103:
	v_cmp_ne_u32_e32 vcc, 0, v230
	s_nop 1
	v_cndmask_b32_e32 v230, 7, v230, vcc
; %bb.104:
	s_andn2_saveexec_b64 s[0:1], s[0:1]
	s_cbranch_execz .LBB30_106
; %bb.105:
	v_div_scale_f32 v31, s[2:3], v45, v45, 1.0
	v_rcp_f32_e32 v60, v31
	v_div_scale_f32 v75, vcc, 1.0, v45, 1.0
	v_fma_f32 v90, -v31, v60, 1.0
	v_fmac_f32_e32 v60, v90, v60
	v_mul_f32_e32 v90, v75, v60
	v_fma_f32 v105, -v31, v90, v75
	v_fmac_f32_e32 v90, v105, v60
	v_fma_f32 v31, -v31, v90, v75
	v_div_fmas_f32 v31, v31, v60, v90
	v_div_fixup_f32 v45, v31, v45, 1.0
.LBB30_106:
	s_or_b64 exec, exec, s[0:1]
	v_cmp_ne_u32_e32 vcc, v236, v30
	s_and_saveexec_b64 s[0:1], vcc
	s_xor_b64 s[0:1], exec, s[0:1]
	s_cbranch_execz .LBB30_112
; %bb.107:
	v_cmp_eq_u32_e32 vcc, 6, v236
	s_and_saveexec_b64 s[2:3], vcc
	s_cbranch_execz .LBB30_111
; %bb.108:
	v_cmp_ne_u32_e32 vcc, 6, v30
	s_xor_b64 s[18:19], s[16:17], -1
	s_and_b64 s[20:21], s[18:19], vcc
	s_and_saveexec_b64 s[18:19], s[20:21]
	s_cbranch_execz .LBB30_110
; %bb.109:
	v_ashrrev_i32_e32 v31, 31, v30
	v_lshl_add_u64 v[160:161], v[30:31], 2, v[214:215]
	global_load_dword v31, v[160:161], off
	global_load_dword v60, v[214:215], off offset:24
	s_waitcnt vmcnt(1)
	global_store_dword v[214:215], v31, off offset:24
	s_waitcnt vmcnt(1)
	global_store_dword v[160:161], v60, off
.LBB30_110:
	s_or_b64 exec, exec, s[18:19]
	v_mov_b32_e32 v233, v30
	v_mov_b32_e32 v236, v30
.LBB30_111:
	s_or_b64 exec, exec, s[2:3]
.LBB30_112:
	s_andn2_saveexec_b64 s[0:1], s[0:1]
	s_cbranch_execz .LBB30_114
; %bb.113:
	v_mov_b32_e32 v236, 6
	ds_write2_b32 v234, v7, v8 offset0:7 offset1:8
	ds_write2_b32 v234, v9, v10 offset0:9 offset1:10
	;; [unrolled: 1-line block ×4, first 2 shown]
	ds_write_b32 v234, v217 offset:60
.LBB30_114:
	s_or_b64 exec, exec, s[0:1]
	v_cmp_lt_i32_e32 vcc, 6, v236
	s_waitcnt lgkmcnt(0)
	s_barrier
	s_and_saveexec_b64 s[0:1], vcc
	s_cbranch_execz .LBB30_116
; %bb.115:
	ds_read2_b32 v[0:1], v234 offset0:7 offset1:8
	v_mul_f32_e32 v150, v227, v45
	v_mov_b32_e32 v2, v7
	v_mov_b32_e32 v3, v8
	v_mov_b64_e32 v[112:113], v[144:145]
	s_waitcnt lgkmcnt(0)
	v_pk_fma_f32 v[224:225], v[150:151], v[0:1], v[2:3] op_sel_hi:[0,1,1] neg_lo:[1,0,0] neg_hi:[1,0,0]
	v_mov_b64_e32 v[118:119], v[150:151]
	ds_read2_b32 v[4:5], v234 offset0:9 offset1:10
	ds_read2_b32 v[6:7], v234 offset0:11 offset1:12
	ds_read2_b32 v[16:17], v234 offset0:13 offset1:14
	v_mov_b64_e32 v[114:115], v[146:147]
	v_mov_b64_e32 v[116:117], v[148:149]
	;; [unrolled: 1-line block ×6, first 2 shown]
	v_mov_b32_e32 v119, v224
	v_mov_b64_e32 v[96:97], v[112:113]
	v_mov_b64_e32 v[104:105], v[120:121]
	v_mov_b32_e32 v0, v9
	v_mov_b32_e32 v1, v10
	v_mov_b64_e32 v[98:99], v[114:115]
	v_mov_b64_e32 v[100:101], v[116:117]
	;; [unrolled: 1-line block ×6, first 2 shown]
	v_mov_b32_e32 v104, v225
	v_mov_b64_e32 v[80:81], v[96:97]
	s_waitcnt lgkmcnt(2)
	v_pk_fma_f32 v[222:223], v[150:151], v[4:5], v[0:1] op_sel_hi:[0,1,1] neg_lo:[1,0,0] neg_hi:[1,0,0]
	v_mov_b64_e32 v[88:89], v[104:105]
	v_mov_b64_e32 v[82:83], v[98:99]
	;; [unrolled: 1-line block ×7, first 2 shown]
	v_mov_b32_e32 v89, v222
	v_mov_b64_e32 v[64:65], v[80:81]
	v_mov_b64_e32 v[74:75], v[90:91]
	v_mov_b32_e32 v0, v11
	v_mov_b32_e32 v1, v12
	v_mov_b64_e32 v[66:67], v[82:83]
	v_mov_b64_e32 v[68:69], v[84:85]
	;; [unrolled: 1-line block ×6, first 2 shown]
	v_mov_b32_e32 v74, v223
	v_mov_b64_e32 v[48:49], v[64:65]
	ds_read_b32 v2, v234 offset:60
	s_waitcnt lgkmcnt(2)
	v_pk_fma_f32 v[220:221], v[150:151], v[6:7], v[0:1] op_sel_hi:[0,1,1] neg_lo:[1,0,0] neg_hi:[1,0,0]
	v_mov_b64_e32 v[58:59], v[74:75]
	v_mov_b64_e32 v[50:51], v[66:67]
	;; [unrolled: 1-line block ×7, first 2 shown]
	v_mov_b32_e32 v59, v220
	v_mov_b64_e32 v[32:33], v[48:49]
	v_mov_b32_e32 v0, v13
	v_mov_b32_e32 v1, v14
	v_mov_b64_e32 v[44:45], v[60:61]
	s_waitcnt lgkmcnt(1)
	v_pk_fma_f32 v[218:219], v[150:151], v[16:17], v[0:1] op_sel_hi:[0,1,1] neg_lo:[1,0,0] neg_hi:[1,0,0]
	v_mov_b64_e32 v[34:35], v[50:51]
	v_mov_b64_e32 v[36:37], v[52:53]
	;; [unrolled: 1-line block ×6, first 2 shown]
	v_mov_b32_e32 v44, v221
	v_mov_b64_e32 v[16:17], v[32:33]
	v_mov_b64_e32 v[28:29], v[44:45]
	s_waitcnt lgkmcnt(0)
	v_fma_f32 v217, -v150, v2, v217
	v_mov_b64_e32 v[18:19], v[34:35]
	v_mov_b64_e32 v[20:21], v[36:37]
	;; [unrolled: 1-line block ×6, first 2 shown]
	v_mov_b32_e32 v29, v218
	v_mov_b64_e32 v[0:1], v[16:17]
	v_mov_b64_e32 v[14:15], v[30:31]
	;; [unrolled: 1-line block ×9, first 2 shown]
	v_mov_b32_e32 v14, v219
	v_mov_b32_e32 v15, v217
	v_mov_b64_e32 v[130:131], v[146:147]
	v_mov_b64_e32 v[132:133], v[148:149]
	;; [unrolled: 1-line block ×7, first 2 shown]
.LBB30_116:
	s_or_b64 exec, exec, s[0:1]
	v_lshl_add_u32 v30, v236, 2, v234
	s_barrier
	ds_write_b32 v30, v224
	s_waitcnt lgkmcnt(0)
	s_barrier
	ds_read_b32 v45, v234 offset:28
	s_cmp_lt_i32 s22, 9
	v_mov_b32_e32 v30, 7
	s_cbranch_scc1 .LBB30_119
; %bb.117:
	v_add3_u32 v31, v235, 0, 32
	v_mov_b32_e32 v30, 7
	s_mov_b32 s0, 8
.LBB30_118:                             ; =>This Inner Loop Header: Depth=1
	ds_read_b32 v60, v31
	v_mov_b32_e32 v75, s0
	s_add_i32 s0, s0, 1
	v_add_u32_e32 v31, 4, v31
	s_cmp_lg_u32 s22, s0
	s_waitcnt lgkmcnt(0)
	v_cmp_lt_f32_e64 vcc, |v45|, |v60|
	s_nop 1
	v_cndmask_b32_e32 v45, v45, v60, vcc
	v_cndmask_b32_e32 v30, v30, v75, vcc
	s_cbranch_scc1 .LBB30_118
.LBB30_119:
	s_waitcnt lgkmcnt(0)
	v_cmp_eq_f32_e32 vcc, 0, v45
	s_and_saveexec_b64 s[0:1], vcc
	s_xor_b64 s[0:1], exec, s[0:1]
; %bb.120:
	v_cmp_ne_u32_e32 vcc, 0, v230
	s_nop 1
	v_cndmask_b32_e32 v230, 8, v230, vcc
; %bb.121:
	s_andn2_saveexec_b64 s[0:1], s[0:1]
	s_cbranch_execz .LBB30_123
; %bb.122:
	v_div_scale_f32 v31, s[2:3], v45, v45, 1.0
	v_rcp_f32_e32 v60, v31
	v_div_scale_f32 v75, vcc, 1.0, v45, 1.0
	v_fma_f32 v90, -v31, v60, 1.0
	v_fmac_f32_e32 v60, v90, v60
	v_mul_f32_e32 v90, v75, v60
	v_fma_f32 v105, -v31, v90, v75
	v_fmac_f32_e32 v90, v105, v60
	v_fma_f32 v31, -v31, v90, v75
	v_div_fmas_f32 v31, v31, v60, v90
	v_div_fixup_f32 v45, v31, v45, 1.0
.LBB30_123:
	s_or_b64 exec, exec, s[0:1]
	v_cmp_ne_u32_e32 vcc, v236, v30
	s_and_saveexec_b64 s[0:1], vcc
	s_xor_b64 s[0:1], exec, s[0:1]
	s_cbranch_execz .LBB30_129
; %bb.124:
	v_cmp_eq_u32_e32 vcc, 7, v236
	s_and_saveexec_b64 s[2:3], vcc
	s_cbranch_execz .LBB30_128
; %bb.125:
	v_cmp_ne_u32_e32 vcc, 7, v30
	s_xor_b64 s[18:19], s[16:17], -1
	s_and_b64 s[20:21], s[18:19], vcc
	s_and_saveexec_b64 s[18:19], s[20:21]
	s_cbranch_execz .LBB30_127
; %bb.126:
	v_ashrrev_i32_e32 v31, 31, v30
	v_lshl_add_u64 v[144:145], v[30:31], 2, v[214:215]
	global_load_dword v31, v[144:145], off
	global_load_dword v60, v[214:215], off offset:28
	s_waitcnt vmcnt(1)
	global_store_dword v[214:215], v31, off offset:28
	s_waitcnt vmcnt(1)
	global_store_dword v[144:145], v60, off
.LBB30_127:
	s_or_b64 exec, exec, s[18:19]
	v_mov_b32_e32 v233, v30
	v_mov_b32_e32 v236, v30
.LBB30_128:
	s_or_b64 exec, exec, s[2:3]
.LBB30_129:
	s_andn2_saveexec_b64 s[0:1], s[0:1]
	s_cbranch_execz .LBB30_131
; %bb.130:
	v_mov_b32_e32 v236, 7
	ds_write2_b32 v234, v8, v9 offset0:8 offset1:9
	ds_write2_b32 v234, v10, v11 offset0:10 offset1:11
	;; [unrolled: 1-line block ×4, first 2 shown]
.LBB30_131:
	s_or_b64 exec, exec, s[0:1]
	v_cmp_lt_i32_e32 vcc, 7, v236
	s_waitcnt lgkmcnt(0)
	s_barrier
	s_and_saveexec_b64 s[0:1], vcc
	s_cbranch_execz .LBB30_133
; %bb.132:
	ds_read2_b32 v[0:1], v234 offset0:8 offset1:9
	ds_read2_b32 v[2:3], v234 offset0:10 offset1:11
	;; [unrolled: 1-line block ×4, first 2 shown]
	v_mul_f32_e32 v16, v224, v45
	v_mov_b32_e32 v135, v16
	v_mov_b64_e32 v[96:97], v[128:129]
	s_waitcnt lgkmcnt(3)
	v_pk_fma_f32 v[144:145], v[16:17], v[0:1], v[8:9] op_sel_hi:[0,1,1] neg_lo:[1,0,0] neg_hi:[1,0,0]
	v_mov_b64_e32 v[104:105], v[136:137]
	v_mov_b64_e32 v[98:99], v[130:131]
	;; [unrolled: 1-line block ×7, first 2 shown]
	v_mov_b32_e32 v104, v144
	v_mov_b64_e32 v[80:81], v[96:97]
	v_mov_b64_e32 v[88:89], v[104:105]
	;; [unrolled: 1-line block ×8, first 2 shown]
	v_mov_b32_e32 v89, v145
	v_mov_b64_e32 v[64:65], v[80:81]
	s_waitcnt lgkmcnt(2)
	v_pk_fma_f32 v[146:147], v[16:17], v[2:3], v[10:11] op_sel_hi:[0,1,1] neg_lo:[1,0,0] neg_hi:[1,0,0]
	v_mov_b64_e32 v[74:75], v[90:91]
	v_mov_b64_e32 v[66:67], v[82:83]
	;; [unrolled: 1-line block ×7, first 2 shown]
	v_mov_b32_e32 v74, v146
	v_mov_b64_e32 v[48:49], v[64:65]
	v_mov_b64_e32 v[58:59], v[74:75]
	;; [unrolled: 1-line block ×8, first 2 shown]
	v_mov_b32_e32 v59, v147
	v_mov_b64_e32 v[32:33], v[48:49]
	s_waitcnt lgkmcnt(1)
	v_pk_fma_f32 v[148:149], v[16:17], v[4:5], v[12:13] op_sel_hi:[0,1,1] neg_lo:[1,0,0] neg_hi:[1,0,0]
	v_mov_b64_e32 v[44:45], v[60:61]
	s_waitcnt lgkmcnt(0)
	v_pk_fma_f32 v[216:217], v[16:17], v[6:7], v[14:15] op_sel_hi:[0,1,1] neg_lo:[1,0,0] neg_hi:[1,0,0]
	v_mov_b64_e32 v[34:35], v[50:51]
	v_mov_b64_e32 v[36:37], v[52:53]
	;; [unrolled: 1-line block ×6, first 2 shown]
	v_mov_b32_e32 v44, v148
	v_mov_b64_e32 v[16:17], v[32:33]
	v_mov_b64_e32 v[28:29], v[44:45]
	;; [unrolled: 1-line block ×8, first 2 shown]
	v_mov_b32_e32 v29, v149
	v_mov_b64_e32 v[0:1], v[16:17]
	v_mov_b64_e32 v[14:15], v[30:31]
	;; [unrolled: 1-line block ×9, first 2 shown]
	v_mov_b32_e32 v14, v216
	v_mov_b32_e32 v15, v217
	v_mov_b64_e32 v[114:115], v[130:131]
	v_mov_b64_e32 v[116:117], v[132:133]
	;; [unrolled: 1-line block ×7, first 2 shown]
	v_mov_b32_e32 v225, v144
	v_mov_b32_e32 v222, v145
	;; [unrolled: 1-line block ×7, first 2 shown]
.LBB30_133:
	s_or_b64 exec, exec, s[0:1]
	v_lshl_add_u32 v30, v236, 2, v234
	s_barrier
	ds_write_b32 v30, v225
	s_waitcnt lgkmcnt(0)
	s_barrier
	ds_read_b32 v45, v234 offset:32
	s_cmp_lt_i32 s22, 10
	v_mov_b32_e32 v30, 8
	s_cbranch_scc1 .LBB30_136
; %bb.134:
	v_add3_u32 v31, v235, 0, 36
	v_mov_b32_e32 v30, 8
	s_mov_b32 s0, 9
.LBB30_135:                             ; =>This Inner Loop Header: Depth=1
	ds_read_b32 v60, v31
	v_mov_b32_e32 v75, s0
	s_add_i32 s0, s0, 1
	v_add_u32_e32 v31, 4, v31
	s_cmp_lg_u32 s22, s0
	s_waitcnt lgkmcnt(0)
	v_cmp_lt_f32_e64 vcc, |v45|, |v60|
	s_nop 1
	v_cndmask_b32_e32 v45, v45, v60, vcc
	v_cndmask_b32_e32 v30, v30, v75, vcc
	s_cbranch_scc1 .LBB30_135
.LBB30_136:
	s_waitcnt lgkmcnt(0)
	v_cmp_eq_f32_e32 vcc, 0, v45
	s_and_saveexec_b64 s[0:1], vcc
	s_xor_b64 s[0:1], exec, s[0:1]
; %bb.137:
	v_cmp_ne_u32_e32 vcc, 0, v230
	s_nop 1
	v_cndmask_b32_e32 v230, 9, v230, vcc
; %bb.138:
	s_andn2_saveexec_b64 s[0:1], s[0:1]
	s_cbranch_execz .LBB30_140
; %bb.139:
	v_div_scale_f32 v31, s[2:3], v45, v45, 1.0
	v_rcp_f32_e32 v60, v31
	v_div_scale_f32 v75, vcc, 1.0, v45, 1.0
	v_fma_f32 v90, -v31, v60, 1.0
	v_fmac_f32_e32 v60, v90, v60
	v_mul_f32_e32 v90, v75, v60
	v_fma_f32 v105, -v31, v90, v75
	v_fmac_f32_e32 v90, v105, v60
	v_fma_f32 v31, -v31, v90, v75
	v_div_fmas_f32 v31, v31, v60, v90
	v_div_fixup_f32 v45, v31, v45, 1.0
.LBB30_140:
	s_or_b64 exec, exec, s[0:1]
	v_cmp_ne_u32_e32 vcc, v236, v30
	s_and_saveexec_b64 s[0:1], vcc
	s_xor_b64 s[0:1], exec, s[0:1]
	s_cbranch_execz .LBB30_146
; %bb.141:
	v_cmp_eq_u32_e32 vcc, 8, v236
	s_and_saveexec_b64 s[2:3], vcc
	s_cbranch_execz .LBB30_145
; %bb.142:
	v_cmp_ne_u32_e32 vcc, 8, v30
	s_xor_b64 s[18:19], s[16:17], -1
	s_and_b64 s[20:21], s[18:19], vcc
	s_and_saveexec_b64 s[18:19], s[20:21]
	s_cbranch_execz .LBB30_144
; %bb.143:
	v_ashrrev_i32_e32 v31, 31, v30
	v_lshl_add_u64 v[128:129], v[30:31], 2, v[214:215]
	global_load_dword v31, v[128:129], off
	global_load_dword v60, v[214:215], off offset:32
	s_waitcnt vmcnt(1)
	global_store_dword v[214:215], v31, off offset:32
	s_waitcnt vmcnt(1)
	global_store_dword v[128:129], v60, off
.LBB30_144:
	s_or_b64 exec, exec, s[18:19]
	v_mov_b32_e32 v233, v30
	v_mov_b32_e32 v236, v30
.LBB30_145:
	s_or_b64 exec, exec, s[2:3]
.LBB30_146:
	s_andn2_saveexec_b64 s[0:1], s[0:1]
	s_cbranch_execz .LBB30_148
; %bb.147:
	v_mov_b32_e32 v236, 8
	ds_write2_b32 v234, v9, v10 offset0:9 offset1:10
	ds_write2_b32 v234, v11, v12 offset0:11 offset1:12
	ds_write2_b32 v234, v13, v14 offset0:13 offset1:14
	ds_write_b32 v234, v217 offset:60
.LBB30_148:
	s_or_b64 exec, exec, s[0:1]
	v_cmp_lt_i32_e32 vcc, 8, v236
	s_waitcnt lgkmcnt(0)
	s_barrier
	s_and_saveexec_b64 s[0:1], vcc
	s_cbranch_execz .LBB30_150
; %bb.149:
	ds_read2_b32 v[0:1], v234 offset0:9 offset1:10
	v_mul_f32_e32 v120, v225, v45
	v_mov_b32_e32 v2, v9
	v_mov_b32_e32 v3, v10
	v_mov_b64_e32 v[80:81], v[112:113]
	s_waitcnt lgkmcnt(0)
	v_pk_fma_f32 v[222:223], v[120:121], v[0:1], v[2:3] op_sel_hi:[0,1,1] neg_lo:[1,0,0] neg_hi:[1,0,0]
	v_mov_b64_e32 v[88:89], v[120:121]
	ds_read2_b32 v[4:5], v234 offset0:11 offset1:12
	ds_read2_b32 v[6:7], v234 offset0:13 offset1:14
	ds_read_b32 v8, v234 offset:60
	v_mov_b64_e32 v[82:83], v[114:115]
	v_mov_b64_e32 v[84:85], v[116:117]
	;; [unrolled: 1-line block ×6, first 2 shown]
	v_mov_b32_e32 v89, v222
	v_mov_b64_e32 v[64:65], v[80:81]
	v_mov_b64_e32 v[74:75], v[90:91]
	v_mov_b32_e32 v0, v11
	v_mov_b32_e32 v1, v12
	v_mov_b64_e32 v[66:67], v[82:83]
	v_mov_b64_e32 v[68:69], v[84:85]
	;; [unrolled: 1-line block ×6, first 2 shown]
	v_mov_b32_e32 v74, v223
	v_mov_b64_e32 v[48:49], v[64:65]
	s_waitcnt lgkmcnt(2)
	v_pk_fma_f32 v[220:221], v[120:121], v[4:5], v[0:1] op_sel_hi:[0,1,1] neg_lo:[1,0,0] neg_hi:[1,0,0]
	v_mov_b64_e32 v[58:59], v[74:75]
	v_mov_b64_e32 v[50:51], v[66:67]
	;; [unrolled: 1-line block ×7, first 2 shown]
	v_mov_b32_e32 v59, v220
	v_mov_b64_e32 v[32:33], v[48:49]
	v_mov_b64_e32 v[44:45], v[60:61]
	v_mov_b32_e32 v0, v13
	v_mov_b32_e32 v1, v14
	v_mov_b64_e32 v[34:35], v[50:51]
	v_mov_b64_e32 v[36:37], v[52:53]
	;; [unrolled: 1-line block ×6, first 2 shown]
	v_mov_b32_e32 v44, v221
	v_mov_b64_e32 v[16:17], v[32:33]
	s_waitcnt lgkmcnt(1)
	v_pk_fma_f32 v[218:219], v[120:121], v[6:7], v[0:1] op_sel_hi:[0,1,1] neg_lo:[1,0,0] neg_hi:[1,0,0]
	v_mov_b64_e32 v[28:29], v[44:45]
	s_waitcnt lgkmcnt(0)
	v_fma_f32 v217, -v120, v8, v217
	v_mov_b64_e32 v[18:19], v[34:35]
	v_mov_b64_e32 v[20:21], v[36:37]
	;; [unrolled: 1-line block ×6, first 2 shown]
	v_mov_b32_e32 v29, v218
	v_mov_b64_e32 v[0:1], v[16:17]
	v_mov_b64_e32 v[14:15], v[30:31]
	;; [unrolled: 1-line block ×9, first 2 shown]
	v_mov_b32_e32 v14, v219
	v_mov_b32_e32 v15, v217
	v_mov_b64_e32 v[98:99], v[114:115]
	v_mov_b64_e32 v[100:101], v[116:117]
	;; [unrolled: 1-line block ×7, first 2 shown]
.LBB30_150:
	s_or_b64 exec, exec, s[0:1]
	v_lshl_add_u32 v30, v236, 2, v234
	s_barrier
	ds_write_b32 v30, v222
	s_waitcnt lgkmcnt(0)
	s_barrier
	ds_read_b32 v45, v234 offset:36
	s_cmp_lt_i32 s22, 11
	v_mov_b32_e32 v30, 9
	s_cbranch_scc1 .LBB30_153
; %bb.151:
	v_add3_u32 v31, v235, 0, 40
	v_mov_b32_e32 v30, 9
	s_mov_b32 s0, 10
.LBB30_152:                             ; =>This Inner Loop Header: Depth=1
	ds_read_b32 v60, v31
	v_mov_b32_e32 v75, s0
	s_add_i32 s0, s0, 1
	v_add_u32_e32 v31, 4, v31
	s_cmp_lg_u32 s22, s0
	s_waitcnt lgkmcnt(0)
	v_cmp_lt_f32_e64 vcc, |v45|, |v60|
	s_nop 1
	v_cndmask_b32_e32 v45, v45, v60, vcc
	v_cndmask_b32_e32 v30, v30, v75, vcc
	s_cbranch_scc1 .LBB30_152
.LBB30_153:
	s_waitcnt lgkmcnt(0)
	v_cmp_eq_f32_e32 vcc, 0, v45
	s_and_saveexec_b64 s[0:1], vcc
	s_xor_b64 s[0:1], exec, s[0:1]
; %bb.154:
	v_cmp_ne_u32_e32 vcc, 0, v230
	s_nop 1
	v_cndmask_b32_e32 v230, 10, v230, vcc
; %bb.155:
	s_andn2_saveexec_b64 s[0:1], s[0:1]
	s_cbranch_execz .LBB30_157
; %bb.156:
	v_div_scale_f32 v31, s[2:3], v45, v45, 1.0
	v_rcp_f32_e32 v60, v31
	v_div_scale_f32 v75, vcc, 1.0, v45, 1.0
	v_fma_f32 v90, -v31, v60, 1.0
	v_fmac_f32_e32 v60, v90, v60
	v_mul_f32_e32 v90, v75, v60
	v_fma_f32 v105, -v31, v90, v75
	v_fmac_f32_e32 v90, v105, v60
	v_fma_f32 v31, -v31, v90, v75
	v_div_fmas_f32 v31, v31, v60, v90
	v_div_fixup_f32 v45, v31, v45, 1.0
.LBB30_157:
	s_or_b64 exec, exec, s[0:1]
	v_cmp_ne_u32_e32 vcc, v236, v30
	s_and_saveexec_b64 s[0:1], vcc
	s_xor_b64 s[0:1], exec, s[0:1]
	s_cbranch_execz .LBB30_163
; %bb.158:
	v_cmp_eq_u32_e32 vcc, 9, v236
	s_and_saveexec_b64 s[2:3], vcc
	s_cbranch_execz .LBB30_162
; %bb.159:
	v_cmp_ne_u32_e32 vcc, 9, v30
	s_xor_b64 s[18:19], s[16:17], -1
	s_and_b64 s[20:21], s[18:19], vcc
	s_and_saveexec_b64 s[18:19], s[20:21]
	s_cbranch_execz .LBB30_161
; %bb.160:
	v_ashrrev_i32_e32 v31, 31, v30
	v_lshl_add_u64 v[112:113], v[30:31], 2, v[214:215]
	global_load_dword v31, v[112:113], off
	global_load_dword v60, v[214:215], off offset:36
	s_waitcnt vmcnt(1)
	global_store_dword v[214:215], v31, off offset:36
	s_waitcnt vmcnt(1)
	global_store_dword v[112:113], v60, off
.LBB30_161:
	s_or_b64 exec, exec, s[18:19]
	v_mov_b32_e32 v233, v30
	v_mov_b32_e32 v236, v30
.LBB30_162:
	s_or_b64 exec, exec, s[2:3]
.LBB30_163:
	s_andn2_saveexec_b64 s[0:1], s[0:1]
	s_cbranch_execz .LBB30_165
; %bb.164:
	v_mov_b32_e32 v236, 9
	ds_write2_b32 v234, v10, v11 offset0:10 offset1:11
	ds_write2_b32 v234, v12, v13 offset0:12 offset1:13
	;; [unrolled: 1-line block ×3, first 2 shown]
.LBB30_165:
	s_or_b64 exec, exec, s[0:1]
	v_cmp_lt_i32_e32 vcc, 9, v236
	s_waitcnt lgkmcnt(0)
	s_barrier
	s_and_saveexec_b64 s[0:1], vcc
	s_cbranch_execz .LBB30_167
; %bb.166:
	ds_read2_b32 v[0:1], v234 offset0:10 offset1:11
	ds_read2_b32 v[2:3], v234 offset0:12 offset1:13
	ds_read2_b32 v[4:5], v234 offset0:14 offset1:15
	v_mul_f32_e32 v6, v222, v45
	v_mov_b32_e32 v105, v6
	v_mov_b64_e32 v[64:65], v[96:97]
	s_waitcnt lgkmcnt(2)
	v_pk_fma_f32 v[112:113], v[6:7], v[0:1], v[10:11] op_sel_hi:[0,1,1] neg_lo:[1,0,0] neg_hi:[1,0,0]
	v_mov_b64_e32 v[74:75], v[106:107]
	v_mov_b64_e32 v[66:67], v[98:99]
	;; [unrolled: 1-line block ×7, first 2 shown]
	v_mov_b32_e32 v74, v112
	v_mov_b64_e32 v[48:49], v[64:65]
	v_mov_b64_e32 v[58:59], v[74:75]
	;; [unrolled: 1-line block ×8, first 2 shown]
	v_mov_b32_e32 v59, v113
	v_mov_b64_e32 v[32:33], v[48:49]
	s_waitcnt lgkmcnt(1)
	v_pk_fma_f32 v[114:115], v[6:7], v[2:3], v[12:13] op_sel_hi:[0,1,1] neg_lo:[1,0,0] neg_hi:[1,0,0]
	v_mov_b64_e32 v[44:45], v[60:61]
	v_mov_b64_e32 v[34:35], v[50:51]
	;; [unrolled: 1-line block ×7, first 2 shown]
	v_mov_b32_e32 v44, v114
	v_mov_b64_e32 v[16:17], v[32:33]
	v_mov_b64_e32 v[28:29], v[44:45]
	s_waitcnt lgkmcnt(0)
	v_pk_fma_f32 v[216:217], v[6:7], v[4:5], v[14:15] op_sel_hi:[0,1,1] neg_lo:[1,0,0] neg_hi:[1,0,0]
	v_mov_b64_e32 v[18:19], v[34:35]
	v_mov_b64_e32 v[20:21], v[36:37]
	;; [unrolled: 1-line block ×6, first 2 shown]
	v_mov_b32_e32 v29, v115
	v_mov_b64_e32 v[0:1], v[16:17]
	v_mov_b64_e32 v[14:15], v[30:31]
	;; [unrolled: 1-line block ×9, first 2 shown]
	v_mov_b32_e32 v14, v216
	v_mov_b32_e32 v15, v217
	v_mov_b64_e32 v[82:83], v[98:99]
	v_mov_b64_e32 v[84:85], v[100:101]
	;; [unrolled: 1-line block ×7, first 2 shown]
	v_mov_b32_e32 v223, v112
	v_mov_b32_e32 v220, v113
	;; [unrolled: 1-line block ×5, first 2 shown]
.LBB30_167:
	s_or_b64 exec, exec, s[0:1]
	v_lshl_add_u32 v30, v236, 2, v234
	s_barrier
	ds_write_b32 v30, v223
	s_waitcnt lgkmcnt(0)
	s_barrier
	ds_read_b32 v45, v234 offset:40
	s_cmp_lt_i32 s22, 12
	v_mov_b32_e32 v30, 10
	s_cbranch_scc1 .LBB30_170
; %bb.168:
	v_add3_u32 v31, v235, 0, 44
	v_mov_b32_e32 v30, 10
	s_mov_b32 s0, 11
.LBB30_169:                             ; =>This Inner Loop Header: Depth=1
	ds_read_b32 v60, v31
	v_mov_b32_e32 v75, s0
	s_add_i32 s0, s0, 1
	v_add_u32_e32 v31, 4, v31
	s_cmp_lg_u32 s22, s0
	s_waitcnt lgkmcnt(0)
	v_cmp_lt_f32_e64 vcc, |v45|, |v60|
	s_nop 1
	v_cndmask_b32_e32 v45, v45, v60, vcc
	v_cndmask_b32_e32 v30, v30, v75, vcc
	s_cbranch_scc1 .LBB30_169
.LBB30_170:
	s_waitcnt lgkmcnt(0)
	v_cmp_eq_f32_e32 vcc, 0, v45
	s_and_saveexec_b64 s[0:1], vcc
	s_xor_b64 s[0:1], exec, s[0:1]
; %bb.171:
	v_cmp_ne_u32_e32 vcc, 0, v230
	s_nop 1
	v_cndmask_b32_e32 v230, 11, v230, vcc
; %bb.172:
	s_andn2_saveexec_b64 s[0:1], s[0:1]
	s_cbranch_execz .LBB30_174
; %bb.173:
	v_div_scale_f32 v31, s[2:3], v45, v45, 1.0
	v_rcp_f32_e32 v60, v31
	v_div_scale_f32 v75, vcc, 1.0, v45, 1.0
	v_fma_f32 v90, -v31, v60, 1.0
	v_fmac_f32_e32 v60, v90, v60
	v_mul_f32_e32 v90, v75, v60
	v_fma_f32 v96, -v31, v90, v75
	v_fmac_f32_e32 v90, v96, v60
	v_fma_f32 v31, -v31, v90, v75
	v_div_fmas_f32 v31, v31, v60, v90
	v_div_fixup_f32 v45, v31, v45, 1.0
.LBB30_174:
	s_or_b64 exec, exec, s[0:1]
	v_cmp_ne_u32_e32 vcc, v236, v30
	s_and_saveexec_b64 s[0:1], vcc
	s_xor_b64 s[0:1], exec, s[0:1]
	s_cbranch_execz .LBB30_180
; %bb.175:
	v_cmp_eq_u32_e32 vcc, 10, v236
	s_and_saveexec_b64 s[2:3], vcc
	s_cbranch_execz .LBB30_179
; %bb.176:
	v_cmp_ne_u32_e32 vcc, 10, v30
	s_xor_b64 s[18:19], s[16:17], -1
	s_and_b64 s[20:21], s[18:19], vcc
	s_and_saveexec_b64 s[18:19], s[20:21]
	s_cbranch_execz .LBB30_178
; %bb.177:
	v_ashrrev_i32_e32 v31, 31, v30
	v_lshl_add_u64 v[96:97], v[30:31], 2, v[214:215]
	global_load_dword v31, v[96:97], off
	global_load_dword v60, v[214:215], off offset:40
	s_waitcnt vmcnt(1)
	global_store_dword v[214:215], v31, off offset:40
	s_waitcnt vmcnt(1)
	global_store_dword v[96:97], v60, off
.LBB30_178:
	s_or_b64 exec, exec, s[18:19]
	v_mov_b32_e32 v233, v30
	v_mov_b32_e32 v236, v30
.LBB30_179:
	s_or_b64 exec, exec, s[2:3]
.LBB30_180:
	s_andn2_saveexec_b64 s[0:1], s[0:1]
	s_cbranch_execz .LBB30_182
; %bb.181:
	v_mov_b32_e32 v236, 10
	ds_write2_b32 v234, v11, v12 offset0:11 offset1:12
	ds_write2_b32 v234, v13, v14 offset0:13 offset1:14
	ds_write_b32 v234, v217 offset:60
.LBB30_182:
	s_or_b64 exec, exec, s[0:1]
	v_cmp_lt_i32_e32 vcc, 10, v236
	s_waitcnt lgkmcnt(0)
	s_barrier
	s_and_saveexec_b64 s[0:1], vcc
	s_cbranch_execz .LBB30_184
; %bb.183:
	ds_read2_b32 v[0:1], v234 offset0:11 offset1:12
	v_mul_f32_e32 v90, v223, v45
	v_mov_b32_e32 v2, v11
	v_mov_b32_e32 v3, v12
	v_mov_b64_e32 v[48:49], v[80:81]
	ds_read2_b32 v[4:5], v234 offset0:13 offset1:14
	ds_read_b32 v6, v234 offset:60
	s_waitcnt lgkmcnt(2)
	v_pk_fma_f32 v[220:221], v[90:91], v[0:1], v[2:3] op_sel_hi:[0,1,1] neg_lo:[1,0,0] neg_hi:[1,0,0]
	v_mov_b64_e32 v[58:59], v[90:91]
	v_mov_b64_e32 v[50:51], v[82:83]
	;; [unrolled: 1-line block ×7, first 2 shown]
	v_mov_b32_e32 v59, v220
	v_mov_b64_e32 v[32:33], v[48:49]
	v_mov_b64_e32 v[44:45], v[60:61]
	v_mov_b32_e32 v0, v13
	v_mov_b32_e32 v1, v14
	v_mov_b64_e32 v[34:35], v[50:51]
	v_mov_b64_e32 v[36:37], v[52:53]
	;; [unrolled: 1-line block ×6, first 2 shown]
	v_mov_b32_e32 v44, v221
	v_mov_b64_e32 v[16:17], v[32:33]
	s_waitcnt lgkmcnt(1)
	v_pk_fma_f32 v[218:219], v[90:91], v[4:5], v[0:1] op_sel_hi:[0,1,1] neg_lo:[1,0,0] neg_hi:[1,0,0]
	v_mov_b64_e32 v[28:29], v[44:45]
	s_waitcnt lgkmcnt(0)
	v_fma_f32 v217, -v90, v6, v217
	v_mov_b64_e32 v[18:19], v[34:35]
	v_mov_b64_e32 v[20:21], v[36:37]
	;; [unrolled: 1-line block ×6, first 2 shown]
	v_mov_b32_e32 v29, v218
	v_mov_b64_e32 v[0:1], v[16:17]
	v_mov_b64_e32 v[14:15], v[30:31]
	;; [unrolled: 1-line block ×9, first 2 shown]
	v_mov_b32_e32 v14, v219
	v_mov_b32_e32 v15, v217
	v_mov_b64_e32 v[66:67], v[82:83]
	v_mov_b64_e32 v[68:69], v[84:85]
	;; [unrolled: 1-line block ×7, first 2 shown]
.LBB30_184:
	s_or_b64 exec, exec, s[0:1]
	v_lshl_add_u32 v30, v236, 2, v234
	s_barrier
	ds_write_b32 v30, v220
	s_waitcnt lgkmcnt(0)
	s_barrier
	ds_read_b32 v45, v234 offset:44
	s_cmp_lt_i32 s22, 13
	v_mov_b32_e32 v30, 11
	s_cbranch_scc1 .LBB30_187
; %bb.185:
	v_add3_u32 v31, v235, 0, 48
	v_mov_b32_e32 v30, 11
	s_mov_b32 s0, 12
.LBB30_186:                             ; =>This Inner Loop Header: Depth=1
	ds_read_b32 v60, v31
	v_mov_b32_e32 v75, s0
	s_add_i32 s0, s0, 1
	v_add_u32_e32 v31, 4, v31
	s_cmp_lg_u32 s22, s0
	s_waitcnt lgkmcnt(0)
	v_cmp_lt_f32_e64 vcc, |v45|, |v60|
	s_nop 1
	v_cndmask_b32_e32 v45, v45, v60, vcc
	v_cndmask_b32_e32 v30, v30, v75, vcc
	s_cbranch_scc1 .LBB30_186
.LBB30_187:
	s_waitcnt lgkmcnt(0)
	v_cmp_eq_f32_e32 vcc, 0, v45
	s_and_saveexec_b64 s[0:1], vcc
	s_xor_b64 s[0:1], exec, s[0:1]
; %bb.188:
	v_cmp_ne_u32_e32 vcc, 0, v230
	s_nop 1
	v_cndmask_b32_e32 v230, 12, v230, vcc
; %bb.189:
	s_andn2_saveexec_b64 s[0:1], s[0:1]
	s_cbranch_execz .LBB30_191
; %bb.190:
	v_div_scale_f32 v31, s[2:3], v45, v45, 1.0
	v_rcp_f32_e32 v60, v31
	v_div_scale_f32 v75, vcc, 1.0, v45, 1.0
	v_fma_f32 v80, -v31, v60, 1.0
	v_fmac_f32_e32 v60, v80, v60
	v_mul_f32_e32 v80, v75, v60
	v_fma_f32 v81, -v31, v80, v75
	v_fmac_f32_e32 v80, v81, v60
	v_fma_f32 v31, -v31, v80, v75
	v_div_fmas_f32 v31, v31, v60, v80
	v_div_fixup_f32 v45, v31, v45, 1.0
.LBB30_191:
	s_or_b64 exec, exec, s[0:1]
	v_cmp_ne_u32_e32 vcc, v236, v30
	s_and_saveexec_b64 s[0:1], vcc
	s_xor_b64 s[0:1], exec, s[0:1]
	s_cbranch_execz .LBB30_197
; %bb.192:
	v_cmp_eq_u32_e32 vcc, 11, v236
	s_and_saveexec_b64 s[2:3], vcc
	s_cbranch_execz .LBB30_196
; %bb.193:
	v_cmp_ne_u32_e32 vcc, 11, v30
	s_xor_b64 s[18:19], s[16:17], -1
	s_and_b64 s[20:21], s[18:19], vcc
	s_and_saveexec_b64 s[18:19], s[20:21]
	s_cbranch_execz .LBB30_195
; %bb.194:
	v_ashrrev_i32_e32 v31, 31, v30
	v_lshl_add_u64 v[80:81], v[30:31], 2, v[214:215]
	global_load_dword v31, v[80:81], off
	global_load_dword v60, v[214:215], off offset:44
	s_waitcnt vmcnt(1)
	global_store_dword v[214:215], v31, off offset:44
	s_waitcnt vmcnt(1)
	global_store_dword v[80:81], v60, off
.LBB30_195:
	s_or_b64 exec, exec, s[18:19]
	v_mov_b32_e32 v233, v30
	v_mov_b32_e32 v236, v30
.LBB30_196:
	s_or_b64 exec, exec, s[2:3]
.LBB30_197:
	s_andn2_saveexec_b64 s[0:1], s[0:1]
	s_cbranch_execz .LBB30_199
; %bb.198:
	v_mov_b32_e32 v236, 11
	ds_write2_b32 v234, v12, v13 offset0:12 offset1:13
	ds_write2_b32 v234, v14, v15 offset0:14 offset1:15
.LBB30_199:
	s_or_b64 exec, exec, s[0:1]
	v_cmp_lt_i32_e32 vcc, 11, v236
	s_waitcnt lgkmcnt(0)
	s_barrier
	s_and_saveexec_b64 s[0:1], vcc
	s_cbranch_execz .LBB30_201
; %bb.200:
	ds_read2_b32 v[0:1], v234 offset0:12 offset1:13
	ds_read2_b32 v[2:3], v234 offset0:14 offset1:15
	v_mul_f32_e32 v4, v220, v45
	v_mov_b32_e32 v75, v4
	v_mov_b64_e32 v[32:33], v[64:65]
	s_waitcnt lgkmcnt(1)
	v_pk_fma_f32 v[80:81], v[4:5], v[0:1], v[12:13] op_sel_hi:[0,1,1] neg_lo:[1,0,0] neg_hi:[1,0,0]
	v_mov_b64_e32 v[44:45], v[76:77]
	v_mov_b64_e32 v[34:35], v[66:67]
	;; [unrolled: 1-line block ×7, first 2 shown]
	v_mov_b32_e32 v44, v80
	v_mov_b64_e32 v[16:17], v[32:33]
	v_mov_b64_e32 v[28:29], v[44:45]
	s_waitcnt lgkmcnt(0)
	v_pk_fma_f32 v[216:217], v[4:5], v[2:3], v[14:15] op_sel_hi:[0,1,1] neg_lo:[1,0,0] neg_hi:[1,0,0]
	v_mov_b64_e32 v[18:19], v[34:35]
	v_mov_b64_e32 v[20:21], v[36:37]
	;; [unrolled: 1-line block ×6, first 2 shown]
	v_mov_b32_e32 v29, v81
	v_mov_b64_e32 v[0:1], v[16:17]
	v_mov_b64_e32 v[14:15], v[30:31]
	;; [unrolled: 1-line block ×9, first 2 shown]
	v_mov_b32_e32 v14, v216
	v_mov_b32_e32 v15, v217
	v_mov_b64_e32 v[50:51], v[66:67]
	v_mov_b64_e32 v[52:53], v[68:69]
	;; [unrolled: 1-line block ×7, first 2 shown]
	v_mov_b32_e32 v221, v80
	v_mov_b32_e32 v218, v81
	;; [unrolled: 1-line block ×3, first 2 shown]
.LBB30_201:
	s_or_b64 exec, exec, s[0:1]
	v_lshl_add_u32 v30, v236, 2, v234
	s_barrier
	ds_write_b32 v30, v221
	s_waitcnt lgkmcnt(0)
	s_barrier
	ds_read_b32 v45, v234 offset:48
	s_cmp_lt_i32 s22, 14
	v_mov_b32_e32 v30, 12
	s_cbranch_scc1 .LBB30_204
; %bb.202:
	v_add3_u32 v31, v235, 0, 52
	v_mov_b32_e32 v30, 12
	s_mov_b32 s0, 13
.LBB30_203:                             ; =>This Inner Loop Header: Depth=1
	ds_read_b32 v60, v31
	v_mov_b32_e32 v64, s0
	s_add_i32 s0, s0, 1
	v_add_u32_e32 v31, 4, v31
	s_cmp_lg_u32 s22, s0
	s_waitcnt lgkmcnt(0)
	v_cmp_lt_f32_e64 vcc, |v45|, |v60|
	s_nop 1
	v_cndmask_b32_e32 v45, v45, v60, vcc
	v_cndmask_b32_e32 v30, v30, v64, vcc
	s_cbranch_scc1 .LBB30_203
.LBB30_204:
	s_waitcnt lgkmcnt(0)
	v_cmp_eq_f32_e32 vcc, 0, v45
	s_and_saveexec_b64 s[0:1], vcc
	s_xor_b64 s[0:1], exec, s[0:1]
; %bb.205:
	v_cmp_ne_u32_e32 vcc, 0, v230
	s_nop 1
	v_cndmask_b32_e32 v230, 13, v230, vcc
; %bb.206:
	s_andn2_saveexec_b64 s[0:1], s[0:1]
	s_cbranch_execz .LBB30_208
; %bb.207:
	v_div_scale_f32 v31, s[2:3], v45, v45, 1.0
	v_rcp_f32_e32 v60, v31
	v_div_scale_f32 v64, vcc, 1.0, v45, 1.0
	v_fma_f32 v65, -v31, v60, 1.0
	v_fmac_f32_e32 v60, v65, v60
	v_mul_f32_e32 v65, v64, v60
	v_fma_f32 v66, -v31, v65, v64
	v_fmac_f32_e32 v65, v66, v60
	v_fma_f32 v31, -v31, v65, v64
	v_div_fmas_f32 v31, v31, v60, v65
	v_div_fixup_f32 v45, v31, v45, 1.0
.LBB30_208:
	s_or_b64 exec, exec, s[0:1]
	v_cmp_ne_u32_e32 vcc, v236, v30
	s_and_saveexec_b64 s[0:1], vcc
	s_xor_b64 s[0:1], exec, s[0:1]
	s_cbranch_execz .LBB30_214
; %bb.209:
	v_cmp_eq_u32_e32 vcc, 12, v236
	s_and_saveexec_b64 s[2:3], vcc
	s_cbranch_execz .LBB30_213
; %bb.210:
	v_cmp_ne_u32_e32 vcc, 12, v30
	s_xor_b64 s[18:19], s[16:17], -1
	s_and_b64 s[20:21], s[18:19], vcc
	s_and_saveexec_b64 s[18:19], s[20:21]
	s_cbranch_execz .LBB30_212
; %bb.211:
	v_ashrrev_i32_e32 v31, 31, v30
	v_lshl_add_u64 v[64:65], v[30:31], 2, v[214:215]
	global_load_dword v31, v[64:65], off
	global_load_dword v60, v[214:215], off offset:48
	s_waitcnt vmcnt(1)
	global_store_dword v[214:215], v31, off offset:48
	s_waitcnt vmcnt(1)
	global_store_dword v[64:65], v60, off
.LBB30_212:
	s_or_b64 exec, exec, s[18:19]
	v_mov_b32_e32 v233, v30
	v_mov_b32_e32 v236, v30
.LBB30_213:
	s_or_b64 exec, exec, s[2:3]
.LBB30_214:
	s_andn2_saveexec_b64 s[0:1], s[0:1]
	s_cbranch_execz .LBB30_216
; %bb.215:
	v_mov_b32_e32 v236, 12
	ds_write2_b32 v234, v13, v14 offset0:13 offset1:14
	ds_write_b32 v234, v217 offset:60
.LBB30_216:
	s_or_b64 exec, exec, s[0:1]
	v_cmp_lt_i32_e32 vcc, 12, v236
	s_waitcnt lgkmcnt(0)
	s_barrier
	s_and_saveexec_b64 s[0:1], vcc
	s_cbranch_execz .LBB30_218
; %bb.217:
	ds_read2_b32 v[0:1], v234 offset0:13 offset1:14
	ds_read_b32 v4, v234 offset:60
	v_mul_f32_e32 v60, v221, v45
	v_mov_b32_e32 v2, v13
	v_mov_b32_e32 v3, v14
	v_mov_b64_e32 v[16:17], v[48:49]
	s_waitcnt lgkmcnt(1)
	v_pk_fma_f32 v[218:219], v[60:61], v[0:1], v[2:3] op_sel_hi:[0,1,1] neg_lo:[1,0,0] neg_hi:[1,0,0]
	v_mov_b64_e32 v[28:29], v[60:61]
	s_waitcnt lgkmcnt(0)
	v_fma_f32 v217, -v60, v4, v217
	v_mov_b64_e32 v[18:19], v[50:51]
	v_mov_b64_e32 v[20:21], v[52:53]
	;; [unrolled: 1-line block ×6, first 2 shown]
	v_mov_b32_e32 v29, v218
	v_mov_b64_e32 v[0:1], v[16:17]
	v_mov_b64_e32 v[14:15], v[30:31]
	;; [unrolled: 1-line block ×9, first 2 shown]
	v_mov_b32_e32 v14, v219
	v_mov_b32_e32 v15, v217
	v_mov_b64_e32 v[34:35], v[50:51]
	v_mov_b64_e32 v[36:37], v[52:53]
	;; [unrolled: 1-line block ×7, first 2 shown]
.LBB30_218:
	s_or_b64 exec, exec, s[0:1]
	v_lshl_add_u32 v30, v236, 2, v234
	s_barrier
	ds_write_b32 v30, v218
	s_waitcnt lgkmcnt(0)
	s_barrier
	ds_read_b32 v45, v234 offset:52
	s_cmp_lt_i32 s22, 15
	v_mov_b32_e32 v30, 13
	s_cbranch_scc1 .LBB30_221
; %bb.219:
	v_add3_u32 v31, v235, 0, 56
	v_mov_b32_e32 v30, 13
	s_mov_b32 s0, 14
.LBB30_220:                             ; =>This Inner Loop Header: Depth=1
	ds_read_b32 v48, v31
	v_mov_b32_e32 v49, s0
	s_add_i32 s0, s0, 1
	v_add_u32_e32 v31, 4, v31
	s_cmp_lg_u32 s22, s0
	s_waitcnt lgkmcnt(0)
	v_cmp_lt_f32_e64 vcc, |v45|, |v48|
	s_nop 1
	v_cndmask_b32_e32 v45, v45, v48, vcc
	v_cndmask_b32_e32 v30, v30, v49, vcc
	s_cbranch_scc1 .LBB30_220
.LBB30_221:
	s_waitcnt lgkmcnt(0)
	v_cmp_eq_f32_e32 vcc, 0, v45
	s_and_saveexec_b64 s[0:1], vcc
	s_xor_b64 s[0:1], exec, s[0:1]
; %bb.222:
	v_cmp_ne_u32_e32 vcc, 0, v230
	s_nop 1
	v_cndmask_b32_e32 v230, 14, v230, vcc
; %bb.223:
	s_andn2_saveexec_b64 s[0:1], s[0:1]
	s_cbranch_execz .LBB30_225
; %bb.224:
	v_div_scale_f32 v31, s[2:3], v45, v45, 1.0
	v_rcp_f32_e32 v48, v31
	v_div_scale_f32 v49, vcc, 1.0, v45, 1.0
	v_fma_f32 v50, -v31, v48, 1.0
	v_fmac_f32_e32 v48, v50, v48
	v_mul_f32_e32 v50, v49, v48
	v_fma_f32 v51, -v31, v50, v49
	v_fmac_f32_e32 v50, v51, v48
	v_fma_f32 v31, -v31, v50, v49
	v_div_fmas_f32 v31, v31, v48, v50
	v_div_fixup_f32 v45, v31, v45, 1.0
.LBB30_225:
	s_or_b64 exec, exec, s[0:1]
	v_cmp_ne_u32_e32 vcc, v236, v30
	s_and_saveexec_b64 s[0:1], vcc
	s_xor_b64 s[0:1], exec, s[0:1]
	s_cbranch_execz .LBB30_231
; %bb.226:
	v_cmp_eq_u32_e32 vcc, 13, v236
	s_and_saveexec_b64 s[2:3], vcc
	s_cbranch_execz .LBB30_230
; %bb.227:
	v_cmp_ne_u32_e32 vcc, 13, v30
	s_xor_b64 s[18:19], s[16:17], -1
	s_and_b64 s[20:21], s[18:19], vcc
	s_and_saveexec_b64 s[18:19], s[20:21]
	s_cbranch_execz .LBB30_229
; %bb.228:
	v_ashrrev_i32_e32 v31, 31, v30
	v_lshl_add_u64 v[48:49], v[30:31], 2, v[214:215]
	global_load_dword v31, v[48:49], off
	global_load_dword v50, v[214:215], off offset:52
	s_waitcnt vmcnt(1)
	global_store_dword v[214:215], v31, off offset:52
	s_waitcnt vmcnt(1)
	global_store_dword v[48:49], v50, off
.LBB30_229:
	s_or_b64 exec, exec, s[18:19]
	v_mov_b32_e32 v233, v30
	v_mov_b32_e32 v236, v30
.LBB30_230:
	s_or_b64 exec, exec, s[2:3]
.LBB30_231:
	s_andn2_saveexec_b64 s[0:1], s[0:1]
; %bb.232:
	v_mov_b32_e32 v236, 13
	ds_write2_b32 v234, v14, v15 offset0:14 offset1:15
; %bb.233:
	s_or_b64 exec, exec, s[0:1]
	v_cmp_lt_i32_e32 vcc, 13, v236
	s_waitcnt lgkmcnt(0)
	s_barrier
	s_and_saveexec_b64 s[0:1], vcc
	s_cbranch_execz .LBB30_235
; %bb.234:
	ds_read2_b32 v[0:1], v234 offset0:14 offset1:15
	v_mul_f32_e32 v2, v218, v45
	v_mov_b32_e32 v45, v2
	v_mov_b64_e32 v[16:17], v[32:33]
	v_mov_b64_e32 v[18:19], v[34:35]
	s_waitcnt lgkmcnt(0)
	v_pk_fma_f32 v[216:217], v[2:3], v[0:1], v[14:15] op_sel_hi:[0,1,1] neg_lo:[1,0,0] neg_hi:[1,0,0]
	v_mov_b64_e32 v[0:1], v[32:33]
	v_mov_b64_e32 v[14:15], v[46:47]
	;; [unrolled: 1-line block ×8, first 2 shown]
	v_mov_b32_e32 v14, v216
	v_mov_b32_e32 v15, v217
	v_mov_b64_e32 v[20:21], v[36:37]
	v_mov_b64_e32 v[22:23], v[38:39]
	;; [unrolled: 1-line block ×5, first 2 shown]
	v_mov_b32_e32 v219, v216
	v_mov_b64_e32 v[30:31], v[46:47]
.LBB30_235:
	s_or_b64 exec, exec, s[0:1]
	v_lshl_add_u32 v30, v236, 2, v234
	s_barrier
	ds_write_b32 v30, v219
	s_waitcnt lgkmcnt(0)
	s_barrier
	ds_read_b32 v32, v234 offset:56
	s_cmp_lt_i32 s22, 16
	v_mov_b32_e32 v30, 14
	s_cbranch_scc1 .LBB30_238
; %bb.236:
	v_add3_u32 v31, v235, 0, 60
	v_mov_b32_e32 v30, 14
	s_mov_b32 s0, 15
.LBB30_237:                             ; =>This Inner Loop Header: Depth=1
	ds_read_b32 v33, v31
	v_mov_b32_e32 v34, s0
	s_add_i32 s0, s0, 1
	v_add_u32_e32 v31, 4, v31
	s_cmp_lg_u32 s22, s0
	s_waitcnt lgkmcnt(0)
	v_cmp_lt_f32_e64 vcc, |v32|, |v33|
	s_nop 1
	v_cndmask_b32_e32 v32, v32, v33, vcc
	v_cndmask_b32_e32 v30, v30, v34, vcc
	s_cbranch_scc1 .LBB30_237
.LBB30_238:
	s_waitcnt lgkmcnt(0)
	v_cmp_eq_f32_e32 vcc, 0, v32
	s_and_saveexec_b64 s[0:1], vcc
	s_xor_b64 s[0:1], exec, s[0:1]
; %bb.239:
	v_cmp_ne_u32_e32 vcc, 0, v230
	s_nop 1
	v_cndmask_b32_e32 v230, 15, v230, vcc
; %bb.240:
	s_andn2_saveexec_b64 s[0:1], s[0:1]
	s_cbranch_execz .LBB30_242
; %bb.241:
	v_div_scale_f32 v31, s[2:3], v32, v32, 1.0
	v_rcp_f32_e32 v33, v31
	v_div_scale_f32 v34, vcc, 1.0, v32, 1.0
	v_fma_f32 v35, -v31, v33, 1.0
	v_fmac_f32_e32 v33, v35, v33
	v_mul_f32_e32 v35, v34, v33
	v_fma_f32 v36, -v31, v35, v34
	v_fmac_f32_e32 v35, v36, v33
	v_fma_f32 v31, -v31, v35, v34
	v_div_fmas_f32 v31, v31, v33, v35
	v_div_fixup_f32 v32, v31, v32, 1.0
.LBB30_242:
	s_or_b64 exec, exec, s[0:1]
	v_cmp_ne_u32_e32 vcc, v236, v30
	s_and_saveexec_b64 s[0:1], vcc
	s_xor_b64 s[0:1], exec, s[0:1]
	s_cbranch_execz .LBB30_248
; %bb.243:
	v_cmp_eq_u32_e32 vcc, 14, v236
	s_and_saveexec_b64 s[2:3], vcc
	s_cbranch_execz .LBB30_247
; %bb.244:
	v_cmp_ne_u32_e32 vcc, 14, v30
	s_xor_b64 s[18:19], s[16:17], -1
	s_and_b64 s[20:21], s[18:19], vcc
	s_and_saveexec_b64 s[18:19], s[20:21]
	s_cbranch_execz .LBB30_246
; %bb.245:
	v_ashrrev_i32_e32 v31, 31, v30
	v_lshl_add_u64 v[34:35], v[30:31], 2, v[214:215]
	global_load_dword v31, v[34:35], off
	global_load_dword v33, v[214:215], off offset:56
	s_waitcnt vmcnt(1)
	global_store_dword v[214:215], v31, off offset:56
	s_waitcnt vmcnt(1)
	global_store_dword v[34:35], v33, off
.LBB30_246:
	s_or_b64 exec, exec, s[18:19]
	v_mov_b32_e32 v233, v30
	v_mov_b32_e32 v236, v30
.LBB30_247:
	s_or_b64 exec, exec, s[2:3]
.LBB30_248:
	s_andn2_saveexec_b64 s[0:1], s[0:1]
; %bb.249:
	v_mov_b32_e32 v236, 14
	ds_write_b32 v234, v217 offset:60
; %bb.250:
	s_or_b64 exec, exec, s[0:1]
	v_cmp_lt_i32_e32 vcc, 14, v236
	s_waitcnt lgkmcnt(0)
	s_barrier
	s_and_saveexec_b64 s[0:1], vcc
	s_cbranch_execz .LBB30_252
; %bb.251:
	ds_read_b32 v0, v234 offset:60
	v_mul_f32_e32 v30, v219, v32
	s_waitcnt lgkmcnt(0)
	v_fma_f32 v31, -v30, v0, v217
	v_mov_b64_e32 v[0:1], v[16:17]
	v_mov_b64_e32 v[2:3], v[18:19]
	;; [unrolled: 1-line block ×8, first 2 shown]
	v_mov_b32_e32 v217, v31
.LBB30_252:
	s_or_b64 exec, exec, s[0:1]
	v_lshl_add_u32 v16, v236, 2, v234
	s_barrier
	ds_write_b32 v16, v217
	s_waitcnt lgkmcnt(0)
	s_barrier
	ds_read_b32 v20, v234 offset:60
	s_cmp_lt_i32 s22, 17
	v_mov_b32_e32 v16, 15
	s_cbranch_scc1 .LBB30_255
; %bb.253:
	v_add3_u32 v17, v235, 0, 64
	v_mov_b32_e32 v16, 15
	s_mov_b32 s0, 16
.LBB30_254:                             ; =>This Inner Loop Header: Depth=1
	ds_read_b32 v18, v17
	v_mov_b32_e32 v19, s0
	s_add_i32 s0, s0, 1
	v_add_u32_e32 v17, 4, v17
	s_cmp_lg_u32 s22, s0
	s_waitcnt lgkmcnt(0)
	v_cmp_lt_f32_e64 vcc, |v20|, |v18|
	s_nop 1
	v_cndmask_b32_e32 v20, v20, v18, vcc
	v_cndmask_b32_e32 v16, v16, v19, vcc
	s_cbranch_scc1 .LBB30_254
.LBB30_255:
	s_waitcnt lgkmcnt(0)
	v_cmp_eq_f32_e32 vcc, 0, v20
	s_and_saveexec_b64 s[0:1], vcc
	s_xor_b64 s[0:1], exec, s[0:1]
; %bb.256:
	v_cmp_ne_u32_e32 vcc, 0, v230
	s_nop 1
	v_cndmask_b32_e32 v230, 16, v230, vcc
; %bb.257:
	s_andn2_saveexec_b64 s[0:1], s[0:1]
	s_cbranch_execz .LBB30_259
; %bb.258:
	v_div_scale_f32 v17, s[2:3], v20, v20, 1.0
	v_rcp_f32_e32 v18, v17
	v_div_scale_f32 v19, vcc, 1.0, v20, 1.0
	v_fma_f32 v21, -v17, v18, 1.0
	v_fmac_f32_e32 v18, v21, v18
	v_mul_f32_e32 v21, v19, v18
	v_fma_f32 v22, -v17, v21, v19
	v_fmac_f32_e32 v21, v22, v18
	v_fma_f32 v17, -v17, v21, v19
	v_div_fmas_f32 v17, v17, v18, v21
	v_div_fixup_f32 v20, v17, v20, 1.0
.LBB30_259:
	s_or_b64 exec, exec, s[0:1]
	v_cmp_ne_u32_e32 vcc, v236, v16
	v_mov_b32_e32 v18, 15
	s_and_saveexec_b64 s[0:1], vcc
	s_cbranch_execz .LBB30_265
; %bb.260:
	v_cmp_eq_u32_e32 vcc, 15, v236
	s_and_saveexec_b64 s[2:3], vcc
	s_cbranch_execz .LBB30_264
; %bb.261:
	v_cmp_ne_u32_e32 vcc, 15, v16
	s_xor_b64 s[16:17], s[16:17], -1
	s_and_b64 s[18:19], s[16:17], vcc
	s_and_saveexec_b64 s[16:17], s[18:19]
	s_cbranch_execz .LBB30_263
; %bb.262:
	v_ashrrev_i32_e32 v17, 31, v16
	v_lshl_add_u64 v[18:19], v[16:17], 2, v[214:215]
	global_load_dword v17, v[18:19], off
	global_load_dword v21, v[214:215], off offset:60
	s_waitcnt vmcnt(1)
	global_store_dword v[214:215], v17, off offset:60
	s_waitcnt vmcnt(1)
	global_store_dword v[18:19], v21, off
.LBB30_263:
	s_or_b64 exec, exec, s[16:17]
	v_mov_b32_e32 v233, v16
	v_mov_b32_e32 v236, v16
.LBB30_264:
	s_or_b64 exec, exec, s[2:3]
	v_mov_b32_e32 v18, v236
.LBB30_265:
	s_or_b64 exec, exec, s[0:1]
	v_cmp_gt_i32_e32 vcc, 16, v18
	v_ashrrev_i32_e32 v19, 31, v18
	s_barrier
	s_barrier
	s_and_saveexec_b64 s[0:1], vcc
	s_cbranch_execz .LBB30_267
; %bb.266:
	v_mul_lo_u32 v21, s11, v212
	v_mul_lo_u32 v24, s10, v213
	v_mad_u64_u32 v[22:23], s[2:3], s10, v212, 0
	v_mov_b32_e32 v16, s6
	v_mov_b32_e32 v17, s7
	v_add3_u32 v23, v23, v24, v21
	v_lshl_add_u64 v[16:17], v[22:23], 2, v[16:17]
	v_lshl_add_u64 v[16:17], s[8:9], 2, v[16:17]
	;; [unrolled: 1-line block ×3, first 2 shown]
	v_add3_u32 v21, v233, s15, 1
	global_store_dword v[16:17], v21, off
.LBB30_267:
	s_or_b64 exec, exec, s[0:1]
	v_cmp_eq_u32_e32 vcc, 0, v18
	s_and_saveexec_b64 s[2:3], vcc
	s_cbranch_execz .LBB30_270
; %bb.268:
	v_mov_b32_e32 v16, s4
	v_mov_b32_e32 v17, s5
	v_lshl_add_u64 v[16:17], v[212:213], 2, v[16:17]
	global_load_dword v21, v[16:17], off
	v_cmp_ne_u32_e64 s[0:1], 0, v230
	s_waitcnt vmcnt(0)
	v_cmp_eq_u32_e32 vcc, 0, v21
	s_and_b64 s[0:1], vcc, s[0:1]
	s_and_b64 exec, exec, s[0:1]
	s_cbranch_execz .LBB30_270
; %bb.269:
	v_add_u32_e32 v21, s15, v230
	global_store_dword v[16:17], v21, off
.LBB30_270:
	s_or_b64 exec, exec, s[2:3]
	v_mul_f32_e32 v16, v217, v20
	v_cmp_lt_i32_e32 vcc, 15, v18
	s_nop 1
	v_cndmask_b32_e32 v15, v15, v16, vcc
	v_lshl_add_u64 v[16:17], v[18:19], 2, v[210:211]
	global_store_dword v[16:17], v0, off
	v_lshl_add_u64 v[16:17], s[12:13], 2, v[16:17]
	v_add_u32_e32 v0, s14, v18
	global_store_dword v[16:17], v1, off
	v_ashrrev_i32_e32 v1, 31, v0
	v_lshl_add_u64 v[16:17], v[0:1], 2, v[210:211]
	v_add_u32_e32 v0, s12, v0
	v_ashrrev_i32_e32 v1, 31, v0
	global_store_dword v[16:17], v2, off
	v_lshl_add_u64 v[16:17], v[0:1], 2, v[210:211]
	v_add_u32_e32 v0, s12, v0
	v_ashrrev_i32_e32 v1, 31, v0
	global_store_dword v[16:17], v3, off
	;; [unrolled: 4-line block ×12, first 2 shown]
	v_lshl_add_u64 v[2:3], v[0:1], 2, v[210:211]
	v_add_u32_e32 v0, s12, v0
	v_ashrrev_i32_e32 v1, 31, v0
	v_lshl_add_u64 v[0:1], v[0:1], 2, v[210:211]
	global_store_dword v[2:3], v14, off
	global_store_dword v[0:1], v15, off
.LBB30_271:
	s_endpgm
	.section	.rodata,"a",@progbits
	.p2align	6, 0x0
	.amdhsa_kernel _ZN9rocsolver6v33100L18getf2_small_kernelILi16EfiiPfEEvT1_T3_lS3_lPS3_llPT2_S3_S3_S5_l
		.amdhsa_group_segment_fixed_size 0
		.amdhsa_private_segment_fixed_size 0
		.amdhsa_kernarg_size 352
		.amdhsa_user_sgpr_count 2
		.amdhsa_user_sgpr_dispatch_ptr 0
		.amdhsa_user_sgpr_queue_ptr 0
		.amdhsa_user_sgpr_kernarg_segment_ptr 1
		.amdhsa_user_sgpr_dispatch_id 0
		.amdhsa_user_sgpr_kernarg_preload_length 0
		.amdhsa_user_sgpr_kernarg_preload_offset 0
		.amdhsa_user_sgpr_private_segment_size 0
		.amdhsa_uses_dynamic_stack 0
		.amdhsa_enable_private_segment 0
		.amdhsa_system_sgpr_workgroup_id_x 1
		.amdhsa_system_sgpr_workgroup_id_y 1
		.amdhsa_system_sgpr_workgroup_id_z 0
		.amdhsa_system_sgpr_workgroup_info 0
		.amdhsa_system_vgpr_workitem_id 1
		.amdhsa_next_free_vgpr 244
		.amdhsa_next_free_sgpr 26
		.amdhsa_accum_offset 244
		.amdhsa_reserve_vcc 1
		.amdhsa_float_round_mode_32 0
		.amdhsa_float_round_mode_16_64 0
		.amdhsa_float_denorm_mode_32 3
		.amdhsa_float_denorm_mode_16_64 3
		.amdhsa_dx10_clamp 1
		.amdhsa_ieee_mode 1
		.amdhsa_fp16_overflow 0
		.amdhsa_tg_split 0
		.amdhsa_exception_fp_ieee_invalid_op 0
		.amdhsa_exception_fp_denorm_src 0
		.amdhsa_exception_fp_ieee_div_zero 0
		.amdhsa_exception_fp_ieee_overflow 0
		.amdhsa_exception_fp_ieee_underflow 0
		.amdhsa_exception_fp_ieee_inexact 0
		.amdhsa_exception_int_div_zero 0
	.end_amdhsa_kernel
	.section	.text._ZN9rocsolver6v33100L18getf2_small_kernelILi16EfiiPfEEvT1_T3_lS3_lPS3_llPT2_S3_S3_S5_l,"axG",@progbits,_ZN9rocsolver6v33100L18getf2_small_kernelILi16EfiiPfEEvT1_T3_lS3_lPS3_llPT2_S3_S3_S5_l,comdat
.Lfunc_end30:
	.size	_ZN9rocsolver6v33100L18getf2_small_kernelILi16EfiiPfEEvT1_T3_lS3_lPS3_llPT2_S3_S3_S5_l, .Lfunc_end30-_ZN9rocsolver6v33100L18getf2_small_kernelILi16EfiiPfEEvT1_T3_lS3_lPS3_llPT2_S3_S3_S5_l
                                        ; -- End function
	.set _ZN9rocsolver6v33100L18getf2_small_kernelILi16EfiiPfEEvT1_T3_lS3_lPS3_llPT2_S3_S3_S5_l.num_vgpr, 244
	.set _ZN9rocsolver6v33100L18getf2_small_kernelILi16EfiiPfEEvT1_T3_lS3_lPS3_llPT2_S3_S3_S5_l.num_agpr, 0
	.set _ZN9rocsolver6v33100L18getf2_small_kernelILi16EfiiPfEEvT1_T3_lS3_lPS3_llPT2_S3_S3_S5_l.numbered_sgpr, 26
	.set _ZN9rocsolver6v33100L18getf2_small_kernelILi16EfiiPfEEvT1_T3_lS3_lPS3_llPT2_S3_S3_S5_l.num_named_barrier, 0
	.set _ZN9rocsolver6v33100L18getf2_small_kernelILi16EfiiPfEEvT1_T3_lS3_lPS3_llPT2_S3_S3_S5_l.private_seg_size, 0
	.set _ZN9rocsolver6v33100L18getf2_small_kernelILi16EfiiPfEEvT1_T3_lS3_lPS3_llPT2_S3_S3_S5_l.uses_vcc, 1
	.set _ZN9rocsolver6v33100L18getf2_small_kernelILi16EfiiPfEEvT1_T3_lS3_lPS3_llPT2_S3_S3_S5_l.uses_flat_scratch, 0
	.set _ZN9rocsolver6v33100L18getf2_small_kernelILi16EfiiPfEEvT1_T3_lS3_lPS3_llPT2_S3_S3_S5_l.has_dyn_sized_stack, 0
	.set _ZN9rocsolver6v33100L18getf2_small_kernelILi16EfiiPfEEvT1_T3_lS3_lPS3_llPT2_S3_S3_S5_l.has_recursion, 0
	.set _ZN9rocsolver6v33100L18getf2_small_kernelILi16EfiiPfEEvT1_T3_lS3_lPS3_llPT2_S3_S3_S5_l.has_indirect_call, 0
	.section	.AMDGPU.csdata,"",@progbits
; Kernel info:
; codeLenInByte = 13888
; TotalNumSgprs: 32
; NumVgprs: 244
; NumAgprs: 0
; TotalNumVgprs: 244
; ScratchSize: 0
; MemoryBound: 0
; FloatMode: 240
; IeeeMode: 1
; LDSByteSize: 0 bytes/workgroup (compile time only)
; SGPRBlocks: 3
; VGPRBlocks: 30
; NumSGPRsForWavesPerEU: 32
; NumVGPRsForWavesPerEU: 244
; AccumOffset: 244
; Occupancy: 2
; WaveLimiterHint : 0
; COMPUTE_PGM_RSRC2:SCRATCH_EN: 0
; COMPUTE_PGM_RSRC2:USER_SGPR: 2
; COMPUTE_PGM_RSRC2:TRAP_HANDLER: 0
; COMPUTE_PGM_RSRC2:TGID_X_EN: 1
; COMPUTE_PGM_RSRC2:TGID_Y_EN: 1
; COMPUTE_PGM_RSRC2:TGID_Z_EN: 0
; COMPUTE_PGM_RSRC2:TIDIG_COMP_CNT: 1
; COMPUTE_PGM_RSRC3_GFX90A:ACCUM_OFFSET: 60
; COMPUTE_PGM_RSRC3_GFX90A:TG_SPLIT: 0
	.section	.text._ZN9rocsolver6v33100L23getf2_npvt_small_kernelILi16EfiiPfEEvT1_T3_lS3_lPT2_S3_S3_,"axG",@progbits,_ZN9rocsolver6v33100L23getf2_npvt_small_kernelILi16EfiiPfEEvT1_T3_lS3_lPT2_S3_S3_,comdat
	.globl	_ZN9rocsolver6v33100L23getf2_npvt_small_kernelILi16EfiiPfEEvT1_T3_lS3_lPT2_S3_S3_ ; -- Begin function _ZN9rocsolver6v33100L23getf2_npvt_small_kernelILi16EfiiPfEEvT1_T3_lS3_lPT2_S3_S3_
	.p2align	8
	.type	_ZN9rocsolver6v33100L23getf2_npvt_small_kernelILi16EfiiPfEEvT1_T3_lS3_lPT2_S3_S3_,@function
_ZN9rocsolver6v33100L23getf2_npvt_small_kernelILi16EfiiPfEEvT1_T3_lS3_lPT2_S3_S3_: ; @_ZN9rocsolver6v33100L23getf2_npvt_small_kernelILi16EfiiPfEEvT1_T3_lS3_lPT2_S3_S3_
; %bb.0:
	s_load_dword s2, s[0:1], 0x44
	s_load_dwordx2 s[30:31], s[0:1], 0x30
	v_bfe_u32 v1, v0, 10, 10
	s_waitcnt lgkmcnt(0)
	s_lshr_b32 s8, s2, 16
	s_mul_i32 s3, s3, s8
	v_add_u32_e32 v244, s3, v1
	v_cmp_gt_i32_e32 vcc, s30, v244
	s_and_saveexec_b64 s[2:3], vcc
	s_cbranch_execz .LBB31_83
; %bb.1:
	s_load_dwordx4 s[12:15], s[0:1], 0x8
	s_load_dword s2, s[0:1], 0x18
	s_load_dwordx4 s[4:7], s[0:1], 0x20
	v_ashrrev_i32_e32 v245, 31, v244
	v_and_b32_e32 v246, 0x3ff, v0
	s_waitcnt lgkmcnt(0)
	v_mov_b32_e32 v2, s12
	v_mov_b32_e32 v3, s13
	v_mul_lo_u32 v0, s5, v244
	v_mul_lo_u32 v6, s4, v245
	v_mad_u64_u32 v[4:5], s[0:1], s4, v244, 0
	v_add3_u32 v5, v5, v6, v0
	v_lshl_add_u64 v[2:3], v[4:5], 2, v[2:3]
	v_lshl_add_u64 v[2:3], s[14:15], 2, v[2:3]
	v_lshlrev_b32_e32 v4, 2, v246
	v_mov_b32_e32 v5, 0
	s_add_i32 s0, s2, s2
	v_lshl_add_u64 v[250:251], v[2:3], 0, v[4:5]
	v_add_u32_e32 v4, s0, v246
	v_ashrrev_i32_e32 v5, 31, v4
	v_lshl_add_u64 v[8:9], v[4:5], 2, v[2:3]
	v_add_u32_e32 v4, s2, v4
	v_ashrrev_i32_e32 v5, 31, v4
	;; [unrolled: 3-line block ×13, first 2 shown]
	v_lshl_add_u64 v[24:25], v[4:5], 2, v[2:3]
	v_add_u32_e32 v4, s2, v4
	s_ashr_i32 s3, s2, 31
	v_ashrrev_i32_e32 v5, 31, v4
	v_lshl_add_u64 v[6:7], s[2:3], 2, v[250:251]
	v_lshl_add_u64 v[2:3], v[4:5], 2, v[2:3]
	global_load_dword v237, v[254:255], off
	global_load_dword v234, v[224:225], off
	;; [unrolled: 1-line block ×13, first 2 shown]
	s_lshl_b32 s0, s8, 6
	scratch_store_dwordx2 off, v[18:19], off offset:48 ; 8-byte Folded Spill
	scratch_store_dwordx2 off, v[20:21], off offset:56 ; 8-byte Folded Spill
	;; [unrolled: 1-line block ×7, first 2 shown]
	scratch_store_dwordx2 off, v[10:11], off ; 8-byte Folded Spill
	scratch_store_dwordx2 off, v[12:13], off offset:32 ; 8-byte Folded Spill
	scratch_store_dwordx2 off, v[14:15], off offset:40 ; 8-byte Folded Spill
	;; [unrolled: 1-line block ×3, first 2 shown]
	global_load_dword v239, v[16:17], off
	global_load_dword v236, v[252:253], off
	;; [unrolled: 1-line block ×3, first 2 shown]
	s_add_i32 s0, s0, 0
	v_lshl_add_u32 v248, v1, 6, 0
	v_lshl_add_u32 v247, v1, 2, s0
	v_cmp_ne_u32_e64 s[2:3], 0, v246
	v_cmp_eq_u32_e64 s[0:1], 0, v246
	s_and_saveexec_b64 s[4:5], s[0:1]
	s_cbranch_execz .LBB31_4
; %bb.2:
	s_waitcnt vmcnt(0)
	ds_write_b32 v247, v176
	ds_write2_b32 v248, v242, v243 offset0:1 offset1:2
	ds_write2_b32 v248, v240, v241 offset0:3 offset1:4
	;; [unrolled: 1-line block ×7, first 2 shown]
	ds_write_b32 v248, v229 offset:60
	ds_read_b32 v0, v247
	s_waitcnt lgkmcnt(0)
	v_cmp_neq_f32_e32 vcc, 0, v0
	s_and_b64 exec, exec, vcc
	s_cbranch_execz .LBB31_4
; %bb.3:
	v_div_scale_f32 v1, s[8:9], v0, v0, 1.0
	v_rcp_f32_e32 v2, v1
	v_div_scale_f32 v3, vcc, 1.0, v0, 1.0
	v_fma_f32 v4, -v1, v2, 1.0
	v_fmac_f32_e32 v2, v4, v2
	v_mul_f32_e32 v4, v3, v2
	v_fma_f32 v5, -v1, v4, v3
	v_fmac_f32_e32 v4, v5, v2
	v_fma_f32 v1, -v1, v4, v3
	v_div_fmas_f32 v1, v1, v2, v4
	v_div_fixup_f32 v0, v1, v0, 1.0
	ds_write_b32 v247, v0
.LBB31_4:
	s_or_b64 exec, exec, s[4:5]
	s_waitcnt lgkmcnt(0)
	s_barrier
	ds_read_b32 v0, v247
	s_waitcnt lgkmcnt(0)
	scratch_store_dword off, v0, off offset:88 ; 4-byte Folded Spill
	s_and_saveexec_b64 s[4:5], s[2:3]
	s_xor_b64 s[2:3], exec, s[4:5]
	s_cbranch_execz .LBB31_6
; %bb.5:
	ds_read2_b32 v[0:1], v248 offset0:1 offset1:2
	ds_read2_b32 v[2:3], v248 offset0:3 offset1:4
	;; [unrolled: 1-line block ×3, first 2 shown]
	scratch_load_dword v6, off, off offset:88 ; 4-byte Folded Reload
	s_waitcnt vmcnt(0)
	v_mul_f32_e32 v176, v176, v6
	ds_read2_b32 v[6:7], v248 offset0:7 offset1:8
	s_waitcnt lgkmcnt(3)
	v_pk_fma_f32 v[242:243], v[176:177], v[0:1], v[242:243] op_sel_hi:[0,1,1] neg_lo:[1,0,0] neg_hi:[1,0,0]
	s_waitcnt lgkmcnt(2)
	v_pk_fma_f32 v[240:241], v[176:177], v[2:3], v[240:241] op_sel_hi:[0,1,1] neg_lo:[1,0,0] neg_hi:[1,0,0]
	;; [unrolled: 2-line block ×3, first 2 shown]
	ds_read2_b32 v[0:1], v248 offset0:9 offset1:10
	ds_read2_b32 v[2:3], v248 offset0:11 offset1:12
	ds_read2_b32 v[4:5], v248 offset0:13 offset1:14
	ds_read_b32 v8, v248 offset:60
	s_waitcnt lgkmcnt(4)
	v_pk_fma_f32 v[236:237], v[176:177], v[6:7], v[236:237] op_sel_hi:[0,1,1] neg_lo:[1,0,0] neg_hi:[1,0,0]
	s_waitcnt lgkmcnt(3)
	v_pk_fma_f32 v[234:235], v[176:177], v[0:1], v[234:235] op_sel_hi:[0,1,1] neg_lo:[1,0,0] neg_hi:[1,0,0]
	;; [unrolled: 2-line block ×4, first 2 shown]
	s_waitcnt lgkmcnt(0)
	v_fma_f32 v229, -v176, v8, v229
.LBB31_6:
	s_andn2_saveexec_b64 s[2:3], s[2:3]
	s_or_b64 exec, exec, s[2:3]
	s_waitcnt vmcnt(21)
	v_mov_b32_e32 v177, v242
	s_waitcnt vmcnt(1)
	v_mov_b64_e32 v[222:223], v[190:191]
	v_mov_b64_e32 v[210:211], v[178:179]
	v_mov_b64_e32 v[208:209], v[176:177]
	v_mov_b64_e32 v[220:221], v[188:189]
	v_mov_b64_e32 v[218:219], v[186:187]
	v_mov_b64_e32 v[216:217], v[184:185]
	v_mov_b64_e32 v[214:215], v[182:183]
	v_mov_b64_e32 v[212:213], v[180:181]
	v_mov_b32_e32 v210, v243
	v_mov_b64_e32 v[192:193], v[208:209]
	v_mov_b64_e32 v[194:195], v[210:211]
	v_mov_b64_e32 v[196:197], v[212:213]
	v_mov_b64_e32 v[198:199], v[214:215]
	v_mov_b64_e32 v[200:201], v[216:217]
	v_mov_b64_e32 v[202:203], v[218:219]
	v_mov_b64_e32 v[204:205], v[220:221]
	v_mov_b64_e32 v[206:207], v[222:223]
	v_mov_b32_e32 v195, v240
	;; [unrolled: 9-line block ×13, first 2 shown]
	v_mov_b32_e32 v15, v229
	v_cmp_eq_u32_e32 vcc, 1, v246
	s_barrier
	s_and_saveexec_b64 s[2:3], vcc
	s_cbranch_execz .LBB31_9
; %bb.7:
	v_mov_b32_e32 v228, v14
	ds_write_b32 v247, v242
	ds_write2_b64 v248, v[2:3], v[4:5] offset0:1 offset1:2
	ds_write2_b64 v248, v[6:7], v[8:9] offset0:3 offset1:4
	ds_write2_b64 v248, v[10:11], v[12:13] offset0:5 offset1:6
	ds_write_b64 v248, v[228:229] offset:56
	ds_read_b32 v30, v247
	s_waitcnt lgkmcnt(0)
	v_cmp_neq_f32_e32 vcc, 0, v30
	s_and_b64 exec, exec, vcc
	s_cbranch_execz .LBB31_9
; %bb.8:
	v_div_scale_f32 v31, s[4:5], v30, v30, 1.0
	v_rcp_f32_e32 v45, v31
	v_div_scale_f32 v60, vcc, 1.0, v30, 1.0
	v_fma_f32 v75, -v31, v45, 1.0
	v_fmac_f32_e32 v45, v75, v45
	v_mul_f32_e32 v75, v60, v45
	v_fma_f32 v90, -v31, v75, v60
	v_fmac_f32_e32 v75, v90, v45
	v_fma_f32 v31, -v31, v75, v60
	v_div_fmas_f32 v31, v31, v45, v75
	v_div_fixup_f32 v30, v31, v30, 1.0
	ds_write_b32 v247, v30
.LBB31_9:
	s_or_b64 exec, exec, s[2:3]
	s_waitcnt lgkmcnt(0)
	s_barrier
	ds_read_b32 v249, v247
	v_cmp_lt_u32_e32 vcc, 1, v246
	s_and_saveexec_b64 s[2:3], vcc
	s_cbranch_execz .LBB31_11
; %bb.10:
	ds_read2_b64 v[16:19], v248 offset0:1 offset1:2
	ds_read2_b64 v[20:23], v248 offset0:3 offset1:4
	s_waitcnt lgkmcnt(2)
	v_mul_f32_e32 v0, v242, v249
	v_mov_b32_e32 v177, v0
	v_mov_b64_e32 v[222:223], v[190:191]
	s_waitcnt lgkmcnt(1)
	v_pk_fma_f32 v[230:231], v[0:1], v[16:17], v[2:3] op_sel_hi:[0,1,1] neg_lo:[1,0,0] neg_hi:[1,0,0]
	v_mov_b64_e32 v[210:211], v[178:179]
	v_mov_b64_e32 v[208:209], v[176:177]
	;; [unrolled: 1-line block ×7, first 2 shown]
	v_mov_b32_e32 v210, v230
	v_mov_b64_e32 v[192:193], v[208:209]
	v_mov_b64_e32 v[194:195], v[210:211]
	;; [unrolled: 1-line block ×8, first 2 shown]
	v_mov_b32_e32 v195, v231
	v_mov_b64_e32 v[160:161], v[192:193]
	v_pk_fma_f32 v[232:233], v[0:1], v[18:19], v[4:5] op_sel_hi:[0,1,1] neg_lo:[1,0,0] neg_hi:[1,0,0]
	v_mov_b64_e32 v[164:165], v[196:197]
	v_mov_b64_e32 v[162:163], v[194:195]
	;; [unrolled: 1-line block ×7, first 2 shown]
	v_mov_b32_e32 v164, v232
	v_mov_b64_e32 v[144:145], v[160:161]
	v_mov_b64_e32 v[148:149], v[164:165]
	v_mov_b64_e32 v[146:147], v[162:163]
	v_mov_b64_e32 v[150:151], v[166:167]
	v_mov_b64_e32 v[152:153], v[168:169]
	v_mov_b64_e32 v[154:155], v[170:171]
	v_mov_b64_e32 v[156:157], v[172:173]
	v_mov_b64_e32 v[158:159], v[174:175]
	v_mov_b32_e32 v149, v233
	v_mov_b64_e32 v[128:129], v[144:145]
	s_waitcnt lgkmcnt(0)
	v_pk_fma_f32 v[234:235], v[0:1], v[20:21], v[6:7] op_sel_hi:[0,1,1] neg_lo:[1,0,0] neg_hi:[1,0,0]
	v_mov_b64_e32 v[134:135], v[150:151]
	v_mov_b64_e32 v[130:131], v[146:147]
	;; [unrolled: 1-line block ×7, first 2 shown]
	v_mov_b32_e32 v134, v234
	v_mov_b64_e32 v[112:113], v[128:129]
	v_mov_b64_e32 v[118:119], v[134:135]
	ds_read2_b64 v[24:27], v248 offset0:5 offset1:6
	ds_read_b64 v[2:3], v248 offset:56
	v_mov_b64_e32 v[114:115], v[130:131]
	v_mov_b64_e32 v[116:117], v[132:133]
	;; [unrolled: 1-line block ×6, first 2 shown]
	v_mov_b32_e32 v119, v235
	v_mov_b64_e32 v[96:97], v[112:113]
	scratch_store_dwordx2 off, v[250:251], off offset:92 ; 8-byte Folded Spill
	v_pk_fma_f32 v[250:251], v[0:1], v[22:23], v[8:9] op_sel_hi:[0,1,1] neg_lo:[1,0,0] neg_hi:[1,0,0]
	v_mov_b64_e32 v[104:105], v[120:121]
	v_mov_b64_e32 v[98:99], v[114:115]
	;; [unrolled: 1-line block ×7, first 2 shown]
	v_mov_b32_e32 v104, v250
	v_mov_b64_e32 v[80:81], v[96:97]
	v_mov_b64_e32 v[88:89], v[104:105]
	;; [unrolled: 1-line block ×8, first 2 shown]
	v_mov_b32_e32 v89, v251
	v_mov_b64_e32 v[64:65], v[80:81]
	scratch_store_dwordx2 off, v[252:253], off offset:100 ; 8-byte Folded Spill
	s_waitcnt lgkmcnt(1)
	v_pk_fma_f32 v[252:253], v[0:1], v[24:25], v[10:11] op_sel_hi:[0,1,1] neg_lo:[1,0,0] neg_hi:[1,0,0]
	v_mov_b64_e32 v[74:75], v[90:91]
	v_mov_b64_e32 v[66:67], v[82:83]
	;; [unrolled: 1-line block ×7, first 2 shown]
	v_mov_b32_e32 v74, v252
	v_mov_b64_e32 v[48:49], v[64:65]
	v_mov_b64_e32 v[58:59], v[74:75]
	;; [unrolled: 1-line block ×8, first 2 shown]
	v_mov_b32_e32 v59, v253
	v_mov_b64_e32 v[32:33], v[48:49]
	scratch_store_dwordx2 off, v[226:227], off offset:108 ; 8-byte Folded Spill
	v_mov_b64_e32 v[226:227], v[244:245]
	v_mov_b64_e32 v[244:245], v[224:225]
	;; [unrolled: 1-line block ×3, first 2 shown]
	v_pk_fma_f32 v[254:255], v[0:1], v[26:27], v[12:13] op_sel_hi:[0,1,1] neg_lo:[1,0,0] neg_hi:[1,0,0]
	v_mov_b64_e32 v[44:45], v[60:61]
	v_mov_b64_e32 v[34:35], v[50:51]
	;; [unrolled: 1-line block ×7, first 2 shown]
	v_mov_b32_e32 v44, v254
	v_mov_b64_e32 v[16:17], v[32:33]
	v_mov_b64_e32 v[28:29], v[44:45]
	v_mov_b32_e32 v29, v255
	v_mov_b32_e32 v243, v230
	v_mov_b32_e32 v241, v232
	v_mov_b32_e32 v238, v233
	v_mov_b32_e32 v239, v234
	v_mov_b32_e32 v236, v235
	v_mov_b32_e32 v237, v250
	v_mov_b32_e32 v234, v251
	scratch_load_dwordx2 v[250:251], off, off offset:92 ; 8-byte Folded Reload
	v_mov_b32_e32 v235, v252
	v_mov_b32_e32 v232, v253
	scratch_load_dwordx2 v[252:253], off, off offset:100 ; 8-byte Folded Reload
	v_mov_b32_e32 v233, v254
	v_mov_b32_e32 v230, v255
	v_mov_b64_e32 v[254:255], v[224:225]
	v_mov_b64_e32 v[224:225], v[244:245]
	;; [unrolled: 1-line block ×3, first 2 shown]
	scratch_load_dwordx2 v[226:227], off, off offset:108 ; 8-byte Folded Reload
	v_mov_b32_e32 v15, v229
	s_waitcnt lgkmcnt(0)
	v_pk_fma_f32 v[228:229], v[0:1], v[2:3], v[14:15] op_sel_hi:[0,1,1] neg_lo:[1,0,0] neg_hi:[1,0,0]
	v_mov_b64_e32 v[18:19], v[34:35]
	v_mov_b64_e32 v[20:21], v[36:37]
	v_mov_b64_e32 v[22:23], v[38:39]
	v_mov_b64_e32 v[24:25], v[40:41]
	v_mov_b64_e32 v[26:27], v[42:43]
	v_mov_b64_e32 v[30:31], v[46:47]
	v_mov_b64_e32 v[0:1], v[16:17]
	v_mov_b64_e32 v[14:15], v[30:31]
	v_mov_b64_e32 v[2:3], v[18:19]
	v_mov_b64_e32 v[4:5], v[20:21]
	v_mov_b64_e32 v[6:7], v[22:23]
	v_mov_b64_e32 v[8:9], v[24:25]
	v_mov_b64_e32 v[10:11], v[26:27]
	v_mov_b64_e32 v[12:13], v[28:29]
	v_mov_b32_e32 v14, v228
	v_mov_b32_e32 v15, v229
	;; [unrolled: 1-line block ×4, first 2 shown]
.LBB31_11:
	s_or_b64 exec, exec, s[2:3]
	v_cmp_eq_u32_e32 vcc, 2, v246
	s_waitcnt lgkmcnt(0)
	s_barrier
	s_and_saveexec_b64 s[2:3], vcc
	s_cbranch_execz .LBB31_14
; %bb.12:
	ds_write_b32 v247, v243
	ds_write2_b32 v248, v3, v4 offset0:3 offset1:4
	ds_write2_b32 v248, v5, v6 offset0:5 offset1:6
	;; [unrolled: 1-line block ×6, first 2 shown]
	ds_write_b32 v248, v229 offset:60
	ds_read_b32 v30, v247
	s_waitcnt lgkmcnt(0)
	v_cmp_neq_f32_e32 vcc, 0, v30
	s_and_b64 exec, exec, vcc
	s_cbranch_execz .LBB31_14
; %bb.13:
	v_div_scale_f32 v31, s[4:5], v30, v30, 1.0
	v_rcp_f32_e32 v45, v31
	v_div_scale_f32 v60, vcc, 1.0, v30, 1.0
	v_fma_f32 v75, -v31, v45, 1.0
	v_fmac_f32_e32 v45, v75, v45
	v_mul_f32_e32 v75, v60, v45
	v_fma_f32 v90, -v31, v75, v60
	v_fmac_f32_e32 v75, v90, v45
	v_fma_f32 v31, -v31, v75, v60
	v_div_fmas_f32 v31, v31, v45, v75
	v_div_fixup_f32 v30, v31, v30, 1.0
	ds_write_b32 v247, v30
.LBB31_14:
	s_or_b64 exec, exec, s[2:3]
	s_waitcnt lgkmcnt(0)
	s_barrier
	ds_read_b32 v242, v247
	v_cmp_lt_u32_e32 vcc, 2, v246
	s_and_saveexec_b64 s[2:3], vcc
	s_cbranch_execz .LBB31_16
; %bb.15:
	ds_read2_b32 v[0:1], v248 offset0:3 offset1:4
	s_waitcnt lgkmcnt(1)
	v_mul_f32_e32 v178, v243, v242
	v_mov_b32_e32 v2, v3
	v_mov_b32_e32 v3, v4
	v_mov_b64_e32 v[206:207], v[190:191]
	s_waitcnt lgkmcnt(0)
	v_pk_fma_f32 v[240:241], v[178:179], v[0:1], v[2:3] op_sel_hi:[0,1,1] neg_lo:[1,0,0] neg_hi:[1,0,0]
	v_mov_b64_e32 v[194:195], v[178:179]
	v_mov_b64_e32 v[192:193], v[176:177]
	ds_read2_b32 v[16:17], v248 offset0:5 offset1:6
	ds_read2_b32 v[18:19], v248 offset0:7 offset1:8
	;; [unrolled: 1-line block ×3, first 2 shown]
	v_mov_b64_e32 v[204:205], v[188:189]
	v_mov_b64_e32 v[202:203], v[186:187]
	;; [unrolled: 1-line block ×5, first 2 shown]
	v_mov_b32_e32 v195, v240
	v_mov_b64_e32 v[160:161], v[192:193]
	v_mov_b64_e32 v[164:165], v[196:197]
	v_mov_b32_e32 v0, v5
	v_mov_b32_e32 v1, v6
	v_mov_b64_e32 v[162:163], v[194:195]
	v_mov_b64_e32 v[166:167], v[198:199]
	;; [unrolled: 1-line block ×6, first 2 shown]
	v_mov_b32_e32 v164, v241
	v_mov_b64_e32 v[144:145], v[160:161]
	s_waitcnt lgkmcnt(2)
	v_pk_fma_f32 v[238:239], v[178:179], v[16:17], v[0:1] op_sel_hi:[0,1,1] neg_lo:[1,0,0] neg_hi:[1,0,0]
	v_mov_b64_e32 v[148:149], v[164:165]
	v_mov_b64_e32 v[146:147], v[162:163]
	;; [unrolled: 1-line block ×7, first 2 shown]
	v_mov_b32_e32 v149, v238
	v_mov_b64_e32 v[128:129], v[144:145]
	v_mov_b64_e32 v[134:135], v[150:151]
	v_mov_b32_e32 v0, v7
	v_mov_b32_e32 v1, v8
	v_mov_b64_e32 v[130:131], v[146:147]
	v_mov_b64_e32 v[132:133], v[148:149]
	;; [unrolled: 1-line block ×6, first 2 shown]
	v_mov_b32_e32 v134, v239
	v_mov_b64_e32 v[112:113], v[128:129]
	s_waitcnt lgkmcnt(1)
	v_pk_fma_f32 v[236:237], v[178:179], v[18:19], v[0:1] op_sel_hi:[0,1,1] neg_lo:[1,0,0] neg_hi:[1,0,0]
	v_mov_b64_e32 v[118:119], v[134:135]
	v_mov_b64_e32 v[114:115], v[130:131]
	;; [unrolled: 1-line block ×7, first 2 shown]
	v_mov_b32_e32 v119, v236
	v_mov_b64_e32 v[96:97], v[112:113]
	v_mov_b32_e32 v0, v9
	v_mov_b32_e32 v1, v10
	v_mov_b64_e32 v[104:105], v[120:121]
	s_waitcnt lgkmcnt(0)
	v_pk_fma_f32 v[234:235], v[178:179], v[20:21], v[0:1] op_sel_hi:[0,1,1] neg_lo:[1,0,0] neg_hi:[1,0,0]
	ds_read2_b32 v[0:1], v248 offset0:11 offset1:12
	v_mov_b64_e32 v[98:99], v[114:115]
	v_mov_b64_e32 v[100:101], v[116:117]
	;; [unrolled: 1-line block ×6, first 2 shown]
	v_mov_b32_e32 v104, v237
	v_mov_b64_e32 v[80:81], v[96:97]
	v_mov_b64_e32 v[88:89], v[104:105]
	;; [unrolled: 1-line block ×8, first 2 shown]
	v_mov_b32_e32 v89, v234
	v_mov_b64_e32 v[64:65], v[80:81]
	v_mov_b64_e32 v[74:75], v[90:91]
	v_mov_b32_e32 v2, v11
	v_mov_b32_e32 v3, v12
	v_mov_b64_e32 v[66:67], v[82:83]
	v_mov_b64_e32 v[68:69], v[84:85]
	;; [unrolled: 1-line block ×6, first 2 shown]
	v_mov_b32_e32 v74, v235
	v_mov_b64_e32 v[48:49], v[64:65]
	ds_read2_b32 v[4:5], v248 offset0:13 offset1:14
	ds_read_b32 v6, v248 offset:60
	s_waitcnt lgkmcnt(2)
	v_pk_fma_f32 v[232:233], v[178:179], v[0:1], v[2:3] op_sel_hi:[0,1,1] neg_lo:[1,0,0] neg_hi:[1,0,0]
	v_mov_b64_e32 v[58:59], v[74:75]
	v_mov_b64_e32 v[50:51], v[66:67]
	;; [unrolled: 1-line block ×7, first 2 shown]
	v_mov_b32_e32 v59, v232
	v_mov_b64_e32 v[32:33], v[48:49]
	v_mov_b64_e32 v[44:45], v[60:61]
	v_mov_b32_e32 v0, v13
	v_mov_b32_e32 v1, v14
	v_mov_b64_e32 v[34:35], v[50:51]
	v_mov_b64_e32 v[36:37], v[52:53]
	;; [unrolled: 1-line block ×6, first 2 shown]
	v_mov_b32_e32 v44, v233
	v_mov_b64_e32 v[16:17], v[32:33]
	s_waitcnt lgkmcnt(1)
	v_pk_fma_f32 v[230:231], v[178:179], v[4:5], v[0:1] op_sel_hi:[0,1,1] neg_lo:[1,0,0] neg_hi:[1,0,0]
	v_mov_b64_e32 v[28:29], v[44:45]
	s_waitcnt lgkmcnt(0)
	v_fma_f32 v229, -v178, v6, v229
	v_mov_b64_e32 v[18:19], v[34:35]
	v_mov_b64_e32 v[20:21], v[36:37]
	v_mov_b64_e32 v[22:23], v[38:39]
	v_mov_b64_e32 v[24:25], v[40:41]
	v_mov_b64_e32 v[26:27], v[42:43]
	v_mov_b64_e32 v[30:31], v[46:47]
	v_mov_b32_e32 v29, v230
	v_mov_b64_e32 v[0:1], v[16:17]
	v_mov_b64_e32 v[14:15], v[30:31]
	;; [unrolled: 1-line block ×9, first 2 shown]
	v_mov_b32_e32 v14, v231
	v_mov_b32_e32 v15, v229
	v_mov_b64_e32 v[220:221], v[188:189]
	v_mov_b64_e32 v[218:219], v[186:187]
	;; [unrolled: 1-line block ×7, first 2 shown]
.LBB31_16:
	s_or_b64 exec, exec, s[2:3]
	v_cmp_eq_u32_e32 vcc, 3, v246
	s_waitcnt lgkmcnt(0)
	s_barrier
	s_and_saveexec_b64 s[2:3], vcc
	s_cbranch_execz .LBB31_19
; %bb.17:
	ds_write_b32 v247, v240
	ds_write2_b64 v248, v[4:5], v[6:7] offset0:2 offset1:3
	ds_write2_b64 v248, v[8:9], v[10:11] offset0:4 offset1:5
	;; [unrolled: 1-line block ×3, first 2 shown]
	ds_read_b32 v30, v247
	s_waitcnt lgkmcnt(0)
	v_cmp_neq_f32_e32 vcc, 0, v30
	s_and_b64 exec, exec, vcc
	s_cbranch_execz .LBB31_19
; %bb.18:
	v_div_scale_f32 v31, s[4:5], v30, v30, 1.0
	v_rcp_f32_e32 v45, v31
	v_div_scale_f32 v60, vcc, 1.0, v30, 1.0
	v_fma_f32 v75, -v31, v45, 1.0
	v_fmac_f32_e32 v45, v75, v45
	v_mul_f32_e32 v75, v60, v45
	v_fma_f32 v90, -v31, v75, v60
	v_fmac_f32_e32 v75, v90, v45
	v_fma_f32 v31, -v31, v75, v60
	v_div_fmas_f32 v31, v31, v45, v75
	v_div_fixup_f32 v30, v31, v30, 1.0
	ds_write_b32 v247, v30
.LBB31_19:
	s_or_b64 exec, exec, s[2:3]
	s_waitcnt lgkmcnt(0)
	s_barrier
	ds_read_b32 v176, v247
	v_cmp_lt_u32_e32 vcc, 3, v246
	s_and_saveexec_b64 s[2:3], vcc
	s_cbranch_execz .LBB31_21
; %bb.20:
	ds_read2_b64 v[0:3], v248 offset0:2 offset1:3
	ds_read2_b64 v[16:19], v248 offset0:4 offset1:5
	s_waitcnt lgkmcnt(2)
	v_mul_f32_e32 v24, v240, v176
	v_mov_b32_e32 v211, v24
	v_mov_b64_e32 v[160:161], v[208:209]
	s_waitcnt lgkmcnt(1)
	v_pk_fma_f32 v[178:179], v[24:25], v[0:1], v[4:5] op_sel_hi:[0,1,1] neg_lo:[1,0,0] neg_hi:[1,0,0]
	v_mov_b64_e32 v[164:165], v[212:213]
	v_mov_b64_e32 v[162:163], v[210:211]
	;; [unrolled: 1-line block ×7, first 2 shown]
	v_mov_b32_e32 v164, v178
	v_mov_b64_e32 v[144:145], v[160:161]
	v_mov_b64_e32 v[148:149], v[164:165]
	;; [unrolled: 1-line block ×8, first 2 shown]
	v_mov_b32_e32 v149, v179
	v_mov_b64_e32 v[128:129], v[144:145]
	v_pk_fma_f32 v[180:181], v[24:25], v[2:3], v[6:7] op_sel_hi:[0,1,1] neg_lo:[1,0,0] neg_hi:[1,0,0]
	v_mov_b64_e32 v[134:135], v[150:151]
	v_mov_b64_e32 v[130:131], v[146:147]
	;; [unrolled: 1-line block ×7, first 2 shown]
	v_mov_b32_e32 v134, v180
	v_mov_b64_e32 v[112:113], v[128:129]
	v_mov_b64_e32 v[118:119], v[134:135]
	;; [unrolled: 1-line block ×8, first 2 shown]
	v_mov_b32_e32 v119, v181
	v_mov_b64_e32 v[96:97], v[112:113]
	s_waitcnt lgkmcnt(0)
	v_pk_fma_f32 v[182:183], v[24:25], v[16:17], v[8:9] op_sel_hi:[0,1,1] neg_lo:[1,0,0] neg_hi:[1,0,0]
	v_mov_b64_e32 v[104:105], v[120:121]
	v_mov_b64_e32 v[98:99], v[114:115]
	;; [unrolled: 1-line block ×7, first 2 shown]
	v_mov_b32_e32 v104, v182
	v_mov_b64_e32 v[80:81], v[96:97]
	v_mov_b64_e32 v[88:89], v[104:105]
	ds_read2_b64 v[20:23], v248 offset0:6 offset1:7
	v_mov_b64_e32 v[82:83], v[98:99]
	v_mov_b64_e32 v[84:85], v[100:101]
	;; [unrolled: 1-line block ×6, first 2 shown]
	v_mov_b32_e32 v89, v183
	v_mov_b64_e32 v[64:65], v[80:81]
	v_pk_fma_f32 v[184:185], v[24:25], v[18:19], v[10:11] op_sel_hi:[0,1,1] neg_lo:[1,0,0] neg_hi:[1,0,0]
	v_mov_b64_e32 v[74:75], v[90:91]
	v_mov_b64_e32 v[66:67], v[82:83]
	;; [unrolled: 1-line block ×7, first 2 shown]
	v_mov_b32_e32 v74, v184
	v_mov_b64_e32 v[48:49], v[64:65]
	v_mov_b64_e32 v[58:59], v[74:75]
	;; [unrolled: 1-line block ×8, first 2 shown]
	v_mov_b32_e32 v59, v185
	v_mov_b64_e32 v[32:33], v[48:49]
	s_waitcnt lgkmcnt(0)
	v_pk_fma_f32 v[186:187], v[24:25], v[20:21], v[12:13] op_sel_hi:[0,1,1] neg_lo:[1,0,0] neg_hi:[1,0,0]
	v_mov_b64_e32 v[44:45], v[60:61]
	v_pk_fma_f32 v[228:229], v[24:25], v[22:23], v[14:15] op_sel_hi:[0,1,1] neg_lo:[1,0,0] neg_hi:[1,0,0]
	v_mov_b64_e32 v[34:35], v[50:51]
	v_mov_b64_e32 v[36:37], v[52:53]
	;; [unrolled: 1-line block ×6, first 2 shown]
	v_mov_b32_e32 v44, v186
	v_mov_b64_e32 v[16:17], v[32:33]
	v_mov_b64_e32 v[28:29], v[44:45]
	;; [unrolled: 1-line block ×8, first 2 shown]
	v_mov_b32_e32 v29, v187
	v_mov_b64_e32 v[0:1], v[16:17]
	v_mov_b64_e32 v[14:15], v[30:31]
	v_mov_b64_e32 v[192:193], v[208:209]
	v_mov_b64_e32 v[2:3], v[18:19]
	v_mov_b64_e32 v[4:5], v[20:21]
	v_mov_b64_e32 v[6:7], v[22:23]
	v_mov_b64_e32 v[8:9], v[24:25]
	v_mov_b64_e32 v[10:11], v[26:27]
	v_mov_b64_e32 v[12:13], v[28:29]
	v_mov_b32_e32 v14, v228
	v_mov_b32_e32 v15, v229
	v_mov_b64_e32 v[194:195], v[210:211]
	v_mov_b64_e32 v[196:197], v[212:213]
	;; [unrolled: 1-line block ×7, first 2 shown]
	v_mov_b32_e32 v241, v178
	v_mov_b32_e32 v238, v179
	;; [unrolled: 1-line block ×11, first 2 shown]
.LBB31_21:
	s_or_b64 exec, exec, s[2:3]
	v_cmp_eq_u32_e32 vcc, 4, v246
	s_waitcnt lgkmcnt(0)
	s_barrier
	s_and_saveexec_b64 s[2:3], vcc
	s_cbranch_execz .LBB31_24
; %bb.22:
	ds_write_b32 v247, v241
	ds_write2_b32 v248, v5, v6 offset0:5 offset1:6
	ds_write2_b32 v248, v7, v8 offset0:7 offset1:8
	;; [unrolled: 1-line block ×5, first 2 shown]
	ds_write_b32 v248, v229 offset:60
	ds_read_b32 v30, v247
	s_waitcnt lgkmcnt(0)
	v_cmp_neq_f32_e32 vcc, 0, v30
	s_and_b64 exec, exec, vcc
	s_cbranch_execz .LBB31_24
; %bb.23:
	v_div_scale_f32 v31, s[4:5], v30, v30, 1.0
	v_rcp_f32_e32 v45, v31
	v_div_scale_f32 v60, vcc, 1.0, v30, 1.0
	v_fma_f32 v75, -v31, v45, 1.0
	v_fmac_f32_e32 v45, v75, v45
	v_mul_f32_e32 v75, v60, v45
	v_fma_f32 v90, -v31, v75, v60
	v_fmac_f32_e32 v75, v90, v45
	v_fma_f32 v31, -v31, v75, v60
	v_div_fmas_f32 v31, v31, v45, v75
	v_div_fixup_f32 v30, v31, v30, 1.0
	ds_write_b32 v247, v30
.LBB31_24:
	s_or_b64 exec, exec, s[2:3]
	s_waitcnt lgkmcnt(0)
	s_barrier
	ds_read_b32 v177, v247
	v_cmp_lt_u32_e32 vcc, 4, v246
	s_and_saveexec_b64 s[2:3], vcc
	s_cbranch_execz .LBB31_26
; %bb.25:
	ds_read2_b32 v[0:1], v248 offset0:5 offset1:6
	s_waitcnt lgkmcnt(1)
	v_mul_f32_e32 v196, v241, v177
	v_mov_b32_e32 v2, v5
	v_mov_b32_e32 v3, v6
	v_mov_b64_e32 v[144:145], v[192:193]
	s_waitcnt lgkmcnt(0)
	v_pk_fma_f32 v[238:239], v[196:197], v[0:1], v[2:3] op_sel_hi:[0,1,1] neg_lo:[1,0,0] neg_hi:[1,0,0]
	v_mov_b64_e32 v[148:149], v[196:197]
	ds_read2_b32 v[4:5], v248 offset0:7 offset1:8
	ds_read2_b32 v[16:17], v248 offset0:9 offset1:10
	;; [unrolled: 1-line block ×3, first 2 shown]
	v_mov_b64_e32 v[146:147], v[194:195]
	v_mov_b64_e32 v[150:151], v[198:199]
	v_mov_b64_e32 v[152:153], v[200:201]
	v_mov_b64_e32 v[154:155], v[202:203]
	v_mov_b64_e32 v[156:157], v[204:205]
	v_mov_b64_e32 v[158:159], v[206:207]
	v_mov_b32_e32 v149, v238
	v_mov_b64_e32 v[128:129], v[144:145]
	v_mov_b64_e32 v[134:135], v[150:151]
	v_mov_b32_e32 v0, v7
	v_mov_b32_e32 v1, v8
	v_mov_b64_e32 v[130:131], v[146:147]
	v_mov_b64_e32 v[132:133], v[148:149]
	;; [unrolled: 1-line block ×6, first 2 shown]
	v_mov_b32_e32 v134, v239
	v_mov_b64_e32 v[112:113], v[128:129]
	s_waitcnt lgkmcnt(2)
	v_pk_fma_f32 v[236:237], v[196:197], v[4:5], v[0:1] op_sel_hi:[0,1,1] neg_lo:[1,0,0] neg_hi:[1,0,0]
	v_mov_b64_e32 v[118:119], v[134:135]
	v_mov_b64_e32 v[114:115], v[130:131]
	;; [unrolled: 1-line block ×7, first 2 shown]
	v_mov_b32_e32 v119, v236
	v_mov_b64_e32 v[96:97], v[112:113]
	v_mov_b64_e32 v[104:105], v[120:121]
	v_mov_b32_e32 v0, v9
	v_mov_b32_e32 v1, v10
	v_mov_b64_e32 v[98:99], v[114:115]
	v_mov_b64_e32 v[100:101], v[116:117]
	;; [unrolled: 1-line block ×6, first 2 shown]
	v_mov_b32_e32 v104, v237
	v_mov_b64_e32 v[80:81], v[96:97]
	s_waitcnt lgkmcnt(1)
	v_pk_fma_f32 v[234:235], v[196:197], v[16:17], v[0:1] op_sel_hi:[0,1,1] neg_lo:[1,0,0] neg_hi:[1,0,0]
	v_mov_b64_e32 v[88:89], v[104:105]
	v_mov_b64_e32 v[82:83], v[98:99]
	;; [unrolled: 1-line block ×7, first 2 shown]
	v_mov_b32_e32 v89, v234
	v_mov_b64_e32 v[64:65], v[80:81]
	v_mov_b64_e32 v[74:75], v[90:91]
	v_mov_b32_e32 v0, v11
	v_mov_b32_e32 v1, v12
	v_mov_b64_e32 v[66:67], v[82:83]
	v_mov_b64_e32 v[68:69], v[84:85]
	v_mov_b64_e32 v[70:71], v[86:87]
	v_mov_b64_e32 v[72:73], v[88:89]
	v_mov_b64_e32 v[76:77], v[92:93]
	v_mov_b64_e32 v[78:79], v[94:95]
	v_mov_b32_e32 v74, v235
	v_mov_b64_e32 v[48:49], v[64:65]
	ds_read2_b32 v[2:3], v248 offset0:13 offset1:14
	ds_read_b32 v4, v248 offset:60
	s_waitcnt lgkmcnt(2)
	v_pk_fma_f32 v[232:233], v[196:197], v[18:19], v[0:1] op_sel_hi:[0,1,1] neg_lo:[1,0,0] neg_hi:[1,0,0]
	v_mov_b64_e32 v[58:59], v[74:75]
	v_mov_b64_e32 v[50:51], v[66:67]
	;; [unrolled: 1-line block ×7, first 2 shown]
	v_mov_b32_e32 v59, v232
	v_mov_b64_e32 v[32:33], v[48:49]
	v_mov_b64_e32 v[44:45], v[60:61]
	v_mov_b32_e32 v0, v13
	v_mov_b32_e32 v1, v14
	v_mov_b64_e32 v[34:35], v[50:51]
	v_mov_b64_e32 v[36:37], v[52:53]
	;; [unrolled: 1-line block ×6, first 2 shown]
	v_mov_b32_e32 v44, v233
	v_mov_b64_e32 v[16:17], v[32:33]
	s_waitcnt lgkmcnt(1)
	v_pk_fma_f32 v[230:231], v[196:197], v[2:3], v[0:1] op_sel_hi:[0,1,1] neg_lo:[1,0,0] neg_hi:[1,0,0]
	v_mov_b64_e32 v[28:29], v[44:45]
	s_waitcnt lgkmcnt(0)
	v_fma_f32 v229, -v196, v4, v229
	v_mov_b64_e32 v[18:19], v[34:35]
	v_mov_b64_e32 v[20:21], v[36:37]
	;; [unrolled: 1-line block ×6, first 2 shown]
	v_mov_b32_e32 v29, v230
	v_mov_b64_e32 v[0:1], v[16:17]
	v_mov_b64_e32 v[14:15], v[30:31]
	;; [unrolled: 1-line block ×9, first 2 shown]
	v_mov_b32_e32 v14, v231
	v_mov_b32_e32 v15, v229
	v_mov_b64_e32 v[162:163], v[194:195]
	v_mov_b64_e32 v[164:165], v[196:197]
	;; [unrolled: 1-line block ×7, first 2 shown]
.LBB31_26:
	s_or_b64 exec, exec, s[2:3]
	v_cmp_eq_u32_e32 vcc, 5, v246
	s_waitcnt lgkmcnt(0)
	s_barrier
	s_and_saveexec_b64 s[2:3], vcc
	s_cbranch_execz .LBB31_29
; %bb.27:
	ds_write_b32 v247, v238
	ds_write2_b64 v248, v[6:7], v[8:9] offset0:3 offset1:4
	ds_write2_b64 v248, v[10:11], v[12:13] offset0:5 offset1:6
	ds_write_b64 v248, v[14:15] offset:56
	ds_read_b32 v30, v247
	s_waitcnt lgkmcnt(0)
	v_cmp_neq_f32_e32 vcc, 0, v30
	s_and_b64 exec, exec, vcc
	s_cbranch_execz .LBB31_29
; %bb.28:
	v_div_scale_f32 v31, s[4:5], v30, v30, 1.0
	v_rcp_f32_e32 v45, v31
	v_div_scale_f32 v60, vcc, 1.0, v30, 1.0
	v_fma_f32 v75, -v31, v45, 1.0
	v_fmac_f32_e32 v45, v75, v45
	v_mul_f32_e32 v75, v60, v45
	v_fma_f32 v90, -v31, v75, v60
	v_fmac_f32_e32 v75, v90, v45
	v_fma_f32 v31, -v31, v75, v60
	v_div_fmas_f32 v31, v31, v45, v75
	v_div_fixup_f32 v30, v31, v30, 1.0
	ds_write_b32 v247, v30
.LBB31_29:
	s_or_b64 exec, exec, s[2:3]
	s_waitcnt lgkmcnt(0)
	s_barrier
	ds_read_b32 v178, v247
	v_cmp_lt_u32_e32 vcc, 5, v246
	s_and_saveexec_b64 s[2:3], vcc
	s_cbranch_execz .LBB31_31
; %bb.30:
	ds_read2_b64 v[0:3], v248 offset0:3 offset1:4
	ds_read2_b64 v[16:19], v248 offset0:5 offset1:6
	s_waitcnt lgkmcnt(2)
	v_mul_f32_e32 v4, v238, v178
	v_mov_b32_e32 v165, v4
	v_mov_b64_e32 v[128:129], v[160:161]
	s_waitcnt lgkmcnt(1)
	v_pk_fma_f32 v[180:181], v[4:5], v[0:1], v[6:7] op_sel_hi:[0,1,1] neg_lo:[1,0,0] neg_hi:[1,0,0]
	v_mov_b64_e32 v[134:135], v[166:167]
	v_mov_b64_e32 v[130:131], v[162:163]
	;; [unrolled: 1-line block ×7, first 2 shown]
	v_mov_b32_e32 v134, v180
	v_mov_b64_e32 v[112:113], v[128:129]
	v_mov_b64_e32 v[118:119], v[134:135]
	;; [unrolled: 1-line block ×8, first 2 shown]
	v_mov_b32_e32 v119, v181
	v_mov_b64_e32 v[96:97], v[112:113]
	v_pk_fma_f32 v[182:183], v[4:5], v[2:3], v[8:9] op_sel_hi:[0,1,1] neg_lo:[1,0,0] neg_hi:[1,0,0]
	v_mov_b64_e32 v[104:105], v[120:121]
	v_mov_b64_e32 v[98:99], v[114:115]
	;; [unrolled: 1-line block ×7, first 2 shown]
	v_mov_b32_e32 v104, v182
	v_mov_b64_e32 v[80:81], v[96:97]
	v_mov_b64_e32 v[88:89], v[104:105]
	;; [unrolled: 1-line block ×8, first 2 shown]
	v_mov_b32_e32 v89, v183
	v_mov_b64_e32 v[64:65], v[80:81]
	ds_read_b64 v[20:21], v248 offset:56
	s_waitcnt lgkmcnt(1)
	v_pk_fma_f32 v[184:185], v[4:5], v[16:17], v[10:11] op_sel_hi:[0,1,1] neg_lo:[1,0,0] neg_hi:[1,0,0]
	v_mov_b64_e32 v[74:75], v[90:91]
	v_mov_b64_e32 v[66:67], v[82:83]
	v_mov_b64_e32 v[68:69], v[84:85]
	v_mov_b64_e32 v[70:71], v[86:87]
	v_mov_b64_e32 v[72:73], v[88:89]
	v_mov_b64_e32 v[76:77], v[92:93]
	v_mov_b64_e32 v[78:79], v[94:95]
	v_mov_b32_e32 v74, v184
	v_mov_b64_e32 v[48:49], v[64:65]
	v_mov_b64_e32 v[58:59], v[74:75]
	v_mov_b64_e32 v[50:51], v[66:67]
	v_mov_b64_e32 v[52:53], v[68:69]
	v_mov_b64_e32 v[54:55], v[70:71]
	v_mov_b64_e32 v[56:57], v[72:73]
	v_mov_b64_e32 v[60:61], v[76:77]
	v_mov_b64_e32 v[62:63], v[78:79]
	v_mov_b32_e32 v59, v185
	v_mov_b64_e32 v[32:33], v[48:49]
	v_pk_fma_f32 v[186:187], v[4:5], v[18:19], v[12:13] op_sel_hi:[0,1,1] neg_lo:[1,0,0] neg_hi:[1,0,0]
	v_mov_b64_e32 v[44:45], v[60:61]
	s_waitcnt lgkmcnt(0)
	v_pk_fma_f32 v[228:229], v[4:5], v[20:21], v[14:15] op_sel_hi:[0,1,1] neg_lo:[1,0,0] neg_hi:[1,0,0]
	v_mov_b64_e32 v[34:35], v[50:51]
	v_mov_b64_e32 v[36:37], v[52:53]
	;; [unrolled: 1-line block ×6, first 2 shown]
	v_mov_b32_e32 v44, v186
	v_mov_b64_e32 v[16:17], v[32:33]
	v_mov_b64_e32 v[28:29], v[44:45]
	;; [unrolled: 1-line block ×8, first 2 shown]
	v_mov_b32_e32 v29, v187
	v_mov_b64_e32 v[0:1], v[16:17]
	v_mov_b64_e32 v[14:15], v[30:31]
	;; [unrolled: 1-line block ×9, first 2 shown]
	v_mov_b32_e32 v14, v228
	v_mov_b32_e32 v15, v229
	v_mov_b64_e32 v[146:147], v[162:163]
	v_mov_b64_e32 v[148:149], v[164:165]
	;; [unrolled: 1-line block ×7, first 2 shown]
	v_mov_b32_e32 v239, v180
	v_mov_b32_e32 v236, v181
	;; [unrolled: 1-line block ×9, first 2 shown]
.LBB31_31:
	s_or_b64 exec, exec, s[2:3]
	v_cmp_eq_u32_e32 vcc, 6, v246
	s_waitcnt lgkmcnt(0)
	s_barrier
	s_and_saveexec_b64 s[2:3], vcc
	s_cbranch_execz .LBB31_34
; %bb.32:
	ds_write_b32 v247, v239
	ds_write2_b32 v248, v7, v8 offset0:7 offset1:8
	ds_write2_b32 v248, v9, v10 offset0:9 offset1:10
	;; [unrolled: 1-line block ×4, first 2 shown]
	ds_write_b32 v248, v229 offset:60
	ds_read_b32 v30, v247
	s_waitcnt lgkmcnt(0)
	v_cmp_neq_f32_e32 vcc, 0, v30
	s_and_b64 exec, exec, vcc
	s_cbranch_execz .LBB31_34
; %bb.33:
	v_div_scale_f32 v31, s[4:5], v30, v30, 1.0
	v_rcp_f32_e32 v45, v31
	v_div_scale_f32 v60, vcc, 1.0, v30, 1.0
	v_fma_f32 v75, -v31, v45, 1.0
	v_fmac_f32_e32 v45, v75, v45
	v_mul_f32_e32 v75, v60, v45
	v_fma_f32 v90, -v31, v75, v60
	v_fmac_f32_e32 v75, v90, v45
	v_fma_f32 v31, -v31, v75, v60
	v_div_fmas_f32 v31, v31, v45, v75
	v_div_fixup_f32 v30, v31, v30, 1.0
	ds_write_b32 v247, v30
.LBB31_34:
	s_or_b64 exec, exec, s[2:3]
	s_waitcnt lgkmcnt(0)
	s_barrier
	ds_read_b32 v160, v247
	v_cmp_lt_u32_e32 vcc, 6, v246
	s_and_saveexec_b64 s[2:3], vcc
	s_cbranch_execz .LBB31_36
; %bb.35:
	ds_read2_b32 v[0:1], v248 offset0:7 offset1:8
	s_waitcnt lgkmcnt(1)
	v_mul_f32_e32 v150, v239, v160
	v_mov_b32_e32 v2, v7
	v_mov_b32_e32 v3, v8
	v_mov_b64_e32 v[112:113], v[144:145]
	s_waitcnt lgkmcnt(0)
	v_pk_fma_f32 v[236:237], v[150:151], v[0:1], v[2:3] op_sel_hi:[0,1,1] neg_lo:[1,0,0] neg_hi:[1,0,0]
	v_mov_b64_e32 v[118:119], v[150:151]
	ds_read2_b32 v[4:5], v248 offset0:9 offset1:10
	ds_read2_b32 v[6:7], v248 offset0:11 offset1:12
	;; [unrolled: 1-line block ×3, first 2 shown]
	v_mov_b64_e32 v[114:115], v[146:147]
	v_mov_b64_e32 v[116:117], v[148:149]
	;; [unrolled: 1-line block ×6, first 2 shown]
	v_mov_b32_e32 v119, v236
	v_mov_b64_e32 v[96:97], v[112:113]
	v_mov_b64_e32 v[104:105], v[120:121]
	v_mov_b32_e32 v0, v9
	v_mov_b32_e32 v1, v10
	v_mov_b64_e32 v[98:99], v[114:115]
	v_mov_b64_e32 v[100:101], v[116:117]
	;; [unrolled: 1-line block ×6, first 2 shown]
	v_mov_b32_e32 v104, v237
	v_mov_b64_e32 v[80:81], v[96:97]
	s_waitcnt lgkmcnt(2)
	v_pk_fma_f32 v[234:235], v[150:151], v[4:5], v[0:1] op_sel_hi:[0,1,1] neg_lo:[1,0,0] neg_hi:[1,0,0]
	v_mov_b64_e32 v[88:89], v[104:105]
	v_mov_b64_e32 v[82:83], v[98:99]
	;; [unrolled: 1-line block ×7, first 2 shown]
	v_mov_b32_e32 v89, v234
	v_mov_b64_e32 v[64:65], v[80:81]
	v_mov_b64_e32 v[74:75], v[90:91]
	v_mov_b32_e32 v0, v11
	v_mov_b32_e32 v1, v12
	v_mov_b64_e32 v[66:67], v[82:83]
	v_mov_b64_e32 v[68:69], v[84:85]
	;; [unrolled: 1-line block ×6, first 2 shown]
	v_mov_b32_e32 v74, v235
	v_mov_b64_e32 v[48:49], v[64:65]
	ds_read_b32 v2, v248 offset:60
	s_waitcnt lgkmcnt(2)
	v_pk_fma_f32 v[232:233], v[150:151], v[6:7], v[0:1] op_sel_hi:[0,1,1] neg_lo:[1,0,0] neg_hi:[1,0,0]
	v_mov_b64_e32 v[58:59], v[74:75]
	v_mov_b64_e32 v[50:51], v[66:67]
	;; [unrolled: 1-line block ×7, first 2 shown]
	v_mov_b32_e32 v59, v232
	v_mov_b64_e32 v[32:33], v[48:49]
	v_mov_b32_e32 v0, v13
	v_mov_b32_e32 v1, v14
	v_mov_b64_e32 v[44:45], v[60:61]
	s_waitcnt lgkmcnt(1)
	v_pk_fma_f32 v[230:231], v[150:151], v[16:17], v[0:1] op_sel_hi:[0,1,1] neg_lo:[1,0,0] neg_hi:[1,0,0]
	v_mov_b64_e32 v[34:35], v[50:51]
	v_mov_b64_e32 v[36:37], v[52:53]
	;; [unrolled: 1-line block ×6, first 2 shown]
	v_mov_b32_e32 v44, v233
	v_mov_b64_e32 v[16:17], v[32:33]
	v_mov_b64_e32 v[28:29], v[44:45]
	s_waitcnt lgkmcnt(0)
	v_fma_f32 v229, -v150, v2, v229
	v_mov_b64_e32 v[18:19], v[34:35]
	v_mov_b64_e32 v[20:21], v[36:37]
	;; [unrolled: 1-line block ×6, first 2 shown]
	v_mov_b32_e32 v29, v230
	v_mov_b64_e32 v[0:1], v[16:17]
	v_mov_b64_e32 v[14:15], v[30:31]
	;; [unrolled: 1-line block ×9, first 2 shown]
	v_mov_b32_e32 v14, v231
	v_mov_b32_e32 v15, v229
	v_mov_b64_e32 v[130:131], v[146:147]
	v_mov_b64_e32 v[132:133], v[148:149]
	;; [unrolled: 1-line block ×7, first 2 shown]
.LBB31_36:
	s_or_b64 exec, exec, s[2:3]
	v_cmp_eq_u32_e32 vcc, 7, v246
	s_waitcnt lgkmcnt(0)
	s_barrier
	s_and_saveexec_b64 s[2:3], vcc
	s_cbranch_execz .LBB31_39
; %bb.37:
	ds_write_b32 v247, v236
	ds_write2_b64 v248, v[8:9], v[10:11] offset0:4 offset1:5
	ds_write2_b64 v248, v[12:13], v[14:15] offset0:6 offset1:7
	ds_read_b32 v30, v247
	s_waitcnt lgkmcnt(0)
	v_cmp_neq_f32_e32 vcc, 0, v30
	s_and_b64 exec, exec, vcc
	s_cbranch_execz .LBB31_39
; %bb.38:
	v_div_scale_f32 v31, s[4:5], v30, v30, 1.0
	v_rcp_f32_e32 v45, v31
	v_div_scale_f32 v60, vcc, 1.0, v30, 1.0
	v_fma_f32 v75, -v31, v45, 1.0
	v_fmac_f32_e32 v45, v75, v45
	v_mul_f32_e32 v75, v60, v45
	v_fma_f32 v90, -v31, v75, v60
	v_fmac_f32_e32 v75, v90, v45
	v_fma_f32 v31, -v31, v75, v60
	v_div_fmas_f32 v31, v31, v45, v75
	v_div_fixup_f32 v30, v31, v30, 1.0
	ds_write_b32 v247, v30
.LBB31_39:
	s_or_b64 exec, exec, s[2:3]
	s_waitcnt lgkmcnt(0)
	s_barrier
	ds_read_b32 v144, v247
	v_cmp_lt_u32_e32 vcc, 7, v246
	s_and_saveexec_b64 s[2:3], vcc
	s_cbranch_execz .LBB31_41
; %bb.40:
	ds_read2_b64 v[0:3], v248 offset0:4 offset1:5
	ds_read2_b64 v[4:7], v248 offset0:6 offset1:7
	s_waitcnt lgkmcnt(2)
	v_mul_f32_e32 v16, v236, v144
	v_mov_b32_e32 v135, v16
	v_mov_b64_e32 v[96:97], v[128:129]
	s_waitcnt lgkmcnt(1)
	v_pk_fma_f32 v[146:147], v[16:17], v[0:1], v[8:9] op_sel_hi:[0,1,1] neg_lo:[1,0,0] neg_hi:[1,0,0]
	v_mov_b64_e32 v[104:105], v[136:137]
	v_mov_b64_e32 v[98:99], v[130:131]
	;; [unrolled: 1-line block ×7, first 2 shown]
	v_mov_b32_e32 v104, v146
	v_mov_b64_e32 v[80:81], v[96:97]
	v_mov_b64_e32 v[88:89], v[104:105]
	;; [unrolled: 1-line block ×8, first 2 shown]
	v_mov_b32_e32 v89, v147
	v_mov_b64_e32 v[64:65], v[80:81]
	v_pk_fma_f32 v[148:149], v[16:17], v[2:3], v[10:11] op_sel_hi:[0,1,1] neg_lo:[1,0,0] neg_hi:[1,0,0]
	v_mov_b64_e32 v[74:75], v[90:91]
	v_mov_b64_e32 v[66:67], v[82:83]
	v_mov_b64_e32 v[68:69], v[84:85]
	v_mov_b64_e32 v[70:71], v[86:87]
	v_mov_b64_e32 v[72:73], v[88:89]
	v_mov_b64_e32 v[76:77], v[92:93]
	v_mov_b64_e32 v[78:79], v[94:95]
	v_mov_b32_e32 v74, v148
	v_mov_b64_e32 v[48:49], v[64:65]
	v_mov_b64_e32 v[58:59], v[74:75]
	;; [unrolled: 1-line block ×8, first 2 shown]
	v_mov_b32_e32 v59, v149
	v_mov_b64_e32 v[32:33], v[48:49]
	s_waitcnt lgkmcnt(0)
	v_pk_fma_f32 v[150:151], v[16:17], v[4:5], v[12:13] op_sel_hi:[0,1,1] neg_lo:[1,0,0] neg_hi:[1,0,0]
	v_mov_b64_e32 v[44:45], v[60:61]
	v_pk_fma_f32 v[228:229], v[16:17], v[6:7], v[14:15] op_sel_hi:[0,1,1] neg_lo:[1,0,0] neg_hi:[1,0,0]
	v_mov_b64_e32 v[34:35], v[50:51]
	v_mov_b64_e32 v[36:37], v[52:53]
	;; [unrolled: 1-line block ×6, first 2 shown]
	v_mov_b32_e32 v44, v150
	v_mov_b64_e32 v[16:17], v[32:33]
	v_mov_b64_e32 v[28:29], v[44:45]
	;; [unrolled: 1-line block ×8, first 2 shown]
	v_mov_b32_e32 v29, v151
	v_mov_b64_e32 v[0:1], v[16:17]
	v_mov_b64_e32 v[14:15], v[30:31]
	;; [unrolled: 1-line block ×9, first 2 shown]
	v_mov_b32_e32 v14, v228
	v_mov_b32_e32 v15, v229
	v_mov_b64_e32 v[114:115], v[130:131]
	v_mov_b64_e32 v[116:117], v[132:133]
	;; [unrolled: 1-line block ×7, first 2 shown]
	v_mov_b32_e32 v237, v146
	v_mov_b32_e32 v234, v147
	;; [unrolled: 1-line block ×7, first 2 shown]
.LBB31_41:
	s_or_b64 exec, exec, s[2:3]
	v_cmp_eq_u32_e32 vcc, 8, v246
	s_waitcnt lgkmcnt(0)
	s_barrier
	s_and_saveexec_b64 s[2:3], vcc
	s_cbranch_execz .LBB31_44
; %bb.42:
	ds_write_b32 v247, v237
	ds_write2_b32 v248, v9, v10 offset0:9 offset1:10
	ds_write2_b32 v248, v11, v12 offset0:11 offset1:12
	;; [unrolled: 1-line block ×3, first 2 shown]
	ds_write_b32 v248, v229 offset:60
	ds_read_b32 v30, v247
	s_waitcnt lgkmcnt(0)
	v_cmp_neq_f32_e32 vcc, 0, v30
	s_and_b64 exec, exec, vcc
	s_cbranch_execz .LBB31_44
; %bb.43:
	v_div_scale_f32 v31, s[4:5], v30, v30, 1.0
	v_rcp_f32_e32 v45, v31
	v_div_scale_f32 v60, vcc, 1.0, v30, 1.0
	v_fma_f32 v75, -v31, v45, 1.0
	v_fmac_f32_e32 v45, v75, v45
	v_mul_f32_e32 v75, v60, v45
	v_fma_f32 v90, -v31, v75, v60
	v_fmac_f32_e32 v75, v90, v45
	v_fma_f32 v31, -v31, v75, v60
	v_div_fmas_f32 v31, v31, v45, v75
	v_div_fixup_f32 v30, v31, v30, 1.0
	ds_write_b32 v247, v30
.LBB31_44:
	s_or_b64 exec, exec, s[2:3]
	s_waitcnt lgkmcnt(0)
	s_barrier
	ds_read_b32 v128, v247
	v_cmp_lt_u32_e32 vcc, 8, v246
	s_and_saveexec_b64 s[2:3], vcc
	s_cbranch_execz .LBB31_46
; %bb.45:
	ds_read2_b32 v[0:1], v248 offset0:9 offset1:10
	s_waitcnt lgkmcnt(1)
	v_mul_f32_e32 v120, v237, v128
	v_mov_b32_e32 v2, v9
	v_mov_b32_e32 v3, v10
	v_mov_b64_e32 v[80:81], v[112:113]
	s_waitcnt lgkmcnt(0)
	v_pk_fma_f32 v[234:235], v[120:121], v[0:1], v[2:3] op_sel_hi:[0,1,1] neg_lo:[1,0,0] neg_hi:[1,0,0]
	v_mov_b64_e32 v[88:89], v[120:121]
	ds_read2_b32 v[4:5], v248 offset0:11 offset1:12
	ds_read2_b32 v[6:7], v248 offset0:13 offset1:14
	ds_read_b32 v8, v248 offset:60
	v_mov_b64_e32 v[82:83], v[114:115]
	v_mov_b64_e32 v[84:85], v[116:117]
	;; [unrolled: 1-line block ×6, first 2 shown]
	v_mov_b32_e32 v89, v234
	v_mov_b64_e32 v[64:65], v[80:81]
	v_mov_b64_e32 v[74:75], v[90:91]
	v_mov_b32_e32 v0, v11
	v_mov_b32_e32 v1, v12
	v_mov_b64_e32 v[66:67], v[82:83]
	v_mov_b64_e32 v[68:69], v[84:85]
	;; [unrolled: 1-line block ×6, first 2 shown]
	v_mov_b32_e32 v74, v235
	v_mov_b64_e32 v[48:49], v[64:65]
	s_waitcnt lgkmcnt(2)
	v_pk_fma_f32 v[232:233], v[120:121], v[4:5], v[0:1] op_sel_hi:[0,1,1] neg_lo:[1,0,0] neg_hi:[1,0,0]
	v_mov_b64_e32 v[58:59], v[74:75]
	v_mov_b64_e32 v[50:51], v[66:67]
	;; [unrolled: 1-line block ×7, first 2 shown]
	v_mov_b32_e32 v59, v232
	v_mov_b64_e32 v[32:33], v[48:49]
	v_mov_b64_e32 v[44:45], v[60:61]
	v_mov_b32_e32 v0, v13
	v_mov_b32_e32 v1, v14
	v_mov_b64_e32 v[34:35], v[50:51]
	v_mov_b64_e32 v[36:37], v[52:53]
	;; [unrolled: 1-line block ×6, first 2 shown]
	v_mov_b32_e32 v44, v233
	v_mov_b64_e32 v[16:17], v[32:33]
	s_waitcnt lgkmcnt(1)
	v_pk_fma_f32 v[230:231], v[120:121], v[6:7], v[0:1] op_sel_hi:[0,1,1] neg_lo:[1,0,0] neg_hi:[1,0,0]
	v_mov_b64_e32 v[28:29], v[44:45]
	s_waitcnt lgkmcnt(0)
	v_fma_f32 v229, -v120, v8, v229
	v_mov_b64_e32 v[18:19], v[34:35]
	v_mov_b64_e32 v[20:21], v[36:37]
	;; [unrolled: 1-line block ×6, first 2 shown]
	v_mov_b32_e32 v29, v230
	v_mov_b64_e32 v[0:1], v[16:17]
	v_mov_b64_e32 v[14:15], v[30:31]
	;; [unrolled: 1-line block ×9, first 2 shown]
	v_mov_b32_e32 v14, v231
	v_mov_b32_e32 v15, v229
	v_mov_b64_e32 v[98:99], v[114:115]
	v_mov_b64_e32 v[100:101], v[116:117]
	;; [unrolled: 1-line block ×7, first 2 shown]
.LBB31_46:
	s_or_b64 exec, exec, s[2:3]
	v_cmp_eq_u32_e32 vcc, 9, v246
	s_waitcnt lgkmcnt(0)
	s_barrier
	s_and_saveexec_b64 s[2:3], vcc
	s_cbranch_execz .LBB31_49
; %bb.47:
	ds_write_b32 v247, v234
	ds_write2_b64 v248, v[10:11], v[12:13] offset0:5 offset1:6
	ds_write_b64 v248, v[14:15] offset:56
	ds_read_b32 v30, v247
	s_waitcnt lgkmcnt(0)
	v_cmp_neq_f32_e32 vcc, 0, v30
	s_and_b64 exec, exec, vcc
	s_cbranch_execz .LBB31_49
; %bb.48:
	v_div_scale_f32 v31, s[4:5], v30, v30, 1.0
	v_rcp_f32_e32 v45, v31
	v_div_scale_f32 v60, vcc, 1.0, v30, 1.0
	v_fma_f32 v75, -v31, v45, 1.0
	v_fmac_f32_e32 v45, v75, v45
	v_mul_f32_e32 v75, v60, v45
	v_fma_f32 v90, -v31, v75, v60
	v_fmac_f32_e32 v75, v90, v45
	v_fma_f32 v31, -v31, v75, v60
	v_div_fmas_f32 v31, v31, v45, v75
	v_div_fixup_f32 v30, v31, v30, 1.0
	ds_write_b32 v247, v30
.LBB31_49:
	s_or_b64 exec, exec, s[2:3]
	s_waitcnt lgkmcnt(0)
	s_barrier
	ds_read_b32 v112, v247
	v_cmp_lt_u32_e32 vcc, 9, v246
	s_and_saveexec_b64 s[2:3], vcc
	s_cbranch_execz .LBB31_51
; %bb.50:
	ds_read2_b64 v[0:3], v248 offset0:5 offset1:6
	ds_read_b64 v[4:5], v248 offset:56
	s_waitcnt lgkmcnt(2)
	v_mul_f32_e32 v6, v234, v112
	v_mov_b32_e32 v105, v6
	v_mov_b64_e32 v[64:65], v[96:97]
	s_waitcnt lgkmcnt(1)
	v_pk_fma_f32 v[114:115], v[6:7], v[0:1], v[10:11] op_sel_hi:[0,1,1] neg_lo:[1,0,0] neg_hi:[1,0,0]
	v_mov_b64_e32 v[74:75], v[106:107]
	v_mov_b64_e32 v[66:67], v[98:99]
	;; [unrolled: 1-line block ×7, first 2 shown]
	v_mov_b32_e32 v74, v114
	v_mov_b64_e32 v[48:49], v[64:65]
	v_mov_b64_e32 v[58:59], v[74:75]
	;; [unrolled: 1-line block ×8, first 2 shown]
	v_mov_b32_e32 v59, v115
	v_mov_b64_e32 v[32:33], v[48:49]
	v_pk_fma_f32 v[116:117], v[6:7], v[2:3], v[12:13] op_sel_hi:[0,1,1] neg_lo:[1,0,0] neg_hi:[1,0,0]
	v_mov_b64_e32 v[44:45], v[60:61]
	v_mov_b64_e32 v[34:35], v[50:51]
	;; [unrolled: 1-line block ×7, first 2 shown]
	v_mov_b32_e32 v44, v116
	v_mov_b64_e32 v[16:17], v[32:33]
	v_mov_b64_e32 v[28:29], v[44:45]
	s_waitcnt lgkmcnt(0)
	v_pk_fma_f32 v[228:229], v[6:7], v[4:5], v[14:15] op_sel_hi:[0,1,1] neg_lo:[1,0,0] neg_hi:[1,0,0]
	v_mov_b64_e32 v[18:19], v[34:35]
	v_mov_b64_e32 v[20:21], v[36:37]
	;; [unrolled: 1-line block ×6, first 2 shown]
	v_mov_b32_e32 v29, v117
	v_mov_b64_e32 v[0:1], v[16:17]
	v_mov_b64_e32 v[14:15], v[30:31]
	;; [unrolled: 1-line block ×9, first 2 shown]
	v_mov_b32_e32 v14, v228
	v_mov_b32_e32 v15, v229
	v_mov_b64_e32 v[82:83], v[98:99]
	v_mov_b64_e32 v[84:85], v[100:101]
	;; [unrolled: 1-line block ×7, first 2 shown]
	v_mov_b32_e32 v235, v114
	v_mov_b32_e32 v232, v115
	;; [unrolled: 1-line block ×5, first 2 shown]
.LBB31_51:
	s_or_b64 exec, exec, s[2:3]
	v_cmp_eq_u32_e32 vcc, 10, v246
	s_waitcnt lgkmcnt(0)
	s_barrier
	s_and_saveexec_b64 s[2:3], vcc
	s_cbranch_execz .LBB31_54
; %bb.52:
	ds_write_b32 v247, v235
	ds_write2_b32 v248, v11, v12 offset0:11 offset1:12
	ds_write2_b32 v248, v13, v14 offset0:13 offset1:14
	ds_write_b32 v248, v229 offset:60
	ds_read_b32 v30, v247
	s_waitcnt lgkmcnt(0)
	v_cmp_neq_f32_e32 vcc, 0, v30
	s_and_b64 exec, exec, vcc
	s_cbranch_execz .LBB31_54
; %bb.53:
	v_div_scale_f32 v31, s[4:5], v30, v30, 1.0
	v_rcp_f32_e32 v45, v31
	v_div_scale_f32 v60, vcc, 1.0, v30, 1.0
	v_fma_f32 v75, -v31, v45, 1.0
	v_fmac_f32_e32 v45, v75, v45
	v_mul_f32_e32 v75, v60, v45
	v_fma_f32 v90, -v31, v75, v60
	v_fmac_f32_e32 v75, v90, v45
	v_fma_f32 v31, -v31, v75, v60
	v_div_fmas_f32 v31, v31, v45, v75
	v_div_fixup_f32 v30, v31, v30, 1.0
	ds_write_b32 v247, v30
.LBB31_54:
	s_or_b64 exec, exec, s[2:3]
	s_waitcnt lgkmcnt(0)
	s_barrier
	ds_read_b32 v96, v247
	v_cmp_lt_u32_e32 vcc, 10, v246
	s_and_saveexec_b64 s[2:3], vcc
	s_cbranch_execz .LBB31_56
; %bb.55:
	ds_read2_b32 v[0:1], v248 offset0:11 offset1:12
	s_waitcnt lgkmcnt(1)
	v_mul_f32_e32 v90, v235, v96
	v_mov_b32_e32 v2, v11
	v_mov_b32_e32 v3, v12
	v_mov_b64_e32 v[48:49], v[80:81]
	ds_read2_b32 v[4:5], v248 offset0:13 offset1:14
	ds_read_b32 v6, v248 offset:60
	s_waitcnt lgkmcnt(2)
	v_pk_fma_f32 v[232:233], v[90:91], v[0:1], v[2:3] op_sel_hi:[0,1,1] neg_lo:[1,0,0] neg_hi:[1,0,0]
	v_mov_b64_e32 v[58:59], v[90:91]
	v_mov_b64_e32 v[50:51], v[82:83]
	;; [unrolled: 1-line block ×7, first 2 shown]
	v_mov_b32_e32 v59, v232
	v_mov_b64_e32 v[32:33], v[48:49]
	v_mov_b64_e32 v[44:45], v[60:61]
	v_mov_b32_e32 v0, v13
	v_mov_b32_e32 v1, v14
	v_mov_b64_e32 v[34:35], v[50:51]
	v_mov_b64_e32 v[36:37], v[52:53]
	;; [unrolled: 1-line block ×6, first 2 shown]
	v_mov_b32_e32 v44, v233
	v_mov_b64_e32 v[16:17], v[32:33]
	s_waitcnt lgkmcnt(1)
	v_pk_fma_f32 v[230:231], v[90:91], v[4:5], v[0:1] op_sel_hi:[0,1,1] neg_lo:[1,0,0] neg_hi:[1,0,0]
	v_mov_b64_e32 v[28:29], v[44:45]
	s_waitcnt lgkmcnt(0)
	v_fma_f32 v229, -v90, v6, v229
	v_mov_b64_e32 v[18:19], v[34:35]
	v_mov_b64_e32 v[20:21], v[36:37]
	;; [unrolled: 1-line block ×6, first 2 shown]
	v_mov_b32_e32 v29, v230
	v_mov_b64_e32 v[0:1], v[16:17]
	v_mov_b64_e32 v[14:15], v[30:31]
	;; [unrolled: 1-line block ×9, first 2 shown]
	v_mov_b32_e32 v14, v231
	v_mov_b32_e32 v15, v229
	v_mov_b64_e32 v[66:67], v[82:83]
	v_mov_b64_e32 v[68:69], v[84:85]
	v_mov_b64_e32 v[70:71], v[86:87]
	v_mov_b64_e32 v[72:73], v[88:89]
	v_mov_b64_e32 v[74:75], v[90:91]
	v_mov_b64_e32 v[76:77], v[92:93]
	v_mov_b64_e32 v[78:79], v[94:95]
.LBB31_56:
	s_or_b64 exec, exec, s[2:3]
	v_cmp_eq_u32_e32 vcc, 11, v246
	s_waitcnt lgkmcnt(0)
	s_barrier
	s_and_saveexec_b64 s[2:3], vcc
	s_cbranch_execz .LBB31_59
; %bb.57:
	ds_write_b32 v247, v232
	ds_write2_b64 v248, v[12:13], v[14:15] offset0:6 offset1:7
	ds_read_b32 v30, v247
	s_waitcnt lgkmcnt(0)
	v_cmp_neq_f32_e32 vcc, 0, v30
	s_and_b64 exec, exec, vcc
	s_cbranch_execz .LBB31_59
; %bb.58:
	v_div_scale_f32 v31, s[4:5], v30, v30, 1.0
	v_rcp_f32_e32 v45, v31
	v_div_scale_f32 v60, vcc, 1.0, v30, 1.0
	v_fma_f32 v75, -v31, v45, 1.0
	v_fmac_f32_e32 v45, v75, v45
	v_mul_f32_e32 v75, v60, v45
	v_fma_f32 v80, -v31, v75, v60
	v_fmac_f32_e32 v75, v80, v45
	v_fma_f32 v31, -v31, v75, v60
	v_div_fmas_f32 v31, v31, v45, v75
	v_div_fixup_f32 v30, v31, v30, 1.0
	ds_write_b32 v247, v30
.LBB31_59:
	s_or_b64 exec, exec, s[2:3]
	s_waitcnt lgkmcnt(0)
	s_barrier
	ds_read_b32 v80, v247
	v_cmp_lt_u32_e32 vcc, 11, v246
	s_and_saveexec_b64 s[2:3], vcc
	s_cbranch_execz .LBB31_61
; %bb.60:
	ds_read2_b64 v[0:3], v248 offset0:6 offset1:7
	s_waitcnt lgkmcnt(1)
	v_mul_f32_e32 v4, v232, v80
	v_mov_b32_e32 v75, v4
	v_mov_b64_e32 v[32:33], v[64:65]
	v_mov_b64_e32 v[44:45], v[76:77]
	s_waitcnt lgkmcnt(0)
	v_pk_fma_f32 v[82:83], v[4:5], v[0:1], v[12:13] op_sel_hi:[0,1,1] neg_lo:[1,0,0] neg_hi:[1,0,0]
	v_mov_b64_e32 v[34:35], v[66:67]
	v_mov_b64_e32 v[36:37], v[68:69]
	;; [unrolled: 1-line block ×6, first 2 shown]
	v_mov_b32_e32 v44, v82
	v_mov_b64_e32 v[16:17], v[32:33]
	v_mov_b64_e32 v[28:29], v[44:45]
	v_pk_fma_f32 v[228:229], v[4:5], v[2:3], v[14:15] op_sel_hi:[0,1,1] neg_lo:[1,0,0] neg_hi:[1,0,0]
	v_mov_b64_e32 v[18:19], v[34:35]
	v_mov_b64_e32 v[20:21], v[36:37]
	;; [unrolled: 1-line block ×6, first 2 shown]
	v_mov_b32_e32 v29, v83
	v_mov_b64_e32 v[0:1], v[16:17]
	v_mov_b64_e32 v[14:15], v[30:31]
	;; [unrolled: 1-line block ×9, first 2 shown]
	v_mov_b32_e32 v14, v228
	v_mov_b32_e32 v15, v229
	v_mov_b64_e32 v[50:51], v[66:67]
	v_mov_b64_e32 v[52:53], v[68:69]
	;; [unrolled: 1-line block ×7, first 2 shown]
	v_mov_b32_e32 v233, v82
	v_mov_b32_e32 v230, v83
	;; [unrolled: 1-line block ×3, first 2 shown]
.LBB31_61:
	s_or_b64 exec, exec, s[2:3]
	v_cmp_eq_u32_e32 vcc, 12, v246
	s_waitcnt lgkmcnt(0)
	s_barrier
	s_and_saveexec_b64 s[2:3], vcc
	s_cbranch_execz .LBB31_64
; %bb.62:
	ds_write_b32 v247, v233
	ds_write2_b32 v248, v13, v14 offset0:13 offset1:14
	ds_write_b32 v248, v229 offset:60
	ds_read_b32 v30, v247
	s_waitcnt lgkmcnt(0)
	v_cmp_neq_f32_e32 vcc, 0, v30
	s_and_b64 exec, exec, vcc
	s_cbranch_execz .LBB31_64
; %bb.63:
	v_div_scale_f32 v31, s[4:5], v30, v30, 1.0
	v_rcp_f32_e32 v45, v31
	v_div_scale_f32 v60, vcc, 1.0, v30, 1.0
	v_fma_f32 v64, -v31, v45, 1.0
	v_fmac_f32_e32 v45, v64, v45
	v_mul_f32_e32 v64, v60, v45
	v_fma_f32 v65, -v31, v64, v60
	v_fmac_f32_e32 v64, v65, v45
	v_fma_f32 v31, -v31, v64, v60
	v_div_fmas_f32 v31, v31, v45, v64
	v_div_fixup_f32 v30, v31, v30, 1.0
	ds_write_b32 v247, v30
.LBB31_64:
	s_or_b64 exec, exec, s[2:3]
	s_waitcnt lgkmcnt(0)
	s_barrier
	ds_read_b32 v64, v247
	v_cmp_lt_u32_e32 vcc, 12, v246
	s_and_saveexec_b64 s[2:3], vcc
	s_cbranch_execz .LBB31_66
; %bb.65:
	ds_read2_b32 v[0:1], v248 offset0:13 offset1:14
	ds_read_b32 v4, v248 offset:60
	s_waitcnt lgkmcnt(2)
	v_mul_f32_e32 v60, v233, v64
	v_mov_b32_e32 v2, v13
	v_mov_b32_e32 v3, v14
	v_mov_b64_e32 v[16:17], v[48:49]
	s_waitcnt lgkmcnt(1)
	v_pk_fma_f32 v[230:231], v[60:61], v[0:1], v[2:3] op_sel_hi:[0,1,1] neg_lo:[1,0,0] neg_hi:[1,0,0]
	v_mov_b64_e32 v[28:29], v[60:61]
	s_waitcnt lgkmcnt(0)
	v_fma_f32 v229, -v60, v4, v229
	v_mov_b64_e32 v[18:19], v[50:51]
	v_mov_b64_e32 v[20:21], v[52:53]
	;; [unrolled: 1-line block ×6, first 2 shown]
	v_mov_b32_e32 v29, v230
	v_mov_b64_e32 v[0:1], v[16:17]
	v_mov_b64_e32 v[14:15], v[30:31]
	;; [unrolled: 1-line block ×9, first 2 shown]
	v_mov_b32_e32 v14, v231
	v_mov_b32_e32 v15, v229
	v_mov_b64_e32 v[34:35], v[50:51]
	v_mov_b64_e32 v[36:37], v[52:53]
	;; [unrolled: 1-line block ×7, first 2 shown]
.LBB31_66:
	s_or_b64 exec, exec, s[2:3]
	v_cmp_eq_u32_e32 vcc, 13, v246
	s_waitcnt lgkmcnt(0)
	s_barrier
	s_and_saveexec_b64 s[2:3], vcc
	s_cbranch_execz .LBB31_69
; %bb.67:
	ds_write_b32 v247, v230
	ds_write_b64 v248, v[14:15] offset:56
	ds_read_b32 v30, v247
	s_waitcnt lgkmcnt(0)
	v_cmp_neq_f32_e32 vcc, 0, v30
	s_and_b64 exec, exec, vcc
	s_cbranch_execz .LBB31_69
; %bb.68:
	v_div_scale_f32 v31, s[4:5], v30, v30, 1.0
	v_rcp_f32_e32 v45, v31
	v_div_scale_f32 v48, vcc, 1.0, v30, 1.0
	v_fma_f32 v49, -v31, v45, 1.0
	v_fmac_f32_e32 v45, v49, v45
	v_mul_f32_e32 v49, v48, v45
	v_fma_f32 v50, -v31, v49, v48
	v_fmac_f32_e32 v49, v50, v45
	v_fma_f32 v31, -v31, v49, v48
	v_div_fmas_f32 v31, v31, v45, v49
	v_div_fixup_f32 v30, v31, v30, 1.0
	ds_write_b32 v247, v30
.LBB31_69:
	s_or_b64 exec, exec, s[2:3]
	s_waitcnt lgkmcnt(0)
	s_barrier
	ds_read_b32 v48, v247
	v_cmp_lt_u32_e32 vcc, 13, v246
	s_and_saveexec_b64 s[2:3], vcc
	s_cbranch_execz .LBB31_71
; %bb.70:
	ds_read_b64 v[0:1], v248 offset:56
	s_waitcnt lgkmcnt(1)
	v_mul_f32_e32 v2, v230, v48
	v_mov_b32_e32 v45, v2
	v_mov_b64_e32 v[16:17], v[32:33]
	v_mov_b64_e32 v[18:19], v[34:35]
	s_waitcnt lgkmcnt(0)
	v_pk_fma_f32 v[228:229], v[2:3], v[0:1], v[14:15] op_sel_hi:[0,1,1] neg_lo:[1,0,0] neg_hi:[1,0,0]
	v_mov_b64_e32 v[0:1], v[32:33]
	v_mov_b64_e32 v[14:15], v[46:47]
	;; [unrolled: 1-line block ×8, first 2 shown]
	v_mov_b32_e32 v14, v228
	v_mov_b32_e32 v15, v229
	v_mov_b64_e32 v[20:21], v[36:37]
	v_mov_b64_e32 v[22:23], v[38:39]
	;; [unrolled: 1-line block ×5, first 2 shown]
	v_mov_b32_e32 v231, v228
	v_mov_b64_e32 v[30:31], v[46:47]
.LBB31_71:
	s_or_b64 exec, exec, s[2:3]
	v_cmp_eq_u32_e32 vcc, 14, v246
	s_waitcnt lgkmcnt(0)
	s_barrier
	s_and_saveexec_b64 s[2:3], vcc
	s_cbranch_execz .LBB31_74
; %bb.72:
	ds_write_b32 v247, v231
	ds_write_b32 v248, v229 offset:60
	ds_read_b32 v30, v247
	s_waitcnt lgkmcnt(0)
	v_cmp_neq_f32_e32 vcc, 0, v30
	s_and_b64 exec, exec, vcc
	s_cbranch_execz .LBB31_74
; %bb.73:
	v_div_scale_f32 v31, s[4:5], v30, v30, 1.0
	v_rcp_f32_e32 v32, v31
	v_div_scale_f32 v33, vcc, 1.0, v30, 1.0
	v_fma_f32 v34, -v31, v32, 1.0
	v_fmac_f32_e32 v32, v34, v32
	v_mul_f32_e32 v34, v33, v32
	v_fma_f32 v35, -v31, v34, v33
	v_fmac_f32_e32 v34, v35, v32
	v_fma_f32 v31, -v31, v34, v33
	v_div_fmas_f32 v31, v31, v32, v34
	v_div_fixup_f32 v30, v31, v30, 1.0
	ds_write_b32 v247, v30
.LBB31_74:
	s_or_b64 exec, exec, s[2:3]
	s_waitcnt lgkmcnt(0)
	s_barrier
	ds_read_b32 v32, v247
	v_cmp_lt_u32_e32 vcc, 14, v246
	s_and_saveexec_b64 s[2:3], vcc
	s_cbranch_execz .LBB31_76
; %bb.75:
	ds_read_b32 v0, v248 offset:60
	s_waitcnt lgkmcnt(1)
	v_mul_f32_e32 v30, v231, v32
	s_waitcnt lgkmcnt(0)
	v_fma_f32 v31, -v30, v0, v229
	v_mov_b64_e32 v[0:1], v[16:17]
	v_mov_b64_e32 v[2:3], v[18:19]
	;; [unrolled: 1-line block ×8, first 2 shown]
	v_mov_b32_e32 v229, v31
.LBB31_76:
	s_or_b64 exec, exec, s[2:3]
	v_cmp_eq_u32_e32 vcc, 15, v246
	s_waitcnt lgkmcnt(0)
	s_barrier
	s_and_saveexec_b64 s[2:3], vcc
	s_cbranch_execz .LBB31_79
; %bb.77:
	v_cmp_neq_f32_e32 vcc, 0, v229
	ds_write_b32 v247, v229
	s_and_b64 exec, exec, vcc
	s_cbranch_execz .LBB31_79
; %bb.78:
	v_div_scale_f32 v16, s[4:5], v229, v229, 1.0
	v_rcp_f32_e32 v17, v16
	v_div_scale_f32 v18, vcc, 1.0, v229, 1.0
	v_fma_f32 v19, -v16, v17, 1.0
	v_fmac_f32_e32 v17, v19, v17
	v_mul_f32_e32 v19, v18, v17
	v_fma_f32 v20, -v16, v19, v18
	v_fmac_f32_e32 v19, v20, v17
	v_fma_f32 v16, -v16, v19, v18
	v_div_fmas_f32 v16, v16, v17, v19
	v_div_fixup_f32 v16, v16, v229, 1.0
	ds_write_b32 v247, v16
.LBB31_79:
	s_or_b64 exec, exec, s[2:3]
	s_waitcnt lgkmcnt(0)
	s_barrier
	ds_read_b32 v18, v247
	s_waitcnt lgkmcnt(0)
	s_barrier
	s_and_saveexec_b64 s[34:35], s[0:1]
	s_cbranch_execz .LBB31_82
; %bb.80:
	v_mov_b32_e32 v16, s6
	v_mov_b32_e32 v17, s7
	v_lshl_add_u64 v[16:17], v[244:245], 2, v[16:17]
	global_load_dword v20, v[16:17], off
	scratch_load_dword v19, off, off offset:88 ; 4-byte Folded Reload
	v_cmp_neq_f32_e64 s[0:1], 0, v249
	v_cmp_eq_f32_e64 s[2:3], 0, v242
	v_cmp_eq_f32_e64 s[4:5], 0, v176
	;; [unrolled: 1-line block ×14, first 2 shown]
	s_waitcnt vmcnt(0)
	v_cmp_eq_f32_e32 vcc, 0, v19
	s_nop 1
	v_cndmask_b32_e64 v19, 0, 1, vcc
	s_or_b64 vcc, s[0:1], vcc
	v_cndmask_b32_e32 v19, 2, v19, vcc
	v_cmp_eq_u32_e32 vcc, 0, v19
	s_and_b64 s[0:1], s[2:3], vcc
	v_cndmask_b32_e64 v19, v19, 3, s[0:1]
	v_cmp_eq_u32_e32 vcc, 0, v19
	s_and_b64 s[0:1], s[4:5], vcc
	v_cndmask_b32_e64 v19, v19, 4, s[0:1]
	;; [unrolled: 3-line block ×14, first 2 shown]
	v_cmp_eq_u32_e32 vcc, 0, v20
	v_cmp_ne_u32_e64 s[0:1], 0, v19
	s_and_b64 s[0:1], vcc, s[0:1]
	s_and_b64 exec, exec, s[0:1]
	s_cbranch_execz .LBB31_82
; %bb.81:
	v_add_u32_e32 v19, s31, v19
	global_store_dword v[16:17], v19, off
.LBB31_82:
	s_or_b64 exec, exec, s[34:35]
	v_mul_f32_e32 v16, v229, v18
	v_cmp_lt_u32_e32 vcc, 15, v246
	s_waitcnt vmcnt(2)
	global_store_dword v[250:251], v0, off
	v_cndmask_b32_e32 v15, v15, v16, vcc
	scratch_load_dwordx2 v[16:17], off, off offset:8 ; 8-byte Folded Reload
	s_waitcnt vmcnt(0)
	global_store_dword v[16:17], v1, off
	scratch_load_dwordx2 v[0:1], off, off offset:16 ; 8-byte Folded Reload
	s_waitcnt vmcnt(0)
	global_store_dword v[0:1], v2, off
	scratch_load_dwordx2 v[0:1], off, off   ; 8-byte Folded Reload
	s_waitcnt vmcnt(0)
	global_store_dword v[0:1], v3, off
	scratch_load_dwordx2 v[0:1], off, off offset:32 ; 8-byte Folded Reload
	s_waitcnt vmcnt(0)
	global_store_dword v[0:1], v4, off
	scratch_load_dwordx2 v[0:1], off, off offset:40 ; 8-byte Folded Reload
	;; [unrolled: 3-line block ×3, first 2 shown]
	s_waitcnt vmcnt(0)
	global_store_dword v[0:1], v6, off
	global_store_dword v[252:253], v7, off
	;; [unrolled: 1-line block ×5, first 2 shown]
	scratch_load_dwordx2 v[0:1], off, off offset:48 ; 8-byte Folded Reload
	s_waitcnt vmcnt(0)
	global_store_dword v[0:1], v11, off
	scratch_load_dwordx2 v[0:1], off, off offset:56 ; 8-byte Folded Reload
	s_waitcnt vmcnt(0)
	global_store_dword v[0:1], v12, off
	scratch_load_dwordx2 v[0:1], off, off offset:64 ; 8-byte Folded Reload
	s_waitcnt vmcnt(0)
	global_store_dword v[0:1], v13, off
	scratch_load_dwordx2 v[0:1], off, off offset:72 ; 8-byte Folded Reload
	s_waitcnt vmcnt(0)
	global_store_dword v[0:1], v14, off
	scratch_load_dwordx2 v[0:1], off, off offset:80 ; 8-byte Folded Reload
	s_waitcnt vmcnt(0)
	global_store_dword v[0:1], v15, off
.LBB31_83:
	s_endpgm
	.section	.rodata,"a",@progbits
	.p2align	6, 0x0
	.amdhsa_kernel _ZN9rocsolver6v33100L23getf2_npvt_small_kernelILi16EfiiPfEEvT1_T3_lS3_lPT2_S3_S3_
		.amdhsa_group_segment_fixed_size 0
		.amdhsa_private_segment_fixed_size 120
		.amdhsa_kernarg_size 312
		.amdhsa_user_sgpr_count 2
		.amdhsa_user_sgpr_dispatch_ptr 0
		.amdhsa_user_sgpr_queue_ptr 0
		.amdhsa_user_sgpr_kernarg_segment_ptr 1
		.amdhsa_user_sgpr_dispatch_id 0
		.amdhsa_user_sgpr_kernarg_preload_length 0
		.amdhsa_user_sgpr_kernarg_preload_offset 0
		.amdhsa_user_sgpr_private_segment_size 0
		.amdhsa_uses_dynamic_stack 0
		.amdhsa_enable_private_segment 1
		.amdhsa_system_sgpr_workgroup_id_x 1
		.amdhsa_system_sgpr_workgroup_id_y 1
		.amdhsa_system_sgpr_workgroup_id_z 0
		.amdhsa_system_sgpr_workgroup_info 0
		.amdhsa_system_vgpr_workitem_id 1
		.amdhsa_next_free_vgpr 256
		.amdhsa_next_free_sgpr 36
		.amdhsa_accum_offset 256
		.amdhsa_reserve_vcc 1
		.amdhsa_float_round_mode_32 0
		.amdhsa_float_round_mode_16_64 0
		.amdhsa_float_denorm_mode_32 3
		.amdhsa_float_denorm_mode_16_64 3
		.amdhsa_dx10_clamp 1
		.amdhsa_ieee_mode 1
		.amdhsa_fp16_overflow 0
		.amdhsa_tg_split 0
		.amdhsa_exception_fp_ieee_invalid_op 0
		.amdhsa_exception_fp_denorm_src 0
		.amdhsa_exception_fp_ieee_div_zero 0
		.amdhsa_exception_fp_ieee_overflow 0
		.amdhsa_exception_fp_ieee_underflow 0
		.amdhsa_exception_fp_ieee_inexact 0
		.amdhsa_exception_int_div_zero 0
	.end_amdhsa_kernel
	.section	.text._ZN9rocsolver6v33100L23getf2_npvt_small_kernelILi16EfiiPfEEvT1_T3_lS3_lPT2_S3_S3_,"axG",@progbits,_ZN9rocsolver6v33100L23getf2_npvt_small_kernelILi16EfiiPfEEvT1_T3_lS3_lPT2_S3_S3_,comdat
.Lfunc_end31:
	.size	_ZN9rocsolver6v33100L23getf2_npvt_small_kernelILi16EfiiPfEEvT1_T3_lS3_lPT2_S3_S3_, .Lfunc_end31-_ZN9rocsolver6v33100L23getf2_npvt_small_kernelILi16EfiiPfEEvT1_T3_lS3_lPT2_S3_S3_
                                        ; -- End function
	.set _ZN9rocsolver6v33100L23getf2_npvt_small_kernelILi16EfiiPfEEvT1_T3_lS3_lPT2_S3_S3_.num_vgpr, 256
	.set _ZN9rocsolver6v33100L23getf2_npvt_small_kernelILi16EfiiPfEEvT1_T3_lS3_lPT2_S3_S3_.num_agpr, 0
	.set _ZN9rocsolver6v33100L23getf2_npvt_small_kernelILi16EfiiPfEEvT1_T3_lS3_lPT2_S3_S3_.numbered_sgpr, 36
	.set _ZN9rocsolver6v33100L23getf2_npvt_small_kernelILi16EfiiPfEEvT1_T3_lS3_lPT2_S3_S3_.num_named_barrier, 0
	.set _ZN9rocsolver6v33100L23getf2_npvt_small_kernelILi16EfiiPfEEvT1_T3_lS3_lPT2_S3_S3_.private_seg_size, 120
	.set _ZN9rocsolver6v33100L23getf2_npvt_small_kernelILi16EfiiPfEEvT1_T3_lS3_lPT2_S3_S3_.uses_vcc, 1
	.set _ZN9rocsolver6v33100L23getf2_npvt_small_kernelILi16EfiiPfEEvT1_T3_lS3_lPT2_S3_S3_.uses_flat_scratch, 0
	.set _ZN9rocsolver6v33100L23getf2_npvt_small_kernelILi16EfiiPfEEvT1_T3_lS3_lPT2_S3_S3_.has_dyn_sized_stack, 0
	.set _ZN9rocsolver6v33100L23getf2_npvt_small_kernelILi16EfiiPfEEvT1_T3_lS3_lPT2_S3_S3_.has_recursion, 0
	.set _ZN9rocsolver6v33100L23getf2_npvt_small_kernelILi16EfiiPfEEvT1_T3_lS3_lPT2_S3_S3_.has_indirect_call, 0
	.section	.AMDGPU.csdata,"",@progbits
; Kernel info:
; codeLenInByte = 10448
; TotalNumSgprs: 42
; NumVgprs: 256
; NumAgprs: 0
; TotalNumVgprs: 256
; ScratchSize: 120
; MemoryBound: 0
; FloatMode: 240
; IeeeMode: 1
; LDSByteSize: 0 bytes/workgroup (compile time only)
; SGPRBlocks: 5
; VGPRBlocks: 31
; NumSGPRsForWavesPerEU: 42
; NumVGPRsForWavesPerEU: 256
; AccumOffset: 256
; Occupancy: 2
; WaveLimiterHint : 0
; COMPUTE_PGM_RSRC2:SCRATCH_EN: 1
; COMPUTE_PGM_RSRC2:USER_SGPR: 2
; COMPUTE_PGM_RSRC2:TRAP_HANDLER: 0
; COMPUTE_PGM_RSRC2:TGID_X_EN: 1
; COMPUTE_PGM_RSRC2:TGID_Y_EN: 1
; COMPUTE_PGM_RSRC2:TGID_Z_EN: 0
; COMPUTE_PGM_RSRC2:TIDIG_COMP_CNT: 1
; COMPUTE_PGM_RSRC3_GFX90A:ACCUM_OFFSET: 63
; COMPUTE_PGM_RSRC3_GFX90A:TG_SPLIT: 0
	.section	.text._ZN9rocsolver6v33100L18getf2_small_kernelILi17EfiiPfEEvT1_T3_lS3_lPS3_llPT2_S3_S3_S5_l,"axG",@progbits,_ZN9rocsolver6v33100L18getf2_small_kernelILi17EfiiPfEEvT1_T3_lS3_lPS3_llPT2_S3_S3_S5_l,comdat
	.globl	_ZN9rocsolver6v33100L18getf2_small_kernelILi17EfiiPfEEvT1_T3_lS3_lPS3_llPT2_S3_S3_S5_l ; -- Begin function _ZN9rocsolver6v33100L18getf2_small_kernelILi17EfiiPfEEvT1_T3_lS3_lPS3_llPT2_S3_S3_S5_l
	.p2align	8
	.type	_ZN9rocsolver6v33100L18getf2_small_kernelILi17EfiiPfEEvT1_T3_lS3_lPS3_llPT2_S3_S3_S5_l,@function
_ZN9rocsolver6v33100L18getf2_small_kernelILi17EfiiPfEEvT1_T3_lS3_lPS3_llPT2_S3_S3_S5_l: ; @_ZN9rocsolver6v33100L18getf2_small_kernelILi17EfiiPfEEvT1_T3_lS3_lPS3_llPT2_S3_S3_S5_l
; %bb.0:
	s_load_dword s2, s[0:1], 0x6c
	s_load_dwordx2 s[14:15], s[0:1], 0x48
	v_bfe_u32 v4, v0, 10, 10
	s_waitcnt lgkmcnt(0)
	s_lshr_b32 s2, s2, 16
	s_mul_i32 s3, s3, s2
	v_add_u32_e32 v232, s3, v4
	v_cmp_gt_i32_e32 vcc, s14, v232
	s_and_saveexec_b64 s[2:3], vcc
	s_cbranch_execz .LBB32_288
; %bb.1:
	s_load_dwordx4 s[4:7], s[0:1], 0x50
	v_ashrrev_i32_e32 v233, 31, v232
	v_mov_b64_e32 v[234:235], 0
	s_waitcnt lgkmcnt(0)
	s_cmp_eq_u64 s[4:5], 0
	s_cselect_b64 s[16:17], -1, 0
	s_and_b64 vcc, exec, s[16:17]
	s_cbranch_vccnz .LBB32_3
; %bb.2:
	v_mul_lo_u32 v1, s7, v232
	v_mul_lo_u32 v5, s6, v233
	v_mad_u64_u32 v[2:3], s[2:3], s6, v232, 0
	v_add3_u32 v3, v3, v5, v1
	v_lshl_add_u64 v[234:235], v[2:3], 2, s[4:5]
.LBB32_3:
	s_load_dwordx4 s[24:27], s[0:1], 0x8
	s_load_dwordx8 s[4:11], s[0:1], 0x20
	s_load_dword s12, s[0:1], 0x18
	s_load_dword s22, s[0:1], 0x0
	s_waitcnt lgkmcnt(0)
	v_mov_b32_e32 v2, s24
	v_mul_lo_u32 v1, s5, v232
	v_mul_lo_u32 v5, s4, v233
	v_mad_u64_u32 v[6:7], s[2:3], s4, v232, 0
	v_mov_b32_e32 v3, s25
	v_add3_u32 v7, v7, v5, v1
	v_lshl_add_u64 v[2:3], v[6:7], 2, v[2:3]
	v_and_b32_e32 v1, 0x3ff, v0
	v_lshl_add_u64 v[230:231], s[26:27], 2, v[2:3]
	v_lshlrev_b32_e32 v2, 2, v1
	v_mov_b32_e32 v3, 0
	v_lshl_add_u64 v[6:7], v[230:231], 0, v[2:3]
	global_load_dword v0, v[6:7], off
	s_max_i32 s2, s22, 17
	s_add_i32 s14, s12, s12
	v_mul_lo_u32 v36, s2, v4
	v_add_u32_e32 v4, s14, v1
	v_add_u32_e32 v8, s12, v4
	;; [unrolled: 1-line block ×14, first 2 shown]
	v_ashrrev_i32_e32 v33, 31, v32
	v_add_u32_e32 v34, s12, v32
	v_lshl_add_u32 v238, v36, 2, 0
	v_ashrrev_i32_e32 v5, 31, v4
	v_lshl_add_u64 v[32:33], v[32:33], 2, v[230:231]
	v_ashrrev_i32_e32 v35, 31, v34
	s_ashr_i32 s13, s12, 31
	v_ashrrev_i32_e32 v9, 31, v8
	v_add_u32_e32 v2, v238, v2
	v_lshl_add_u64 v[4:5], v[4:5], 2, v[230:231]
	v_ashrrev_i32_e32 v11, 31, v10
	v_ashrrev_i32_e32 v13, 31, v12
	;; [unrolled: 1-line block ×4, first 2 shown]
	global_load_dword v236, v[32:33], off
	v_lshl_add_u64 v[32:33], v[34:35], 2, v[230:231]
	v_ashrrev_i32_e32 v19, 31, v18
	v_lshl_add_u64 v[8:9], v[8:9], 2, v[230:231]
	v_lshl_add_u64 v[6:7], s[12:13], 2, v[6:7]
	;; [unrolled: 1-line block ×6, first 2 shown]
	global_load_dword v237, v[32:33], off
	global_load_dword v197, v[6:7], off
	;; [unrolled: 1-line block ×8, first 2 shown]
	v_lshl_add_u64 v[4:5], v[18:19], 2, v[230:231]
	v_ashrrev_i32_e32 v21, 31, v20
	v_ashrrev_i32_e32 v23, 31, v22
	;; [unrolled: 1-line block ×6, first 2 shown]
	v_lshl_add_u64 v[6:7], v[20:21], 2, v[230:231]
	v_lshl_add_u64 v[8:9], v[22:23], 2, v[230:231]
	;; [unrolled: 1-line block ×6, first 2 shown]
	s_load_dwordx2 s[4:5], s[0:1], 0x40
	s_cmp_lt_i32 s22, 2
	v_lshlrev_b32_e32 v239, 2, v36
	s_waitcnt vmcnt(9)
	ds_write_b32 v2, v0
	global_load_dword v40, v[4:5], off
	global_load_dword v171, v[6:7], off
	;; [unrolled: 1-line block ×7, first 2 shown]
	s_waitcnt lgkmcnt(0)
	s_barrier
	ds_read_b32 v2, v238
	s_cbranch_scc1 .LBB32_6
; %bb.4:
	v_add3_u32 v4, v239, 0, 4
	v_mov_b32_e32 v3, 0
	s_mov_b32 s0, 1
.LBB32_5:                               ; =>This Inner Loop Header: Depth=1
	ds_read_b32 v5, v4
	v_mov_b32_e32 v6, s0
	s_add_i32 s0, s0, 1
	v_add_u32_e32 v4, 4, v4
	s_cmp_eq_u32 s22, s0
	s_waitcnt lgkmcnt(0)
	v_cmp_lt_f32_e64 vcc, |v2|, |v5|
	s_nop 1
	v_cndmask_b32_e32 v2, v2, v5, vcc
	v_cndmask_b32_e32 v3, v3, v6, vcc
	s_cbranch_scc0 .LBB32_5
.LBB32_6:
	v_cmp_ne_u32_e32 vcc, v1, v3
                                        ; implicit-def: $vgpr241
	s_and_saveexec_b64 s[0:1], vcc
	s_xor_b64 s[0:1], exec, s[0:1]
	s_cbranch_execz .LBB32_12
; %bb.7:
	v_cmp_eq_u32_e32 vcc, 0, v1
	s_and_saveexec_b64 s[2:3], vcc
	s_cbranch_execz .LBB32_11
; %bb.8:
	v_cmp_ne_u32_e32 vcc, 0, v3
	s_xor_b64 s[18:19], s[16:17], -1
	s_and_b64 s[20:21], s[18:19], vcc
	s_and_saveexec_b64 s[18:19], s[20:21]
	s_cbranch_execz .LBB32_10
; %bb.9:
	v_ashrrev_i32_e32 v5, 31, v3
	v_mov_b32_e32 v4, v3
	v_lshl_add_u64 v[4:5], v[4:5], 2, v[234:235]
	global_load_dword v1, v[4:5], off
	global_load_dword v6, v[234:235], off
	s_waitcnt vmcnt(1)
	global_store_dword v[234:235], v1, off
	s_waitcnt vmcnt(1)
	global_store_dword v[4:5], v6, off
.LBB32_10:
	s_or_b64 exec, exec, s[18:19]
	v_mov_b32_e32 v1, v3
.LBB32_11:
	s_or_b64 exec, exec, s[2:3]
	v_mov_b32_e32 v241, v1
                                        ; implicit-def: $vgpr1
.LBB32_12:
	s_or_saveexec_b64 s[0:1], s[0:1]
	v_mov_b32_e32 v240, v241
	s_xor_b64 exec, exec, s[0:1]
	s_cbranch_execz .LBB32_14
; %bb.13:
	v_mov_b32_e32 v240, v1
	v_mov_b32_e32 v241, 0
	s_waitcnt vmcnt(12)
	ds_write2_b32 v238, v197, v150 offset0:1 offset1:2
	s_waitcnt vmcnt(10)
	ds_write2_b32 v238, v71, v216 offset0:3 offset1:4
	s_waitcnt vmcnt(8)
	ds_write2_b32 v238, v211, v204 offset0:5 offset1:6
	s_waitcnt vmcnt(6)
	ds_write2_b32 v238, v179, v40 offset0:7 offset1:8
	s_waitcnt vmcnt(4)
	ds_write2_b32 v238, v171, v126 offset0:9 offset1:10
	s_waitcnt vmcnt(2)
	ds_write2_b32 v238, v229, v30 offset0:11 offset1:12
	s_waitcnt vmcnt(0)
	ds_write2_b32 v238, v195, v86 offset0:13 offset1:14
	ds_write2_b32 v238, v236, v237 offset0:15 offset1:16
.LBB32_14:
	s_or_b64 exec, exec, s[0:1]
	s_waitcnt lgkmcnt(0)
	v_cmp_eq_f32_e64 s[0:1], 0, v2
	v_cmp_gt_i32_e32 vcc, 1, v241
	s_barrier
	s_and_saveexec_b64 s[2:3], vcc
	s_xor_b64 s[2:3], exec, s[2:3]
; %bb.15:
                                        ; implicit-def: $vgpr2
; %bb.16:
	s_andn2_saveexec_b64 s[2:3], s[2:3]
	s_cbranch_execz .LBB32_18
; %bb.17:
	v_div_scale_f32 v1, s[18:19], v2, v2, 1.0
	v_rcp_f32_e32 v3, v1
	s_waitcnt vmcnt(13)
	v_mov_b32_e32 v4, v197
	s_waitcnt vmcnt(12)
	v_mov_b32_e32 v5, v150
	;; [unrolled: 2-line block ×3, first 2 shown]
	v_fma_f32 v18, -v1, v3, 1.0
	v_fmac_f32_e32 v3, v18, v3
	v_div_scale_f32 v18, vcc, 1.0, v2, 1.0
	v_mul_f32_e32 v19, v18, v3
	v_fma_f32 v20, -v1, v19, v18
	v_fmac_f32_e32 v19, v20, v3
	v_fma_f32 v1, -v1, v19, v18
	v_div_fmas_f32 v1, v1, v3, v19
	v_div_fixup_f32 v1, v1, v2, 1.0
	v_cndmask_b32_e64 v1, v1, v2, s[0:1]
	ds_read2_b32 v[2:3], v238 offset0:1 offset1:2
	ds_read2_b32 v[18:19], v238 offset0:3 offset1:4
	ds_read2_b32 v[20:21], v238 offset0:5 offset1:6
	s_waitcnt vmcnt(10)
	v_mov_b32_e32 v7, v216
	s_waitcnt vmcnt(9)
	v_mov_b32_e32 v8, v211
	s_waitcnt vmcnt(8)
	v_mov_b32_e32 v9, v204
	v_mul_f32_e32 v0, v0, v1
	ds_read2_b32 v[22:23], v238 offset0:7 offset1:8
	s_waitcnt lgkmcnt(3)
	v_pk_fma_f32 v[2:3], v[0:1], v[2:3], v[4:5] op_sel_hi:[0,1,1] neg_lo:[1,0,0] neg_hi:[1,0,0]
	s_waitcnt lgkmcnt(2)
	v_pk_fma_f32 v[4:5], v[0:1], v[18:19], v[6:7] op_sel_hi:[0,1,1] neg_lo:[1,0,0] neg_hi:[1,0,0]
	;; [unrolled: 2-line block ×3, first 2 shown]
	ds_read2_b32 v[8:9], v238 offset0:9 offset1:10
	ds_read2_b32 v[18:19], v238 offset0:11 offset1:12
	;; [unrolled: 1-line block ×4, first 2 shown]
	s_waitcnt vmcnt(7)
	v_mov_b32_e32 v10, v179
	s_waitcnt vmcnt(6)
	v_mov_b32_e32 v11, v40
	;; [unrolled: 2-line block ×8, first 2 shown]
	s_waitcnt lgkmcnt(4)
	v_pk_fma_f32 v[10:11], v[0:1], v[22:23], v[10:11] op_sel_hi:[0,1,1] neg_lo:[1,0,0] neg_hi:[1,0,0]
	s_waitcnt lgkmcnt(3)
	v_pk_fma_f32 v[8:9], v[0:1], v[8:9], v[12:13] op_sel_hi:[0,1,1] neg_lo:[1,0,0] neg_hi:[1,0,0]
	;; [unrolled: 2-line block ×5, first 2 shown]
	v_mov_b32_e32 v197, v2
	v_mov_b32_e32 v150, v3
	;; [unrolled: 1-line block ×14, first 2 shown]
.LBB32_18:
	s_or_b64 exec, exec, s[2:3]
	v_lshl_add_u32 v1, v241, 2, v238
	s_barrier
	s_waitcnt vmcnt(13)
	ds_write_b32 v1, v197
	s_waitcnt lgkmcnt(0)
	s_barrier
	ds_read_b32 v17, v238 offset:4
	s_mov_b32 s2, 2
	s_cmp_lt_i32 s22, 3
	v_mov_b32_e32 v2, 1
	s_cbranch_scc1 .LBB32_21
; %bb.19:
	v_add3_u32 v1, v239, 0, 8
	v_mov_b32_e32 v2, 1
.LBB32_20:                              ; =>This Inner Loop Header: Depth=1
	ds_read_b32 v3, v1
	v_mov_b32_e32 v4, s2
	s_add_i32 s2, s2, 1
	v_add_u32_e32 v1, 4, v1
	s_cmp_lg_u32 s22, s2
	s_waitcnt lgkmcnt(0)
	v_cmp_lt_f32_e64 vcc, |v17|, |v3|
	s_nop 1
	v_cndmask_b32_e32 v17, v17, v3, vcc
	v_cndmask_b32_e32 v2, v2, v4, vcc
	s_cbranch_scc1 .LBB32_20
.LBB32_21:
	v_cmp_ne_u32_e32 vcc, v241, v2
	s_and_saveexec_b64 s[2:3], vcc
	s_xor_b64 s[2:3], exec, s[2:3]
	s_cbranch_execz .LBB32_27
; %bb.22:
	v_cmp_eq_u32_e32 vcc, 1, v241
	s_and_saveexec_b64 s[18:19], vcc
	s_cbranch_execz .LBB32_26
; %bb.23:
	v_cmp_ne_u32_e32 vcc, 1, v2
	s_xor_b64 s[20:21], s[16:17], -1
	s_and_b64 s[24:25], s[20:21], vcc
	s_and_saveexec_b64 s[20:21], s[24:25]
	s_cbranch_execz .LBB32_25
; %bb.24:
	v_ashrrev_i32_e32 v3, 31, v2
	v_lshl_add_u64 v[4:5], v[2:3], 2, v[234:235]
	global_load_dword v1, v[4:5], off
	global_load_dword v3, v[234:235], off offset:4
	s_waitcnt vmcnt(1)
	global_store_dword v[234:235], v1, off offset:4
	s_waitcnt vmcnt(1)
	global_store_dword v[4:5], v3, off
.LBB32_25:
	s_or_b64 exec, exec, s[20:21]
	v_mov_b32_e32 v240, v2
	v_mov_b32_e32 v241, v2
.LBB32_26:
	s_or_b64 exec, exec, s[18:19]
.LBB32_27:
	s_or_saveexec_b64 s[2:3], s[2:3]
	v_mov_b32_e32 v1, v197
	s_waitcnt vmcnt(12)
	v_mov_b32_e32 v2, v150
	s_waitcnt vmcnt(11)
	;; [unrolled: 2-line block ×13, first 2 shown]
	v_mov_b32_e32 v14, v86
	v_mov_b32_e32 v15, v236
	;; [unrolled: 1-line block ×3, first 2 shown]
	s_xor_b64 exec, exec, s[2:3]
	s_cbranch_execz .LBB32_29
; %bb.28:
	v_mov_b32_e32 v241, 1
	ds_write2_b32 v238, v150, v71 offset0:2 offset1:3
	ds_write2_b32 v238, v216, v211 offset0:4 offset1:5
	;; [unrolled: 1-line block ×7, first 2 shown]
	ds_write_b32 v238, v237 offset:64
.LBB32_29:
	s_or_b64 exec, exec, s[2:3]
	v_mov_b32_e32 v32, v0
	v_mov_b32_e32 v33, v197
	;; [unrolled: 1-line block ×57, first 2 shown]
	s_waitcnt lgkmcnt(0)
	s_barrier
	scratch_store_dwordx4 off, v[182:185], off offset:128 ; 16-byte Folded Spill
	s_nop 0
	scratch_store_dwordx4 off, v[186:189], off offset:144 ; 16-byte Folded Spill
	scratch_store_dwordx4 off, v[190:193], off offset:160 ; 16-byte Folded Spill
	scratch_store_dwordx4 off, v[194:197], off offset:176 ; 16-byte Folded Spill
	scratch_store_dwordx4 off, v[198:201], off offset:192 ; 16-byte Folded Spill
	scratch_store_dwordx4 off, v[202:205], off offset:208 ; 16-byte Folded Spill
	scratch_store_dwordx4 off, v[206:209], off offset:224 ; 16-byte Folded Spill
	scratch_store_dwordx4 off, v[210:213], off offset:240 ; 16-byte Folded Spill
	v_mov_b32_e32 v28, v126
	v_mov_b32_e32 v29, v229
	;; [unrolled: 1-line block ×9, first 2 shown]
	v_mov_b64_e32 v[60:61], v[28:29]
	v_mov_b32_e32 v72, v0
	v_mov_b32_e32 v170, v40
	;; [unrolled: 1-line block ×12, first 2 shown]
	v_mov_b64_e32 v[58:59], v[26:27]
	v_mov_b64_e32 v[56:57], v[24:25]
	;; [unrolled: 1-line block ×5, first 2 shown]
	v_mov_b32_e32 v62, v30
	v_mov_b32_e32 v74, v150
	;; [unrolled: 1-line block ×10, first 2 shown]
	v_mov_b64_e32 v[18:19], v[72:73]
	v_mov_b32_e32 v68, v0
	v_mov_b32_e32 v70, v150
	;; [unrolled: 1-line block ×18, first 2 shown]
	v_mov_b64_e32 v[46:47], v[100:101]
	v_mov_b32_e32 v215, v71
	v_mov_b32_e32 v119, v71
	;; [unrolled: 1-line block ×4, first 2 shown]
	v_cmp_lt_i32_e32 vcc, 1, v241
	v_mov_b64_e32 v[20:21], v[74:75]
	v_mov_b64_e32 v[22:23], v[76:77]
	;; [unrolled: 1-line block ×14, first 2 shown]
	v_mov_b32_e32 v46, v62
	scratch_store_dwordx4 off, v[50:53], off ; 16-byte Folded Spill
	s_nop 0
	scratch_store_dwordx4 off, v[54:57], off offset:16 ; 16-byte Folded Spill
	scratch_store_dwordx4 off, v[58:61], off offset:32 ; 16-byte Folded Spill
	;; [unrolled: 1-line block ×8, first 2 shown]
	s_nop 0
	scratch_store_dwordx4 off, v[222:225], off offset:912 ; 16-byte Folded Spill
	scratch_store_dwordx4 off, v[226:229], off offset:928 ; 16-byte Folded Spill
	;; [unrolled: 1-line block ×7, first 2 shown]
	v_mov_b32_e32 v47, v171
	scratch_store_dwordx4 off, v[162:165], off offset:1024 ; 16-byte Folded Spill
	s_nop 0
	scratch_store_dwordx4 off, v[166:169], off offset:1040 ; 16-byte Folded Spill
	scratch_store_dwordx4 off, v[170:173], off offset:1056 ; 16-byte Folded Spill
	;; [unrolled: 1-line block ×7, first 2 shown]
	v_mov_b32_e32 v72, v160
	v_mov_b32_e32 v214, v150
	;; [unrolled: 1-line block ×7, first 2 shown]
	scratch_store_dwordx4 off, v[152:155], off offset:256 ; 16-byte Folded Spill
	s_nop 0
	scratch_store_dwordx4 off, v[156:159], off offset:272 ; 16-byte Folded Spill
	scratch_store_dwordx4 off, v[160:163], off offset:288 ; 16-byte Folded Spill
	;; [unrolled: 1-line block ×7, first 2 shown]
	v_mov_b32_e32 v151, v71
	v_cmp_neq_f32_e64 s[2:3], 0, v17
	v_mov_b32_e32 v48, v126
	v_mov_b32_e32 v51, v179
	scratch_store_dwordx4 off, v[172:175], off offset:384 ; 16-byte Folded Spill
	s_nop 0
	scratch_store_dwordx4 off, v[176:179], off offset:400 ; 16-byte Folded Spill
	scratch_store_dwordx4 off, v[180:183], off offset:416 ; 16-byte Folded Spill
	;; [unrolled: 1-line block ×8, first 2 shown]
	s_nop 0
	scratch_store_dwordx4 off, v[202:205], off offset:528 ; 16-byte Folded Spill
	scratch_store_dwordx4 off, v[206:209], off offset:544 ; 16-byte Folded Spill
	;; [unrolled: 1-line block ×7, first 2 shown]
	v_mov_b64_e32 v[182:183], v[178:179]
	v_mov_b64_e32 v[180:181], v[176:177]
	;; [unrolled: 1-line block ×16, first 2 shown]
	v_mov_b32_e32 v49, v211
	scratch_store_dwordx4 off, v[206:209], off offset:640 ; 16-byte Folded Spill
	s_nop 0
	scratch_store_dwordx4 off, v[210:213], off offset:656 ; 16-byte Folded Spill
	scratch_store_dwordx4 off, v[214:217], off offset:672 ; 16-byte Folded Spill
	scratch_store_dwordx4 off, v[218:221], off offset:688 ; 16-byte Folded Spill
	scratch_store_dwordx4 off, v[222:225], off offset:704 ; 16-byte Folded Spill
	scratch_store_dwordx4 off, v[226:229], off offset:720 ; 16-byte Folded Spill
	scratch_store_dwordx4 off, v[230:233], off offset:736 ; 16-byte Folded Spill
	scratch_store_dwordx4 off, v[234:237], off offset:752 ; 16-byte Folded Spill
	scratch_store_dwordx4 off, v[212:215], off offset:768 ; 16-byte Folded Spill
	s_nop 0
	scratch_store_dwordx4 off, v[216:219], off offset:784 ; 16-byte Folded Spill
	scratch_store_dwordx4 off, v[220:223], off offset:800 ; 16-byte Folded Spill
	scratch_store_dwordx4 off, v[224:227], off offset:816 ; 16-byte Folded Spill
	scratch_store_dwordx4 off, v[228:231], off offset:832 ; 16-byte Folded Spill
	scratch_store_dwordx4 off, v[232:235], off offset:848 ; 16-byte Folded Spill
	scratch_store_dwordx4 off, v[236:239], off offset:864 ; 16-byte Folded Spill
	scratch_store_dwordx4 off, v[240:243], off offset:880 ; 16-byte Folded Spill
	;; [unrolled: 9-line block ×3, first 2 shown]
	s_and_saveexec_b64 s[18:19], vcc
	s_cbranch_execz .LBB32_31
; %bb.30:
	v_div_scale_f32 v1, s[20:21], v17, v17, 1.0
	v_rcp_f32_e32 v2, v1
	v_mov_b32_e32 v186, v76
	v_mov_b32_e32 v187, v49
	;; [unrolled: 1-line block ×3, first 2 shown]
	v_fma_f32 v3, -v1, v2, 1.0
	v_fmac_f32_e32 v2, v3, v2
	v_div_scale_f32 v3, vcc, 1.0, v17, 1.0
	v_mul_f32_e32 v4, v3, v2
	v_fma_f32 v5, -v1, v4, v3
	v_fmac_f32_e32 v4, v5, v2
	v_fma_f32 v1, -v1, v4, v3
	v_div_fmas_f32 v1, v1, v2, v4
	ds_read2_b32 v[2:3], v238 offset0:2 offset1:3
	ds_read2_b32 v[4:5], v238 offset0:4 offset1:5
	;; [unrolled: 1-line block ×4, first 2 shown]
	v_div_fixup_f32 v1, v1, v17, 1.0
	v_cndmask_b32_e64 v1, v17, v1, s[2:3]
	v_mov_b32_e32 v185, v51
	v_mul_f32_e32 v16, v197, v1
	s_waitcnt lgkmcnt(3)
	v_pk_fma_f32 v[150:151], v[16:17], v[2:3], v[150:151] op_sel_hi:[0,1,1] neg_lo:[1,0,0] neg_hi:[1,0,0]
	s_waitcnt lgkmcnt(2)
	v_pk_fma_f32 v[186:187], v[16:17], v[4:5], v[186:187] op_sel_hi:[0,1,1] neg_lo:[1,0,0] neg_hi:[1,0,0]
	;; [unrolled: 2-line block ×3, first 2 shown]
	ds_read2_b32 v[2:3], v238 offset0:10 offset1:11
	ds_read2_b32 v[4:5], v238 offset0:12 offset1:13
	;; [unrolled: 1-line block ×3, first 2 shown]
	ds_read_b32 v1, v238 offset:64
	v_mov_b32_e32 v228, v48
	s_waitcnt lgkmcnt(3)
	v_pk_fma_f32 v[228:229], v[16:17], v[2:3], v[228:229] op_sel_hi:[0,1,1] neg_lo:[1,0,0] neg_hi:[1,0,0]
	v_mov_b32_e32 v148, v72
	v_mov_b32_e32 v149, v47
	s_waitcnt lgkmcnt(0)
	v_fma_f32 v237, -v16, v1, v237
	v_mov_b32_e32 v1, v16
	v_mov_b64_e32 v[226:227], v[30:31]
	v_mov_b64_e32 v[224:225], v[28:29]
	;; [unrolled: 1-line block ×16, first 2 shown]
	v_mov_b32_e32 v2, v150
	v_mov_b64_e32 v[182:183], v[30:31]
	v_mov_b32_e32 v194, v46
	v_mov_b32_e32 v87, v236
	v_mov_b64_e32 v[180:181], v[28:29]
	v_mov_b64_e32 v[178:179], v[26:27]
	;; [unrolled: 1-line block ×15, first 2 shown]
	v_mov_b32_e32 v3, v151
	v_pk_fma_f32 v[148:149], v[16:17], v[8:9], v[148:149] op_sel_hi:[0,1,1] neg_lo:[1,0,0] neg_hi:[1,0,0]
	v_pk_fma_f32 v[194:195], v[16:17], v[4:5], v[194:195] op_sel_hi:[0,1,1] neg_lo:[1,0,0] neg_hi:[1,0,0]
	;; [unrolled: 1-line block ×3, first 2 shown]
	scratch_store_dwordx4 off, v[0:3], off offset:1152 ; 16-byte Folded Spill
	s_nop 0
	scratch_store_dwordx4 off, v[4:7], off offset:1168 ; 16-byte Folded Spill
	scratch_store_dwordx4 off, v[8:11], off offset:1184 ; 16-byte Folded Spill
	;; [unrolled: 1-line block ×7, first 2 shown]
	v_mov_b32_e32 v4, v186
	v_mov_b32_e32 v236, v87
	;; [unrolled: 1-line block ×6, first 2 shown]
	scratch_store_dwordx4 off, v[0:3], off offset:768 ; 16-byte Folded Spill
	s_nop 0
	scratch_store_dwordx4 off, v[4:7], off offset:784 ; 16-byte Folded Spill
	scratch_store_dwordx4 off, v[8:11], off offset:800 ; 16-byte Folded Spill
	scratch_store_dwordx4 off, v[12:15], off offset:816 ; 16-byte Folded Spill
	scratch_store_dwordx4 off, v[16:19], off offset:832 ; 16-byte Folded Spill
	scratch_store_dwordx4 off, v[20:23], off offset:848 ; 16-byte Folded Spill
	scratch_store_dwordx4 off, v[24:27], off offset:864 ; 16-byte Folded Spill
	scratch_store_dwordx4 off, v[28:31], off offset:880 ; 16-byte Folded Spill
	v_mov_b32_e32 v5, v187
	scratch_store_dwordx4 off, v[0:3], off offset:640 ; 16-byte Folded Spill
	s_nop 0
	scratch_store_dwordx4 off, v[4:7], off offset:656 ; 16-byte Folded Spill
	scratch_store_dwordx4 off, v[8:11], off offset:672 ; 16-byte Folded Spill
	scratch_store_dwordx4 off, v[12:15], off offset:688 ; 16-byte Folded Spill
	scratch_store_dwordx4 off, v[16:19], off offset:704 ; 16-byte Folded Spill
	scratch_store_dwordx4 off, v[20:23], off offset:720 ; 16-byte Folded Spill
	scratch_store_dwordx4 off, v[24:27], off offset:736 ; 16-byte Folded Spill
	scratch_store_dwordx4 off, v[28:31], off offset:752 ; 16-byte Folded Spill
	v_mov_b32_e32 v6, v184
	;; [unrolled: 10-line block ×6, first 2 shown]
	v_mov_b64_e32 v[146:147], v[30:31]
	v_mov_b64_e32 v[144:145], v[28:29]
	;; [unrolled: 1-line block ×16, first 2 shown]
	v_mov_b32_e32 v11, v229
	scratch_store_dwordx4 off, v[0:3], off offset:896 ; 16-byte Folded Spill
	s_nop 0
	scratch_store_dwordx4 off, v[4:7], off offset:912 ; 16-byte Folded Spill
	scratch_store_dwordx4 off, v[8:11], off offset:928 ; 16-byte Folded Spill
	;; [unrolled: 1-line block ×7, first 2 shown]
	v_mov_b32_e32 v12, v194
	scratch_store_dwordx4 off, v[0:3], off  ; 16-byte Folded Spill
	s_nop 0
	scratch_store_dwordx4 off, v[4:7], off offset:16 ; 16-byte Folded Spill
	scratch_store_dwordx4 off, v[8:11], off offset:32 ; 16-byte Folded Spill
	;; [unrolled: 1-line block ×7, first 2 shown]
	v_mov_b32_e32 v13, v195
	scratch_store_dwordx4 off, v[0:3], off offset:128 ; 16-byte Folded Spill
	s_nop 0
	scratch_store_dwordx4 off, v[4:7], off offset:144 ; 16-byte Folded Spill
	scratch_store_dwordx4 off, v[8:11], off offset:160 ; 16-byte Folded Spill
	;; [unrolled: 1-line block ×7, first 2 shown]
	v_mov_b32_e32 v14, v86
	v_mov_b64_e32 v[48:49], v[30:31]
	v_mov_b64_e32 v[46:47], v[28:29]
	;; [unrolled: 1-line block ×16, first 2 shown]
	v_mov_b32_e32 v15, v87
	v_mov_b32_e32 v16, v237
	;; [unrolled: 1-line block ×6, first 2 shown]
.LBB32_31:
	s_or_b64 exec, exec, s[18:19]
	v_lshl_add_u32 v17, v241, 2, v238
	s_waitcnt vmcnt(63) expcnt(7) lgkmcnt(15)
	s_barrier
	ds_write_b32 v17, v150
	s_waitcnt lgkmcnt(0)
	s_barrier
	ds_read_b32 v17, v238 offset:8
	s_cmp_lt_i32 s22, 4
	v_mov_b32_e32 v34, 2
	s_cbranch_scc1 .LBB32_34
; %bb.32:
	v_mov_b32_e32 v34, 2
	v_add3_u32 v33, v239, 0, 12
	s_mov_b32 s18, 3
.LBB32_33:                              ; =>This Inner Loop Header: Depth=1
	ds_read_b32 v35, v33
	v_mov_b32_e32 v36, s18
	s_add_i32 s18, s18, 1
	v_add_u32_e32 v33, 4, v33
	s_cmp_lg_u32 s22, s18
	s_waitcnt lgkmcnt(0)
	v_cmp_lt_f32_e64 vcc, |v17|, |v35|
	s_nop 1
	v_cndmask_b32_e32 v17, v17, v35, vcc
	v_cndmask_b32_e32 v34, v34, v36, vcc
	s_cbranch_scc1 .LBB32_33
.LBB32_34:
	v_cndmask_b32_e64 v33, 2, 1, s[0:1]
	v_cndmask_b32_e64 v35, 0, 1, s[0:1]
	;; [unrolled: 1-line block ×3, first 2 shown]
	s_waitcnt lgkmcnt(0)
	v_cmp_eq_f32_e32 vcc, 0, v17
	s_and_saveexec_b64 s[0:1], vcc
	s_xor_b64 s[0:1], exec, s[0:1]
; %bb.35:
	v_cmp_ne_u32_e32 vcc, 0, v83
	s_nop 1
	v_cndmask_b32_e32 v83, 3, v83, vcc
; %bb.36:
	s_andn2_saveexec_b64 s[0:1], s[0:1]
	s_cbranch_execz .LBB32_38
; %bb.37:
	v_div_scale_f32 v33, s[2:3], v17, v17, 1.0
	v_rcp_f32_e32 v35, v33
	v_div_scale_f32 v36, vcc, 1.0, v17, 1.0
	v_fma_f32 v37, -v33, v35, 1.0
	v_fmac_f32_e32 v35, v37, v35
	v_mul_f32_e32 v37, v36, v35
	v_fma_f32 v38, -v33, v37, v36
	v_fmac_f32_e32 v37, v38, v35
	v_fma_f32 v33, -v33, v37, v36
	v_div_fmas_f32 v33, v33, v35, v37
	v_div_fixup_f32 v17, v33, v17, 1.0
.LBB32_38:
	s_or_b64 exec, exec, s[0:1]
	v_cmp_ne_u32_e32 vcc, v241, v34
	s_and_saveexec_b64 s[0:1], vcc
	s_xor_b64 s[0:1], exec, s[0:1]
	s_cbranch_execz .LBB32_44
; %bb.39:
	v_cmp_eq_u32_e32 vcc, 2, v241
	s_and_saveexec_b64 s[2:3], vcc
	s_cbranch_execz .LBB32_43
; %bb.40:
	v_cmp_ne_u32_e32 vcc, 2, v34
	s_xor_b64 s[18:19], s[16:17], -1
	s_and_b64 s[20:21], s[18:19], vcc
	s_and_saveexec_b64 s[18:19], s[20:21]
	s_cbranch_execz .LBB32_42
; %bb.41:
	v_ashrrev_i32_e32 v35, 31, v34
	v_lshl_add_u64 v[36:37], v[34:35], 2, v[234:235]
	global_load_dword v33, v[36:37], off
	global_load_dword v35, v[234:235], off offset:8
	s_waitcnt vmcnt(1)
	global_store_dword v[234:235], v33, off offset:8
	s_waitcnt vmcnt(1)
	global_store_dword v[36:37], v35, off
.LBB32_42:
	s_or_b64 exec, exec, s[18:19]
	v_mov_b32_e32 v240, v34
	v_mov_b32_e32 v241, v34
.LBB32_43:
	s_or_b64 exec, exec, s[2:3]
.LBB32_44:
	s_andn2_saveexec_b64 s[0:1], s[0:1]
	s_cbranch_execz .LBB32_46
; %bb.45:
	v_mov_b32_e32 v241, 2
	ds_write2_b32 v238, v3, v4 offset0:3 offset1:4
	ds_write2_b32 v238, v5, v6 offset0:5 offset1:6
	ds_write2_b32 v238, v7, v8 offset0:7 offset1:8
	ds_write2_b32 v238, v9, v10 offset0:9 offset1:10
	ds_write2_b32 v238, v11, v12 offset0:11 offset1:12
	ds_write2_b32 v238, v13, v14 offset0:13 offset1:14
	ds_write2_b32 v238, v15, v16 offset0:15 offset1:16
.LBB32_46:
	s_or_b64 exec, exec, s[0:1]
	v_cmp_lt_i32_e32 vcc, 2, v241
	s_waitcnt lgkmcnt(0)
	s_barrier
	s_and_saveexec_b64 s[0:1], vcc
	s_cbranch_execz .LBB32_48
; %bb.47:
	ds_read2_b32 v[0:1], v238 offset0:3 offset1:4
	ds_read2_b32 v[18:19], v238 offset0:5 offset1:6
	;; [unrolled: 1-line block ×4, first 2 shown]
	v_mul_f32_e32 v198, v150, v17
	v_mov_b32_e32 v2, v3
	v_mov_b32_e32 v3, v4
	s_waitcnt lgkmcnt(3)
	v_pk_fma_f32 v[34:35], v[198:199], v[0:1], v[2:3] op_sel_hi:[0,1,1] neg_lo:[1,0,0] neg_hi:[1,0,0]
	v_mov_b32_e32 v0, v5
	v_mov_b32_e32 v1, v6
	s_waitcnt lgkmcnt(2)
	v_pk_fma_f32 v[36:37], v[198:199], v[18:19], v[0:1] op_sel_hi:[0,1,1] neg_lo:[1,0,0] neg_hi:[1,0,0]
	;; [unrolled: 4-line block ×4, first 2 shown]
	ds_read2_b32 v[0:1], v238 offset0:11 offset1:12
	ds_read2_b32 v[4:5], v238 offset0:13 offset1:14
	;; [unrolled: 1-line block ×3, first 2 shown]
	v_mov_b32_e32 v2, v11
	v_mov_b32_e32 v3, v12
	v_mov_b32_e32 v116, v196
	s_waitcnt lgkmcnt(2)
	v_pk_fma_f32 v[42:43], v[198:199], v[0:1], v[2:3] op_sel_hi:[0,1,1] neg_lo:[1,0,0] neg_hi:[1,0,0]
	v_mov_b32_e32 v0, v13
	v_mov_b32_e32 v1, v14
	s_waitcnt lgkmcnt(1)
	v_pk_fma_f32 v[44:45], v[198:199], v[4:5], v[0:1] op_sel_hi:[0,1,1] neg_lo:[1,0,0] neg_hi:[1,0,0]
	v_mov_b32_e32 v0, v15
	v_mov_b32_e32 v1, v16
	;; [unrolled: 4-line block ×3, first 2 shown]
	v_mov_b32_e32 v2, v198
	v_mov_b32_e32 v3, v34
	v_mov_b32_e32 v4, v35
	scratch_store_dwordx4 off, v[0:3], off offset:768 ; 16-byte Folded Spill
	s_nop 0
	scratch_store_dwordx4 off, v[4:7], off offset:784 ; 16-byte Folded Spill
	scratch_store_dwordx4 off, v[8:11], off offset:800 ; 16-byte Folded Spill
	;; [unrolled: 1-line block ×7, first 2 shown]
	v_mov_b32_e32 v5, v36
	v_mov_b32_e32 v199, v34
	;; [unrolled: 1-line block ×25, first 2 shown]
	scratch_store_dwordx4 off, v[0:3], off offset:640 ; 16-byte Folded Spill
	s_nop 0
	scratch_store_dwordx4 off, v[4:7], off offset:656 ; 16-byte Folded Spill
	scratch_store_dwordx4 off, v[8:11], off offset:672 ; 16-byte Folded Spill
	scratch_store_dwordx4 off, v[12:15], off offset:688 ; 16-byte Folded Spill
	scratch_store_dwordx4 off, v[16:19], off offset:704 ; 16-byte Folded Spill
	scratch_store_dwordx4 off, v[20:23], off offset:720 ; 16-byte Folded Spill
	scratch_store_dwordx4 off, v[24:27], off offset:736 ; 16-byte Folded Spill
	scratch_store_dwordx4 off, v[28:31], off offset:752 ; 16-byte Folded Spill
	v_mov_b32_e32 v6, v37
	scratch_store_dwordx4 off, v[0:3], off offset:512 ; 16-byte Folded Spill
	s_nop 0
	scratch_store_dwordx4 off, v[4:7], off offset:528 ; 16-byte Folded Spill
	scratch_store_dwordx4 off, v[8:11], off offset:544 ; 16-byte Folded Spill
	scratch_store_dwordx4 off, v[12:15], off offset:560 ; 16-byte Folded Spill
	scratch_store_dwordx4 off, v[16:19], off offset:576 ; 16-byte Folded Spill
	scratch_store_dwordx4 off, v[20:23], off offset:592 ; 16-byte Folded Spill
	scratch_store_dwordx4 off, v[24:27], off offset:608 ; 16-byte Folded Spill
	scratch_store_dwordx4 off, v[28:31], off offset:624 ; 16-byte Folded Spill
	v_mov_b32_e32 v7, v38
	;; [unrolled: 10-line block ×5, first 2 shown]
	v_mov_b32_e32 v11, v42
	scratch_store_dwordx4 off, v[0:3], off offset:896 ; 16-byte Folded Spill
	s_nop 0
	scratch_store_dwordx4 off, v[4:7], off offset:912 ; 16-byte Folded Spill
	scratch_store_dwordx4 off, v[8:11], off offset:928 ; 16-byte Folded Spill
	;; [unrolled: 1-line block ×7, first 2 shown]
	v_mov_b32_e32 v12, v43
	scratch_store_dwordx4 off, v[0:3], off  ; 16-byte Folded Spill
	s_nop 0
	scratch_store_dwordx4 off, v[4:7], off offset:16 ; 16-byte Folded Spill
	scratch_store_dwordx4 off, v[8:11], off offset:32 ; 16-byte Folded Spill
	scratch_store_dwordx4 off, v[12:15], off offset:48 ; 16-byte Folded Spill
	scratch_store_dwordx4 off, v[16:19], off offset:64 ; 16-byte Folded Spill
	scratch_store_dwordx4 off, v[20:23], off offset:80 ; 16-byte Folded Spill
	scratch_store_dwordx4 off, v[24:27], off offset:96 ; 16-byte Folded Spill
	scratch_store_dwordx4 off, v[28:31], off offset:112 ; 16-byte Folded Spill
	v_mov_b32_e32 v13, v44
	scratch_store_dwordx4 off, v[0:3], off offset:128 ; 16-byte Folded Spill
	s_nop 0
	scratch_store_dwordx4 off, v[4:7], off offset:144 ; 16-byte Folded Spill
	scratch_store_dwordx4 off, v[8:11], off offset:160 ; 16-byte Folded Spill
	;; [unrolled: 1-line block ×7, first 2 shown]
	v_mov_b32_e32 v18, v196
	v_mov_b32_e32 v19, v197
	;; [unrolled: 1-line block ×3, first 2 shown]
	scratch_store_dwordx4 off, v[196:199], off offset:1152 ; 16-byte Folded Spill
	s_nop 0
	scratch_store_dwordx4 off, v[200:203], off offset:1168 ; 16-byte Folded Spill
	scratch_store_dwordx4 off, v[204:207], off offset:1184 ; 16-byte Folded Spill
	;; [unrolled: 1-line block ×7, first 2 shown]
	v_mov_b32_e32 v21, v34
	v_mov_b32_e32 v22, v35
	;; [unrolled: 1-line block ×14, first 2 shown]
	v_mov_b64_e32 v[152:153], v[196:197]
	v_mov_b64_e32 v[154:155], v[198:199]
	;; [unrolled: 1-line block ×16, first 2 shown]
.LBB32_48:
	s_or_b64 exec, exec, s[0:1]
	v_lshl_add_u32 v17, v241, 2, v238
	s_waitcnt vmcnt(63) expcnt(7) lgkmcnt(15)
	s_barrier
	ds_write_b32 v17, v151
	s_waitcnt lgkmcnt(0)
	s_barrier
	ds_read_b32 v17, v238 offset:12
	s_cmp_lt_i32 s22, 5
	v_mov_b32_e32 v34, 3
	s_cbranch_scc1 .LBB32_289
; %bb.49:
	scratch_load_dwordx4 v[156:159], off, off offset:896 ; 16-byte Folded Reload
	scratch_load_dwordx4 v[160:163], off, off offset:912 ; 16-byte Folded Reload
	;; [unrolled: 1-line block ×16, first 2 shown]
	v_add3_u32 v33, v239, 0, 16
	v_mov_b32_e32 v34, 3
	s_mov_b32 s0, 4
.LBB32_50:                              ; =>This Inner Loop Header: Depth=1
	ds_read_b32 v35, v33
	v_mov_b32_e32 v36, s0
	s_add_i32 s0, s0, 1
	v_add_u32_e32 v33, 4, v33
	s_cmp_lg_u32 s22, s0
	s_waitcnt lgkmcnt(0)
	v_cmp_lt_f32_e64 vcc, |v17|, |v35|
	s_nop 1
	v_cndmask_b32_e32 v17, v17, v35, vcc
	v_cndmask_b32_e32 v34, v34, v36, vcc
	s_cbranch_scc1 .LBB32_50
; %bb.51:
	v_cmp_eq_f32_e32 vcc, 0, v17
	s_and_saveexec_b64 s[0:1], vcc
	s_xor_b64 s[0:1], exec, s[0:1]
.LBB32_52:
	v_cmp_ne_u32_e32 vcc, 0, v83
	s_nop 1
	v_cndmask_b32_e32 v83, 4, v83, vcc
.LBB32_53:
	s_andn2_saveexec_b64 s[0:1], s[0:1]
	s_cbranch_execz .LBB32_55
; %bb.54:
	v_div_scale_f32 v33, s[2:3], v17, v17, 1.0
	v_rcp_f32_e32 v35, v33
	v_div_scale_f32 v36, vcc, 1.0, v17, 1.0
	v_fma_f32 v37, -v33, v35, 1.0
	v_fmac_f32_e32 v35, v37, v35
	v_mul_f32_e32 v37, v36, v35
	v_fma_f32 v38, -v33, v37, v36
	v_fmac_f32_e32 v37, v38, v35
	v_fma_f32 v33, -v33, v37, v36
	v_div_fmas_f32 v33, v33, v35, v37
	v_div_fixup_f32 v17, v33, v17, 1.0
.LBB32_55:
	s_or_b64 exec, exec, s[0:1]
	v_cmp_ne_u32_e32 vcc, v241, v34
	s_and_saveexec_b64 s[0:1], vcc
	s_xor_b64 s[0:1], exec, s[0:1]
	s_cbranch_execz .LBB32_61
; %bb.56:
	v_cmp_eq_u32_e32 vcc, 3, v241
	s_and_saveexec_b64 s[2:3], vcc
	s_cbranch_execz .LBB32_60
; %bb.57:
	v_cmp_ne_u32_e32 vcc, 3, v34
	s_xor_b64 s[18:19], s[16:17], -1
	s_and_b64 s[20:21], s[18:19], vcc
	s_and_saveexec_b64 s[18:19], s[20:21]
	s_cbranch_execz .LBB32_59
; %bb.58:
	v_ashrrev_i32_e32 v35, 31, v34
	v_lshl_add_u64 v[36:37], v[34:35], 2, v[234:235]
	global_load_dword v33, v[36:37], off
	global_load_dword v35, v[234:235], off offset:12
	s_waitcnt vmcnt(1)
	global_store_dword v[234:235], v33, off offset:12
	s_waitcnt vmcnt(1)
	global_store_dword v[36:37], v35, off
.LBB32_59:
	s_or_b64 exec, exec, s[18:19]
	v_mov_b32_e32 v240, v34
	v_mov_b32_e32 v241, v34
.LBB32_60:
	s_or_b64 exec, exec, s[2:3]
.LBB32_61:
	s_andn2_saveexec_b64 s[0:1], s[0:1]
	s_cbranch_execz .LBB32_63
; %bb.62:
	v_mov_b32_e32 v241, 3
	ds_write2_b32 v238, v4, v5 offset0:4 offset1:5
	ds_write2_b32 v238, v6, v7 offset0:6 offset1:7
	;; [unrolled: 1-line block ×6, first 2 shown]
	ds_write_b32 v238, v237 offset:64
.LBB32_63:
	s_or_b64 exec, exec, s[0:1]
	v_cmp_lt_i32_e32 vcc, 3, v241
	s_waitcnt lgkmcnt(0)
	s_barrier
	s_and_saveexec_b64 s[0:1], vcc
	s_cbranch_execz .LBB32_65
; %bb.64:
	ds_read2_b32 v[0:1], v238 offset0:4 offset1:5
	ds_read2_b32 v[2:3], v238 offset0:6 offset1:7
	v_mul_f32_e32 v18, v151, v17
	ds_read2_b32 v[16:17], v238 offset0:8 offset1:9
	ds_read2_b32 v[20:21], v238 offset0:10 offset1:11
	v_mov_b32_e32 v155, v18
	s_waitcnt lgkmcnt(3)
	v_pk_fma_f32 v[48:49], v[18:19], v[0:1], v[4:5] op_sel_hi:[0,1,1] neg_lo:[1,0,0] neg_hi:[1,0,0]
	s_waitcnt lgkmcnt(2)
	v_pk_fma_f32 v[70:71], v[18:19], v[2:3], v[6:7] op_sel_hi:[0,1,1] neg_lo:[1,0,0] neg_hi:[1,0,0]
	ds_read2_b32 v[0:1], v238 offset0:12 offset1:13
	ds_read2_b32 v[2:3], v238 offset0:14 offset1:15
	s_waitcnt lgkmcnt(3)
	v_pk_fma_f32 v[42:43], v[18:19], v[16:17], v[8:9] op_sel_hi:[0,1,1] neg_lo:[1,0,0] neg_hi:[1,0,0]
	s_waitcnt lgkmcnt(2)
	v_pk_fma_f32 v[126:127], v[18:19], v[20:21], v[10:11] op_sel_hi:[0,1,1] neg_lo:[1,0,0] neg_hi:[1,0,0]
	v_mov_b32_e32 v6, v152
	v_mov_b32_e32 v7, v153
	s_waitcnt lgkmcnt(0)
	v_pk_fma_f32 v[32:33], v[18:19], v[2:3], v[14:15] op_sel_hi:[0,1,1] neg_lo:[1,0,0] neg_hi:[1,0,0]
	v_mov_b32_e32 v8, v154
	v_mov_b32_e32 v9, v18
	;; [unrolled: 1-line block ×4, first 2 shown]
	ds_read_b32 v4, v238 offset:64
	v_pk_fma_f32 v[194:195], v[18:19], v[0:1], v[12:13] op_sel_hi:[0,1,1] neg_lo:[1,0,0] neg_hi:[1,0,0]
	v_mov_b32_e32 v47, v18
	scratch_store_dwordx4 off, v[6:9], off offset:640 ; 16-byte Folded Spill
	s_nop 0
	scratch_store_dwordx4 off, v[10:13], off offset:656 ; 16-byte Folded Spill
	scratch_store_dwordx4 off, v[14:17], off offset:672 ; 16-byte Folded Spill
	;; [unrolled: 1-line block ×7, first 2 shown]
	v_mov_b32_e32 v12, v70
	v_mov_b32_e32 v13, v71
	;; [unrolled: 1-line block ×22, first 2 shown]
	s_waitcnt vmcnt(14)
	v_mov_b32_e32 v202, v70
	v_mov_b32_e32 v203, v71
	v_mov_b32_e32 v122, v70
	v_mov_b32_e32 v123, v71
	v_mov_b32_e32 v162, v70
	v_mov_b32_e32 v163, v71
	v_mov_b32_e32 v188, v70
	v_mov_b32_e32 v189, v71
	v_mov_b32_e32 v44, v152
	v_mov_b32_e32 v45, v153
	v_mov_b32_e32 v46, v154
	v_mov_b32_e32 v156, v152
	v_mov_b32_e32 v157, v153
	v_mov_b32_e32 v158, v154
	v_mov_b32_e32 v160, v48
	v_mov_b32_e32 v161, v49
	v_mov_b32_e32 v164, v42
	v_mov_b32_e32 v165, v43
	v_mov_b32_e32 v166, v126
	v_mov_b32_e32 v167, v127
	v_mov_b32_e32 v182, v152
	v_mov_b32_e32 v183, v153
	v_mov_b32_e32 v38, v48
	v_mov_b32_e32 v39, v49
	v_mov_b32_e32 v196, v152
	v_mov_b32_e32 v197, v153
	v_mov_b32_e32 v198, v154
	v_mov_b32_e32 v200, v48
	v_mov_b32_e32 v201, v49
	v_mov_b32_e32 v116, v152
	v_mov_b32_e32 v117, v153
	v_mov_b32_e32 v118, v154
	v_mov_b32_e32 v120, v48
	v_mov_b32_e32 v121, v49
	v_mov_b32_e32 v184, v154
	v_mov_b32_e32 v186, v48
	v_mov_b32_e32 v187, v49
	v_mov_b32_e32 v0, v152
	v_mov_b32_e32 v1, v153
	v_mov_b32_e32 v2, v154
	v_mov_b32_e32 v5, v49
	s_waitcnt vmcnt(13)
	v_mov_b32_e32 v204, v42
	v_mov_b32_e32 v205, v43
	;; [unrolled: 1-line block ×10, first 2 shown]
	scratch_store_dwordx4 off, v[6:9], off offset:384 ; 16-byte Folded Spill
	s_nop 0
	scratch_store_dwordx4 off, v[10:13], off offset:400 ; 16-byte Folded Spill
	scratch_store_dwordx4 off, v[14:17], off offset:416 ; 16-byte Folded Spill
	;; [unrolled: 1-line block ×7, first 2 shown]
	v_mov_b32_e32 v19, v153
	v_mov_b32_e32 v20, v154
	v_mov_b32_e32 v34, v152
	v_mov_b32_e32 v35, v153
	v_mov_b32_e32 v36, v154
	v_mov_b32_e32 v22, v48
	v_mov_b32_e32 v23, v49
	v_mov_b32_e32 v26, v42
	v_mov_b32_e32 v27, v43
	v_mov_b32_e32 v8, v42
	v_mov_b32_e32 v9, v43
	v_mov_b32_e32 v28, v126
	v_mov_b32_e32 v29, v127
	v_mov_b32_e32 v30, v194
	v_mov_b32_e32 v31, v195
	v_mov_b32_e32 v10, v126
	v_mov_b32_e32 v11, v127
	v_mov_b32_e32 v12, v194
	v_mov_b32_e32 v13, v195
	v_mov_b32_e32 v53, v18
	scratch_store_dwordx4 off, v[50:53], off offset:128 ; 16-byte Folded Spill
	s_nop 0
	scratch_store_dwordx4 off, v[54:57], off offset:144 ; 16-byte Folded Spill
	scratch_store_dwordx4 off, v[58:61], off offset:160 ; 16-byte Folded Spill
	;; [unrolled: 1-line block ×7, first 2 shown]
	v_mov_b32_e32 v159, v18
	v_mov_b32_e32 v37, v18
	;; [unrolled: 1-line block ×6, first 2 shown]
	s_waitcnt lgkmcnt(0)
	v_fma_f32 v16, -v18, v4, v237
	v_mov_b32_e32 v3, v18
	v_mov_b32_e32 v18, v152
	;; [unrolled: 1-line block ×3, first 2 shown]
	scratch_store_dwordx4 off, v[152:155], off offset:1152 ; 16-byte Folded Spill
	s_nop 0
	scratch_store_dwordx4 off, v[156:159], off offset:1168 ; 16-byte Folded Spill
	scratch_store_dwordx4 off, v[160:163], off offset:1184 ; 16-byte Folded Spill
	;; [unrolled: 1-line block ×7, first 2 shown]
	v_mov_b32_e32 v76, v48
	v_mov_b32_e32 v14, v32
	;; [unrolled: 1-line block ×9, first 2 shown]
	scratch_store_dwordx4 off, v[44:47], off offset:768 ; 16-byte Folded Spill
	s_nop 0
	scratch_store_dwordx4 off, v[48:51], off offset:784 ; 16-byte Folded Spill
	scratch_store_dwordx4 off, v[52:55], off offset:800 ; 16-byte Folded Spill
	;; [unrolled: 1-line block ×7, first 2 shown]
	s_nop 1
	v_mov_b32_e32 v74, v70
	scratch_store_dwordx4 off, v[64:67], off offset:512 ; 16-byte Folded Spill
	s_nop 0
	scratch_store_dwordx4 off, v[68:71], off offset:528 ; 16-byte Folded Spill
	scratch_store_dwordx4 off, v[72:75], off offset:544 ; 16-byte Folded Spill
	;; [unrolled: 1-line block ×7, first 2 shown]
	v_mov_b32_e32 v72, v42
	v_mov_b32_e32 v86, v32
	;; [unrolled: 1-line block ×3, first 2 shown]
	scratch_store_dwordx4 off, v[34:37], off offset:256 ; 16-byte Folded Spill
	s_nop 0
	scratch_store_dwordx4 off, v[38:41], off offset:272 ; 16-byte Folded Spill
	scratch_store_dwordx4 off, v[42:45], off offset:288 ; 16-byte Folded Spill
	;; [unrolled: 1-line block ×7, first 2 shown]
	v_mov_b32_e32 v48, v126
	v_mov_b32_e32 v46, v194
	scratch_store_dwordx4 off, v[182:185], off ; 16-byte Folded Spill
	s_nop 0
	scratch_store_dwordx4 off, v[186:189], off offset:16 ; 16-byte Folded Spill
	scratch_store_dwordx4 off, v[190:193], off offset:32 ; 16-byte Folded Spill
	;; [unrolled: 1-line block ×5, first 2 shown]
	s_waitcnt vmcnt(62)
	scratch_store_dwordx4 off, v[206:209], off offset:96 ; 16-byte Folded Spill
	scratch_store_dwordx4 off, v[210:213], off offset:112 ; 16-byte Folded Spill
	v_mov_b32_e32 v47, v43
.LBB32_65:
	s_or_b64 exec, exec, s[0:1]
	v_lshl_add_u32 v17, v241, 2, v238
	s_waitcnt vmcnt(63) expcnt(7) lgkmcnt(15)
	s_barrier
	ds_write_b32 v17, v76
	s_waitcnt lgkmcnt(0)
	s_barrier
	ds_read_b32 v17, v238 offset:16
	s_cmp_lt_i32 s22, 6
	v_mov_b32_e32 v34, 4
	s_cbranch_scc1 .LBB32_68
; %bb.66:
	v_add3_u32 v33, v239, 0, 20
	v_mov_b32_e32 v34, 4
	s_mov_b32 s0, 5
.LBB32_67:                              ; =>This Inner Loop Header: Depth=1
	ds_read_b32 v35, v33
	v_mov_b32_e32 v36, s0
	s_add_i32 s0, s0, 1
	v_add_u32_e32 v33, 4, v33
	s_cmp_lg_u32 s22, s0
	s_waitcnt lgkmcnt(0)
	v_cmp_lt_f32_e64 vcc, |v17|, |v35|
	s_nop 1
	v_cndmask_b32_e32 v17, v17, v35, vcc
	v_cndmask_b32_e32 v34, v34, v36, vcc
	s_cbranch_scc1 .LBB32_67
.LBB32_68:
	s_waitcnt lgkmcnt(0)
	v_cmp_eq_f32_e32 vcc, 0, v17
	s_and_saveexec_b64 s[0:1], vcc
	s_xor_b64 s[0:1], exec, s[0:1]
; %bb.69:
	v_cmp_ne_u32_e32 vcc, 0, v83
	s_nop 1
	v_cndmask_b32_e32 v83, 5, v83, vcc
; %bb.70:
	s_andn2_saveexec_b64 s[0:1], s[0:1]
	s_cbranch_execz .LBB32_72
; %bb.71:
	v_div_scale_f32 v33, s[2:3], v17, v17, 1.0
	v_rcp_f32_e32 v35, v33
	v_div_scale_f32 v36, vcc, 1.0, v17, 1.0
	v_fma_f32 v37, -v33, v35, 1.0
	v_fmac_f32_e32 v35, v37, v35
	v_mul_f32_e32 v37, v36, v35
	v_fma_f32 v38, -v33, v37, v36
	v_fmac_f32_e32 v37, v38, v35
	v_fma_f32 v33, -v33, v37, v36
	v_div_fmas_f32 v33, v33, v35, v37
	v_div_fixup_f32 v17, v33, v17, 1.0
.LBB32_72:
	s_or_b64 exec, exec, s[0:1]
	v_cmp_ne_u32_e32 vcc, v241, v34
	s_and_saveexec_b64 s[0:1], vcc
	s_xor_b64 s[0:1], exec, s[0:1]
	s_cbranch_execz .LBB32_78
; %bb.73:
	v_cmp_eq_u32_e32 vcc, 4, v241
	s_and_saveexec_b64 s[2:3], vcc
	s_cbranch_execz .LBB32_77
; %bb.74:
	v_cmp_ne_u32_e32 vcc, 4, v34
	s_xor_b64 s[18:19], s[16:17], -1
	s_and_b64 s[20:21], s[18:19], vcc
	s_and_saveexec_b64 s[18:19], s[20:21]
	s_cbranch_execz .LBB32_76
; %bb.75:
	v_ashrrev_i32_e32 v35, 31, v34
	v_lshl_add_u64 v[36:37], v[34:35], 2, v[234:235]
	global_load_dword v33, v[36:37], off
	global_load_dword v35, v[234:235], off offset:16
	s_waitcnt vmcnt(1)
	global_store_dword v[234:235], v33, off offset:16
	s_waitcnt vmcnt(1)
	global_store_dword v[36:37], v35, off
.LBB32_76:
	s_or_b64 exec, exec, s[18:19]
	v_mov_b32_e32 v240, v34
	v_mov_b32_e32 v241, v34
.LBB32_77:
	s_or_b64 exec, exec, s[2:3]
.LBB32_78:
	s_andn2_saveexec_b64 s[0:1], s[0:1]
	s_cbranch_execz .LBB32_80
; %bb.79:
	v_mov_b32_e32 v241, 4
	ds_write2_b32 v238, v5, v6 offset0:5 offset1:6
	ds_write2_b32 v238, v7, v8 offset0:7 offset1:8
	;; [unrolled: 1-line block ×6, first 2 shown]
.LBB32_80:
	s_or_b64 exec, exec, s[0:1]
	v_cmp_lt_i32_e32 vcc, 4, v241
	s_waitcnt lgkmcnt(0)
	s_barrier
	s_and_saveexec_b64 s[0:1], vcc
	s_cbranch_execz .LBB32_82
; %bb.81:
	scratch_load_dwordx4 v[44:47], off, off offset:1152 ; 16-byte Folded Reload
	scratch_load_dwordx4 v[48:51], off, off offset:1168 ; 16-byte Folded Reload
	;; [unrolled: 1-line block ×8, first 2 shown]
	ds_read2_b32 v[0:1], v238 offset0:5 offset1:6
	v_mov_b32_e32 v2, v5
	ds_read2_b32 v[4:5], v238 offset0:7 offset1:8
	ds_read2_b32 v[18:19], v238 offset0:9 offset1:10
	;; [unrolled: 1-line block ×3, first 2 shown]
	s_waitcnt vmcnt(6)
	v_mul_f32_e32 v48, v76, v17
	v_mov_b32_e32 v3, v6
	v_mov_b32_e32 v200, v48
	;; [unrolled: 1-line block ×5, first 2 shown]
	s_waitcnt lgkmcnt(3)
	v_pk_fma_f32 v[34:35], v[48:49], v[0:1], v[2:3] op_sel_hi:[0,1,1] neg_lo:[1,0,0] neg_hi:[1,0,0]
	v_mov_b32_e32 v0, v7
	v_mov_b32_e32 v1, v8
	ds_read2_b32 v[2:3], v238 offset0:13 offset1:14
	s_waitcnt lgkmcnt(3)
	v_pk_fma_f32 v[36:37], v[48:49], v[4:5], v[0:1] op_sel_hi:[0,1,1] neg_lo:[1,0,0] neg_hi:[1,0,0]
	ds_read2_b32 v[4:5], v238 offset0:15 offset1:16
	v_mov_b32_e32 v0, v9
	v_mov_b32_e32 v1, v10
	s_waitcnt lgkmcnt(3)
	v_pk_fma_f32 v[38:39], v[48:49], v[18:19], v[0:1] op_sel_hi:[0,1,1] neg_lo:[1,0,0] neg_hi:[1,0,0]
	v_mov_b32_e32 v0, v11
	v_mov_b32_e32 v1, v12
	s_waitcnt lgkmcnt(2)
	v_pk_fma_f32 v[40:41], v[48:49], v[20:21], v[0:1] op_sel_hi:[0,1,1] neg_lo:[1,0,0] neg_hi:[1,0,0]
	;; [unrolled: 4-line block ×4, first 2 shown]
	v_mov_b32_e32 v0, v44
	v_mov_b32_e32 v1, v45
	;; [unrolled: 1-line block ×7, first 2 shown]
	scratch_store_dwordx4 off, v[0:3], off offset:512 ; 16-byte Folded Spill
	s_nop 0
	scratch_store_dwordx4 off, v[4:7], off offset:528 ; 16-byte Folded Spill
	scratch_store_dwordx4 off, v[8:11], off offset:544 ; 16-byte Folded Spill
	;; [unrolled: 1-line block ×7, first 2 shown]
	v_mov_b32_e32 v7, v36
	v_mov_b32_e32 v49, v34
	;; [unrolled: 1-line block ×35, first 2 shown]
	scratch_store_dwordx4 off, v[0:3], off offset:384 ; 16-byte Folded Spill
	s_nop 0
	scratch_store_dwordx4 off, v[4:7], off offset:400 ; 16-byte Folded Spill
	scratch_store_dwordx4 off, v[8:11], off offset:416 ; 16-byte Folded Spill
	;; [unrolled: 1-line block ×7, first 2 shown]
	v_mov_b32_e32 v8, v37
	scratch_store_dwordx4 off, v[0:3], off offset:256 ; 16-byte Folded Spill
	s_nop 0
	scratch_store_dwordx4 off, v[4:7], off offset:272 ; 16-byte Folded Spill
	scratch_store_dwordx4 off, v[8:11], off offset:288 ; 16-byte Folded Spill
	;; [unrolled: 1-line block ×7, first 2 shown]
	v_mov_b32_e32 v9, v38
	v_mov_b32_e32 v10, v39
	;; [unrolled: 1-line block ×4, first 2 shown]
	scratch_store_dwordx4 off, v[0:3], off  ; 16-byte Folded Spill
	s_nop 0
	scratch_store_dwordx4 off, v[4:7], off offset:16 ; 16-byte Folded Spill
	scratch_store_dwordx4 off, v[8:11], off offset:32 ; 16-byte Folded Spill
	;; [unrolled: 1-line block ×7, first 2 shown]
	v_mov_b32_e32 v13, v42
	scratch_store_dwordx4 off, v[0:3], off offset:128 ; 16-byte Folded Spill
	s_nop 0
	scratch_store_dwordx4 off, v[4:7], off offset:144 ; 16-byte Folded Spill
	scratch_store_dwordx4 off, v[8:11], off offset:160 ; 16-byte Folded Spill
	;; [unrolled: 1-line block ×7, first 2 shown]
	v_mov_b32_e32 v18, v44
	v_mov_b32_e32 v19, v45
	;; [unrolled: 1-line block ×5, first 2 shown]
	scratch_store_dwordx4 off, v[44:47], off offset:640 ; 16-byte Folded Spill
	s_nop 0
	scratch_store_dwordx4 off, v[48:51], off offset:656 ; 16-byte Folded Spill
	s_waitcnt vmcnt(47)
	scratch_store_dwordx4 off, v[52:55], off offset:672 ; 16-byte Folded Spill
	s_waitcnt vmcnt(47)
	;; [unrolled: 2-line block ×6, first 2 shown]
	scratch_store_dwordx4 off, v[72:75], off offset:752 ; 16-byte Folded Spill
	scratch_store_dwordx4 off, v[44:47], off offset:768 ; 16-byte Folded Spill
	s_nop 0
	scratch_store_dwordx4 off, v[48:51], off offset:784 ; 16-byte Folded Spill
	scratch_store_dwordx4 off, v[52:55], off offset:800 ; 16-byte Folded Spill
	;; [unrolled: 1-line block ×7, first 2 shown]
	v_mov_b32_e32 v23, v34
	v_mov_b32_e32 v24, v35
	;; [unrolled: 1-line block ×18, first 2 shown]
.LBB32_82:
	s_or_b64 exec, exec, s[0:1]
	v_lshl_add_u32 v17, v241, 2, v238
	s_barrier
	ds_write_b32 v17, v49
	s_waitcnt lgkmcnt(0)
	s_barrier
	ds_read_b32 v17, v238 offset:20
	s_cmp_lt_i32 s22, 7
	v_mov_b32_e32 v34, 5
	s_cbranch_scc1 .LBB32_85
; %bb.83:
	v_add3_u32 v33, v239, 0, 24
	v_mov_b32_e32 v34, 5
	s_mov_b32 s0, 6
.LBB32_84:                              ; =>This Inner Loop Header: Depth=1
	ds_read_b32 v35, v33
	v_mov_b32_e32 v36, s0
	s_add_i32 s0, s0, 1
	v_add_u32_e32 v33, 4, v33
	s_cmp_lg_u32 s22, s0
	s_waitcnt lgkmcnt(0)
	v_cmp_lt_f32_e64 vcc, |v17|, |v35|
	s_nop 1
	v_cndmask_b32_e32 v17, v17, v35, vcc
	v_cndmask_b32_e32 v34, v34, v36, vcc
	s_cbranch_scc1 .LBB32_84
.LBB32_85:
	s_waitcnt lgkmcnt(0)
	v_cmp_eq_f32_e32 vcc, 0, v17
	s_and_saveexec_b64 s[0:1], vcc
	s_xor_b64 s[0:1], exec, s[0:1]
; %bb.86:
	v_cmp_ne_u32_e32 vcc, 0, v83
	s_nop 1
	v_cndmask_b32_e32 v83, 6, v83, vcc
; %bb.87:
	s_andn2_saveexec_b64 s[0:1], s[0:1]
	s_cbranch_execz .LBB32_89
; %bb.88:
	v_div_scale_f32 v33, s[2:3], v17, v17, 1.0
	v_rcp_f32_e32 v35, v33
	v_div_scale_f32 v36, vcc, 1.0, v17, 1.0
	v_fma_f32 v37, -v33, v35, 1.0
	v_fmac_f32_e32 v35, v37, v35
	v_mul_f32_e32 v37, v36, v35
	v_fma_f32 v38, -v33, v37, v36
	v_fmac_f32_e32 v37, v38, v35
	v_fma_f32 v33, -v33, v37, v36
	v_div_fmas_f32 v33, v33, v35, v37
	v_div_fixup_f32 v17, v33, v17, 1.0
.LBB32_89:
	s_or_b64 exec, exec, s[0:1]
	v_cmp_ne_u32_e32 vcc, v241, v34
	s_and_saveexec_b64 s[0:1], vcc
	s_xor_b64 s[0:1], exec, s[0:1]
	s_cbranch_execz .LBB32_95
; %bb.90:
	v_cmp_eq_u32_e32 vcc, 5, v241
	s_and_saveexec_b64 s[2:3], vcc
	s_cbranch_execz .LBB32_94
; %bb.91:
	v_cmp_ne_u32_e32 vcc, 5, v34
	s_xor_b64 s[18:19], s[16:17], -1
	s_and_b64 s[20:21], s[18:19], vcc
	s_and_saveexec_b64 s[18:19], s[20:21]
	s_cbranch_execz .LBB32_93
; %bb.92:
	v_ashrrev_i32_e32 v35, 31, v34
	v_lshl_add_u64 v[36:37], v[34:35], 2, v[234:235]
	global_load_dword v33, v[36:37], off
	global_load_dword v35, v[234:235], off offset:20
	s_waitcnt vmcnt(1)
	global_store_dword v[234:235], v33, off offset:20
	s_waitcnt vmcnt(1)
	global_store_dword v[36:37], v35, off
.LBB32_93:
	s_or_b64 exec, exec, s[18:19]
	v_mov_b32_e32 v240, v34
	v_mov_b32_e32 v241, v34
.LBB32_94:
	s_or_b64 exec, exec, s[2:3]
.LBB32_95:
	s_andn2_saveexec_b64 s[0:1], s[0:1]
	s_cbranch_execz .LBB32_97
; %bb.96:
	v_mov_b32_e32 v241, 5
	ds_write2_b32 v238, v6, v7 offset0:6 offset1:7
	ds_write2_b32 v238, v8, v9 offset0:8 offset1:9
	;; [unrolled: 1-line block ×5, first 2 shown]
	ds_write_b32 v238, v237 offset:64
.LBB32_97:
	s_or_b64 exec, exec, s[0:1]
	v_cmp_lt_i32_e32 vcc, 5, v241
	s_waitcnt lgkmcnt(0)
	s_barrier
	s_and_saveexec_b64 s[0:1], vcc
	s_cbranch_execz .LBB32_99
; %bb.98:
	ds_read2_b32 v[0:1], v238 offset0:6 offset1:7
	v_mul_f32_e32 v2, v49, v17
	ds_read2_b32 v[4:5], v238 offset0:8 offset1:9
	ds_read2_b32 v[16:17], v238 offset0:10 offset1:11
	;; [unrolled: 1-line block ×3, first 2 shown]
	v_mov_b32_e32 v69, v2
	v_mov_b32_e32 v55, v2
	s_waitcnt lgkmcnt(3)
	v_pk_fma_f32 v[70:71], v[2:3], v[0:1], v[6:7] op_sel_hi:[0,1,1] neg_lo:[1,0,0] neg_hi:[1,0,0]
	ds_read2_b32 v[0:1], v238 offset0:14 offset1:15
	s_waitcnt lgkmcnt(3)
	v_pk_fma_f32 v[42:43], v[2:3], v[4:5], v[8:9] op_sel_hi:[0,1,1] neg_lo:[1,0,0] neg_hi:[1,0,0]
	s_waitcnt lgkmcnt(2)
	v_pk_fma_f32 v[126:127], v[2:3], v[16:17], v[10:11] op_sel_hi:[0,1,1] neg_lo:[1,0,0] neg_hi:[1,0,0]
	;; [unrolled: 2-line block ×3, first 2 shown]
	ds_read_b32 v3, v238 offset:64
	scratch_load_dwordx4 v[84:87], off, off offset:768 ; 16-byte Folded Reload
	scratch_load_dwordx4 v[88:91], off, off offset:784 ; 16-byte Folded Reload
	scratch_load_dwordx4 v[92:95], off, off offset:800 ; 16-byte Folded Reload
	scratch_load_dwordx4 v[96:99], off, off offset:816 ; 16-byte Folded Reload
	scratch_load_dwordx4 v[100:103], off, off offset:832 ; 16-byte Folded Reload
	scratch_load_dwordx4 v[104:107], off, off offset:848 ; 16-byte Folded Reload
	scratch_load_dwordx4 v[108:111], off, off offset:864 ; 16-byte Folded Reload
	scratch_load_dwordx4 v[112:115], off, off offset:880 ; 16-byte Folded Reload
	v_mov_b32_e32 v9, v2
	v_mov_b32_e32 v10, v70
	;; [unrolled: 1-line block ×3, first 2 shown]
	s_waitcnt lgkmcnt(0)
	v_pk_fma_f32 v[32:33], v[2:3], v[0:1], v[14:15] op_sel_hi:[0,1,1] neg_lo:[1,0,0] neg_hi:[1,0,0]
	v_mov_b32_e32 v56, v70
	v_mov_b32_e32 v57, v71
	;; [unrolled: 1-line block ×10, first 2 shown]
	s_waitcnt vmcnt(14)
	v_mov_b32_e32 v202, v70
	v_mov_b32_e32 v203, v71
	;; [unrolled: 1-line block ×14, first 2 shown]
	s_waitcnt vmcnt(13)
	v_mov_b32_e32 v204, v42
	v_mov_b32_e32 v205, v43
	;; [unrolled: 1-line block ×13, first 2 shown]
	s_waitcnt vmcnt(6)
	v_mov_b32_e32 v44, v84
	v_mov_b32_e32 v45, v85
	;; [unrolled: 1-line block ×20, first 2 shown]
	scratch_store_dwordx4 off, v[4:7], off offset:384 ; 16-byte Folded Spill
	s_nop 0
	scratch_store_dwordx4 off, v[8:11], off offset:400 ; 16-byte Folded Spill
	scratch_store_dwordx4 off, v[12:15], off offset:416 ; 16-byte Folded Spill
	;; [unrolled: 1-line block ×8, first 2 shown]
	s_nop 0
	scratch_store_dwordx4 off, v[54:57], off offset:144 ; 16-byte Folded Spill
	scratch_store_dwordx4 off, v[58:61], off offset:160 ; 16-byte Folded Spill
	;; [unrolled: 1-line block ×7, first 2 shown]
	v_mov_b32_e32 v34, v44
	v_mov_b32_e32 v35, v45
	;; [unrolled: 1-line block ×26, first 2 shown]
	v_fma_f32 v16, -v2, v3, v237
	v_mov_b32_e32 v5, v2
	v_mov_b32_e32 v18, v44
	;; [unrolled: 1-line block ×29, first 2 shown]
	scratch_store_dwordx4 off, v[44:47], off offset:640 ; 16-byte Folded Spill
	s_nop 0
	scratch_store_dwordx4 off, v[48:51], off offset:656 ; 16-byte Folded Spill
	scratch_store_dwordx4 off, v[52:55], off offset:672 ; 16-byte Folded Spill
	;; [unrolled: 1-line block ×7, first 2 shown]
	v_mov_b32_e32 v15, v33
	v_mov_b32_e32 v236, v33
	;; [unrolled: 1-line block ×3, first 2 shown]
	scratch_store_dwordx4 off, v[64:67], off offset:512 ; 16-byte Folded Spill
	s_nop 0
	scratch_store_dwordx4 off, v[68:71], off offset:528 ; 16-byte Folded Spill
	scratch_store_dwordx4 off, v[72:75], off offset:544 ; 16-byte Folded Spill
	;; [unrolled: 1-line block ×6, first 2 shown]
	s_waitcnt vmcnt(36)
	scratch_store_dwordx4 off, v[92:95], off offset:624 ; 16-byte Folded Spill
	v_mov_b32_e32 v72, v42
	v_mov_b32_e32 v86, v32
	;; [unrolled: 1-line block ×3, first 2 shown]
	scratch_store_dwordx4 off, v[34:37], off offset:256 ; 16-byte Folded Spill
	s_nop 0
	scratch_store_dwordx4 off, v[38:41], off offset:272 ; 16-byte Folded Spill
	scratch_store_dwordx4 off, v[42:45], off offset:288 ; 16-byte Folded Spill
	;; [unrolled: 1-line block ×7, first 2 shown]
	v_mov_b32_e32 v48, v126
	v_mov_b32_e32 v46, v194
	scratch_store_dwordx4 off, v[182:185], off ; 16-byte Folded Spill
	s_nop 0
	scratch_store_dwordx4 off, v[186:189], off offset:16 ; 16-byte Folded Spill
	scratch_store_dwordx4 off, v[190:193], off offset:32 ; 16-byte Folded Spill
	;; [unrolled: 1-line block ×7, first 2 shown]
	v_mov_b32_e32 v47, v43
.LBB32_99:
	s_or_b64 exec, exec, s[0:1]
	v_lshl_add_u32 v17, v241, 2, v238
	s_barrier
	ds_write_b32 v17, v74
	s_waitcnt lgkmcnt(0)
	s_barrier
	ds_read_b32 v17, v238 offset:24
	s_cmp_lt_i32 s22, 8
	v_mov_b32_e32 v34, 6
	s_cbranch_scc1 .LBB32_102
; %bb.100:
	v_add3_u32 v33, v239, 0, 28
	v_mov_b32_e32 v34, 6
	s_mov_b32 s0, 7
.LBB32_101:                             ; =>This Inner Loop Header: Depth=1
	ds_read_b32 v35, v33
	v_mov_b32_e32 v36, s0
	s_add_i32 s0, s0, 1
	v_add_u32_e32 v33, 4, v33
	s_cmp_lg_u32 s22, s0
	s_waitcnt lgkmcnt(0)
	v_cmp_lt_f32_e64 vcc, |v17|, |v35|
	s_nop 1
	v_cndmask_b32_e32 v17, v17, v35, vcc
	v_cndmask_b32_e32 v34, v34, v36, vcc
	s_cbranch_scc1 .LBB32_101
.LBB32_102:
	s_waitcnt lgkmcnt(0)
	v_cmp_eq_f32_e32 vcc, 0, v17
	s_and_saveexec_b64 s[0:1], vcc
	s_xor_b64 s[0:1], exec, s[0:1]
; %bb.103:
	v_cmp_ne_u32_e32 vcc, 0, v83
	s_nop 1
	v_cndmask_b32_e32 v83, 7, v83, vcc
; %bb.104:
	s_andn2_saveexec_b64 s[0:1], s[0:1]
	s_cbranch_execz .LBB32_106
; %bb.105:
	v_div_scale_f32 v33, s[2:3], v17, v17, 1.0
	v_rcp_f32_e32 v35, v33
	v_div_scale_f32 v36, vcc, 1.0, v17, 1.0
	v_fma_f32 v37, -v33, v35, 1.0
	v_fmac_f32_e32 v35, v37, v35
	v_mul_f32_e32 v37, v36, v35
	v_fma_f32 v38, -v33, v37, v36
	v_fmac_f32_e32 v37, v38, v35
	v_fma_f32 v33, -v33, v37, v36
	v_div_fmas_f32 v33, v33, v35, v37
	v_div_fixup_f32 v17, v33, v17, 1.0
.LBB32_106:
	s_or_b64 exec, exec, s[0:1]
	v_cmp_ne_u32_e32 vcc, v241, v34
	s_and_saveexec_b64 s[0:1], vcc
	s_xor_b64 s[0:1], exec, s[0:1]
	s_cbranch_execz .LBB32_112
; %bb.107:
	v_cmp_eq_u32_e32 vcc, 6, v241
	s_and_saveexec_b64 s[2:3], vcc
	s_cbranch_execz .LBB32_111
; %bb.108:
	v_cmp_ne_u32_e32 vcc, 6, v34
	s_xor_b64 s[18:19], s[16:17], -1
	s_and_b64 s[20:21], s[18:19], vcc
	s_and_saveexec_b64 s[18:19], s[20:21]
	s_cbranch_execz .LBB32_110
; %bb.109:
	v_ashrrev_i32_e32 v35, 31, v34
	v_lshl_add_u64 v[36:37], v[34:35], 2, v[234:235]
	global_load_dword v33, v[36:37], off
	global_load_dword v35, v[234:235], off offset:24
	s_waitcnt vmcnt(1)
	global_store_dword v[234:235], v33, off offset:24
	s_waitcnt vmcnt(1)
	global_store_dword v[36:37], v35, off
.LBB32_110:
	s_or_b64 exec, exec, s[18:19]
	v_mov_b32_e32 v240, v34
	v_mov_b32_e32 v241, v34
.LBB32_111:
	s_or_b64 exec, exec, s[2:3]
.LBB32_112:
	s_andn2_saveexec_b64 s[0:1], s[0:1]
	s_cbranch_execz .LBB32_114
; %bb.113:
	v_mov_b32_e32 v241, 6
	ds_write2_b32 v238, v7, v8 offset0:7 offset1:8
	ds_write2_b32 v238, v9, v10 offset0:9 offset1:10
	;; [unrolled: 1-line block ×5, first 2 shown]
.LBB32_114:
	s_or_b64 exec, exec, s[0:1]
	v_cmp_lt_i32_e32 vcc, 6, v241
	s_waitcnt lgkmcnt(0)
	s_barrier
	s_and_saveexec_b64 s[0:1], vcc
	s_cbranch_execz .LBB32_116
; %bb.115:
	scratch_load_dwordx4 v[42:45], off, off offset:640 ; 16-byte Folded Reload
	scratch_load_dwordx4 v[46:49], off, off offset:656 ; 16-byte Folded Reload
	;; [unrolled: 1-line block ×8, first 2 shown]
	ds_read2_b32 v[0:1], v238 offset0:7 offset1:8
	s_waitcnt vmcnt(6)
	v_mul_f32_e32 v48, v74, v17
	v_mov_b32_e32 v2, v7
	v_mov_b32_e32 v3, v8
	ds_read2_b32 v[4:5], v238 offset0:9 offset1:10
	ds_read2_b32 v[6:7], v238 offset0:11 offset1:12
	;; [unrolled: 1-line block ×3, first 2 shown]
	v_mov_b32_e32 v202, v48
	v_mov_b32_e32 v122, v48
	;; [unrolled: 1-line block ×4, first 2 shown]
	s_waitcnt lgkmcnt(3)
	v_pk_fma_f32 v[34:35], v[48:49], v[0:1], v[2:3] op_sel_hi:[0,1,1] neg_lo:[1,0,0] neg_hi:[1,0,0]
	ds_read2_b32 v[2:3], v238 offset0:15 offset1:16
	v_mov_b32_e32 v0, v9
	v_mov_b32_e32 v1, v10
	s_waitcnt lgkmcnt(3)
	v_pk_fma_f32 v[36:37], v[48:49], v[4:5], v[0:1] op_sel_hi:[0,1,1] neg_lo:[1,0,0] neg_hi:[1,0,0]
	v_mov_b32_e32 v0, v11
	v_mov_b32_e32 v1, v12
	s_waitcnt lgkmcnt(2)
	v_pk_fma_f32 v[38:39], v[48:49], v[6:7], v[0:1] op_sel_hi:[0,1,1] neg_lo:[1,0,0] neg_hi:[1,0,0]
	;; [unrolled: 4-line block ×4, first 2 shown]
	v_mov_b32_e32 v0, v42
	v_mov_b32_e32 v1, v43
	;; [unrolled: 1-line block ×9, first 2 shown]
	scratch_store_dwordx4 off, v[0:3], off offset:256 ; 16-byte Folded Spill
	s_nop 0
	scratch_store_dwordx4 off, v[4:7], off offset:272 ; 16-byte Folded Spill
	scratch_store_dwordx4 off, v[8:11], off offset:288 ; 16-byte Folded Spill
	;; [unrolled: 1-line block ×7, first 2 shown]
	v_mov_b32_e32 v9, v36
	v_mov_b32_e32 v10, v37
	;; [unrolled: 1-line block ×38, first 2 shown]
	scratch_store_dwordx4 off, v[0:3], off  ; 16-byte Folded Spill
	s_nop 0
	scratch_store_dwordx4 off, v[4:7], off offset:16 ; 16-byte Folded Spill
	scratch_store_dwordx4 off, v[8:11], off offset:32 ; 16-byte Folded Spill
	scratch_store_dwordx4 off, v[12:15], off offset:48 ; 16-byte Folded Spill
	scratch_store_dwordx4 off, v[16:19], off offset:64 ; 16-byte Folded Spill
	scratch_store_dwordx4 off, v[20:23], off offset:80 ; 16-byte Folded Spill
	scratch_store_dwordx4 off, v[24:27], off offset:96 ; 16-byte Folded Spill
	scratch_store_dwordx4 off, v[28:31], off offset:112 ; 16-byte Folded Spill
	v_mov_b32_e32 v13, v40
	scratch_store_dwordx4 off, v[0:3], off offset:128 ; 16-byte Folded Spill
	s_nop 0
	scratch_store_dwordx4 off, v[4:7], off offset:144 ; 16-byte Folded Spill
	scratch_store_dwordx4 off, v[8:11], off offset:160 ; 16-byte Folded Spill
	;; [unrolled: 1-line block ×7, first 2 shown]
	v_mov_b32_e32 v18, v42
	v_mov_b32_e32 v19, v43
	;; [unrolled: 1-line block ×7, first 2 shown]
	scratch_store_dwordx4 off, v[42:45], off offset:384 ; 16-byte Folded Spill
	s_nop 0
	scratch_store_dwordx4 off, v[46:49], off offset:400 ; 16-byte Folded Spill
	s_waitcnt vmcnt(31)
	scratch_store_dwordx4 off, v[50:53], off offset:416 ; 16-byte Folded Spill
	s_waitcnt vmcnt(31)
	;; [unrolled: 2-line block ×6, first 2 shown]
	scratch_store_dwordx4 off, v[70:73], off offset:496 ; 16-byte Folded Spill
	scratch_store_dwordx4 off, v[42:45], off offset:512 ; 16-byte Folded Spill
	s_nop 0
	scratch_store_dwordx4 off, v[46:49], off offset:528 ; 16-byte Folded Spill
	scratch_store_dwordx4 off, v[50:53], off offset:544 ; 16-byte Folded Spill
	;; [unrolled: 1-line block ×7, first 2 shown]
	v_mov_b32_e32 v25, v34
	v_mov_b32_e32 v26, v35
	;; [unrolled: 1-line block ×15, first 2 shown]
.LBB32_116:
	s_or_b64 exec, exec, s[0:1]
	v_lshl_add_u32 v17, v241, 2, v238
	s_barrier
	ds_write_b32 v17, v51
	s_waitcnt lgkmcnt(0)
	s_barrier
	ds_read_b32 v17, v238 offset:28
	s_cmp_lt_i32 s22, 9
	v_mov_b32_e32 v34, 7
	s_cbranch_scc1 .LBB32_119
; %bb.117:
	v_add3_u32 v33, v239, 0, 32
	v_mov_b32_e32 v34, 7
	s_mov_b32 s0, 8
.LBB32_118:                             ; =>This Inner Loop Header: Depth=1
	ds_read_b32 v35, v33
	v_mov_b32_e32 v36, s0
	s_add_i32 s0, s0, 1
	v_add_u32_e32 v33, 4, v33
	s_cmp_lg_u32 s22, s0
	s_waitcnt lgkmcnt(0)
	v_cmp_lt_f32_e64 vcc, |v17|, |v35|
	s_nop 1
	v_cndmask_b32_e32 v17, v17, v35, vcc
	v_cndmask_b32_e32 v34, v34, v36, vcc
	s_cbranch_scc1 .LBB32_118
.LBB32_119:
	s_waitcnt lgkmcnt(0)
	v_cmp_eq_f32_e32 vcc, 0, v17
	s_and_saveexec_b64 s[0:1], vcc
	s_xor_b64 s[0:1], exec, s[0:1]
; %bb.120:
	v_cmp_ne_u32_e32 vcc, 0, v83
	s_nop 1
	v_cndmask_b32_e32 v83, 8, v83, vcc
; %bb.121:
	s_andn2_saveexec_b64 s[0:1], s[0:1]
	s_cbranch_execz .LBB32_123
; %bb.122:
	v_div_scale_f32 v33, s[2:3], v17, v17, 1.0
	v_rcp_f32_e32 v35, v33
	v_div_scale_f32 v36, vcc, 1.0, v17, 1.0
	v_fma_f32 v37, -v33, v35, 1.0
	v_fmac_f32_e32 v35, v37, v35
	v_mul_f32_e32 v37, v36, v35
	v_fma_f32 v38, -v33, v37, v36
	v_fmac_f32_e32 v37, v38, v35
	v_fma_f32 v33, -v33, v37, v36
	v_div_fmas_f32 v33, v33, v35, v37
	v_div_fixup_f32 v17, v33, v17, 1.0
.LBB32_123:
	s_or_b64 exec, exec, s[0:1]
	v_cmp_ne_u32_e32 vcc, v241, v34
	s_and_saveexec_b64 s[0:1], vcc
	s_xor_b64 s[0:1], exec, s[0:1]
	s_cbranch_execz .LBB32_129
; %bb.124:
	v_cmp_eq_u32_e32 vcc, 7, v241
	s_and_saveexec_b64 s[2:3], vcc
	s_cbranch_execz .LBB32_128
; %bb.125:
	v_cmp_ne_u32_e32 vcc, 7, v34
	s_xor_b64 s[18:19], s[16:17], -1
	s_and_b64 s[20:21], s[18:19], vcc
	s_and_saveexec_b64 s[18:19], s[20:21]
	s_cbranch_execz .LBB32_127
; %bb.126:
	v_ashrrev_i32_e32 v35, 31, v34
	v_lshl_add_u64 v[36:37], v[34:35], 2, v[234:235]
	global_load_dword v33, v[36:37], off
	global_load_dword v35, v[234:235], off offset:28
	s_waitcnt vmcnt(1)
	global_store_dword v[234:235], v33, off offset:28
	s_waitcnt vmcnt(1)
	global_store_dword v[36:37], v35, off
.LBB32_127:
	s_or_b64 exec, exec, s[18:19]
	v_mov_b32_e32 v240, v34
	v_mov_b32_e32 v241, v34
.LBB32_128:
	s_or_b64 exec, exec, s[2:3]
.LBB32_129:
	s_andn2_saveexec_b64 s[0:1], s[0:1]
	s_cbranch_execz .LBB32_131
; %bb.130:
	v_mov_b32_e32 v241, 7
	ds_write2_b32 v238, v8, v9 offset0:8 offset1:9
	ds_write2_b32 v238, v10, v11 offset0:10 offset1:11
	;; [unrolled: 1-line block ×4, first 2 shown]
	ds_write_b32 v238, v237 offset:64
.LBB32_131:
	s_or_b64 exec, exec, s[0:1]
	v_cmp_lt_i32_e32 vcc, 7, v241
	s_waitcnt lgkmcnt(0)
	s_barrier
	s_and_saveexec_b64 s[0:1], vcc
	s_cbranch_execz .LBB32_133
; %bb.132:
	ds_read2_b32 v[0:1], v238 offset0:8 offset1:9
	ds_read2_b32 v[2:3], v238 offset0:10 offset1:11
	;; [unrolled: 1-line block ×4, first 2 shown]
	v_mul_f32_e32 v18, v51, v17
	s_waitcnt lgkmcnt(3)
	v_pk_fma_f32 v[42:43], v[18:19], v[0:1], v[8:9] op_sel_hi:[0,1,1] neg_lo:[1,0,0] neg_hi:[1,0,0]
	ds_read_b32 v0, v238 offset:64
	scratch_load_dwordx4 v[84:87], off, off offset:512 ; 16-byte Folded Reload
	scratch_load_dwordx4 v[88:91], off, off offset:528 ; 16-byte Folded Reload
	;; [unrolled: 1-line block ×8, first 2 shown]
	s_waitcnt lgkmcnt(3)
	v_pk_fma_f32 v[126:127], v[18:19], v[2:3], v[10:11] op_sel_hi:[0,1,1] neg_lo:[1,0,0] neg_hi:[1,0,0]
	s_waitcnt lgkmcnt(2)
	v_pk_fma_f32 v[194:195], v[18:19], v[4:5], v[12:13] op_sel_hi:[0,1,1] neg_lo:[1,0,0] neg_hi:[1,0,0]
	v_mov_b32_e32 v71, v18
	v_mov_b32_e32 v51, v18
	;; [unrolled: 1-line block ×8, first 2 shown]
	s_waitcnt lgkmcnt(1)
	v_pk_fma_f32 v[32:33], v[18:19], v[6:7], v[14:15] op_sel_hi:[0,1,1] neg_lo:[1,0,0] neg_hi:[1,0,0]
	v_mov_b32_e32 v41, v18
	s_waitcnt vmcnt(14)
	v_mov_b32_e32 v203, v18
	v_mov_b32_e32 v123, v18
	;; [unrolled: 1-line block ×5, first 2 shown]
	s_waitcnt lgkmcnt(0)
	v_fma_f32 v16, -v18, v0, v237
	v_mov_b32_e32 v7, v18
	s_waitcnt vmcnt(13)
	v_mov_b32_e32 v204, v42
	v_mov_b32_e32 v205, v43
	;; [unrolled: 1-line block ×29, first 2 shown]
	s_waitcnt vmcnt(6)
	v_mov_b32_e32 v64, v84
	v_mov_b32_e32 v65, v85
	;; [unrolled: 1-line block ×49, first 2 shown]
	scratch_store_dwordx4 off, v[44:47], off offset:128 ; 16-byte Folded Spill
	s_nop 0
	scratch_store_dwordx4 off, v[48:51], off offset:144 ; 16-byte Folded Spill
	scratch_store_dwordx4 off, v[52:55], off offset:160 ; 16-byte Folded Spill
	;; [unrolled: 1-line block ×7, first 2 shown]
	v_mov_b32_e32 v18, v64
	v_mov_b32_e32 v19, v65
	;; [unrolled: 1-line block ×14, first 2 shown]
	scratch_store_dwordx4 off, v[64:67], off offset:384 ; 16-byte Folded Spill
	s_nop 0
	scratch_store_dwordx4 off, v[68:71], off offset:400 ; 16-byte Folded Spill
	scratch_store_dwordx4 off, v[72:75], off offset:416 ; 16-byte Folded Spill
	scratch_store_dwordx4 off, v[76:79], off offset:432 ; 16-byte Folded Spill
	scratch_store_dwordx4 off, v[80:83], off offset:448 ; 16-byte Folded Spill
	scratch_store_dwordx4 off, v[84:87], off offset:464 ; 16-byte Folded Spill
	scratch_store_dwordx4 off, v[88:91], off offset:480 ; 16-byte Folded Spill
	s_waitcnt vmcnt(20)
	scratch_store_dwordx4 off, v[92:95], off offset:496 ; 16-byte Folded Spill
	v_mov_b32_e32 v72, v42
	v_mov_b32_e32 v86, v32
	scratch_store_dwordx4 off, v[34:37], off offset:256 ; 16-byte Folded Spill
	s_nop 0
	scratch_store_dwordx4 off, v[38:41], off offset:272 ; 16-byte Folded Spill
	scratch_store_dwordx4 off, v[42:45], off offset:288 ; 16-byte Folded Spill
	;; [unrolled: 1-line block ×7, first 2 shown]
	v_mov_b32_e32 v48, v126
	v_mov_b32_e32 v46, v194
	scratch_store_dwordx4 off, v[182:185], off ; 16-byte Folded Spill
	s_nop 0
	scratch_store_dwordx4 off, v[186:189], off offset:16 ; 16-byte Folded Spill
	scratch_store_dwordx4 off, v[190:193], off offset:32 ; 16-byte Folded Spill
	;; [unrolled: 1-line block ×7, first 2 shown]
	v_mov_b32_e32 v47, v43
.LBB32_133:
	s_or_b64 exec, exec, s[0:1]
	v_lshl_add_u32 v17, v241, 2, v238
	s_barrier
	ds_write_b32 v17, v72
	s_waitcnt lgkmcnt(0)
	s_barrier
	ds_read_b32 v17, v238 offset:32
	s_cmp_lt_i32 s22, 10
	v_mov_b32_e32 v34, 8
	s_cbranch_scc1 .LBB32_136
; %bb.134:
	v_add3_u32 v33, v239, 0, 36
	v_mov_b32_e32 v34, 8
	s_mov_b32 s0, 9
.LBB32_135:                             ; =>This Inner Loop Header: Depth=1
	ds_read_b32 v35, v33
	v_mov_b32_e32 v36, s0
	s_add_i32 s0, s0, 1
	v_add_u32_e32 v33, 4, v33
	s_cmp_lg_u32 s22, s0
	s_waitcnt lgkmcnt(0)
	v_cmp_lt_f32_e64 vcc, |v17|, |v35|
	s_nop 1
	v_cndmask_b32_e32 v17, v17, v35, vcc
	v_cndmask_b32_e32 v34, v34, v36, vcc
	s_cbranch_scc1 .LBB32_135
.LBB32_136:
	s_waitcnt lgkmcnt(0)
	v_cmp_eq_f32_e32 vcc, 0, v17
	s_and_saveexec_b64 s[0:1], vcc
	s_xor_b64 s[0:1], exec, s[0:1]
; %bb.137:
	v_cmp_ne_u32_e32 vcc, 0, v83
	s_nop 1
	v_cndmask_b32_e32 v83, 9, v83, vcc
; %bb.138:
	s_andn2_saveexec_b64 s[0:1], s[0:1]
	s_cbranch_execz .LBB32_140
; %bb.139:
	v_div_scale_f32 v33, s[2:3], v17, v17, 1.0
	v_rcp_f32_e32 v35, v33
	v_div_scale_f32 v36, vcc, 1.0, v17, 1.0
	v_fma_f32 v37, -v33, v35, 1.0
	v_fmac_f32_e32 v35, v37, v35
	v_mul_f32_e32 v37, v36, v35
	v_fma_f32 v38, -v33, v37, v36
	v_fmac_f32_e32 v37, v38, v35
	v_fma_f32 v33, -v33, v37, v36
	v_div_fmas_f32 v33, v33, v35, v37
	v_div_fixup_f32 v17, v33, v17, 1.0
.LBB32_140:
	s_or_b64 exec, exec, s[0:1]
	v_cmp_ne_u32_e32 vcc, v241, v34
	s_and_saveexec_b64 s[0:1], vcc
	s_xor_b64 s[0:1], exec, s[0:1]
	s_cbranch_execz .LBB32_146
; %bb.141:
	v_cmp_eq_u32_e32 vcc, 8, v241
	s_and_saveexec_b64 s[2:3], vcc
	s_cbranch_execz .LBB32_145
; %bb.142:
	v_cmp_ne_u32_e32 vcc, 8, v34
	s_xor_b64 s[18:19], s[16:17], -1
	s_and_b64 s[20:21], s[18:19], vcc
	s_and_saveexec_b64 s[18:19], s[20:21]
	s_cbranch_execz .LBB32_144
; %bb.143:
	v_ashrrev_i32_e32 v35, 31, v34
	v_lshl_add_u64 v[36:37], v[34:35], 2, v[234:235]
	global_load_dword v33, v[36:37], off
	global_load_dword v35, v[234:235], off offset:32
	s_waitcnt vmcnt(1)
	global_store_dword v[234:235], v33, off offset:32
	s_waitcnt vmcnt(1)
	global_store_dword v[36:37], v35, off
.LBB32_144:
	s_or_b64 exec, exec, s[18:19]
	v_mov_b32_e32 v240, v34
	v_mov_b32_e32 v241, v34
.LBB32_145:
	s_or_b64 exec, exec, s[2:3]
.LBB32_146:
	s_andn2_saveexec_b64 s[0:1], s[0:1]
	s_cbranch_execz .LBB32_148
; %bb.147:
	v_mov_b32_e32 v241, 8
	ds_write2_b32 v238, v9, v10 offset0:9 offset1:10
	ds_write2_b32 v238, v11, v12 offset0:11 offset1:12
	;; [unrolled: 1-line block ×4, first 2 shown]
.LBB32_148:
	s_or_b64 exec, exec, s[0:1]
	v_cmp_lt_i32_e32 vcc, 8, v241
	s_waitcnt lgkmcnt(0)
	s_barrier
	s_and_saveexec_b64 s[0:1], vcc
	s_cbranch_execz .LBB32_150
; %bb.149:
	scratch_load_dwordx4 v[40:43], off, off offset:384 ; 16-byte Folded Reload
	scratch_load_dwordx4 v[44:47], off, off offset:400 ; 16-byte Folded Reload
	;; [unrolled: 1-line block ×8, first 2 shown]
	ds_read2_b32 v[0:1], v238 offset0:9 offset1:10
	v_mov_b32_e32 v2, v9
	ds_read2_b32 v[4:5], v238 offset0:11 offset1:12
	ds_read2_b32 v[6:7], v238 offset0:13 offset1:14
	;; [unrolled: 1-line block ×3, first 2 shown]
	s_waitcnt vmcnt(5)
	v_mul_f32_e32 v48, v72, v17
	v_mov_b32_e32 v3, v10
	v_mov_b32_e32 v124, v48
	;; [unrolled: 1-line block ×5, first 2 shown]
	s_waitcnt lgkmcnt(3)
	v_pk_fma_f32 v[34:35], v[48:49], v[0:1], v[2:3] op_sel_hi:[0,1,1] neg_lo:[1,0,0] neg_hi:[1,0,0]
	v_mov_b32_e32 v0, v11
	v_mov_b32_e32 v1, v12
	s_waitcnt lgkmcnt(2)
	v_pk_fma_f32 v[36:37], v[48:49], v[4:5], v[0:1] op_sel_hi:[0,1,1] neg_lo:[1,0,0] neg_hi:[1,0,0]
	v_mov_b32_e32 v0, v13
	v_mov_b32_e32 v1, v14
	;; [unrolled: 4-line block ×4, first 2 shown]
	v_mov_b32_e32 v2, v42
	v_mov_b32_e32 v3, v43
	;; [unrolled: 1-line block ×11, first 2 shown]
	scratch_store_dwordx4 off, v[0:3], off  ; 16-byte Folded Spill
	s_nop 0
	scratch_store_dwordx4 off, v[4:7], off offset:16 ; 16-byte Folded Spill
	scratch_store_dwordx4 off, v[8:11], off offset:32 ; 16-byte Folded Spill
	;; [unrolled: 1-line block ×7, first 2 shown]
	v_mov_b32_e32 v13, v38
	v_mov_b32_e32 v49, v34
	s_waitcnt vmcnt(8)
	v_mov_b64_e32 v[226:227], v[70:71]
	v_mov_b32_e32 v118, v42
	v_mov_b32_e32 v119, v43
	;; [unrolled: 1-line block ×14, first 2 shown]
	v_mov_b64_e32 v[224:225], v[68:69]
	v_mov_b64_e32 v[222:223], v[66:67]
	;; [unrolled: 1-line block ×15, first 2 shown]
	v_mov_b32_e32 v125, v34
	v_mov_b32_e32 v126, v35
	;; [unrolled: 1-line block ×9, first 2 shown]
	scratch_store_dwordx4 off, v[0:3], off offset:128 ; 16-byte Folded Spill
	s_nop 0
	scratch_store_dwordx4 off, v[4:7], off offset:144 ; 16-byte Folded Spill
	scratch_store_dwordx4 off, v[8:11], off offset:160 ; 16-byte Folded Spill
	;; [unrolled: 1-line block ×7, first 2 shown]
	v_mov_b32_e32 v18, v40
	v_mov_b32_e32 v19, v41
	;; [unrolled: 1-line block ×9, first 2 shown]
	scratch_store_dwordx4 off, v[40:43], off offset:256 ; 16-byte Folded Spill
	s_nop 0
	scratch_store_dwordx4 off, v[44:47], off offset:272 ; 16-byte Folded Spill
	scratch_store_dwordx4 off, v[48:51], off offset:288 ; 16-byte Folded Spill
	;; [unrolled: 1-line block ×7, first 2 shown]
	v_mov_b32_e32 v27, v34
	v_mov_b32_e32 v28, v35
	;; [unrolled: 1-line block ×11, first 2 shown]
.LBB32_150:
	s_or_b64 exec, exec, s[0:1]
	v_lshl_add_u32 v17, v241, 2, v238
	s_barrier
	ds_write_b32 v17, v47
	s_waitcnt lgkmcnt(0)
	s_barrier
	ds_read_b32 v17, v238 offset:36
	s_cmp_lt_i32 s22, 11
	v_mov_b32_e32 v34, 9
	s_cbranch_scc1 .LBB32_153
; %bb.151:
	v_add3_u32 v33, v239, 0, 40
	v_mov_b32_e32 v34, 9
	s_mov_b32 s0, 10
.LBB32_152:                             ; =>This Inner Loop Header: Depth=1
	ds_read_b32 v35, v33
	v_mov_b32_e32 v36, s0
	s_add_i32 s0, s0, 1
	v_add_u32_e32 v33, 4, v33
	s_cmp_lg_u32 s22, s0
	s_waitcnt lgkmcnt(0)
	v_cmp_lt_f32_e64 vcc, |v17|, |v35|
	s_nop 1
	v_cndmask_b32_e32 v17, v17, v35, vcc
	v_cndmask_b32_e32 v34, v34, v36, vcc
	s_cbranch_scc1 .LBB32_152
.LBB32_153:
	s_waitcnt lgkmcnt(0)
	v_cmp_eq_f32_e32 vcc, 0, v17
	s_and_saveexec_b64 s[0:1], vcc
	s_xor_b64 s[0:1], exec, s[0:1]
; %bb.154:
	v_cmp_ne_u32_e32 vcc, 0, v83
	s_nop 1
	v_cndmask_b32_e32 v83, 10, v83, vcc
; %bb.155:
	s_andn2_saveexec_b64 s[0:1], s[0:1]
	s_cbranch_execz .LBB32_157
; %bb.156:
	v_div_scale_f32 v33, s[2:3], v17, v17, 1.0
	v_rcp_f32_e32 v35, v33
	v_div_scale_f32 v36, vcc, 1.0, v17, 1.0
	v_fma_f32 v37, -v33, v35, 1.0
	v_fmac_f32_e32 v35, v37, v35
	v_mul_f32_e32 v37, v36, v35
	v_fma_f32 v38, -v33, v37, v36
	v_fmac_f32_e32 v37, v38, v35
	v_fma_f32 v33, -v33, v37, v36
	v_div_fmas_f32 v33, v33, v35, v37
	v_div_fixup_f32 v17, v33, v17, 1.0
.LBB32_157:
	s_or_b64 exec, exec, s[0:1]
	v_cmp_ne_u32_e32 vcc, v241, v34
	s_and_saveexec_b64 s[0:1], vcc
	s_xor_b64 s[0:1], exec, s[0:1]
	s_cbranch_execz .LBB32_163
; %bb.158:
	v_cmp_eq_u32_e32 vcc, 9, v241
	s_and_saveexec_b64 s[2:3], vcc
	s_cbranch_execz .LBB32_162
; %bb.159:
	v_cmp_ne_u32_e32 vcc, 9, v34
	s_xor_b64 s[18:19], s[16:17], -1
	s_and_b64 s[20:21], s[18:19], vcc
	s_and_saveexec_b64 s[18:19], s[20:21]
	s_cbranch_execz .LBB32_161
; %bb.160:
	v_ashrrev_i32_e32 v35, 31, v34
	v_lshl_add_u64 v[36:37], v[34:35], 2, v[234:235]
	global_load_dword v33, v[36:37], off
	global_load_dword v35, v[234:235], off offset:36
	s_waitcnt vmcnt(1)
	global_store_dword v[234:235], v33, off offset:36
	s_waitcnt vmcnt(1)
	global_store_dword v[36:37], v35, off
.LBB32_161:
	s_or_b64 exec, exec, s[18:19]
	v_mov_b32_e32 v240, v34
	v_mov_b32_e32 v241, v34
.LBB32_162:
	s_or_b64 exec, exec, s[2:3]
.LBB32_163:
	s_andn2_saveexec_b64 s[0:1], s[0:1]
	s_cbranch_execz .LBB32_165
; %bb.164:
	v_mov_b32_e32 v241, 9
	ds_write2_b32 v238, v10, v11 offset0:10 offset1:11
	ds_write2_b32 v238, v12, v13 offset0:12 offset1:13
	;; [unrolled: 1-line block ×3, first 2 shown]
	ds_write_b32 v238, v237 offset:64
.LBB32_165:
	s_or_b64 exec, exec, s[0:1]
	v_cmp_lt_i32_e32 vcc, 9, v241
	s_waitcnt lgkmcnt(0)
	s_barrier
	s_and_saveexec_b64 s[0:1], vcc
	s_cbranch_execz .LBB32_167
; %bb.166:
	ds_read2_b32 v[0:1], v238 offset0:10 offset1:11
	ds_read2_b32 v[2:3], v238 offset0:12 offset1:13
	;; [unrolled: 1-line block ×3, first 2 shown]
	ds_read_b32 v6, v238 offset:64
	scratch_load_dwordx4 v[196:199], off, off offset:256 ; 16-byte Folded Reload
	scratch_load_dwordx4 v[200:203], off, off offset:272 ; 16-byte Folded Reload
	;; [unrolled: 1-line block ×8, first 2 shown]
	v_mul_f32_e32 v34, v47, v17
	s_waitcnt lgkmcnt(3)
	v_pk_fma_f32 v[126:127], v[34:35], v[0:1], v[10:11] op_sel_hi:[0,1,1] neg_lo:[1,0,0] neg_hi:[1,0,0]
	s_waitcnt lgkmcnt(2)
	v_pk_fma_f32 v[194:195], v[34:35], v[2:3], v[12:13] op_sel_hi:[0,1,1] neg_lo:[1,0,0] neg_hi:[1,0,0]
	;; [unrolled: 2-line block ×3, first 2 shown]
	s_waitcnt lgkmcnt(0)
	v_fma_f32 v16, -v34, v6, v237
	v_mov_b32_e32 v9, v34
	v_mov_b32_e32 v10, v126
	;; [unrolled: 1-line block ×5, first 2 shown]
	s_waitcnt vmcnt(5)
	v_mov_b32_e32 v205, v34
	v_mov_b32_e32 v125, v34
	;; [unrolled: 1-line block ×22, first 2 shown]
	scratch_store_dwordx4 off, v[0:3], off offset:128 ; 16-byte Folded Spill
	s_nop 0
	scratch_store_dwordx4 off, v[4:7], off offset:144 ; 16-byte Folded Spill
	scratch_store_dwordx4 off, v[8:11], off offset:160 ; 16-byte Folded Spill
	;; [unrolled: 1-line block ×7, first 2 shown]
	v_mov_b32_e32 v116, v196
	v_mov_b32_e32 v117, v197
	;; [unrolled: 1-line block ×43, first 2 shown]
	scratch_store_dwordx4 off, v[182:185], off ; 16-byte Folded Spill
	s_nop 0
	scratch_store_dwordx4 off, v[186:189], off offset:16 ; 16-byte Folded Spill
	scratch_store_dwordx4 off, v[190:193], off offset:32 ; 16-byte Folded Spill
	;; [unrolled: 1-line block ×5, first 2 shown]
	s_waitcnt vmcnt(18)
	scratch_store_dwordx4 off, v[206:209], off offset:96 ; 16-byte Folded Spill
	s_waitcnt vmcnt(18)
	scratch_store_dwordx4 off, v[210:213], off offset:112 ; 16-byte Folded Spill
	v_mov_b32_e32 v237, v16
.LBB32_167:
	s_or_b64 exec, exec, s[0:1]
	v_lshl_add_u32 v17, v241, 2, v238
	s_barrier
	ds_write_b32 v17, v48
	s_waitcnt lgkmcnt(0)
	s_barrier
	ds_read_b32 v17, v238 offset:40
	s_cmp_lt_i32 s22, 12
	v_mov_b32_e32 v34, 10
	s_cbranch_scc1 .LBB32_170
; %bb.168:
	v_add3_u32 v33, v239, 0, 44
	v_mov_b32_e32 v34, 10
	s_mov_b32 s0, 11
.LBB32_169:                             ; =>This Inner Loop Header: Depth=1
	ds_read_b32 v35, v33
	v_mov_b32_e32 v36, s0
	s_add_i32 s0, s0, 1
	v_add_u32_e32 v33, 4, v33
	s_cmp_lg_u32 s22, s0
	s_waitcnt lgkmcnt(0)
	v_cmp_lt_f32_e64 vcc, |v17|, |v35|
	s_nop 1
	v_cndmask_b32_e32 v17, v17, v35, vcc
	v_cndmask_b32_e32 v34, v34, v36, vcc
	s_cbranch_scc1 .LBB32_169
.LBB32_170:
	s_waitcnt lgkmcnt(0)
	v_cmp_eq_f32_e32 vcc, 0, v17
	s_and_saveexec_b64 s[0:1], vcc
	s_xor_b64 s[0:1], exec, s[0:1]
; %bb.171:
	v_cmp_ne_u32_e32 vcc, 0, v83
	s_nop 1
	v_cndmask_b32_e32 v83, 11, v83, vcc
; %bb.172:
	s_andn2_saveexec_b64 s[0:1], s[0:1]
	s_cbranch_execz .LBB32_174
; %bb.173:
	v_div_scale_f32 v33, s[2:3], v17, v17, 1.0
	v_rcp_f32_e32 v35, v33
	v_div_scale_f32 v36, vcc, 1.0, v17, 1.0
	v_fma_f32 v37, -v33, v35, 1.0
	v_fmac_f32_e32 v35, v37, v35
	v_mul_f32_e32 v37, v36, v35
	v_fma_f32 v38, -v33, v37, v36
	v_fmac_f32_e32 v37, v38, v35
	v_fma_f32 v33, -v33, v37, v36
	v_div_fmas_f32 v33, v33, v35, v37
	v_div_fixup_f32 v17, v33, v17, 1.0
.LBB32_174:
	s_or_b64 exec, exec, s[0:1]
	v_cmp_ne_u32_e32 vcc, v241, v34
	s_and_saveexec_b64 s[0:1], vcc
	s_xor_b64 s[0:1], exec, s[0:1]
	s_cbranch_execz .LBB32_180
; %bb.175:
	v_cmp_eq_u32_e32 vcc, 10, v241
	s_and_saveexec_b64 s[2:3], vcc
	s_cbranch_execz .LBB32_179
; %bb.176:
	v_cmp_ne_u32_e32 vcc, 10, v34
	s_xor_b64 s[18:19], s[16:17], -1
	s_and_b64 s[20:21], s[18:19], vcc
	s_and_saveexec_b64 s[18:19], s[20:21]
	s_cbranch_execz .LBB32_178
; %bb.177:
	v_ashrrev_i32_e32 v35, 31, v34
	v_lshl_add_u64 v[36:37], v[34:35], 2, v[234:235]
	global_load_dword v33, v[36:37], off
	global_load_dword v35, v[234:235], off offset:40
	s_waitcnt vmcnt(1)
	global_store_dword v[234:235], v33, off offset:40
	s_waitcnt vmcnt(1)
	global_store_dword v[36:37], v35, off
.LBB32_178:
	s_or_b64 exec, exec, s[18:19]
	v_mov_b32_e32 v240, v34
	v_mov_b32_e32 v241, v34
.LBB32_179:
	s_or_b64 exec, exec, s[2:3]
.LBB32_180:
	s_andn2_saveexec_b64 s[0:1], s[0:1]
	s_cbranch_execz .LBB32_182
; %bb.181:
	v_mov_b32_e32 v241, 10
	ds_write2_b32 v238, v11, v12 offset0:11 offset1:12
	ds_write2_b32 v238, v13, v14 offset0:13 offset1:14
	;; [unrolled: 1-line block ×3, first 2 shown]
.LBB32_182:
	s_or_b64 exec, exec, s[0:1]
	v_cmp_lt_i32_e32 vcc, 10, v241
	s_waitcnt lgkmcnt(0)
	s_barrier
	s_and_saveexec_b64 s[0:1], vcc
	s_cbranch_execz .LBB32_184
; %bb.183:
	ds_read2_b32 v[0:1], v238 offset0:11 offset1:12
	ds_read2_b32 v[4:5], v238 offset0:13 offset1:14
	ds_read2_b32 v[6:7], v238 offset0:15 offset1:16
	s_waitcnt vmcnt(5)
	v_mul_f32_e32 v206, v48, v17
	v_mov_b32_e32 v2, v11
	v_mov_b32_e32 v3, v12
	s_waitcnt lgkmcnt(2)
	v_pk_fma_f32 v[34:35], v[206:207], v[0:1], v[2:3] op_sel_hi:[0,1,1] neg_lo:[1,0,0] neg_hi:[1,0,0]
	v_mov_b32_e32 v0, v13
	v_mov_b32_e32 v1, v14
	s_waitcnt lgkmcnt(1)
	v_pk_fma_f32 v[36:37], v[206:207], v[4:5], v[0:1] op_sel_hi:[0,1,1] neg_lo:[1,0,0] neg_hi:[1,0,0]
	;; [unrolled: 4-line block ×3, first 2 shown]
	v_mov_b32_e32 v0, v196
	v_mov_b32_e32 v1, v197
	;; [unrolled: 1-line block ×13, first 2 shown]
	scratch_store_dwordx4 off, v[0:3], off  ; 16-byte Folded Spill
	s_nop 0
	scratch_store_dwordx4 off, v[4:7], off offset:16 ; 16-byte Folded Spill
	scratch_store_dwordx4 off, v[8:11], off offset:32 ; 16-byte Folded Spill
	;; [unrolled: 1-line block ×7, first 2 shown]
	v_mov_b32_e32 v13, v36
	v_mov_b32_e32 v207, v34
	s_waitcnt vmcnt(8)
	v_mov_b64_e32 v[156:157], v[196:197]
	v_mov_b64_e32 v[116:117], v[196:197]
	v_mov_b32_e32 v32, v37
	v_mov_b64_e32 v[158:159], v[198:199]
	v_mov_b64_e32 v[160:161], v[200:201]
	;; [unrolled: 1-line block ×20, first 2 shown]
	v_mov_b32_e32 v229, v34
	v_mov_b32_e32 v46, v35
	v_mov_b32_e32 v195, v36
	v_mov_b32_e32 v86, v37
	v_mov_b64_e32 v[128:129], v[208:209]
	v_mov_b64_e32 v[130:131], v[210:211]
	;; [unrolled: 1-line block ×10, first 2 shown]
	scratch_store_dwordx4 off, v[0:3], off offset:128 ; 16-byte Folded Spill
	s_nop 0
	scratch_store_dwordx4 off, v[4:7], off offset:144 ; 16-byte Folded Spill
	scratch_store_dwordx4 off, v[8:11], off offset:160 ; 16-byte Folded Spill
	;; [unrolled: 1-line block ×7, first 2 shown]
	v_mov_b32_e32 v18, v196
	v_mov_b32_e32 v19, v197
	;; [unrolled: 1-line block ×17, first 2 shown]
.LBB32_184:
	s_or_b64 exec, exec, s[0:1]
	v_lshl_add_u32 v17, v241, 2, v238
	s_barrier
	ds_write_b32 v17, v229
	s_waitcnt lgkmcnt(0)
	s_barrier
	ds_read_b32 v17, v238 offset:44
	s_cmp_lt_i32 s22, 13
	v_mov_b32_e32 v34, 11
	s_cbranch_scc1 .LBB32_290
; %bb.185:
	scratch_load_dwordx4 v[48:51], off, off ; 16-byte Folded Reload
	scratch_load_dwordx4 v[52:55], off, off offset:16 ; 16-byte Folded Reload
	scratch_load_dwordx4 v[56:59], off, off offset:32 ; 16-byte Folded Reload
	;; [unrolled: 1-line block ×15, first 2 shown]
	v_add3_u32 v33, v239, 0, 48
	v_mov_b32_e32 v34, 11
	s_mov_b32 s0, 12
	s_waitcnt vmcnt(5)
	v_mov_b64_e32 v[88:89], v[196:197]
	v_mov_b64_e32 v[90:91], v[198:199]
	;; [unrolled: 1-line block ×6, first 2 shown]
	s_waitcnt vmcnt(4)
	v_mov_b64_e32 v[100:101], v[208:209]
.LBB32_186:                             ; =>This Inner Loop Header: Depth=1
	ds_read_b32 v35, v33
	v_mov_b32_e32 v36, s0
	s_add_i32 s0, s0, 1
	v_add_u32_e32 v33, 4, v33
	s_cmp_lg_u32 s22, s0
	s_waitcnt lgkmcnt(0)
	v_cmp_lt_f32_e64 vcc, |v17|, |v35|
	s_nop 1
	v_cndmask_b32_e32 v17, v17, v35, vcc
	v_cndmask_b32_e32 v34, v34, v36, vcc
	s_cbranch_scc1 .LBB32_186
; %bb.187:
	v_cmp_eq_f32_e32 vcc, 0, v17
	s_and_saveexec_b64 s[0:1], vcc
	s_xor_b64 s[0:1], exec, s[0:1]
.LBB32_188:
	v_cmp_ne_u32_e32 vcc, 0, v83
	s_nop 1
	v_cndmask_b32_e32 v83, 12, v83, vcc
.LBB32_189:
	s_andn2_saveexec_b64 s[0:1], s[0:1]
	s_cbranch_execz .LBB32_191
; %bb.190:
	v_div_scale_f32 v33, s[2:3], v17, v17, 1.0
	v_rcp_f32_e32 v35, v33
	v_div_scale_f32 v36, vcc, 1.0, v17, 1.0
	v_fma_f32 v37, -v33, v35, 1.0
	v_fmac_f32_e32 v35, v37, v35
	v_mul_f32_e32 v37, v36, v35
	v_fma_f32 v38, -v33, v37, v36
	v_fmac_f32_e32 v37, v38, v35
	v_fma_f32 v33, -v33, v37, v36
	v_div_fmas_f32 v33, v33, v35, v37
	v_div_fixup_f32 v17, v33, v17, 1.0
.LBB32_191:
	s_or_b64 exec, exec, s[0:1]
	v_cmp_ne_u32_e32 vcc, v241, v34
	s_and_saveexec_b64 s[0:1], vcc
	s_xor_b64 s[0:1], exec, s[0:1]
	s_cbranch_execz .LBB32_197
; %bb.192:
	v_cmp_eq_u32_e32 vcc, 11, v241
	s_and_saveexec_b64 s[2:3], vcc
	s_cbranch_execz .LBB32_196
; %bb.193:
	v_cmp_ne_u32_e32 vcc, 11, v34
	s_xor_b64 s[18:19], s[16:17], -1
	s_and_b64 s[20:21], s[18:19], vcc
	s_and_saveexec_b64 s[18:19], s[20:21]
	s_cbranch_execz .LBB32_195
; %bb.194:
	v_ashrrev_i32_e32 v35, 31, v34
	v_lshl_add_u64 v[36:37], v[34:35], 2, v[234:235]
	global_load_dword v33, v[36:37], off
	global_load_dword v35, v[234:235], off offset:44
	s_waitcnt vmcnt(1)
	global_store_dword v[234:235], v33, off offset:44
	s_waitcnt vmcnt(1)
	global_store_dword v[36:37], v35, off
.LBB32_195:
	s_or_b64 exec, exec, s[18:19]
	v_mov_b32_e32 v240, v34
	v_mov_b32_e32 v241, v34
.LBB32_196:
	s_or_b64 exec, exec, s[2:3]
.LBB32_197:
	s_andn2_saveexec_b64 s[0:1], s[0:1]
	s_cbranch_execz .LBB32_199
; %bb.198:
	v_mov_b32_e32 v241, 11
	ds_write2_b32 v238, v12, v13 offset0:12 offset1:13
	ds_write2_b32 v238, v14, v15 offset0:14 offset1:15
	ds_write_b32 v238, v237 offset:64
.LBB32_199:
	s_or_b64 exec, exec, s[0:1]
	v_cmp_lt_i32_e32 vcc, 11, v241
	s_waitcnt lgkmcnt(0)
	s_barrier
	s_and_saveexec_b64 s[0:1], vcc
	s_cbranch_execz .LBB32_201
; %bb.200:
	ds_read2_b32 v[0:1], v238 offset0:12 offset1:13
	ds_read2_b32 v[2:3], v238 offset0:14 offset1:15
	ds_read_b32 v4, v238 offset:64
	v_mul_f32_e32 v34, v229, v17
	v_mov_b32_e32 v127, v34
	s_waitcnt lgkmcnt(2)
	v_pk_fma_f32 v[60:61], v[34:35], v[0:1], v[12:13] op_sel_hi:[0,1,1] neg_lo:[1,0,0] neg_hi:[1,0,0]
	s_waitcnt lgkmcnt(1)
	v_pk_fma_f32 v[32:33], v[34:35], v[2:3], v[14:15] op_sel_hi:[0,1,1] neg_lo:[1,0,0] neg_hi:[1,0,0]
	s_waitcnt lgkmcnt(0)
	v_fma_f32 v16, -v34, v4, v237
	v_mov_b64_e32 v[186:187], v[146:147]
	v_mov_b32_e32 v48, v116
	v_mov_b32_e32 v49, v117
	v_mov_b32_e32 v50, v118
	v_mov_b32_e32 v51, v119
	v_mov_b32_e32 v52, v120
	v_mov_b32_e32 v53, v121
	v_mov_b32_e32 v54, v122
	v_mov_b32_e32 v55, v123
	v_mov_b32_e32 v56, v124
	v_mov_b32_e32 v57, v125
	v_mov_b32_e32 v58, v126
	v_mov_b32_e32 v59, v34
	v_mov_b32_e32 v88, v116
	v_mov_b32_e32 v89, v117
	v_mov_b32_e32 v90, v118
	v_mov_b32_e32 v91, v119
	v_mov_b32_e32 v92, v120
	v_mov_b32_e32 v93, v121
	v_mov_b32_e32 v94, v122
	v_mov_b32_e32 v95, v123
	v_mov_b32_e32 v96, v124
	v_mov_b32_e32 v97, v125
	v_mov_b32_e32 v98, v126
	v_mov_b32_e32 v99, v34
	v_mov_b32_e32 v100, v60
	v_mov_b32_e32 v101, v61
	v_mov_b32_e32 v18, v116
	v_mov_b32_e32 v19, v117
	v_mov_b32_e32 v20, v118
	v_mov_b32_e32 v21, v119
	v_mov_b32_e32 v22, v120
	v_mov_b32_e32 v23, v121
	v_mov_b32_e32 v24, v122
	v_mov_b32_e32 v25, v123
	v_mov_b32_e32 v26, v124
	v_mov_b32_e32 v27, v125
	v_mov_b32_e32 v28, v126
	v_mov_b32_e32 v29, v34
	v_mov_b32_e32 v30, v60
	v_mov_b32_e32 v31, v61
	v_mov_b32_e32 v0, v116
	v_mov_b32_e32 v1, v117
	v_mov_b32_e32 v2, v118
	v_mov_b32_e32 v3, v119
	v_mov_b32_e32 v4, v120
	v_mov_b32_e32 v5, v121
	v_mov_b32_e32 v6, v122
	v_mov_b32_e32 v7, v123
	v_mov_b32_e32 v8, v124
	v_mov_b32_e32 v9, v125
	v_mov_b32_e32 v10, v126
	v_mov_b32_e32 v11, v34
	v_mov_b32_e32 v12, v60
	v_mov_b32_e32 v13, v61
	v_mov_b32_e32 v14, v32
	v_mov_b32_e32 v15, v33
	v_mov_b64_e32 v[184:185], v[144:145]
	v_mov_b64_e32 v[182:183], v[142:143]
	;; [unrolled: 1-line block ×15, first 2 shown]
	v_mov_b32_e32 v46, v60
	v_mov_b32_e32 v195, v61
	;; [unrolled: 1-line block ×5, first 2 shown]
.LBB32_201:
	s_or_b64 exec, exec, s[0:1]
	v_lshl_add_u32 v17, v241, 2, v238
	s_barrier
	ds_write_b32 v17, v46
	s_waitcnt lgkmcnt(0)
	s_barrier
	ds_read_b32 v17, v238 offset:48
	s_cmp_lt_i32 s22, 14
	v_mov_b32_e32 v34, 12
	s_cbranch_scc1 .LBB32_204
; %bb.202:
	v_add3_u32 v33, v239, 0, 52
	v_mov_b32_e32 v34, 12
	s_mov_b32 s0, 13
.LBB32_203:                             ; =>This Inner Loop Header: Depth=1
	ds_read_b32 v35, v33
	v_mov_b32_e32 v36, s0
	s_add_i32 s0, s0, 1
	v_add_u32_e32 v33, 4, v33
	s_cmp_lg_u32 s22, s0
	s_waitcnt lgkmcnt(0)
	v_cmp_lt_f32_e64 vcc, |v17|, |v35|
	s_nop 1
	v_cndmask_b32_e32 v17, v17, v35, vcc
	v_cndmask_b32_e32 v34, v34, v36, vcc
	s_cbranch_scc1 .LBB32_203
.LBB32_204:
	s_waitcnt lgkmcnt(0)
	v_cmp_eq_f32_e32 vcc, 0, v17
	s_and_saveexec_b64 s[0:1], vcc
	s_xor_b64 s[0:1], exec, s[0:1]
; %bb.205:
	v_cmp_ne_u32_e32 vcc, 0, v83
	s_nop 1
	v_cndmask_b32_e32 v83, 13, v83, vcc
; %bb.206:
	s_andn2_saveexec_b64 s[0:1], s[0:1]
	s_cbranch_execz .LBB32_208
; %bb.207:
	v_div_scale_f32 v33, s[2:3], v17, v17, 1.0
	v_rcp_f32_e32 v35, v33
	v_div_scale_f32 v36, vcc, 1.0, v17, 1.0
	v_fma_f32 v37, -v33, v35, 1.0
	v_fmac_f32_e32 v35, v37, v35
	v_mul_f32_e32 v37, v36, v35
	v_fma_f32 v38, -v33, v37, v36
	v_fmac_f32_e32 v37, v38, v35
	v_fma_f32 v33, -v33, v37, v36
	v_div_fmas_f32 v33, v33, v35, v37
	v_div_fixup_f32 v17, v33, v17, 1.0
.LBB32_208:
	s_or_b64 exec, exec, s[0:1]
	v_cmp_ne_u32_e32 vcc, v241, v34
	s_and_saveexec_b64 s[0:1], vcc
	s_xor_b64 s[0:1], exec, s[0:1]
	s_cbranch_execz .LBB32_214
; %bb.209:
	v_cmp_eq_u32_e32 vcc, 12, v241
	s_and_saveexec_b64 s[2:3], vcc
	s_cbranch_execz .LBB32_213
; %bb.210:
	v_cmp_ne_u32_e32 vcc, 12, v34
	s_xor_b64 s[18:19], s[16:17], -1
	s_and_b64 s[20:21], s[18:19], vcc
	s_and_saveexec_b64 s[18:19], s[20:21]
	s_cbranch_execz .LBB32_212
; %bb.211:
	v_ashrrev_i32_e32 v35, 31, v34
	v_lshl_add_u64 v[36:37], v[34:35], 2, v[234:235]
	global_load_dword v33, v[36:37], off
	global_load_dword v35, v[234:235], off offset:48
	s_waitcnt vmcnt(1)
	global_store_dword v[234:235], v33, off offset:48
	s_waitcnt vmcnt(1)
	global_store_dword v[36:37], v35, off
.LBB32_212:
	s_or_b64 exec, exec, s[18:19]
	v_mov_b32_e32 v240, v34
	v_mov_b32_e32 v241, v34
.LBB32_213:
	s_or_b64 exec, exec, s[2:3]
.LBB32_214:
	s_andn2_saveexec_b64 s[0:1], s[0:1]
	s_cbranch_execz .LBB32_216
; %bb.215:
	v_mov_b32_e32 v241, 12
	ds_write2_b32 v238, v13, v14 offset0:13 offset1:14
	ds_write2_b32 v238, v15, v16 offset0:15 offset1:16
.LBB32_216:
	s_or_b64 exec, exec, s[0:1]
	v_cmp_lt_i32_e32 vcc, 12, v241
	s_waitcnt lgkmcnt(0)
	s_barrier
	s_and_saveexec_b64 s[0:1], vcc
	s_cbranch_execz .LBB32_218
; %bb.217:
	ds_read2_b32 v[0:1], v238 offset0:13 offset1:14
	ds_read2_b32 v[4:5], v238 offset0:15 offset1:16
	v_mul_f32_e32 v168, v46, v17
	v_mov_b32_e32 v2, v13
	v_mov_b32_e32 v3, v14
	s_waitcnt lgkmcnt(1)
	v_pk_fma_f32 v[34:35], v[168:169], v[0:1], v[2:3] op_sel_hi:[0,1,1] neg_lo:[1,0,0] neg_hi:[1,0,0]
	v_mov_b32_e32 v0, v15
	v_mov_b32_e32 v1, v16
	s_waitcnt lgkmcnt(0)
	v_pk_fma_f32 v[236:237], v[168:169], v[4:5], v[0:1] op_sel_hi:[0,1,1] neg_lo:[1,0,0] neg_hi:[1,0,0]
	v_mov_b32_e32 v169, v34
	v_mov_b64_e32 v[88:89], v[156:157]
	v_mov_b64_e32 v[48:49], v[156:157]
	v_mov_b32_e32 v18, v156
	v_mov_b32_e32 v19, v157
	;; [unrolled: 1-line block ×32, first 2 shown]
	v_mov_b64_e32 v[90:91], v[158:159]
	v_mov_b64_e32 v[92:93], v[160:161]
	;; [unrolled: 1-line block ×30, first 2 shown]
	v_mov_b32_e32 v195, v34
	v_mov_b32_e32 v86, v35
.LBB32_218:
	s_or_b64 exec, exec, s[0:1]
	v_lshl_add_u32 v17, v241, 2, v238
	s_barrier
	ds_write_b32 v17, v195
	s_waitcnt lgkmcnt(0)
	s_barrier
	ds_read_b32 v17, v238 offset:52
	s_cmp_lt_i32 s22, 15
	v_mov_b32_e32 v34, 13
	s_cbranch_scc1 .LBB32_221
; %bb.219:
	v_add3_u32 v33, v239, 0, 56
	v_mov_b32_e32 v34, 13
	s_mov_b32 s0, 14
.LBB32_220:                             ; =>This Inner Loop Header: Depth=1
	ds_read_b32 v35, v33
	v_mov_b32_e32 v36, s0
	s_add_i32 s0, s0, 1
	v_add_u32_e32 v33, 4, v33
	s_cmp_lg_u32 s22, s0
	s_waitcnt lgkmcnt(0)
	v_cmp_lt_f32_e64 vcc, |v17|, |v35|
	s_nop 1
	v_cndmask_b32_e32 v17, v17, v35, vcc
	v_cndmask_b32_e32 v34, v34, v36, vcc
	s_cbranch_scc1 .LBB32_220
.LBB32_221:
	s_waitcnt lgkmcnt(0)
	v_cmp_eq_f32_e32 vcc, 0, v17
	s_and_saveexec_b64 s[0:1], vcc
	s_xor_b64 s[0:1], exec, s[0:1]
; %bb.222:
	v_cmp_ne_u32_e32 vcc, 0, v83
	s_nop 1
	v_cndmask_b32_e32 v83, 14, v83, vcc
; %bb.223:
	s_andn2_saveexec_b64 s[0:1], s[0:1]
	s_cbranch_execz .LBB32_225
; %bb.224:
	v_div_scale_f32 v33, s[2:3], v17, v17, 1.0
	v_rcp_f32_e32 v35, v33
	v_div_scale_f32 v36, vcc, 1.0, v17, 1.0
	v_fma_f32 v37, -v33, v35, 1.0
	v_fmac_f32_e32 v35, v37, v35
	v_mul_f32_e32 v37, v36, v35
	v_fma_f32 v38, -v33, v37, v36
	v_fmac_f32_e32 v37, v38, v35
	v_fma_f32 v33, -v33, v37, v36
	v_div_fmas_f32 v33, v33, v35, v37
	v_div_fixup_f32 v17, v33, v17, 1.0
.LBB32_225:
	s_or_b64 exec, exec, s[0:1]
	v_cmp_ne_u32_e32 vcc, v241, v34
	s_and_saveexec_b64 s[0:1], vcc
	s_xor_b64 s[0:1], exec, s[0:1]
	s_cbranch_execz .LBB32_231
; %bb.226:
	v_cmp_eq_u32_e32 vcc, 13, v241
	s_and_saveexec_b64 s[2:3], vcc
	s_cbranch_execz .LBB32_230
; %bb.227:
	v_cmp_ne_u32_e32 vcc, 13, v34
	s_xor_b64 s[18:19], s[16:17], -1
	s_and_b64 s[20:21], s[18:19], vcc
	s_and_saveexec_b64 s[18:19], s[20:21]
	s_cbranch_execz .LBB32_229
; %bb.228:
	v_ashrrev_i32_e32 v35, 31, v34
	v_lshl_add_u64 v[36:37], v[34:35], 2, v[234:235]
	global_load_dword v33, v[36:37], off
	global_load_dword v35, v[234:235], off offset:52
	s_waitcnt vmcnt(1)
	global_store_dword v[234:235], v33, off offset:52
	s_waitcnt vmcnt(1)
	global_store_dword v[36:37], v35, off
.LBB32_229:
	s_or_b64 exec, exec, s[18:19]
	v_mov_b32_e32 v240, v34
	v_mov_b32_e32 v241, v34
.LBB32_230:
	s_or_b64 exec, exec, s[2:3]
.LBB32_231:
	s_andn2_saveexec_b64 s[0:1], s[0:1]
	s_cbranch_execz .LBB32_233
; %bb.232:
	v_mov_b32_e32 v241, 13
	ds_write2_b32 v238, v14, v15 offset0:14 offset1:15
	ds_write_b32 v238, v237 offset:64
.LBB32_233:
	s_or_b64 exec, exec, s[0:1]
	v_cmp_lt_i32_e32 vcc, 13, v241
	s_waitcnt lgkmcnt(0)
	s_barrier
	s_and_saveexec_b64 s[0:1], vcc
	s_cbranch_execz .LBB32_235
; %bb.234:
	ds_read2_b32 v[0:1], v238 offset0:14 offset1:15
	ds_read_b32 v2, v238 offset:64
	v_mul_f32_e32 v34, v195, v17
	v_mov_b32_e32 v61, v34
	v_mov_b64_e32 v[118:119], v[78:79]
	s_waitcnt lgkmcnt(1)
	v_pk_fma_f32 v[32:33], v[34:35], v[0:1], v[14:15] op_sel_hi:[0,1,1] neg_lo:[1,0,0] neg_hi:[1,0,0]
	s_waitcnt lgkmcnt(0)
	v_fma_f32 v16, -v34, v2, v237
	v_mov_b32_e32 v18, v48
	v_mov_b32_e32 v19, v49
	;; [unrolled: 1-line block ×30, first 2 shown]
	v_mov_b64_e32 v[116:117], v[76:77]
	v_mov_b64_e32 v[114:115], v[74:75]
	v_mov_b64_e32 v[112:113], v[72:73]
	v_mov_b64_e32 v[110:111], v[70:71]
	v_mov_b64_e32 v[108:109], v[68:69]
	v_mov_b64_e32 v[106:107], v[66:67]
	v_mov_b64_e32 v[104:105], v[64:65]
	v_mov_b64_e32 v[102:103], v[62:63]
	v_mov_b64_e32 v[100:101], v[60:61]
	v_mov_b64_e32 v[98:99], v[58:59]
	v_mov_b64_e32 v[96:97], v[56:57]
	v_mov_b64_e32 v[94:95], v[54:55]
	v_mov_b64_e32 v[92:93], v[52:53]
	v_mov_b64_e32 v[90:91], v[50:51]
	v_mov_b64_e32 v[88:89], v[48:49]
	v_mov_b32_e32 v86, v32
	v_mov_b32_e32 v236, v33
	;; [unrolled: 1-line block ×3, first 2 shown]
.LBB32_235:
	s_or_b64 exec, exec, s[0:1]
	v_lshl_add_u32 v17, v241, 2, v238
	s_barrier
	ds_write_b32 v17, v86
	s_waitcnt lgkmcnt(0)
	s_barrier
	ds_read_b32 v17, v238 offset:56
	s_cmp_lt_i32 s22, 16
	v_mov_b32_e32 v34, 14
	s_cbranch_scc1 .LBB32_238
; %bb.236:
	v_add3_u32 v33, v239, 0, 60
	v_mov_b32_e32 v34, 14
	s_mov_b32 s0, 15
.LBB32_237:                             ; =>This Inner Loop Header: Depth=1
	ds_read_b32 v35, v33
	v_mov_b32_e32 v36, s0
	s_add_i32 s0, s0, 1
	v_add_u32_e32 v33, 4, v33
	s_cmp_lg_u32 s22, s0
	s_waitcnt lgkmcnt(0)
	v_cmp_lt_f32_e64 vcc, |v17|, |v35|
	s_nop 1
	v_cndmask_b32_e32 v17, v17, v35, vcc
	v_cndmask_b32_e32 v34, v34, v36, vcc
	s_cbranch_scc1 .LBB32_237
.LBB32_238:
	s_waitcnt lgkmcnt(0)
	v_cmp_eq_f32_e32 vcc, 0, v17
	s_and_saveexec_b64 s[0:1], vcc
	s_xor_b64 s[0:1], exec, s[0:1]
; %bb.239:
	v_cmp_ne_u32_e32 vcc, 0, v83
	s_nop 1
	v_cndmask_b32_e32 v83, 15, v83, vcc
; %bb.240:
	s_andn2_saveexec_b64 s[0:1], s[0:1]
	s_cbranch_execz .LBB32_242
; %bb.241:
	v_div_scale_f32 v33, s[2:3], v17, v17, 1.0
	v_rcp_f32_e32 v35, v33
	v_div_scale_f32 v36, vcc, 1.0, v17, 1.0
	v_fma_f32 v37, -v33, v35, 1.0
	v_fmac_f32_e32 v35, v37, v35
	v_mul_f32_e32 v37, v36, v35
	v_fma_f32 v38, -v33, v37, v36
	v_fmac_f32_e32 v37, v38, v35
	v_fma_f32 v33, -v33, v37, v36
	v_div_fmas_f32 v33, v33, v35, v37
	v_div_fixup_f32 v17, v33, v17, 1.0
.LBB32_242:
	s_or_b64 exec, exec, s[0:1]
	v_cmp_ne_u32_e32 vcc, v241, v34
	s_and_saveexec_b64 s[0:1], vcc
	s_xor_b64 s[0:1], exec, s[0:1]
	s_cbranch_execz .LBB32_248
; %bb.243:
	v_cmp_eq_u32_e32 vcc, 14, v241
	s_and_saveexec_b64 s[2:3], vcc
	s_cbranch_execz .LBB32_247
; %bb.244:
	v_cmp_ne_u32_e32 vcc, 14, v34
	s_xor_b64 s[18:19], s[16:17], -1
	s_and_b64 s[20:21], s[18:19], vcc
	s_and_saveexec_b64 s[18:19], s[20:21]
	s_cbranch_execz .LBB32_246
; %bb.245:
	v_ashrrev_i32_e32 v35, 31, v34
	v_lshl_add_u64 v[36:37], v[34:35], 2, v[234:235]
	global_load_dword v33, v[36:37], off
	global_load_dword v35, v[234:235], off offset:56
	s_waitcnt vmcnt(1)
	global_store_dword v[234:235], v33, off offset:56
	s_waitcnt vmcnt(1)
	global_store_dword v[36:37], v35, off
.LBB32_246:
	s_or_b64 exec, exec, s[18:19]
	v_mov_b32_e32 v240, v34
	v_mov_b32_e32 v241, v34
.LBB32_247:
	s_or_b64 exec, exec, s[2:3]
.LBB32_248:
	s_andn2_saveexec_b64 s[0:1], s[0:1]
; %bb.249:
	v_mov_b32_e32 v241, 14
	ds_write2_b32 v238, v15, v16 offset0:15 offset1:16
; %bb.250:
	s_or_b64 exec, exec, s[0:1]
	v_cmp_lt_i32_e32 vcc, 14, v241
	s_waitcnt lgkmcnt(0)
	s_barrier
	s_and_saveexec_b64 s[0:1], vcc
	s_cbranch_execz .LBB32_252
; %bb.251:
	ds_read2_b32 v[0:1], v238 offset0:15 offset1:16
	v_mul_f32_e32 v102, v86, v17
	v_mov_b32_e32 v2, v15
	v_mov_b32_e32 v3, v16
	s_waitcnt lgkmcnt(0)
	v_pk_fma_f32 v[236:237], v[102:103], v[0:1], v[2:3] op_sel_hi:[0,1,1] neg_lo:[1,0,0] neg_hi:[1,0,0]
	v_mov_b32_e32 v103, v236
	v_mov_b32_e32 v104, v237
	v_mov_b64_e32 v[0:1], v[88:89]
	v_mov_b64_e32 v[18:19], v[106:107]
	;; [unrolled: 1-line block ×32, first 2 shown]
.LBB32_252:
	s_or_b64 exec, exec, s[0:1]
	v_lshl_add_u32 v17, v241, 2, v238
	s_barrier
	ds_write_b32 v17, v236
	s_waitcnt lgkmcnt(0)
	s_barrier
	ds_read_b32 v17, v238 offset:60
	s_cmp_lt_i32 s22, 17
	v_mov_b32_e32 v34, 15
	s_cbranch_scc1 .LBB32_255
; %bb.253:
	v_add3_u32 v33, v239, 0, 64
	v_mov_b32_e32 v34, 15
	s_mov_b32 s0, 16
.LBB32_254:                             ; =>This Inner Loop Header: Depth=1
	ds_read_b32 v35, v33
	v_mov_b32_e32 v36, s0
	s_add_i32 s0, s0, 1
	v_add_u32_e32 v33, 4, v33
	s_cmp_lg_u32 s22, s0
	s_waitcnt lgkmcnt(0)
	v_cmp_lt_f32_e64 vcc, |v17|, |v35|
	s_nop 1
	v_cndmask_b32_e32 v17, v17, v35, vcc
	v_cndmask_b32_e32 v34, v34, v36, vcc
	s_cbranch_scc1 .LBB32_254
.LBB32_255:
	s_waitcnt lgkmcnt(0)
	v_cmp_eq_f32_e32 vcc, 0, v17
	s_and_saveexec_b64 s[0:1], vcc
	s_xor_b64 s[0:1], exec, s[0:1]
; %bb.256:
	v_cmp_ne_u32_e32 vcc, 0, v83
	s_nop 1
	v_cndmask_b32_e32 v83, 16, v83, vcc
; %bb.257:
	s_andn2_saveexec_b64 s[0:1], s[0:1]
	s_cbranch_execz .LBB32_259
; %bb.258:
	v_div_scale_f32 v33, s[2:3], v17, v17, 1.0
	v_rcp_f32_e32 v35, v33
	v_div_scale_f32 v36, vcc, 1.0, v17, 1.0
	v_fma_f32 v37, -v33, v35, 1.0
	v_fmac_f32_e32 v35, v37, v35
	v_mul_f32_e32 v37, v36, v35
	v_fma_f32 v38, -v33, v37, v36
	v_fmac_f32_e32 v37, v38, v35
	v_fma_f32 v33, -v33, v37, v36
	v_div_fmas_f32 v33, v33, v35, v37
	v_div_fixup_f32 v17, v33, v17, 1.0
.LBB32_259:
	s_or_b64 exec, exec, s[0:1]
	v_cmp_ne_u32_e32 vcc, v241, v34
	s_and_saveexec_b64 s[0:1], vcc
	s_xor_b64 s[0:1], exec, s[0:1]
	s_cbranch_execz .LBB32_265
; %bb.260:
	v_cmp_eq_u32_e32 vcc, 15, v241
	s_and_saveexec_b64 s[2:3], vcc
	s_cbranch_execz .LBB32_264
; %bb.261:
	v_cmp_ne_u32_e32 vcc, 15, v34
	s_xor_b64 s[18:19], s[16:17], -1
	s_and_b64 s[20:21], s[18:19], vcc
	s_and_saveexec_b64 s[18:19], s[20:21]
	s_cbranch_execz .LBB32_263
; %bb.262:
	v_ashrrev_i32_e32 v35, 31, v34
	v_lshl_add_u64 v[36:37], v[34:35], 2, v[234:235]
	global_load_dword v33, v[36:37], off
	global_load_dword v35, v[234:235], off offset:60
	s_waitcnt vmcnt(1)
	global_store_dword v[234:235], v33, off offset:60
	s_waitcnt vmcnt(1)
	global_store_dword v[36:37], v35, off
.LBB32_263:
	s_or_b64 exec, exec, s[18:19]
	v_mov_b32_e32 v240, v34
	v_mov_b32_e32 v241, v34
.LBB32_264:
	s_or_b64 exec, exec, s[2:3]
.LBB32_265:
	s_andn2_saveexec_b64 s[0:1], s[0:1]
; %bb.266:
	v_mov_b32_e32 v241, 15
	ds_write_b32 v238, v237 offset:64
; %bb.267:
	s_or_b64 exec, exec, s[0:1]
	v_cmp_lt_i32_e32 vcc, 15, v241
	s_waitcnt lgkmcnt(0)
	s_barrier
	s_and_saveexec_b64 s[0:1], vcc
	s_cbranch_execz .LBB32_269
; %bb.268:
	ds_read_b32 v0, v238 offset:64
	v_mul_f32_e32 v33, v236, v17
	s_waitcnt lgkmcnt(0)
	v_fma_f32 v34, -v33, v0, v237
	v_mov_b64_e32 v[0:1], v[18:19]
	v_mov_b64_e32 v[2:3], v[20:21]
	;; [unrolled: 1-line block ×9, first 2 shown]
	v_mov_b32_e32 v237, v34
	v_mov_b64_e32 v[18:19], v[36:37]
	v_mov_b64_e32 v[20:21], v[38:39]
	v_mov_b64_e32 v[22:23], v[40:41]
	v_mov_b64_e32 v[24:25], v[42:43]
	v_mov_b64_e32 v[26:27], v[44:45]
	v_mov_b64_e32 v[28:29], v[46:47]
	v_mov_b64_e32 v[30:31], v[48:49]
.LBB32_269:
	s_or_b64 exec, exec, s[0:1]
	v_lshl_add_u32 v17, v241, 2, v238
	s_barrier
	ds_write_b32 v17, v237
	s_waitcnt lgkmcnt(0)
	s_barrier
	ds_read_b32 v17, v238 offset:64
	s_cmp_lt_i32 s22, 18
	v_mov_b32_e32 v18, 16
	s_cbranch_scc1 .LBB32_272
; %bb.270:
	v_add_u32_e32 v19, 0x44, v238
	v_mov_b32_e32 v18, 16
	s_mov_b32 s0, 17
.LBB32_271:                             ; =>This Inner Loop Header: Depth=1
	ds_read_b32 v20, v19
	v_mov_b32_e32 v21, s0
	s_add_i32 s0, s0, 1
	v_add_u32_e32 v19, 4, v19
	s_cmp_lg_u32 s22, s0
	s_waitcnt lgkmcnt(0)
	v_cmp_lt_f32_e64 vcc, |v17|, |v20|
	s_nop 1
	v_cndmask_b32_e32 v17, v17, v20, vcc
	v_cndmask_b32_e32 v18, v18, v21, vcc
	s_cbranch_scc1 .LBB32_271
.LBB32_272:
	s_waitcnt lgkmcnt(0)
	v_cmp_eq_f32_e32 vcc, 0, v17
	s_and_saveexec_b64 s[0:1], vcc
	s_xor_b64 s[0:1], exec, s[0:1]
; %bb.273:
	v_cmp_ne_u32_e32 vcc, 0, v83
	s_nop 1
	v_cndmask_b32_e32 v83, 17, v83, vcc
; %bb.274:
	s_andn2_saveexec_b64 s[0:1], s[0:1]
	s_cbranch_execz .LBB32_276
; %bb.275:
	v_div_scale_f32 v19, s[2:3], v17, v17, 1.0
	v_rcp_f32_e32 v20, v19
	v_div_scale_f32 v21, vcc, 1.0, v17, 1.0
	v_fma_f32 v22, -v19, v20, 1.0
	v_fmac_f32_e32 v20, v22, v20
	v_mul_f32_e32 v22, v21, v20
	v_fma_f32 v23, -v19, v22, v21
	v_fmac_f32_e32 v22, v23, v20
	v_fma_f32 v19, -v19, v22, v21
	v_div_fmas_f32 v19, v19, v20, v22
	v_div_fixup_f32 v17, v19, v17, 1.0
.LBB32_276:
	s_or_b64 exec, exec, s[0:1]
	v_cmp_ne_u32_e32 vcc, v241, v18
	v_mov_b32_e32 v20, 16
	s_and_saveexec_b64 s[0:1], vcc
	s_cbranch_execz .LBB32_282
; %bb.277:
	v_cmp_eq_u32_e32 vcc, 16, v241
	s_and_saveexec_b64 s[2:3], vcc
	s_cbranch_execz .LBB32_281
; %bb.278:
	v_cmp_ne_u32_e32 vcc, 16, v18
	s_xor_b64 s[16:17], s[16:17], -1
	s_and_b64 s[18:19], s[16:17], vcc
	s_and_saveexec_b64 s[16:17], s[18:19]
	s_cbranch_execz .LBB32_280
; %bb.279:
	v_ashrrev_i32_e32 v19, 31, v18
	v_lshl_add_u64 v[20:21], v[18:19], 2, v[234:235]
	global_load_dword v19, v[20:21], off
	global_load_dword v22, v[234:235], off offset:64
	s_waitcnt vmcnt(1)
	global_store_dword v[234:235], v19, off offset:64
	s_waitcnt vmcnt(1)
	global_store_dword v[20:21], v22, off
.LBB32_280:
	s_or_b64 exec, exec, s[16:17]
	v_mov_b32_e32 v240, v18
	v_mov_b32_e32 v241, v18
.LBB32_281:
	s_or_b64 exec, exec, s[2:3]
	v_mov_b32_e32 v20, v241
.LBB32_282:
	s_or_b64 exec, exec, s[0:1]
	v_cmp_gt_i32_e32 vcc, 17, v20
	v_ashrrev_i32_e32 v21, 31, v20
	s_barrier
	s_barrier
	s_and_saveexec_b64 s[0:1], vcc
	s_cbranch_execz .LBB32_284
; %bb.283:
	v_mul_lo_u32 v24, s11, v232
	v_mul_lo_u32 v25, s10, v233
	v_mad_u64_u32 v[22:23], s[2:3], s10, v232, 0
	v_mov_b32_e32 v18, s6
	v_mov_b32_e32 v19, s7
	v_add3_u32 v23, v23, v25, v24
	v_lshl_add_u64 v[18:19], v[22:23], 2, v[18:19]
	v_lshl_add_u64 v[18:19], s[8:9], 2, v[18:19]
	;; [unrolled: 1-line block ×3, first 2 shown]
	v_add3_u32 v22, v240, s15, 1
	global_store_dword v[18:19], v22, off
.LBB32_284:
	s_or_b64 exec, exec, s[0:1]
	v_cmp_eq_u32_e32 vcc, 0, v20
	s_and_saveexec_b64 s[2:3], vcc
	s_cbranch_execz .LBB32_287
; %bb.285:
	v_mov_b32_e32 v18, s4
	v_mov_b32_e32 v19, s5
	v_lshl_add_u64 v[18:19], v[232:233], 2, v[18:19]
	global_load_dword v22, v[18:19], off
	v_cmp_ne_u32_e64 s[0:1], 0, v83
	s_waitcnt vmcnt(0)
	v_cmp_eq_u32_e32 vcc, 0, v22
	s_and_b64 s[0:1], vcc, s[0:1]
	s_and_b64 exec, exec, s[0:1]
	s_cbranch_execz .LBB32_287
; %bb.286:
	v_add_u32_e32 v22, s15, v83
	global_store_dword v[18:19], v22, off
.LBB32_287:
	s_or_b64 exec, exec, s[2:3]
	v_mul_f32_e32 v17, v237, v17
	v_cmp_lt_i32_e32 vcc, 16, v20
	s_nop 1
	v_cndmask_b32_e32 v18, v16, v17, vcc
	v_lshl_add_u64 v[16:17], v[20:21], 2, v[230:231]
	global_store_dword v[16:17], v0, off
	v_lshl_add_u64 v[16:17], s[12:13], 2, v[16:17]
	v_add_u32_e32 v0, s14, v20
	global_store_dword v[16:17], v1, off
	v_ashrrev_i32_e32 v1, 31, v0
	v_lshl_add_u64 v[16:17], v[0:1], 2, v[230:231]
	v_add_u32_e32 v0, s12, v0
	v_ashrrev_i32_e32 v1, 31, v0
	global_store_dword v[16:17], v2, off
	v_lshl_add_u64 v[16:17], v[0:1], 2, v[230:231]
	v_add_u32_e32 v0, s12, v0
	v_ashrrev_i32_e32 v1, 31, v0
	global_store_dword v[16:17], v3, off
	;; [unrolled: 4-line block ×13, first 2 shown]
	v_lshl_add_u64 v[2:3], v[0:1], 2, v[230:231]
	v_add_u32_e32 v0, s12, v0
	v_ashrrev_i32_e32 v1, 31, v0
	v_lshl_add_u64 v[0:1], v[0:1], 2, v[230:231]
	global_store_dword v[2:3], v15, off
	global_store_dword v[0:1], v18, off
.LBB32_288:
	s_endpgm
.LBB32_289:
	scratch_load_dwordx4 v[156:159], off, off offset:896 ; 16-byte Folded Reload
	scratch_load_dwordx4 v[160:163], off, off offset:912 ; 16-byte Folded Reload
	;; [unrolled: 1-line block ×16, first 2 shown]
	s_waitcnt lgkmcnt(0)
	v_cmp_eq_f32_e32 vcc, 0, v17
	s_and_saveexec_b64 s[0:1], vcc
	s_xor_b64 s[0:1], exec, s[0:1]
	s_cbranch_execnz .LBB32_52
	s_branch .LBB32_53
.LBB32_290:
	scratch_load_dwordx4 v[48:51], off, off ; 16-byte Folded Reload
	scratch_load_dwordx4 v[52:55], off, off offset:16 ; 16-byte Folded Reload
	scratch_load_dwordx4 v[56:59], off, off offset:32 ; 16-byte Folded Reload
	scratch_load_dwordx4 v[60:63], off, off offset:48 ; 16-byte Folded Reload
	scratch_load_dwordx4 v[64:67], off, off offset:64 ; 16-byte Folded Reload
	scratch_load_dwordx4 v[68:71], off, off offset:80 ; 16-byte Folded Reload
	scratch_load_dwordx4 v[72:75], off, off offset:96 ; 16-byte Folded Reload
	scratch_load_dwordx4 v[76:79], off, off offset:112 ; 16-byte Folded Reload
	scratch_load_dwordx4 v[196:199], off, off offset:128 ; 16-byte Folded Reload
	scratch_load_dwordx4 v[200:203], off, off offset:144 ; 16-byte Folded Reload
	scratch_load_dwordx4 v[204:207], off, off offset:160 ; 16-byte Folded Reload
	scratch_load_dwordx4 v[208:211], off, off offset:176 ; 16-byte Folded Reload
	scratch_load_dwordx4 v[212:215], off, off offset:192 ; 16-byte Folded Reload
	scratch_load_dwordx4 v[216:219], off, off offset:208 ; 16-byte Folded Reload
	scratch_load_dwordx4 v[220:223], off, off offset:224 ; 16-byte Folded Reload
	scratch_load_dwordx4 v[224:227], off, off offset:240 ; 16-byte Folded Reload
	s_waitcnt vmcnt(5)
	v_mov_b64_e32 v[88:89], v[196:197]
	v_mov_b64_e32 v[90:91], v[198:199]
	v_mov_b64_e32 v[92:93], v[200:201]
	v_mov_b64_e32 v[94:95], v[202:203]
	v_mov_b64_e32 v[96:97], v[204:205]
	v_mov_b64_e32 v[98:99], v[206:207]
	s_waitcnt vmcnt(4)
	v_mov_b64_e32 v[100:101], v[208:209]
	s_waitcnt lgkmcnt(0)
	v_cmp_eq_f32_e32 vcc, 0, v17
	s_and_saveexec_b64 s[0:1], vcc
	s_xor_b64 s[0:1], exec, s[0:1]
	s_cbranch_execnz .LBB32_188
	s_branch .LBB32_189
	.section	.rodata,"a",@progbits
	.p2align	6, 0x0
	.amdhsa_kernel _ZN9rocsolver6v33100L18getf2_small_kernelILi17EfiiPfEEvT1_T3_lS3_lPS3_llPT2_S3_S3_S5_l
		.amdhsa_group_segment_fixed_size 0
		.amdhsa_private_segment_fixed_size 1284
		.amdhsa_kernarg_size 352
		.amdhsa_user_sgpr_count 2
		.amdhsa_user_sgpr_dispatch_ptr 0
		.amdhsa_user_sgpr_queue_ptr 0
		.amdhsa_user_sgpr_kernarg_segment_ptr 1
		.amdhsa_user_sgpr_dispatch_id 0
		.amdhsa_user_sgpr_kernarg_preload_length 0
		.amdhsa_user_sgpr_kernarg_preload_offset 0
		.amdhsa_user_sgpr_private_segment_size 0
		.amdhsa_uses_dynamic_stack 0
		.amdhsa_enable_private_segment 1
		.amdhsa_system_sgpr_workgroup_id_x 1
		.amdhsa_system_sgpr_workgroup_id_y 1
		.amdhsa_system_sgpr_workgroup_id_z 0
		.amdhsa_system_sgpr_workgroup_info 0
		.amdhsa_system_vgpr_workitem_id 1
		.amdhsa_next_free_vgpr 250
		.amdhsa_next_free_sgpr 28
		.amdhsa_accum_offset 252
		.amdhsa_reserve_vcc 1
		.amdhsa_float_round_mode_32 0
		.amdhsa_float_round_mode_16_64 0
		.amdhsa_float_denorm_mode_32 3
		.amdhsa_float_denorm_mode_16_64 3
		.amdhsa_dx10_clamp 1
		.amdhsa_ieee_mode 1
		.amdhsa_fp16_overflow 0
		.amdhsa_tg_split 0
		.amdhsa_exception_fp_ieee_invalid_op 0
		.amdhsa_exception_fp_denorm_src 0
		.amdhsa_exception_fp_ieee_div_zero 0
		.amdhsa_exception_fp_ieee_overflow 0
		.amdhsa_exception_fp_ieee_underflow 0
		.amdhsa_exception_fp_ieee_inexact 0
		.amdhsa_exception_int_div_zero 0
	.end_amdhsa_kernel
	.section	.text._ZN9rocsolver6v33100L18getf2_small_kernelILi17EfiiPfEEvT1_T3_lS3_lPS3_llPT2_S3_S3_S5_l,"axG",@progbits,_ZN9rocsolver6v33100L18getf2_small_kernelILi17EfiiPfEEvT1_T3_lS3_lPS3_llPT2_S3_S3_S5_l,comdat
.Lfunc_end32:
	.size	_ZN9rocsolver6v33100L18getf2_small_kernelILi17EfiiPfEEvT1_T3_lS3_lPS3_llPT2_S3_S3_S5_l, .Lfunc_end32-_ZN9rocsolver6v33100L18getf2_small_kernelILi17EfiiPfEEvT1_T3_lS3_lPS3_llPT2_S3_S3_S5_l
                                        ; -- End function
	.set _ZN9rocsolver6v33100L18getf2_small_kernelILi17EfiiPfEEvT1_T3_lS3_lPS3_llPT2_S3_S3_S5_l.num_vgpr, 250
	.set _ZN9rocsolver6v33100L18getf2_small_kernelILi17EfiiPfEEvT1_T3_lS3_lPS3_llPT2_S3_S3_S5_l.num_agpr, 0
	.set _ZN9rocsolver6v33100L18getf2_small_kernelILi17EfiiPfEEvT1_T3_lS3_lPS3_llPT2_S3_S3_S5_l.numbered_sgpr, 28
	.set _ZN9rocsolver6v33100L18getf2_small_kernelILi17EfiiPfEEvT1_T3_lS3_lPS3_llPT2_S3_S3_S5_l.num_named_barrier, 0
	.set _ZN9rocsolver6v33100L18getf2_small_kernelILi17EfiiPfEEvT1_T3_lS3_lPS3_llPT2_S3_S3_S5_l.private_seg_size, 1284
	.set _ZN9rocsolver6v33100L18getf2_small_kernelILi17EfiiPfEEvT1_T3_lS3_lPS3_llPT2_S3_S3_S5_l.uses_vcc, 1
	.set _ZN9rocsolver6v33100L18getf2_small_kernelILi17EfiiPfEEvT1_T3_lS3_lPS3_llPT2_S3_S3_S5_l.uses_flat_scratch, 0
	.set _ZN9rocsolver6v33100L18getf2_small_kernelILi17EfiiPfEEvT1_T3_lS3_lPS3_llPT2_S3_S3_S5_l.has_dyn_sized_stack, 0
	.set _ZN9rocsolver6v33100L18getf2_small_kernelILi17EfiiPfEEvT1_T3_lS3_lPS3_llPT2_S3_S3_S5_l.has_recursion, 0
	.set _ZN9rocsolver6v33100L18getf2_small_kernelILi17EfiiPfEEvT1_T3_lS3_lPS3_llPT2_S3_S3_S5_l.has_indirect_call, 0
	.section	.AMDGPU.csdata,"",@progbits
; Kernel info:
; codeLenInByte = 21292
; TotalNumSgprs: 34
; NumVgprs: 250
; NumAgprs: 0
; TotalNumVgprs: 250
; ScratchSize: 1284
; MemoryBound: 0
; FloatMode: 240
; IeeeMode: 1
; LDSByteSize: 0 bytes/workgroup (compile time only)
; SGPRBlocks: 4
; VGPRBlocks: 31
; NumSGPRsForWavesPerEU: 34
; NumVGPRsForWavesPerEU: 250
; AccumOffset: 252
; Occupancy: 2
; WaveLimiterHint : 0
; COMPUTE_PGM_RSRC2:SCRATCH_EN: 1
; COMPUTE_PGM_RSRC2:USER_SGPR: 2
; COMPUTE_PGM_RSRC2:TRAP_HANDLER: 0
; COMPUTE_PGM_RSRC2:TGID_X_EN: 1
; COMPUTE_PGM_RSRC2:TGID_Y_EN: 1
; COMPUTE_PGM_RSRC2:TGID_Z_EN: 0
; COMPUTE_PGM_RSRC2:TIDIG_COMP_CNT: 1
; COMPUTE_PGM_RSRC3_GFX90A:ACCUM_OFFSET: 62
; COMPUTE_PGM_RSRC3_GFX90A:TG_SPLIT: 0
	.section	.text._ZN9rocsolver6v33100L23getf2_npvt_small_kernelILi17EfiiPfEEvT1_T3_lS3_lPT2_S3_S3_,"axG",@progbits,_ZN9rocsolver6v33100L23getf2_npvt_small_kernelILi17EfiiPfEEvT1_T3_lS3_lPT2_S3_S3_,comdat
	.globl	_ZN9rocsolver6v33100L23getf2_npvt_small_kernelILi17EfiiPfEEvT1_T3_lS3_lPT2_S3_S3_ ; -- Begin function _ZN9rocsolver6v33100L23getf2_npvt_small_kernelILi17EfiiPfEEvT1_T3_lS3_lPT2_S3_S3_
	.p2align	8
	.type	_ZN9rocsolver6v33100L23getf2_npvt_small_kernelILi17EfiiPfEEvT1_T3_lS3_lPT2_S3_S3_,@function
_ZN9rocsolver6v33100L23getf2_npvt_small_kernelILi17EfiiPfEEvT1_T3_lS3_lPT2_S3_S3_: ; @_ZN9rocsolver6v33100L23getf2_npvt_small_kernelILi17EfiiPfEEvT1_T3_lS3_lPT2_S3_S3_
; %bb.0:
	s_load_dword s2, s[0:1], 0x44
	s_load_dwordx2 s[34:35], s[0:1], 0x30
	v_bfe_u32 v1, v0, 10, 10
	s_waitcnt lgkmcnt(0)
	s_lshr_b32 s8, s2, 16
	s_mul_i32 s3, s3, s8
	v_add_u32_e32 v250, s3, v1
	v_cmp_gt_i32_e32 vcc, s34, v250
	s_and_saveexec_b64 s[2:3], vcc
	s_cbranch_execz .LBB33_90
; %bb.1:
	s_load_dwordx4 s[12:15], s[0:1], 0x8
	s_load_dword s2, s[0:1], 0x18
	s_load_dwordx4 s[4:7], s[0:1], 0x20
	v_ashrrev_i32_e32 v251, 31, v250
	v_and_b32_e32 v246, 0x3ff, v0
	s_waitcnt lgkmcnt(0)
	v_mov_b32_e32 v2, s12
	v_mov_b32_e32 v3, s13
	v_mul_lo_u32 v0, s5, v250
	v_mul_lo_u32 v6, s4, v251
	v_mad_u64_u32 v[4:5], s[0:1], s4, v250, 0
	v_add3_u32 v5, v5, v6, v0
	v_lshl_add_u64 v[2:3], v[4:5], 2, v[2:3]
	v_lshl_add_u64 v[2:3], s[14:15], 2, v[2:3]
	v_lshlrev_b32_e32 v4, 2, v246
	v_mov_b32_e32 v5, 0
	s_add_i32 s0, s2, s2
	v_lshl_add_u64 v[242:243], v[2:3], 0, v[4:5]
	v_add_u32_e32 v4, s0, v246
	v_ashrrev_i32_e32 v5, 31, v4
	v_lshl_add_u64 v[16:17], v[4:5], 2, v[2:3]
	v_add_u32_e32 v4, s2, v4
	v_ashrrev_i32_e32 v5, 31, v4
	;; [unrolled: 3-line block ×12, first 2 shown]
	v_lshl_add_u64 v[32:33], v[4:5], 2, v[2:3]
	v_add_u32_e32 v4, s2, v4
	v_add_u32_e32 v6, s2, v4
	v_ashrrev_i32_e32 v5, 31, v4
	v_ashrrev_i32_e32 v7, 31, v6
	s_ashr_i32 s3, s2, 31
	v_lshl_add_u64 v[34:35], v[4:5], 2, v[2:3]
	v_lshl_add_u64 v[252:253], v[6:7], 2, v[2:3]
	global_load_dword v7, v[8:9], off
	global_load_dword v4, v[10:11], off
	global_load_dword v5, v[12:13], off
	v_lshl_add_u64 v[14:15], s[2:3], 2, v[242:243]
	scratch_store_dwordx2 off, v[12:13], off offset:1096 ; 8-byte Folded Spill
	v_add_u32_e32 v12, s2, v6
	scratch_store_dwordx2 off, v[8:9], off offset:1080 ; 8-byte Folded Spill
	scratch_store_dwordx2 off, v[10:11], off offset:1088 ; 8-byte Folded Spill
	;; [unrolled: 1-line block ×6, first 2 shown]
	v_ashrrev_i32_e32 v13, 31, v12
	global_load_dword v8, v[28:29], off
	global_load_dword v9, v[30:31], off
	;; [unrolled: 1-line block ×5, first 2 shown]
	v_lshl_add_u64 v[254:255], v[12:13], 2, v[2:3]
	scratch_store_dwordx2 off, v[14:15], off offset:1024 ; 8-byte Folded Spill
	scratch_store_dwordx2 off, v[16:17], off offset:1032 ; 8-byte Folded Spill
	;; [unrolled: 1-line block ×7, first 2 shown]
	global_load_dword v245, v[254:255], off
	global_load_dword v12, v[14:15], off
	;; [unrolled: 1-line block ×3, first 2 shown]
	s_mulk_i32 s8, 0x44
	global_load_dword v14, v[18:19], off
	global_load_dword v15, v[20:21], off
	;; [unrolled: 1-line block ×6, first 2 shown]
	s_movk_i32 s0, 0x44
	s_add_i32 s1, s8, 0
	v_mad_u32_u24 v248, v1, s0, 0
	v_lshl_add_u32 v247, v1, 2, s1
	v_cmp_ne_u32_e64 s[2:3], 0, v246
	v_cmp_eq_u32_e64 s[0:1], 0, v246
	s_and_saveexec_b64 s[4:5], s[0:1]
	s_cbranch_execz .LBB33_4
; %bb.2:
	s_waitcnt vmcnt(0)
	ds_write_b32 v247, v0
	ds_write2_b32 v248, v12, v13 offset0:1 offset1:2
	ds_write2_b32 v248, v14, v15 offset0:3 offset1:4
	ds_write2_b32 v248, v16, v17 offset0:5 offset1:6
	ds_write2_b32 v248, v6, v7 offset0:7 offset1:8
	ds_write2_b32 v248, v4, v5 offset0:9 offset1:10
	ds_write2_b32 v248, v8, v9 offset0:11 offset1:12
	ds_write2_b32 v248, v10, v11 offset0:13 offset1:14
	ds_write2_b32 v248, v244, v245 offset0:15 offset1:16
	ds_read_b32 v1, v247
	s_waitcnt lgkmcnt(0)
	v_cmp_neq_f32_e32 vcc, 0, v1
	s_and_b64 exec, exec, vcc
	s_cbranch_execz .LBB33_4
; %bb.3:
	v_div_scale_f32 v2, s[8:9], v1, v1, 1.0
	v_rcp_f32_e32 v3, v2
	v_div_scale_f32 v18, vcc, 1.0, v1, 1.0
	v_fma_f32 v19, -v2, v3, 1.0
	v_fmac_f32_e32 v3, v19, v3
	v_mul_f32_e32 v19, v18, v3
	v_fma_f32 v20, -v2, v19, v18
	v_fmac_f32_e32 v19, v20, v3
	v_fma_f32 v2, -v2, v19, v18
	v_div_fmas_f32 v2, v2, v3, v19
	v_div_fixup_f32 v1, v2, v1, 1.0
	ds_write_b32 v247, v1
.LBB33_4:
	s_or_b64 exec, exec, s[4:5]
	s_waitcnt lgkmcnt(0)
	s_barrier
	ds_read_b32 v1, v247
                                        ; implicit-def: $vgpr32
                                        ; implicit-def: $vgpr223
                                        ; implicit-def: $vgpr18
                                        ; implicit-def: $vgpr48
                                        ; implicit-def: $vgpr105
                                        ; implicit-def: $vgpr92
                                        ; implicit-def: $vgpr165
                                        ; implicit-def: $vgpr154
                                        ; implicit-def: $vgpr193
                                        ; implicit-def: $vgpr184
                                        ; implicit-def: $vgpr205
                                        ; implicit-def: $vgpr198
                                        ; implicit-def: $vgpr209
	s_waitcnt lgkmcnt(0)
	scratch_store_dword off, v1, off offset:1136 ; 4-byte Folded Spill
	s_and_saveexec_b64 s[4:5], s[2:3]
	s_xor_b64 s[2:3], exec, s[4:5]
	s_cbranch_execz .LBB33_6
; %bb.5:
	ds_read2_b32 v[2:3], v248 offset0:1 offset1:2
	ds_read2_b32 v[20:21], v248 offset0:3 offset1:4
	;; [unrolled: 1-line block ×3, first 2 shown]
	scratch_load_dword v1, off, off offset:1136 ; 4-byte Folded Reload
	ds_read2_b32 v[24:25], v248 offset0:7 offset1:8
	s_waitcnt vmcnt(0)
	v_mul_f32_e32 v0, v0, v1
	s_waitcnt lgkmcnt(3)
	v_pk_fma_f32 v[18:19], v[0:1], v[2:3], v[12:13] op_sel_hi:[0,1,1] neg_lo:[1,0,0] neg_hi:[1,0,0]
	s_waitcnt lgkmcnt(2)
	v_pk_fma_f32 v[20:21], v[0:1], v[20:21], v[14:15] op_sel_hi:[0,1,1] neg_lo:[1,0,0] neg_hi:[1,0,0]
	;; [unrolled: 2-line block ×3, first 2 shown]
	ds_read2_b32 v[2:3], v248 offset0:9 offset1:10
	ds_read2_b32 v[12:13], v248 offset0:11 offset1:12
	;; [unrolled: 1-line block ×4, first 2 shown]
	s_waitcnt lgkmcnt(4)
	v_pk_fma_f32 v[24:25], v[0:1], v[24:25], v[6:7] op_sel_hi:[0,1,1] neg_lo:[1,0,0] neg_hi:[1,0,0]
	s_waitcnt lgkmcnt(3)
	v_pk_fma_f32 v[26:27], v[0:1], v[2:3], v[4:5] op_sel_hi:[0,1,1] neg_lo:[1,0,0] neg_hi:[1,0,0]
	;; [unrolled: 2-line block ×5, first 2 shown]
	v_mov_b32_e32 v2, v19
                                        ; implicit-def: $vgpr12
                                        ; implicit-def: $vgpr14
                                        ; implicit-def: $vgpr16
                                        ; implicit-def: $vgpr6
                                        ; implicit-def: $vgpr4
                                        ; implicit-def: $vgpr8
                                        ; implicit-def: $vgpr10
	v_mov_b32_e32 v32, v31
	v_mov_b32_e32 v223, v30
	;; [unrolled: 1-line block ×12, first 2 shown]
.LBB33_6:
	s_or_saveexec_b64 s[2:3], s[2:3]
	v_mov_b32_e32 v1, v18
	s_xor_b64 exec, exec, s[2:3]
	s_cbranch_execz .LBB33_8
; %bb.7:
	s_waitcnt vmcnt(8)
	v_mov_b32_e32 v1, v12
	s_waitcnt vmcnt(7)
	v_mov_b32_e32 v2, v13
	;; [unrolled: 2-line block ×7, first 2 shown]
	v_mov_b32_e32 v154, v7
	v_mov_b32_e32 v165, v4
	;; [unrolled: 1-line block ×7, first 2 shown]
.LBB33_8:
	s_or_b64 exec, exec, s[2:3]
	v_mov_b32_e32 v3, v209
	s_waitcnt vmcnt(30)
	v_mov_b32_e32 v4, v198
	s_waitcnt vmcnt(29)
	;; [unrolled: 2-line block ×3, first 2 shown]
	v_mov_b32_e32 v6, v184
	v_mov_b32_e32 v7, v193
	;; [unrolled: 1-line block ×11, first 2 shown]
	v_cmp_eq_u32_e32 vcc, 1, v246
	s_barrier
	s_and_saveexec_b64 s[2:3], vcc
	s_cbranch_execz .LBB33_11
; %bb.9:
	ds_write_b32 v247, v1
	ds_write2_b32 v248, v2, v209 offset0:2 offset1:3
	ds_write2_b32 v248, v198, v205 offset0:4 offset1:5
	;; [unrolled: 1-line block ×7, first 2 shown]
	ds_write_b32 v248, v245 offset:64
	ds_read_b32 v17, v247
	s_waitcnt lgkmcnt(0)
	v_cmp_neq_f32_e32 vcc, 0, v17
	s_and_b64 exec, exec, vcc
	s_cbranch_execz .LBB33_11
; %bb.10:
	v_div_scale_f32 v18, s[4:5], v17, v17, 1.0
	v_rcp_f32_e32 v19, v18
	v_div_scale_f32 v20, vcc, 1.0, v17, 1.0
	v_fma_f32 v21, -v18, v19, 1.0
	v_fmac_f32_e32 v19, v21, v19
	v_mul_f32_e32 v21, v20, v19
	v_fma_f32 v22, -v18, v21, v20
	v_fmac_f32_e32 v21, v22, v19
	v_fma_f32 v18, -v18, v21, v20
	v_div_fmas_f32 v18, v18, v19, v21
	v_div_fixup_f32 v17, v18, v17, 1.0
	ds_write_b32 v247, v17
.LBB33_11:
	s_or_b64 exec, exec, s[2:3]
	s_waitcnt vmcnt(1)
	v_mov_b32_e32 v36, v0
	v_mov_b32_e32 v37, v1
	;; [unrolled: 1-line block ×26, first 2 shown]
	s_waitcnt lgkmcnt(0)
	s_barrier
	ds_read_b32 v249, v247
	scratch_store_dwordx4 off, v[20:23], off ; 16-byte Folded Spill
	s_nop 0
	scratch_store_dwordx4 off, v[24:27], off offset:16 ; 16-byte Folded Spill
	scratch_store_dwordx4 off, v[28:31], off offset:32 ; 16-byte Folded Spill
	;; [unrolled: 1-line block ×7, first 2 shown]
	v_mov_b32_e32 v18, v0
	v_mov_b32_e32 v19, v1
	;; [unrolled: 1-line block ×67, first 2 shown]
	v_mov_b64_e32 v[124:125], v[104:105]
	v_mov_b32_e32 v146, v0
	v_mov_b32_e32 v147, v1
	v_mov_b32_e32 v148, v2
	v_mov_b32_e32 v82, v0
	v_mov_b64_e32 v[80:81], v[48:49]
	v_mov_b64_e32 v[66:67], v[34:35]
	;; [unrolled: 1-line block ×16, first 2 shown]
	v_mov_b32_e32 v66, v48
	v_mov_b64_e32 v[18:19], v[36:37]
	v_mov_b64_e32 v[20:21], v[38:39]
	;; [unrolled: 1-line block ×16, first 2 shown]
	v_mov_b32_e32 v47, v165
	scratch_store_dwordx4 off, v[156:159], off offset:128 ; 16-byte Folded Spill
	s_nop 0
	scratch_store_dwordx4 off, v[160:163], off offset:144 ; 16-byte Folded Spill
	scratch_store_dwordx4 off, v[164:167], off offset:160 ; 16-byte Folded Spill
	;; [unrolled: 1-line block ×7, first 2 shown]
	v_mov_b32_e32 v83, v1
	v_mov_b32_e32 v84, v2
	;; [unrolled: 1-line block ×6, first 2 shown]
	v_cmp_lt_u32_e32 vcc, 1, v246
	v_mov_b32_e32 v69, v223
	v_mov_b32_e32 v45, v105
	v_mov_b64_e32 v[122:123], v[102:103]
	v_mov_b64_e32 v[120:121], v[100:101]
	;; [unrolled: 1-line block ×4, first 2 shown]
	scratch_store_dwordx4 off, v[186:189], off offset:256 ; 16-byte Folded Spill
	s_nop 0
	scratch_store_dwordx4 off, v[190:193], off offset:272 ; 16-byte Folded Spill
	scratch_store_dwordx4 off, v[194:197], off offset:288 ; 16-byte Folded Spill
	;; [unrolled: 1-line block ×7, first 2 shown]
	v_mov_b64_e32 v[114:115], v[94:95]
	v_mov_b32_e32 v44, v92
	v_mov_b32_e32 v46, v154
	;; [unrolled: 1-line block ×3, first 2 shown]
	scratch_store_dwordx4 off, v[178:181], off offset:384 ; 16-byte Folded Spill
	s_nop 0
	scratch_store_dwordx4 off, v[182:185], off offset:400 ; 16-byte Folded Spill
	scratch_store_dwordx4 off, v[186:189], off offset:416 ; 16-byte Folded Spill
	scratch_store_dwordx4 off, v[190:193], off offset:432 ; 16-byte Folded Spill
	scratch_store_dwordx4 off, v[194:197], off offset:448 ; 16-byte Folded Spill
	scratch_store_dwordx4 off, v[198:201], off offset:464 ; 16-byte Folded Spill
	scratch_store_dwordx4 off, v[202:205], off offset:480 ; 16-byte Folded Spill
	scratch_store_dwordx4 off, v[206:209], off offset:496 ; 16-byte Folded Spill
	scratch_store_dwordx4 off, v[200:203], off offset:512 ; 16-byte Folded Spill
	s_nop 0
	scratch_store_dwordx4 off, v[204:207], off offset:528 ; 16-byte Folded Spill
	scratch_store_dwordx4 off, v[208:211], off offset:544 ; 16-byte Folded Spill
	scratch_store_dwordx4 off, v[212:215], off offset:560 ; 16-byte Folded Spill
	scratch_store_dwordx4 off, v[216:219], off offset:576 ; 16-byte Folded Spill
	scratch_store_dwordx4 off, v[220:223], off offset:592 ; 16-byte Folded Spill
	scratch_store_dwordx4 off, v[224:227], off offset:608 ; 16-byte Folded Spill
	scratch_store_dwordx4 off, v[228:231], off offset:624 ; 16-byte Folded Spill
	;; [unrolled: 9-line block ×6, first 2 shown]
	s_and_saveexec_b64 s[2:3], vcc
	s_cbranch_execz .LBB33_13
; %bb.12:
	ds_read2_b32 v[4:5], v248 offset0:2 offset1:3
	ds_read2_b32 v[6:7], v248 offset0:4 offset1:5
	;; [unrolled: 1-line block ×3, first 2 shown]
	v_mov_b32_e32 v3, v209
	v_mov_b32_e32 v199, v205
	v_mov_b32_e32 v184, v72
	v_mov_b32_e32 v185, v193
	s_waitcnt lgkmcnt(3)
	v_mul_f32_e32 v16, v1, v249
	v_mov_b32_e32 v178, v46
	v_mov_b32_e32 v179, v47
	;; [unrolled: 1-line block ×4, first 2 shown]
	ds_read2_b32 v[10:11], v248 offset0:8 offset1:9
	s_waitcnt lgkmcnt(3)
	v_pk_fma_f32 v[2:3], v[16:17], v[4:5], v[2:3] op_sel_hi:[0,1,1] neg_lo:[1,0,0] neg_hi:[1,0,0]
	s_waitcnt lgkmcnt(2)
	v_pk_fma_f32 v[198:199], v[16:17], v[6:7], v[198:199] op_sel_hi:[0,1,1] neg_lo:[1,0,0] neg_hi:[1,0,0]
	;; [unrolled: 2-line block ×3, first 2 shown]
	ds_read2_b32 v[4:5], v248 offset0:10 offset1:11
	ds_read2_b32 v[6:7], v248 offset0:12 offset1:13
	;; [unrolled: 1-line block ×3, first 2 shown]
	ds_read_b32 v1, v248 offset:64
	scratch_load_dwordx4 v[18:21], off, off ; 16-byte Folded Reload
	scratch_load_dwordx4 v[22:25], off, off offset:16 ; 16-byte Folded Reload
	scratch_load_dwordx4 v[26:29], off, off offset:32 ; 16-byte Folded Reload
	;; [unrolled: 1-line block ×7, first 2 shown]
	v_mov_b32_e32 v182, v66
	v_mov_b32_e32 v183, v69
	v_mov_b32_e32 v187, v244
	s_waitcnt lgkmcnt(0)
	v_fma_f32 v245, -v16, v1, v245
	v_mov_b32_e32 v1, v16
	v_pk_fma_f32 v[178:179], v[16:17], v[10:11], v[178:179] op_sel_hi:[0,1,1] neg_lo:[1,0,0] neg_hi:[1,0,0]
	v_pk_fma_f32 v[180:181], v[16:17], v[4:5], v[180:181] op_sel_hi:[0,1,1] neg_lo:[1,0,0] neg_hi:[1,0,0]
	;; [unrolled: 1-line block ×3, first 2 shown]
	v_mov_b32_e32 v205, v199
	v_mov_b32_e32 v193, v185
	s_waitcnt vmcnt(4)
	v_mov_b32_e32 v186, v32
	v_pk_fma_f32 v[186:187], v[16:17], v[8:9], v[186:187] op_sel_hi:[0,1,1] neg_lo:[1,0,0] neg_hi:[1,0,0]
	scratch_store_dwordx4 off, v[0:3], off offset:1140 ; 16-byte Folded Spill
	s_nop 0
	scratch_store_dwordx4 off, v[4:7], off offset:1156 ; 16-byte Folded Spill
	scratch_store_dwordx4 off, v[8:11], off offset:1172 ; 16-byte Folded Spill
	scratch_store_dwordx4 off, v[12:15], off offset:1188 ; 16-byte Folded Spill
	scratch_store_dwordx4 off, v[16:19], off offset:1204 ; 16-byte Folded Spill
	scratch_store_dwordx4 off, v[20:23], off offset:1220 ; 16-byte Folded Spill
	scratch_store_dwordx4 off, v[24:27], off offset:1236 ; 16-byte Folded Spill
	scratch_store_dwordx4 off, v[28:31], off offset:1252 ; 16-byte Folded Spill
	scratch_store_dwordx4 off, v[0:3], off offset:896 ; 16-byte Folded Spill
	s_nop 0
	scratch_store_dwordx4 off, v[4:7], off offset:912 ; 16-byte Folded Spill
	scratch_store_dwordx4 off, v[8:11], off offset:928 ; 16-byte Folded Spill
	scratch_store_dwordx4 off, v[12:15], off offset:944 ; 16-byte Folded Spill
	scratch_store_dwordx4 off, v[16:19], off offset:960 ; 16-byte Folded Spill
	scratch_store_dwordx4 off, v[20:23], off offset:976 ; 16-byte Folded Spill
	scratch_store_dwordx4 off, v[24:27], off offset:992 ; 16-byte Folded Spill
	scratch_store_dwordx4 off, v[28:31], off offset:1008 ; 16-byte Folded Spill
	;; [unrolled: 9-line block ×3, first 2 shown]
	v_mov_b32_e32 v4, v198
	v_mov_b32_e32 v244, v187
	scratch_store_dwordx4 off, v[0:3], off offset:640 ; 16-byte Folded Spill
	s_nop 0
	scratch_store_dwordx4 off, v[4:7], off offset:656 ; 16-byte Folded Spill
	scratch_store_dwordx4 off, v[8:11], off offset:672 ; 16-byte Folded Spill
	scratch_store_dwordx4 off, v[12:15], off offset:688 ; 16-byte Folded Spill
	scratch_store_dwordx4 off, v[16:19], off offset:704 ; 16-byte Folded Spill
	scratch_store_dwordx4 off, v[20:23], off offset:720 ; 16-byte Folded Spill
	scratch_store_dwordx4 off, v[24:27], off offset:736 ; 16-byte Folded Spill
	scratch_store_dwordx4 off, v[28:31], off offset:752 ; 16-byte Folded Spill
	v_mov_b32_e32 v5, v199
	scratch_store_dwordx4 off, v[0:3], off offset:512 ; 16-byte Folded Spill
	s_nop 0
	scratch_store_dwordx4 off, v[4:7], off offset:528 ; 16-byte Folded Spill
	scratch_store_dwordx4 off, v[8:11], off offset:544 ; 16-byte Folded Spill
	scratch_store_dwordx4 off, v[12:15], off offset:560 ; 16-byte Folded Spill
	scratch_store_dwordx4 off, v[16:19], off offset:576 ; 16-byte Folded Spill
	scratch_store_dwordx4 off, v[20:23], off offset:592 ; 16-byte Folded Spill
	scratch_store_dwordx4 off, v[24:27], off offset:608 ; 16-byte Folded Spill
	scratch_store_dwordx4 off, v[28:31], off offset:624 ; 16-byte Folded Spill
	;; [unrolled: 10-line block ×4, first 2 shown]
	v_mov_b32_e32 v8, v178
	v_mov_b64_e32 v[176:177], v[30:31]
	v_mov_b64_e32 v[174:175], v[28:29]
	;; [unrolled: 1-line block ×16, first 2 shown]
	v_mov_b32_e32 v9, v179
	scratch_store_dwordx4 off, v[0:3], off offset:128 ; 16-byte Folded Spill
	s_nop 0
	scratch_store_dwordx4 off, v[4:7], off offset:144 ; 16-byte Folded Spill
	scratch_store_dwordx4 off, v[8:11], off offset:160 ; 16-byte Folded Spill
	;; [unrolled: 1-line block ×7, first 2 shown]
	v_mov_b32_e32 v10, v180
	v_mov_b64_e32 v[112:113], v[30:31]
	v_mov_b64_e32 v[110:111], v[28:29]
	;; [unrolled: 1-line block ×16, first 2 shown]
	v_mov_b32_e32 v11, v181
	v_mov_b64_e32 v[144:145], v[30:31]
	v_mov_b64_e32 v[142:143], v[28:29]
	;; [unrolled: 1-line block ×16, first 2 shown]
	v_mov_b32_e32 v12, v182
	s_waitcnt vmcnt(62)
	v_mov_b64_e32 v[48:49], v[30:31]
	v_mov_b64_e32 v[46:47], v[28:29]
	;; [unrolled: 1-line block ×16, first 2 shown]
	v_mov_b32_e32 v13, v183
	v_mov_b64_e32 v[240:241], v[30:31]
	v_mov_b64_e32 v[238:239], v[28:29]
	;; [unrolled: 1-line block ×16, first 2 shown]
	v_mov_b32_e32 v14, v186
	v_mov_b64_e32 v[80:81], v[30:31]
	v_mov_b32_e32 v32, v186
	v_mov_b64_e32 v[78:79], v[28:29]
	v_mov_b64_e32 v[76:77], v[26:27]
	;; [unrolled: 1-line block ×15, first 2 shown]
	scratch_store_dwordx4 off, v[18:21], off ; 16-byte Folded Spill
	s_nop 0
	scratch_store_dwordx4 off, v[22:25], off offset:16 ; 16-byte Folded Spill
	scratch_store_dwordx4 off, v[26:29], off offset:32 ; 16-byte Folded Spill
	;; [unrolled: 1-line block ×7, first 2 shown]
	v_mov_b32_e32 v15, v187
	v_mov_b32_e32 v16, v245
	;; [unrolled: 1-line block ×10, first 2 shown]
.LBB33_13:
	s_or_b64 exec, exec, s[2:3]
	v_cmp_eq_u32_e32 vcc, 2, v246
	s_waitcnt lgkmcnt(0)
	s_barrier
	s_and_saveexec_b64 s[2:3], vcc
	s_cbranch_execz .LBB33_16
; %bb.14:
	ds_write_b32 v247, v2
	ds_write2_b32 v248, v3, v4 offset0:3 offset1:4
	ds_write2_b32 v248, v5, v6 offset0:5 offset1:6
	;; [unrolled: 1-line block ×7, first 2 shown]
	ds_read_b32 v17, v247
	s_waitcnt lgkmcnt(0)
	v_cmp_neq_f32_e32 vcc, 0, v17
	s_and_b64 exec, exec, vcc
	s_cbranch_execz .LBB33_16
; %bb.15:
	v_div_scale_f32 v31, s[4:5], v17, v17, 1.0
	v_rcp_f32_e32 v32, v31
	v_div_scale_f32 v33, vcc, 1.0, v17, 1.0
	v_fma_f32 v34, -v31, v32, 1.0
	v_fmac_f32_e32 v32, v34, v32
	v_mul_f32_e32 v34, v33, v32
	v_fma_f32 v35, -v31, v34, v33
	v_fmac_f32_e32 v34, v35, v32
	v_fma_f32 v31, -v31, v34, v33
	v_div_fmas_f32 v31, v31, v32, v34
	v_div_fixup_f32 v17, v31, v17, 1.0
	ds_write_b32 v247, v17
.LBB33_16:
	s_or_b64 exec, exec, s[2:3]
	s_waitcnt lgkmcnt(0)
	s_barrier
	ds_read_b32 v182, v247
	v_cmp_lt_u32_e32 vcc, 2, v246
	s_and_saveexec_b64 s[2:3], vcc
	s_cbranch_execz .LBB33_18
; %bb.17:
	scratch_load_dwordx4 v[44:47], off, off offset:1140 ; 16-byte Folded Reload
	scratch_load_dwordx4 v[48:51], off, off offset:1156 ; 16-byte Folded Reload
	scratch_load_dwordx4 v[52:55], off, off offset:1172 ; 16-byte Folded Reload
	scratch_load_dwordx4 v[56:59], off, off offset:1188 ; 16-byte Folded Reload
	scratch_load_dwordx4 v[60:63], off, off offset:1204 ; 16-byte Folded Reload
	scratch_load_dwordx4 v[64:67], off, off offset:1220 ; 16-byte Folded Reload
	scratch_load_dwordx4 v[68:71], off, off offset:1236 ; 16-byte Folded Reload
	scratch_load_dwordx4 v[72:75], off, off offset:1252 ; 16-byte Folded Reload
	ds_read2_b32 v[0:1], v248 offset0:3 offset1:4
	ds_read2_b32 v[18:19], v248 offset0:5 offset1:6
	;; [unrolled: 1-line block ×4, first 2 shown]
	s_waitcnt vmcnt(7) lgkmcnt(4)
	v_mul_f32_e32 v46, v2, v182
	v_mov_b32_e32 v2, v3
	v_mov_b32_e32 v3, v4
	s_waitcnt vmcnt(5)
	v_mov_b32_e32 v52, v46
	v_mov_b32_e32 v148, v46
	;; [unrolled: 1-line block ×5, first 2 shown]
	s_waitcnt lgkmcnt(3)
	v_pk_fma_f32 v[32:33], v[46:47], v[0:1], v[2:3] op_sel_hi:[0,1,1] neg_lo:[1,0,0] neg_hi:[1,0,0]
	v_mov_b32_e32 v0, v5
	v_mov_b32_e32 v1, v6
	s_waitcnt lgkmcnt(2)
	v_pk_fma_f32 v[34:35], v[46:47], v[18:19], v[0:1] op_sel_hi:[0,1,1] neg_lo:[1,0,0] neg_hi:[1,0,0]
	v_mov_b32_e32 v0, v7
	v_mov_b32_e32 v1, v8
	;; [unrolled: 4-line block ×3, first 2 shown]
	s_waitcnt lgkmcnt(0)
	v_pk_fma_f32 v[38:39], v[46:47], v[22:23], v[0:1] op_sel_hi:[0,1,1] neg_lo:[1,0,0] neg_hi:[1,0,0]
	ds_read2_b32 v[0:1], v248 offset0:11 offset1:12
	ds_read2_b32 v[4:5], v248 offset0:13 offset1:14
	ds_read2_b32 v[6:7], v248 offset0:15 offset1:16
	v_mov_b32_e32 v2, v11
	v_mov_b32_e32 v3, v12
	;; [unrolled: 1-line block ×3, first 2 shown]
	s_waitcnt lgkmcnt(2)
	v_pk_fma_f32 v[40:41], v[46:47], v[0:1], v[2:3] op_sel_hi:[0,1,1] neg_lo:[1,0,0] neg_hi:[1,0,0]
	v_mov_b32_e32 v0, v13
	v_mov_b32_e32 v1, v14
	s_waitcnt lgkmcnt(1)
	v_pk_fma_f32 v[42:43], v[46:47], v[4:5], v[0:1] op_sel_hi:[0,1,1] neg_lo:[1,0,0] neg_hi:[1,0,0]
	v_mov_b32_e32 v0, v15
	v_mov_b32_e32 v1, v16
	;; [unrolled: 4-line block ×3, first 2 shown]
	v_mov_b32_e32 v2, v46
	v_mov_b32_e32 v3, v32
	;; [unrolled: 1-line block ×3, first 2 shown]
	scratch_store_dwordx4 off, v[0:3], off offset:640 ; 16-byte Folded Spill
	s_nop 0
	scratch_store_dwordx4 off, v[4:7], off offset:656 ; 16-byte Folded Spill
	scratch_store_dwordx4 off, v[8:11], off offset:672 ; 16-byte Folded Spill
	;; [unrolled: 1-line block ×7, first 2 shown]
	v_mov_b32_e32 v5, v34
	v_mov_b32_e32 v47, v32
	;; [unrolled: 1-line block ×6, first 2 shown]
	s_waitcnt vmcnt(12)
	v_mov_b32_e32 v56, v35
	v_mov_b32_e32 v57, v36
	v_mov_b32_e32 v58, v37
	v_mov_b32_e32 v59, v38
	s_waitcnt vmcnt(11)
	v_mov_b32_e32 v60, v39
	v_mov_b32_e32 v61, v40
	v_mov_b32_e32 v62, v41
	v_mov_b32_e32 v63, v42
	;; [unrolled: 5-line block ×3, first 2 shown]
	v_mov_b32_e32 v83, v45
	v_mov_b32_e32 v114, v44
	;; [unrolled: 1-line block ×38, first 2 shown]
	scratch_store_dwordx4 off, v[0:3], off offset:512 ; 16-byte Folded Spill
	s_nop 0
	scratch_store_dwordx4 off, v[4:7], off offset:528 ; 16-byte Folded Spill
	scratch_store_dwordx4 off, v[8:11], off offset:544 ; 16-byte Folded Spill
	;; [unrolled: 1-line block ×7, first 2 shown]
	v_mov_b32_e32 v6, v35
	v_mov_b32_e32 v223, v42
	;; [unrolled: 1-line block ×6, first 2 shown]
	scratch_store_dwordx4 off, v[0:3], off offset:384 ; 16-byte Folded Spill
	s_nop 0
	scratch_store_dwordx4 off, v[4:7], off offset:400 ; 16-byte Folded Spill
	scratch_store_dwordx4 off, v[8:11], off offset:416 ; 16-byte Folded Spill
	;; [unrolled: 1-line block ×7, first 2 shown]
	v_mov_b32_e32 v7, v36
	scratch_store_dwordx4 off, v[0:3], off offset:256 ; 16-byte Folded Spill
	s_nop 0
	scratch_store_dwordx4 off, v[4:7], off offset:272 ; 16-byte Folded Spill
	scratch_store_dwordx4 off, v[8:11], off offset:288 ; 16-byte Folded Spill
	;; [unrolled: 1-line block ×7, first 2 shown]
	v_mov_b32_e32 v8, v37
	v_mov_b32_e32 v9, v38
	scratch_store_dwordx4 off, v[0:3], off offset:128 ; 16-byte Folded Spill
	s_nop 0
	scratch_store_dwordx4 off, v[4:7], off offset:144 ; 16-byte Folded Spill
	scratch_store_dwordx4 off, v[8:11], off offset:160 ; 16-byte Folded Spill
	scratch_store_dwordx4 off, v[12:15], off offset:176 ; 16-byte Folded Spill
	scratch_store_dwordx4 off, v[16:19], off offset:192 ; 16-byte Folded Spill
	scratch_store_dwordx4 off, v[20:23], off offset:208 ; 16-byte Folded Spill
	scratch_store_dwordx4 off, v[24:27], off offset:224 ; 16-byte Folded Spill
	scratch_store_dwordx4 off, v[28:31], off offset:240 ; 16-byte Folded Spill
	v_mov_b32_e32 v18, v44
	v_mov_b32_e32 v19, v45
	;; [unrolled: 1-line block ×3, first 2 shown]
	scratch_store_dwordx4 off, v[44:47], off offset:768 ; 16-byte Folded Spill
	s_nop 0
	scratch_store_dwordx4 off, v[48:51], off offset:784 ; 16-byte Folded Spill
	scratch_store_dwordx4 off, v[52:55], off offset:800 ; 16-byte Folded Spill
	scratch_store_dwordx4 off, v[56:59], off offset:816 ; 16-byte Folded Spill
	scratch_store_dwordx4 off, v[60:63], off offset:832 ; 16-byte Folded Spill
	scratch_store_dwordx4 off, v[64:67], off offset:848 ; 16-byte Folded Spill
	s_waitcnt vmcnt(47)
	scratch_store_dwordx4 off, v[68:71], off offset:864 ; 16-byte Folded Spill
	s_waitcnt vmcnt(47)
	scratch_store_dwordx4 off, v[72:75], off offset:880 ; 16-byte Folded Spill
	scratch_store_dwordx4 off, v[44:47], off offset:896 ; 16-byte Folded Spill
	s_nop 0
	scratch_store_dwordx4 off, v[48:51], off offset:912 ; 16-byte Folded Spill
	scratch_store_dwordx4 off, v[52:55], off offset:928 ; 16-byte Folded Spill
	;; [unrolled: 1-line block ×7, first 2 shown]
	v_mov_b32_e32 v21, v32
	v_mov_b32_e32 v22, v33
	;; [unrolled: 1-line block ×25, first 2 shown]
	scratch_store_dwordx4 off, v[18:21], off ; 16-byte Folded Spill
	s_nop 0
	scratch_store_dwordx4 off, v[22:25], off offset:16 ; 16-byte Folded Spill
	scratch_store_dwordx4 off, v[26:29], off offset:32 ; 16-byte Folded Spill
	;; [unrolled: 1-line block ×7, first 2 shown]
.LBB33_18:
	s_or_b64 exec, exec, s[2:3]
	v_cmp_eq_u32_e32 vcc, 3, v246
	s_waitcnt lgkmcnt(0)
	s_barrier
	s_and_saveexec_b64 s[2:3], vcc
	s_cbranch_execz .LBB33_21
; %bb.19:
	ds_write_b32 v247, v209
	ds_write2_b32 v248, v4, v5 offset0:4 offset1:5
	ds_write2_b32 v248, v6, v7 offset0:6 offset1:7
	;; [unrolled: 1-line block ×6, first 2 shown]
	ds_write_b32 v248, v245 offset:64
	ds_read_b32 v17, v247
	s_waitcnt lgkmcnt(0)
	v_cmp_neq_f32_e32 vcc, 0, v17
	s_and_b64 exec, exec, vcc
	s_cbranch_execz .LBB33_21
; %bb.20:
	v_div_scale_f32 v31, s[4:5], v17, v17, 1.0
	v_rcp_f32_e32 v32, v31
	v_div_scale_f32 v33, vcc, 1.0, v17, 1.0
	v_fma_f32 v34, -v31, v32, 1.0
	v_fmac_f32_e32 v32, v34, v32
	v_mul_f32_e32 v34, v33, v32
	v_fma_f32 v35, -v31, v34, v33
	v_fmac_f32_e32 v34, v35, v32
	v_fma_f32 v31, -v31, v34, v33
	v_div_fmas_f32 v31, v31, v32, v34
	v_div_fixup_f32 v17, v31, v17, 1.0
	ds_write_b32 v247, v17
.LBB33_21:
	s_or_b64 exec, exec, s[2:3]
	s_waitcnt lgkmcnt(0)
	s_barrier
	ds_read_b32 v178, v247
	v_cmp_lt_u32_e32 vcc, 3, v246
	s_and_saveexec_b64 s[2:3], vcc
	s_cbranch_execz .LBB33_23
; %bb.22:
	ds_read2_b32 v[0:1], v248 offset0:4 offset1:5
	ds_read2_b32 v[2:3], v248 offset0:6 offset1:7
	s_waitcnt lgkmcnt(2)
	v_mul_f32_e32 v32, v209, v178
	ds_read2_b32 v[16:17], v248 offset0:8 offset1:9
	ds_read2_b32 v[18:19], v248 offset0:10 offset1:11
	v_mov_b32_e32 v69, v32
	s_waitcnt lgkmcnt(3)
	v_pk_fma_f32 v[46:47], v[32:33], v[0:1], v[4:5] op_sel_hi:[0,1,1] neg_lo:[1,0,0] neg_hi:[1,0,0]
	s_waitcnt lgkmcnt(2)
	v_pk_fma_f32 v[40:41], v[32:33], v[2:3], v[6:7] op_sel_hi:[0,1,1] neg_lo:[1,0,0] neg_hi:[1,0,0]
	ds_read2_b32 v[0:1], v248 offset0:12 offset1:13
	ds_read2_b32 v[2:3], v248 offset0:14 offset1:15
	ds_read_b32 v4, v248 offset:64
	scratch_load_dwordx4 v[94:97], off, off offset:896 ; 16-byte Folded Reload
	scratch_load_dwordx4 v[98:101], off, off offset:912 ; 16-byte Folded Reload
	scratch_load_dwordx4 v[102:105], off, off offset:928 ; 16-byte Folded Reload
	scratch_load_dwordx4 v[106:109], off, off offset:944 ; 16-byte Folded Reload
	scratch_load_dwordx4 v[110:113], off, off offset:960 ; 16-byte Folded Reload
	scratch_load_dwordx4 v[114:117], off, off offset:976 ; 16-byte Folded Reload
	scratch_load_dwordx4 v[118:121], off, off offset:992 ; 16-byte Folded Reload
	scratch_load_dwordx4 v[122:125], off, off offset:1008 ; 16-byte Folded Reload
	s_waitcnt lgkmcnt(4)
	v_pk_fma_f32 v[154:155], v[32:33], v[16:17], v[8:9] op_sel_hi:[0,1,1] neg_lo:[1,0,0] neg_hi:[1,0,0]
	s_waitcnt lgkmcnt(3)
	v_pk_fma_f32 v[92:93], v[32:33], v[18:19], v[10:11] op_sel_hi:[0,1,1] neg_lo:[1,0,0] neg_hi:[1,0,0]
	;; [unrolled: 2-line block ×3, first 2 shown]
	v_mov_b32_e32 v9, v32
	v_mov_b32_e32 v10, v46
	;; [unrolled: 1-line block ×3, first 2 shown]
	s_waitcnt lgkmcnt(1)
	v_pk_fma_f32 v[64:65], v[32:33], v[2:3], v[14:15] op_sel_hi:[0,1,1] neg_lo:[1,0,0] neg_hi:[1,0,0]
	v_mov_b32_e32 v45, v32
	v_mov_b32_e32 v86, v46
	v_mov_b32_e32 v87, v47
	v_mov_b32_e32 v88, v40
	v_mov_b32_e32 v89, v41
	v_mov_b32_e32 v90, v154
	v_mov_b32_e32 v91, v155
	s_waitcnt vmcnt(0)
	v_mov_b32_e32 v124, v92
	v_mov_b32_e32 v125, v93
	;; [unrolled: 1-line block ×39, first 2 shown]
	scratch_store_dwordx4 off, v[6:9], off offset:512 ; 16-byte Folded Spill
	s_nop 0
	scratch_store_dwordx4 off, v[10:13], off offset:528 ; 16-byte Folded Spill
	scratch_store_dwordx4 off, v[14:17], off offset:544 ; 16-byte Folded Spill
	;; [unrolled: 1-line block ×7, first 2 shown]
	v_mov_b32_e32 v12, v40
	v_mov_b32_e32 v13, v41
	;; [unrolled: 1-line block ×27, first 2 shown]
	scratch_store_dwordx4 off, v[6:9], off offset:256 ; 16-byte Folded Spill
	s_nop 0
	scratch_store_dwordx4 off, v[10:13], off offset:272 ; 16-byte Folded Spill
	scratch_store_dwordx4 off, v[14:17], off offset:288 ; 16-byte Folded Spill
	;; [unrolled: 1-line block ×7, first 2 shown]
	v_mov_b32_e32 v14, v154
	v_mov_b32_e32 v15, v155
	;; [unrolled: 1-line block ×3, first 2 shown]
	scratch_store_dwordx4 off, v[6:9], off offset:128 ; 16-byte Folded Spill
	s_nop 0
	scratch_store_dwordx4 off, v[10:13], off offset:144 ; 16-byte Folded Spill
	scratch_store_dwordx4 off, v[14:17], off offset:160 ; 16-byte Folded Spill
	;; [unrolled: 1-line block ×7, first 2 shown]
	v_mov_b32_e32 v18, v66
	v_mov_b32_e32 v19, v67
	;; [unrolled: 1-line block ×20, first 2 shown]
	scratch_store_dwordx4 off, v[66:69], off offset:768 ; 16-byte Folded Spill
	s_nop 0
	scratch_store_dwordx4 off, v[70:73], off offset:784 ; 16-byte Folded Spill
	scratch_store_dwordx4 off, v[74:77], off offset:800 ; 16-byte Folded Spill
	;; [unrolled: 1-line block ×7, first 2 shown]
	v_mov_b32_e32 v53, v32
	v_mov_b32_e32 v62, v30
	;; [unrolled: 1-line block ×3, first 2 shown]
	s_waitcnt lgkmcnt(0)
	v_fma_f32 v16, -v32, v4, v245
	v_mov_b32_e32 v4, v46
	v_mov_b32_e32 v117, v32
	;; [unrolled: 1-line block ×10, first 2 shown]
	scratch_store_dwordx4 off, v[42:45], off offset:640 ; 16-byte Folded Spill
	s_nop 0
	scratch_store_dwordx4 off, v[46:49], off offset:656 ; 16-byte Folded Spill
	scratch_store_dwordx4 off, v[50:53], off offset:672 ; 16-byte Folded Spill
	;; [unrolled: 1-line block ×7, first 2 shown]
	s_nop 1
	v_mov_b32_e32 v72, v40
	v_mov_b32_e32 v66, v30
	;; [unrolled: 1-line block ×4, first 2 shown]
	scratch_store_dwordx4 off, v[34:37], off offset:384 ; 16-byte Folded Spill
	s_nop 0
	scratch_store_dwordx4 off, v[38:41], off offset:400 ; 16-byte Folded Spill
	scratch_store_dwordx4 off, v[42:45], off offset:416 ; 16-byte Folded Spill
	;; [unrolled: 1-line block ×7, first 2 shown]
	v_mov_b32_e32 v46, v154
	v_mov_b32_e32 v47, v155
	;; [unrolled: 1-line block ×6, first 2 shown]
	scratch_store_dwordx4 off, v[18:21], off ; 16-byte Folded Spill
	s_nop 0
	scratch_store_dwordx4 off, v[22:25], off offset:16 ; 16-byte Folded Spill
	scratch_store_dwordx4 off, v[26:29], off offset:32 ; 16-byte Folded Spill
	;; [unrolled: 1-line block ×7, first 2 shown]
.LBB33_23:
	s_or_b64 exec, exec, s[2:3]
	v_cmp_eq_u32_e32 vcc, 4, v246
	s_waitcnt lgkmcnt(0)
	s_barrier
	s_and_saveexec_b64 s[2:3], vcc
	s_cbranch_execz .LBB33_26
; %bb.24:
	ds_write_b32 v247, v198
	ds_write2_b32 v248, v5, v6 offset0:5 offset1:6
	ds_write2_b32 v248, v7, v8 offset0:7 offset1:8
	;; [unrolled: 1-line block ×6, first 2 shown]
	ds_read_b32 v17, v247
	s_waitcnt lgkmcnt(0)
	v_cmp_neq_f32_e32 vcc, 0, v17
	s_and_b64 exec, exec, vcc
	s_cbranch_execz .LBB33_26
; %bb.25:
	v_div_scale_f32 v31, s[4:5], v17, v17, 1.0
	v_rcp_f32_e32 v32, v31
	v_div_scale_f32 v33, vcc, 1.0, v17, 1.0
	v_fma_f32 v34, -v31, v32, 1.0
	v_fmac_f32_e32 v32, v34, v32
	v_mul_f32_e32 v34, v33, v32
	v_fma_f32 v35, -v31, v34, v33
	v_fmac_f32_e32 v34, v35, v32
	v_fma_f32 v31, -v31, v34, v33
	v_div_fmas_f32 v31, v31, v32, v34
	v_div_fixup_f32 v17, v31, v17, 1.0
	ds_write_b32 v247, v17
.LBB33_26:
	s_or_b64 exec, exec, s[2:3]
	s_waitcnt lgkmcnt(0)
	s_barrier
	ds_read_b32 v179, v247
	v_cmp_lt_u32_e32 vcc, 4, v246
	s_and_saveexec_b64 s[2:3], vcc
	s_cbranch_execz .LBB33_28
; %bb.27:
	scratch_load_dwordx4 v[42:45], off, off offset:768 ; 16-byte Folded Reload
	scratch_load_dwordx4 v[46:49], off, off offset:784 ; 16-byte Folded Reload
	;; [unrolled: 1-line block ×8, first 2 shown]
	ds_read2_b32 v[0:1], v248 offset0:5 offset1:6
	v_mov_b32_e32 v2, v5
	ds_read2_b32 v[4:5], v248 offset0:7 offset1:8
	ds_read2_b32 v[18:19], v248 offset0:9 offset1:10
	;; [unrolled: 1-line block ×3, first 2 shown]
	s_waitcnt vmcnt(6) lgkmcnt(4)
	v_mul_f32_e32 v46, v198, v179
	v_mov_b32_e32 v3, v6
	s_waitcnt vmcnt(4)
	v_mov_b32_e32 v54, v46
	v_mov_b32_e32 v150, v46
	;; [unrolled: 1-line block ×6, first 2 shown]
	s_waitcnt lgkmcnt(3)
	v_pk_fma_f32 v[32:33], v[46:47], v[0:1], v[2:3] op_sel_hi:[0,1,1] neg_lo:[1,0,0] neg_hi:[1,0,0]
	v_mov_b32_e32 v0, v7
	v_mov_b32_e32 v1, v8
	ds_read2_b32 v[2:3], v248 offset0:13 offset1:14
	s_waitcnt lgkmcnt(3)
	v_pk_fma_f32 v[34:35], v[46:47], v[4:5], v[0:1] op_sel_hi:[0,1,1] neg_lo:[1,0,0] neg_hi:[1,0,0]
	ds_read2_b32 v[4:5], v248 offset0:15 offset1:16
	v_mov_b32_e32 v0, v9
	v_mov_b32_e32 v1, v10
	s_waitcnt lgkmcnt(3)
	v_pk_fma_f32 v[36:37], v[46:47], v[18:19], v[0:1] op_sel_hi:[0,1,1] neg_lo:[1,0,0] neg_hi:[1,0,0]
	v_mov_b32_e32 v0, v11
	v_mov_b32_e32 v1, v12
	s_waitcnt lgkmcnt(2)
	v_pk_fma_f32 v[38:39], v[46:47], v[20:21], v[0:1] op_sel_hi:[0,1,1] neg_lo:[1,0,0] neg_hi:[1,0,0]
	;; [unrolled: 4-line block ×4, first 2 shown]
	v_mov_b32_e32 v0, v42
	v_mov_b32_e32 v1, v43
	;; [unrolled: 1-line block ×7, first 2 shown]
	scratch_store_dwordx4 off, v[0:3], off offset:384 ; 16-byte Folded Spill
	s_nop 0
	scratch_store_dwordx4 off, v[4:7], off offset:400 ; 16-byte Folded Spill
	scratch_store_dwordx4 off, v[8:11], off offset:416 ; 16-byte Folded Spill
	;; [unrolled: 1-line block ×7, first 2 shown]
	v_mov_b32_e32 v7, v34
	v_mov_b32_e32 v47, v32
	;; [unrolled: 1-line block ×8, first 2 shown]
	s_waitcnt vmcnt(11)
	v_mov_b32_e32 v58, v35
	v_mov_b32_e32 v59, v36
	;; [unrolled: 1-line block ×4, first 2 shown]
	s_waitcnt vmcnt(10)
	v_mov_b32_e32 v62, v39
	v_mov_b32_e32 v63, v40
	;; [unrolled: 1-line block ×42, first 2 shown]
	scratch_store_dwordx4 off, v[0:3], off offset:256 ; 16-byte Folded Spill
	s_nop 0
	scratch_store_dwordx4 off, v[4:7], off offset:272 ; 16-byte Folded Spill
	scratch_store_dwordx4 off, v[8:11], off offset:288 ; 16-byte Folded Spill
	;; [unrolled: 1-line block ×7, first 2 shown]
	v_mov_b32_e32 v8, v35
	v_mov_b32_e32 v9, v36
	;; [unrolled: 1-line block ×7, first 2 shown]
	scratch_store_dwordx4 off, v[0:3], off offset:128 ; 16-byte Folded Spill
	s_nop 0
	scratch_store_dwordx4 off, v[4:7], off offset:144 ; 16-byte Folded Spill
	scratch_store_dwordx4 off, v[8:11], off offset:160 ; 16-byte Folded Spill
	;; [unrolled: 1-line block ×7, first 2 shown]
	v_mov_b32_e32 v18, v42
	v_mov_b32_e32 v19, v43
	;; [unrolled: 1-line block ×5, first 2 shown]
	scratch_store_dwordx4 off, v[42:45], off offset:512 ; 16-byte Folded Spill
	s_nop 0
	scratch_store_dwordx4 off, v[46:49], off offset:528 ; 16-byte Folded Spill
	scratch_store_dwordx4 off, v[50:53], off offset:544 ; 16-byte Folded Spill
	;; [unrolled: 1-line block ×5, first 2 shown]
	s_waitcnt vmcnt(31)
	scratch_store_dwordx4 off, v[66:69], off offset:608 ; 16-byte Folded Spill
	s_waitcnt vmcnt(31)
	scratch_store_dwordx4 off, v[70:73], off offset:624 ; 16-byte Folded Spill
	scratch_store_dwordx4 off, v[42:45], off offset:640 ; 16-byte Folded Spill
	s_nop 0
	scratch_store_dwordx4 off, v[46:49], off offset:656 ; 16-byte Folded Spill
	scratch_store_dwordx4 off, v[50:53], off offset:672 ; 16-byte Folded Spill
	scratch_store_dwordx4 off, v[54:57], off offset:688 ; 16-byte Folded Spill
	scratch_store_dwordx4 off, v[58:61], off offset:704 ; 16-byte Folded Spill
	scratch_store_dwordx4 off, v[62:65], off offset:720 ; 16-byte Folded Spill
	scratch_store_dwordx4 off, v[66:69], off offset:736 ; 16-byte Folded Spill
	scratch_store_dwordx4 off, v[70:73], off offset:752 ; 16-byte Folded Spill
	v_mov_b32_e32 v23, v32
	v_mov_b32_e32 v24, v33
	v_mov_b32_e32 v25, v34
	v_mov_b32_e32 v26, v35
	v_mov_b32_e32 v27, v36
	v_mov_b32_e32 v28, v37
	v_mov_b32_e32 v29, v38
	v_mov_b32_e32 v30, v39
	v_mov_b32_e32 v10, v37
	v_mov_b32_e32 v11, v38
	v_mov_b32_e32 v12, v39
	v_mov_b32_e32 v13, v40
	v_mov_b32_e32 v14, v41
	v_mov_b32_e32 v15, v244
	v_mov_b32_e32 v16, v245
	v_mov_b32_e32 v72, v33
	v_mov_b32_e32 v46, v35
	v_mov_b32_e32 v47, v36
	v_mov_b32_e32 v44, v37
	v_mov_b32_e32 v45, v38
	v_mov_b32_e32 v66, v39
	v_mov_b32_e32 v69, v40
	v_mov_b32_e32 v32, v41
	scratch_store_dwordx4 off, v[18:21], off ; 16-byte Folded Spill
	s_nop 0
	scratch_store_dwordx4 off, v[22:25], off offset:16 ; 16-byte Folded Spill
	scratch_store_dwordx4 off, v[26:29], off offset:32 ; 16-byte Folded Spill
	;; [unrolled: 1-line block ×7, first 2 shown]
.LBB33_28:
	s_or_b64 exec, exec, s[2:3]
	v_cmp_eq_u32_e32 vcc, 5, v246
	s_waitcnt lgkmcnt(0)
	s_barrier
	s_and_saveexec_b64 s[2:3], vcc
	s_cbranch_execz .LBB33_31
; %bb.29:
	ds_write_b32 v247, v205
	ds_write2_b32 v248, v6, v7 offset0:6 offset1:7
	ds_write2_b32 v248, v8, v9 offset0:8 offset1:9
	;; [unrolled: 1-line block ×5, first 2 shown]
	ds_write_b32 v248, v245 offset:64
	ds_read_b32 v17, v247
	s_waitcnt lgkmcnt(0)
	v_cmp_neq_f32_e32 vcc, 0, v17
	s_and_b64 exec, exec, vcc
	s_cbranch_execz .LBB33_31
; %bb.30:
	v_div_scale_f32 v31, s[4:5], v17, v17, 1.0
	v_rcp_f32_e32 v32, v31
	v_div_scale_f32 v33, vcc, 1.0, v17, 1.0
	v_fma_f32 v34, -v31, v32, 1.0
	v_fmac_f32_e32 v32, v34, v32
	v_mul_f32_e32 v34, v33, v32
	v_fma_f32 v35, -v31, v34, v33
	v_fmac_f32_e32 v34, v35, v32
	v_fma_f32 v31, -v31, v34, v33
	v_div_fmas_f32 v31, v31, v32, v34
	v_div_fixup_f32 v17, v31, v17, 1.0
	ds_write_b32 v247, v17
.LBB33_31:
	s_or_b64 exec, exec, s[2:3]
	s_waitcnt lgkmcnt(0)
	s_barrier
	ds_read_b32 v180, v247
	v_cmp_lt_u32_e32 vcc, 5, v246
	s_and_saveexec_b64 s[2:3], vcc
	s_cbranch_execz .LBB33_33
; %bb.32:
	ds_read2_b32 v[0:1], v248 offset0:6 offset1:7
	ds_read2_b32 v[4:5], v248 offset0:8 offset1:9
	ds_read2_b32 v[16:17], v248 offset0:10 offset1:11
	ds_read2_b32 v[18:19], v248 offset0:12 offset1:13
	s_waitcnt lgkmcnt(4)
	v_mul_f32_e32 v2, v205, v180
	v_mov_b32_e32 v45, v2
	s_waitcnt lgkmcnt(2)
	v_pk_fma_f32 v[154:155], v[2:3], v[4:5], v[8:9] op_sel_hi:[0,1,1] neg_lo:[1,0,0] neg_hi:[1,0,0]
	v_pk_fma_f32 v[38:39], v[2:3], v[0:1], v[6:7] op_sel_hi:[0,1,1] neg_lo:[1,0,0] neg_hi:[1,0,0]
	ds_read2_b32 v[0:1], v248 offset0:14 offset1:15
	s_waitcnt lgkmcnt(2)
	v_pk_fma_f32 v[92:93], v[2:3], v[16:17], v[10:11] op_sel_hi:[0,1,1] neg_lo:[1,0,0] neg_hi:[1,0,0]
	s_waitcnt lgkmcnt(1)
	v_pk_fma_f32 v[30:31], v[2:3], v[18:19], v[12:13] op_sel_hi:[0,1,1] neg_lo:[1,0,0] neg_hi:[1,0,0]
	ds_read_b32 v3, v248 offset:64
	scratch_load_dwordx4 v[94:97], off, off offset:640 ; 16-byte Folded Reload
	scratch_load_dwordx4 v[98:101], off, off offset:656 ; 16-byte Folded Reload
	;; [unrolled: 1-line block ×8, first 2 shown]
	v_mov_b32_e32 v9, v2
	v_mov_b32_e32 v10, v38
	;; [unrolled: 1-line block ×3, first 2 shown]
	s_waitcnt lgkmcnt(0)
	v_pk_fma_f32 v[64:65], v[2:3], v[0:1], v[14:15] op_sel_hi:[0,1,1] neg_lo:[1,0,0] neg_hi:[1,0,0]
	v_mov_b32_e32 v55, v2
	v_mov_b32_e32 v56, v38
	;; [unrolled: 1-line block ×10, first 2 shown]
	s_waitcnt vmcnt(1)
	v_mov_b32_e32 v119, v2
	v_mov_b32_e32 v215, v2
	;; [unrolled: 1-line block ×13, first 2 shown]
	s_waitcnt vmcnt(0)
	v_mov_b32_e32 v122, v154
	v_mov_b32_e32 v123, v155
	;; [unrolled: 1-line block ×22, first 2 shown]
	scratch_store_dwordx4 off, v[4:7], off offset:256 ; 16-byte Folded Spill
	s_nop 0
	scratch_store_dwordx4 off, v[8:11], off offset:272 ; 16-byte Folded Spill
	scratch_store_dwordx4 off, v[12:15], off offset:288 ; 16-byte Folded Spill
	;; [unrolled: 1-line block ×7, first 2 shown]
	v_mov_b32_e32 v12, v154
	v_mov_b32_e32 v13, v155
	;; [unrolled: 1-line block ×30, first 2 shown]
	scratch_store_dwordx4 off, v[4:7], off offset:128 ; 16-byte Folded Spill
	s_nop 0
	scratch_store_dwordx4 off, v[8:11], off offset:144 ; 16-byte Folded Spill
	scratch_store_dwordx4 off, v[12:15], off offset:160 ; 16-byte Folded Spill
	;; [unrolled: 1-line block ×7, first 2 shown]
	v_mov_b32_e32 v18, v40
	v_mov_b32_e32 v19, v41
	;; [unrolled: 1-line block ×6, first 2 shown]
	v_fma_f32 v16, -v2, v3, v245
	v_mov_b32_e32 v5, v2
	v_mov_b32_e32 v2, v42
	;; [unrolled: 1-line block ×21, first 2 shown]
	scratch_store_dwordx4 off, v[40:43], off offset:512 ; 16-byte Folded Spill
	s_nop 0
	scratch_store_dwordx4 off, v[44:47], off offset:528 ; 16-byte Folded Spill
	scratch_store_dwordx4 off, v[48:51], off offset:544 ; 16-byte Folded Spill
	;; [unrolled: 1-line block ×7, first 2 shown]
	v_mov_b32_e32 v222, v30
	v_mov_b32_e32 v223, v31
	;; [unrolled: 1-line block ×6, first 2 shown]
	scratch_store_dwordx4 off, v[32:35], off offset:384 ; 16-byte Folded Spill
	s_nop 0
	scratch_store_dwordx4 off, v[36:39], off offset:400 ; 16-byte Folded Spill
	scratch_store_dwordx4 off, v[40:43], off offset:416 ; 16-byte Folded Spill
	;; [unrolled: 1-line block ×7, first 2 shown]
	v_mov_b32_e32 v244, v65
	v_mov_b32_e32 v46, v154
	;; [unrolled: 1-line block ×7, first 2 shown]
	scratch_store_dwordx4 off, v[18:21], off ; 16-byte Folded Spill
	s_nop 0
	scratch_store_dwordx4 off, v[22:25], off offset:16 ; 16-byte Folded Spill
	scratch_store_dwordx4 off, v[26:29], off offset:32 ; 16-byte Folded Spill
	;; [unrolled: 1-line block ×7, first 2 shown]
.LBB33_33:
	s_or_b64 exec, exec, s[2:3]
	v_cmp_eq_u32_e32 vcc, 6, v246
	s_waitcnt lgkmcnt(0)
	s_barrier
	s_and_saveexec_b64 s[2:3], vcc
	s_cbranch_execz .LBB33_36
; %bb.34:
	ds_write_b32 v247, v72
	ds_write2_b32 v248, v7, v8 offset0:7 offset1:8
	ds_write2_b32 v248, v9, v10 offset0:9 offset1:10
	;; [unrolled: 1-line block ×5, first 2 shown]
	ds_read_b32 v17, v247
	s_waitcnt lgkmcnt(0)
	v_cmp_neq_f32_e32 vcc, 0, v17
	s_and_b64 exec, exec, vcc
	s_cbranch_execz .LBB33_36
; %bb.35:
	v_div_scale_f32 v31, s[4:5], v17, v17, 1.0
	v_rcp_f32_e32 v32, v31
	v_div_scale_f32 v33, vcc, 1.0, v17, 1.0
	v_fma_f32 v34, -v31, v32, 1.0
	v_fmac_f32_e32 v32, v34, v32
	v_mul_f32_e32 v34, v33, v32
	v_fma_f32 v35, -v31, v34, v33
	v_fmac_f32_e32 v34, v35, v32
	v_fma_f32 v31, -v31, v34, v33
	v_div_fmas_f32 v31, v31, v32, v34
	v_div_fixup_f32 v17, v31, v17, 1.0
	ds_write_b32 v247, v17
.LBB33_36:
	s_or_b64 exec, exec, s[2:3]
	s_waitcnt lgkmcnt(0)
	s_barrier
	ds_read_b32 v181, v247
	v_cmp_lt_u32_e32 vcc, 6, v246
	s_and_saveexec_b64 s[2:3], vcc
	s_cbranch_execz .LBB33_38
; %bb.37:
	scratch_load_dwordx4 v[40:43], off, off offset:512 ; 16-byte Folded Reload
	scratch_load_dwordx4 v[44:47], off, off offset:528 ; 16-byte Folded Reload
	scratch_load_dwordx4 v[48:51], off, off offset:544 ; 16-byte Folded Reload
	scratch_load_dwordx4 v[52:55], off, off offset:560 ; 16-byte Folded Reload
	scratch_load_dwordx4 v[56:59], off, off offset:576 ; 16-byte Folded Reload
	scratch_load_dwordx4 v[60:63], off, off offset:592 ; 16-byte Folded Reload
	scratch_load_dwordx4 v[64:67], off, off offset:608 ; 16-byte Folded Reload
	scratch_load_dwordx4 v[68:71], off, off offset:624 ; 16-byte Folded Reload
	ds_read2_b32 v[0:1], v248 offset0:7 offset1:8
	s_waitcnt vmcnt(6) lgkmcnt(1)
	v_mul_f32_e32 v46, v72, v181
	v_mov_b32_e32 v2, v7
	v_mov_b32_e32 v3, v8
	ds_read2_b32 v[4:5], v248 offset0:9 offset1:10
	ds_read2_b32 v[6:7], v248 offset0:11 offset1:12
	;; [unrolled: 1-line block ×3, first 2 shown]
	s_waitcnt vmcnt(3)
	v_mov_b32_e32 v56, v46
	v_mov_b32_e32 v152, v46
	;; [unrolled: 1-line block ×6, first 2 shown]
	s_waitcnt lgkmcnt(3)
	v_pk_fma_f32 v[32:33], v[46:47], v[0:1], v[2:3] op_sel_hi:[0,1,1] neg_lo:[1,0,0] neg_hi:[1,0,0]
	ds_read2_b32 v[2:3], v248 offset0:15 offset1:16
	v_mov_b32_e32 v0, v9
	v_mov_b32_e32 v1, v10
	s_waitcnt lgkmcnt(3)
	v_pk_fma_f32 v[34:35], v[46:47], v[4:5], v[0:1] op_sel_hi:[0,1,1] neg_lo:[1,0,0] neg_hi:[1,0,0]
	v_mov_b32_e32 v0, v11
	v_mov_b32_e32 v1, v12
	s_waitcnt lgkmcnt(2)
	v_pk_fma_f32 v[36:37], v[46:47], v[6:7], v[0:1] op_sel_hi:[0,1,1] neg_lo:[1,0,0] neg_hi:[1,0,0]
	;; [unrolled: 4-line block ×4, first 2 shown]
	v_mov_b32_e32 v0, v40
	v_mov_b32_e32 v1, v41
	;; [unrolled: 1-line block ×11, first 2 shown]
	scratch_store_dwordx4 off, v[0:3], off offset:128 ; 16-byte Folded Spill
	s_nop 0
	scratch_store_dwordx4 off, v[4:7], off offset:144 ; 16-byte Folded Spill
	scratch_store_dwordx4 off, v[8:11], off offset:160 ; 16-byte Folded Spill
	;; [unrolled: 1-line block ×7, first 2 shown]
	v_mov_b32_e32 v51, v41
	v_mov_b32_e32 v52, v42
	;; [unrolled: 1-line block ×8, first 2 shown]
	s_waitcnt vmcnt(10)
	v_mov_b32_e32 v60, v35
	v_mov_b32_e32 v61, v36
	;; [unrolled: 1-line block ×4, first 2 shown]
	s_waitcnt vmcnt(9)
	v_mov_b32_e32 v64, v39
	v_mov_b32_e32 v146, v40
	;; [unrolled: 1-line block ×32, first 2 shown]
	scratch_store_dwordx4 off, v[40:43], off offset:256 ; 16-byte Folded Spill
	s_nop 0
	scratch_store_dwordx4 off, v[44:47], off offset:272 ; 16-byte Folded Spill
	scratch_store_dwordx4 off, v[48:51], off offset:288 ; 16-byte Folded Spill
	;; [unrolled: 1-line block ×6, first 2 shown]
	s_waitcnt vmcnt(15)
	scratch_store_dwordx4 off, v[68:71], off offset:368 ; 16-byte Folded Spill
	scratch_store_dwordx4 off, v[40:43], off offset:384 ; 16-byte Folded Spill
	s_nop 0
	scratch_store_dwordx4 off, v[44:47], off offset:400 ; 16-byte Folded Spill
	scratch_store_dwordx4 off, v[48:51], off offset:416 ; 16-byte Folded Spill
	;; [unrolled: 1-line block ×7, first 2 shown]
	v_mov_b32_e32 v153, v32
	v_mov_b32_e32 v154, v33
	;; [unrolled: 1-line block ×39, first 2 shown]
	scratch_store_dwordx4 off, v[18:21], off ; 16-byte Folded Spill
	s_nop 0
	scratch_store_dwordx4 off, v[22:25], off offset:16 ; 16-byte Folded Spill
	scratch_store_dwordx4 off, v[26:29], off offset:32 ; 16-byte Folded Spill
	;; [unrolled: 1-line block ×7, first 2 shown]
.LBB33_38:
	s_or_b64 exec, exec, s[2:3]
	v_cmp_eq_u32_e32 vcc, 7, v246
	s_waitcnt lgkmcnt(0)
	s_barrier
	s_and_saveexec_b64 s[2:3], vcc
	s_cbranch_execz .LBB33_41
; %bb.39:
	ds_write_b32 v247, v193
	ds_write2_b32 v248, v8, v9 offset0:8 offset1:9
	ds_write2_b32 v248, v10, v11 offset0:10 offset1:11
	;; [unrolled: 1-line block ×4, first 2 shown]
	ds_write_b32 v248, v245 offset:64
	ds_read_b32 v17, v247
	s_waitcnt lgkmcnt(0)
	v_cmp_neq_f32_e32 vcc, 0, v17
	s_and_b64 exec, exec, vcc
	s_cbranch_execz .LBB33_41
; %bb.40:
	v_div_scale_f32 v31, s[4:5], v17, v17, 1.0
	v_rcp_f32_e32 v32, v31
	v_div_scale_f32 v33, vcc, 1.0, v17, 1.0
	v_fma_f32 v34, -v31, v32, 1.0
	v_fmac_f32_e32 v32, v34, v32
	v_mul_f32_e32 v34, v33, v32
	v_fma_f32 v35, -v31, v34, v33
	v_fmac_f32_e32 v34, v35, v32
	v_fma_f32 v31, -v31, v34, v33
	v_div_fmas_f32 v31, v31, v32, v34
	v_div_fixup_f32 v17, v31, v17, 1.0
	ds_write_b32 v247, v17
.LBB33_41:
	s_or_b64 exec, exec, s[2:3]
	s_waitcnt lgkmcnt(0)
	s_barrier
	ds_read_b32 v183, v247
	v_cmp_lt_u32_e32 vcc, 7, v246
	s_and_saveexec_b64 s[2:3], vcc
	s_cbranch_execz .LBB33_43
; %bb.42:
	ds_read2_b32 v[0:1], v248 offset0:8 offset1:9
	ds_read2_b32 v[2:3], v248 offset0:10 offset1:11
	;; [unrolled: 1-line block ×4, first 2 shown]
	s_waitcnt lgkmcnt(4)
	v_mul_f32_e32 v32, v193, v183
	s_waitcnt lgkmcnt(3)
	v_pk_fma_f32 v[154:155], v[32:33], v[0:1], v[8:9] op_sel_hi:[0,1,1] neg_lo:[1,0,0] neg_hi:[1,0,0]
	ds_read_b32 v0, v248 offset:64
	scratch_load_dwordx4 v[94:97], off, off offset:384 ; 16-byte Folded Reload
	scratch_load_dwordx4 v[98:101], off, off offset:400 ; 16-byte Folded Reload
	scratch_load_dwordx4 v[102:105], off, off offset:416 ; 16-byte Folded Reload
	scratch_load_dwordx4 v[106:109], off, off offset:432 ; 16-byte Folded Reload
	scratch_load_dwordx4 v[110:113], off, off offset:448 ; 16-byte Folded Reload
	scratch_load_dwordx4 v[114:117], off, off offset:464 ; 16-byte Folded Reload
	scratch_load_dwordx4 v[118:121], off, off offset:480 ; 16-byte Folded Reload
	scratch_load_dwordx4 v[122:125], off, off offset:496 ; 16-byte Folded Reload
	s_waitcnt lgkmcnt(3)
	v_pk_fma_f32 v[92:93], v[32:33], v[2:3], v[10:11] op_sel_hi:[0,1,1] neg_lo:[1,0,0] neg_hi:[1,0,0]
	s_waitcnt lgkmcnt(2)
	v_pk_fma_f32 v[30:31], v[32:33], v[4:5], v[12:13] op_sel_hi:[0,1,1] neg_lo:[1,0,0] neg_hi:[1,0,0]
	;; [unrolled: 2-line block ×3, first 2 shown]
	v_mov_b32_e32 v9, v32
	v_mov_b32_e32 v10, v154
	;; [unrolled: 1-line block ×11, first 2 shown]
	s_waitcnt vmcnt(0)
	v_mov_b32_e32 v122, v154
	v_mov_b32_e32 v123, v155
	;; [unrolled: 1-line block ×22, first 2 shown]
	scratch_store_dwordx4 off, v[2:5], off offset:128 ; 16-byte Folded Spill
	s_nop 0
	scratch_store_dwordx4 off, v[6:9], off offset:144 ; 16-byte Folded Spill
	scratch_store_dwordx4 off, v[10:13], off offset:160 ; 16-byte Folded Spill
	;; [unrolled: 1-line block ×7, first 2 shown]
	v_mov_b32_e32 v50, v34
	v_mov_b32_e32 v51, v35
	v_mov_b32_e32 v52, v36
	v_mov_b32_e32 v53, v37
	v_mov_b32_e32 v54, v38
	v_mov_b32_e32 v55, v39
	v_mov_b32_e32 v56, v40
	v_mov_b32_e32 v146, v34
	v_mov_b32_e32 v147, v35
	v_mov_b32_e32 v148, v36
	v_mov_b32_e32 v149, v37
	v_mov_b32_e32 v150, v38
	v_mov_b32_e32 v151, v39
	v_mov_b32_e32 v152, v40
	v_mov_b32_e32 v82, v34
	v_mov_b32_e32 v83, v35
	v_mov_b32_e32 v84, v36
	v_mov_b32_e32 v85, v37
	v_mov_b32_e32 v86, v38
	v_mov_b32_e32 v87, v39
	v_mov_b32_e32 v88, v40
	v_mov_b32_e32 v114, v34
	v_mov_b32_e32 v115, v35
	v_mov_b32_e32 v116, v36
	v_mov_b32_e32 v117, v37
	v_mov_b32_e32 v118, v38
	v_mov_b32_e32 v119, v39
	v_mov_b32_e32 v120, v40
	v_mov_b32_e32 v18, v34
	v_mov_b32_e32 v19, v35
	v_mov_b32_e32 v20, v36
	v_mov_b32_e32 v21, v37
	v_mov_b32_e32 v22, v38
	v_mov_b32_e32 v23, v39
	v_mov_b32_e32 v24, v40
	v_mov_b32_e32 v210, v34
	v_mov_b32_e32 v211, v35
	v_mov_b32_e32 v212, v36
	v_mov_b32_e32 v213, v37
	v_mov_b32_e32 v214, v38
	v_mov_b32_e32 v215, v39
	v_mov_b32_e32 v216, v40
	v_mov_b32_e32 v1, v35
	v_mov_b32_e32 v2, v36
	v_mov_b32_e32 v3, v37
	v_mov_b32_e32 v4, v38
	v_mov_b32_e32 v5, v39
	v_mov_b32_e32 v6, v40
	v_mov_b32_e32 v14, v64
	v_mov_b32_e32 v15, v65
	v_mov_b32_e32 v26, v154
	v_mov_b32_e32 v27, v155
	v_mov_b32_e32 v28, v92
	v_mov_b32_e32 v29, v93
	v_mov_b32_e32 v8, v154
	v_mov_b32_e32 v9, v155
	v_mov_b32_e32 v10, v92
	v_mov_b32_e32 v11, v93
	v_mov_b32_e32 v57, v32
	v_mov_b32_e32 v62, v30
	v_mov_b32_e32 v63, v31
	s_waitcnt lgkmcnt(0)
	v_fma_f32 v16, -v32, v0, v245
	v_mov_b32_e32 v0, v34
	scratch_store_dwordx4 off, v[34:37], off offset:256 ; 16-byte Folded Spill
	s_nop 0
	scratch_store_dwordx4 off, v[38:41], off offset:272 ; 16-byte Folded Spill
	scratch_store_dwordx4 off, v[42:45], off offset:288 ; 16-byte Folded Spill
	;; [unrolled: 1-line block ×7, first 2 shown]
	v_mov_b32_e32 v89, v32
	v_mov_b32_e32 v121, v32
	;; [unrolled: 1-line block ×18, first 2 shown]
	scratch_store_dwordx4 off, v[18:21], off ; 16-byte Folded Spill
	s_nop 0
	scratch_store_dwordx4 off, v[22:25], off offset:16 ; 16-byte Folded Spill
	scratch_store_dwordx4 off, v[26:29], off offset:32 ; 16-byte Folded Spill
	;; [unrolled: 1-line block ×7, first 2 shown]
.LBB33_43:
	s_or_b64 exec, exec, s[2:3]
	v_cmp_eq_u32_e32 vcc, 8, v246
	s_waitcnt lgkmcnt(0)
	s_barrier
	s_and_saveexec_b64 s[2:3], vcc
	s_cbranch_execz .LBB33_46
; %bb.44:
	ds_write_b32 v247, v46
	ds_write2_b32 v248, v9, v10 offset0:9 offset1:10
	ds_write2_b32 v248, v11, v12 offset0:11 offset1:12
	;; [unrolled: 1-line block ×4, first 2 shown]
	ds_read_b32 v17, v247
	s_waitcnt lgkmcnt(0)
	v_cmp_neq_f32_e32 vcc, 0, v17
	s_and_b64 exec, exec, vcc
	s_cbranch_execz .LBB33_46
; %bb.45:
	v_div_scale_f32 v31, s[4:5], v17, v17, 1.0
	v_rcp_f32_e32 v32, v31
	v_div_scale_f32 v33, vcc, 1.0, v17, 1.0
	v_fma_f32 v34, -v31, v32, 1.0
	v_fmac_f32_e32 v32, v34, v32
	v_mul_f32_e32 v34, v33, v32
	v_fma_f32 v35, -v31, v34, v33
	v_fmac_f32_e32 v34, v35, v32
	v_fma_f32 v31, -v31, v34, v33
	v_div_fmas_f32 v31, v31, v32, v34
	v_div_fixup_f32 v17, v31, v17, 1.0
	ds_write_b32 v247, v17
.LBB33_46:
	s_or_b64 exec, exec, s[2:3]
	s_waitcnt lgkmcnt(0)
	s_barrier
	ds_read_b32 v184, v247
	v_cmp_lt_u32_e32 vcc, 8, v246
	s_and_saveexec_b64 s[2:3], vcc
	s_cbranch_execz .LBB33_48
; %bb.47:
	scratch_load_dwordx4 v[146:149], off, off offset:256 ; 16-byte Folded Reload
	scratch_load_dwordx4 v[150:153], off, off offset:272 ; 16-byte Folded Reload
	;; [unrolled: 1-line block ×8, first 2 shown]
	ds_read2_b32 v[0:1], v248 offset0:9 offset1:10
	v_mov_b32_e32 v2, v9
	ds_read2_b32 v[4:5], v248 offset0:11 offset1:12
	ds_read2_b32 v[6:7], v248 offset0:13 offset1:14
	ds_read2_b32 v[8:9], v248 offset0:15 offset1:16
	s_waitcnt vmcnt(5) lgkmcnt(4)
	v_mul_f32_e32 v154, v46, v184
	v_mov_b32_e32 v3, v10
	v_mov_b32_e32 v90, v154
	;; [unrolled: 1-line block ×8, first 2 shown]
	s_waitcnt lgkmcnt(3)
	v_pk_fma_f32 v[32:33], v[154:155], v[0:1], v[2:3] op_sel_hi:[0,1,1] neg_lo:[1,0,0] neg_hi:[1,0,0]
	v_mov_b32_e32 v0, v11
	v_mov_b32_e32 v1, v12
	s_waitcnt lgkmcnt(2)
	v_pk_fma_f32 v[34:35], v[154:155], v[4:5], v[0:1] op_sel_hi:[0,1,1] neg_lo:[1,0,0] neg_hi:[1,0,0]
	v_mov_b32_e32 v0, v13
	v_mov_b32_e32 v1, v14
	;; [unrolled: 4-line block ×4, first 2 shown]
	v_mov_b32_e32 v85, v149
	v_mov_b32_e32 v86, v150
	;; [unrolled: 1-line block ×80, first 2 shown]
	scratch_store_dwordx4 off, v[146:149], off offset:128 ; 16-byte Folded Spill
	s_nop 0
	scratch_store_dwordx4 off, v[150:153], off offset:144 ; 16-byte Folded Spill
	scratch_store_dwordx4 off, v[154:157], off offset:160 ; 16-byte Folded Spill
	s_waitcnt vmcnt(7)
	scratch_store_dwordx4 off, v[158:161], off offset:176 ; 16-byte Folded Spill
	s_waitcnt vmcnt(7)
	;; [unrolled: 2-line block ×5, first 2 shown]
	scratch_store_dwordx4 off, v[174:177], off offset:240 ; 16-byte Folded Spill
	scratch_store_dwordx4 off, v[18:21], off ; 16-byte Folded Spill
	s_nop 0
	scratch_store_dwordx4 off, v[22:25], off offset:16 ; 16-byte Folded Spill
	scratch_store_dwordx4 off, v[26:29], off offset:32 ; 16-byte Folded Spill
	;; [unrolled: 1-line block ×7, first 2 shown]
.LBB33_48:
	s_or_b64 exec, exec, s[2:3]
	v_cmp_eq_u32_e32 vcc, 9, v246
	s_waitcnt lgkmcnt(0)
	s_barrier
	s_and_saveexec_b64 s[2:3], vcc
	s_cbranch_execz .LBB33_51
; %bb.49:
	ds_write_b32 v247, v47
	ds_write2_b32 v248, v10, v11 offset0:10 offset1:11
	ds_write2_b32 v248, v12, v13 offset0:12 offset1:13
	;; [unrolled: 1-line block ×3, first 2 shown]
	ds_write_b32 v248, v245 offset:64
	ds_read_b32 v17, v247
	s_waitcnt lgkmcnt(0)
	v_cmp_neq_f32_e32 vcc, 0, v17
	s_and_b64 exec, exec, vcc
	s_cbranch_execz .LBB33_51
; %bb.50:
	v_div_scale_f32 v31, s[4:5], v17, v17, 1.0
	v_rcp_f32_e32 v32, v31
	v_div_scale_f32 v33, vcc, 1.0, v17, 1.0
	v_fma_f32 v34, -v31, v32, 1.0
	v_fmac_f32_e32 v32, v34, v32
	v_mul_f32_e32 v34, v33, v32
	v_fma_f32 v35, -v31, v34, v33
	v_fmac_f32_e32 v34, v35, v32
	v_fma_f32 v31, -v31, v34, v33
	v_div_fmas_f32 v31, v31, v32, v34
	v_div_fixup_f32 v17, v31, v17, 1.0
	ds_write_b32 v247, v17
.LBB33_51:
	s_or_b64 exec, exec, s[2:3]
	s_waitcnt lgkmcnt(0)
	s_barrier
	ds_read_b32 v156, v247
	v_cmp_lt_u32_e32 vcc, 9, v246
	s_and_saveexec_b64 s[2:3], vcc
	s_cbranch_execz .LBB33_53
; %bb.52:
	ds_read2_b32 v[0:1], v248 offset0:10 offset1:11
	ds_read2_b32 v[2:3], v248 offset0:12 offset1:13
	;; [unrolled: 1-line block ×3, first 2 shown]
	ds_read_b32 v6, v248 offset:64
	s_waitcnt lgkmcnt(4)
	v_mul_f32_e32 v32, v47, v156
	s_waitcnt lgkmcnt(3)
	v_pk_fma_f32 v[92:93], v[32:33], v[0:1], v[10:11] op_sel_hi:[0,1,1] neg_lo:[1,0,0] neg_hi:[1,0,0]
	s_waitcnt lgkmcnt(2)
	v_pk_fma_f32 v[30:31], v[32:33], v[2:3], v[12:13] op_sel_hi:[0,1,1] neg_lo:[1,0,0] neg_hi:[1,0,0]
	;; [unrolled: 2-line block ×3, first 2 shown]
	s_waitcnt lgkmcnt(0)
	v_fma_f32 v16, -v32, v6, v245
	v_mov_b32_e32 v155, v32
	v_mov_b32_e32 v82, v146
	;; [unrolled: 1-line block ×86, first 2 shown]
	scratch_store_dwordx4 off, v[146:149], off offset:128 ; 16-byte Folded Spill
	s_nop 0
	scratch_store_dwordx4 off, v[150:153], off offset:144 ; 16-byte Folded Spill
	scratch_store_dwordx4 off, v[154:157], off offset:160 ; 16-byte Folded Spill
	;; [unrolled: 1-line block ×7, first 2 shown]
	scratch_store_dwordx4 off, v[18:21], off ; 16-byte Folded Spill
	s_nop 0
	scratch_store_dwordx4 off, v[22:25], off offset:16 ; 16-byte Folded Spill
	scratch_store_dwordx4 off, v[26:29], off offset:32 ; 16-byte Folded Spill
	;; [unrolled: 1-line block ×7, first 2 shown]
.LBB33_53:
	s_or_b64 exec, exec, s[2:3]
	v_cmp_eq_u32_e32 vcc, 10, v246
	s_waitcnt lgkmcnt(0)
	s_barrier
	s_and_saveexec_b64 s[2:3], vcc
	s_cbranch_execz .LBB33_56
; %bb.54:
	ds_write_b32 v247, v44
	ds_write2_b32 v248, v11, v12 offset0:11 offset1:12
	ds_write2_b32 v248, v13, v14 offset0:13 offset1:14
	;; [unrolled: 1-line block ×3, first 2 shown]
	ds_read_b32 v17, v247
	s_waitcnt lgkmcnt(0)
	v_cmp_neq_f32_e32 vcc, 0, v17
	s_and_b64 exec, exec, vcc
	s_cbranch_execz .LBB33_56
; %bb.55:
	v_div_scale_f32 v31, s[4:5], v17, v17, 1.0
	v_rcp_f32_e32 v32, v31
	v_div_scale_f32 v33, vcc, 1.0, v17, 1.0
	v_fma_f32 v34, -v31, v32, 1.0
	v_fmac_f32_e32 v32, v34, v32
	v_mul_f32_e32 v34, v33, v32
	v_fma_f32 v35, -v31, v34, v33
	v_fmac_f32_e32 v34, v35, v32
	v_fma_f32 v31, -v31, v34, v33
	v_div_fmas_f32 v31, v31, v32, v34
	v_div_fixup_f32 v17, v31, v17, 1.0
	ds_write_b32 v247, v17
.LBB33_56:
	s_or_b64 exec, exec, s[2:3]
	s_waitcnt lgkmcnt(0)
	s_barrier
	ds_read_b32 v146, v247
	v_cmp_lt_u32_e32 vcc, 10, v246
	s_and_saveexec_b64 s[2:3], vcc
	s_cbranch_execz .LBB33_58
; %bb.57:
	scratch_load_dwordx4 v[82:85], off, off offset:128 ; 16-byte Folded Reload
	scratch_load_dwordx4 v[86:89], off, off offset:144 ; 16-byte Folded Reload
	;; [unrolled: 1-line block ×8, first 2 shown]
	ds_read2_b32 v[0:1], v248 offset0:11 offset1:12
	ds_read2_b32 v[4:5], v248 offset0:13 offset1:14
	;; [unrolled: 1-line block ×3, first 2 shown]
	s_waitcnt vmcnt(5) lgkmcnt(3)
	v_mul_f32_e32 v92, v44, v146
	v_mov_b32_e32 v2, v11
	v_mov_b32_e32 v3, v12
	;; [unrolled: 1-line block ×8, first 2 shown]
	s_waitcnt lgkmcnt(2)
	v_pk_fma_f32 v[32:33], v[92:93], v[0:1], v[2:3] op_sel_hi:[0,1,1] neg_lo:[1,0,0] neg_hi:[1,0,0]
	v_mov_b32_e32 v0, v13
	v_mov_b32_e32 v1, v14
	s_waitcnt lgkmcnt(1)
	v_pk_fma_f32 v[34:35], v[92:93], v[4:5], v[0:1] op_sel_hi:[0,1,1] neg_lo:[1,0,0] neg_hi:[1,0,0]
	v_mov_b32_e32 v0, v15
	v_mov_b32_e32 v1, v16
	s_waitcnt lgkmcnt(0)
	v_pk_fma_f32 v[244:245], v[92:93], v[6:7], v[0:1] op_sel_hi:[0,1,1] neg_lo:[1,0,0] neg_hi:[1,0,0]
	v_mov_b32_e32 v93, v32
	s_waitcnt vmcnt(0)
	v_mov_b64_e32 v[144:145], v[112:113]
	v_mov_b32_e32 v20, v84
	v_mov_b32_e32 v21, v85
	;; [unrolled: 1-line block ×53, first 2 shown]
	v_mov_b64_e32 v[124:125], v[92:93]
	v_mov_b64_e32 v[122:123], v[90:91]
	;; [unrolled: 1-line block ×6, first 2 shown]
	v_mov_b32_e32 v45, v32
	v_mov_b32_e32 v66, v33
	;; [unrolled: 1-line block ×4, first 2 shown]
	v_mov_b64_e32 v[142:143], v[110:111]
	v_mov_b64_e32 v[140:141], v[108:109]
	;; [unrolled: 1-line block ×9, first 2 shown]
	scratch_store_dwordx4 off, v[18:21], off ; 16-byte Folded Spill
	s_nop 0
	scratch_store_dwordx4 off, v[22:25], off offset:16 ; 16-byte Folded Spill
	scratch_store_dwordx4 off, v[26:29], off offset:32 ; 16-byte Folded Spill
	;; [unrolled: 1-line block ×7, first 2 shown]
.LBB33_58:
	s_or_b64 exec, exec, s[2:3]
	v_cmp_eq_u32_e32 vcc, 11, v246
	s_waitcnt lgkmcnt(0)
	s_barrier
	s_and_saveexec_b64 s[2:3], vcc
	s_cbranch_execz .LBB33_61
; %bb.59:
	ds_write_b32 v247, v45
	ds_write2_b32 v248, v12, v13 offset0:12 offset1:13
	ds_write2_b32 v248, v14, v15 offset0:14 offset1:15
	ds_write_b32 v248, v245 offset:64
	ds_read_b32 v17, v247
	s_waitcnt lgkmcnt(0)
	v_cmp_neq_f32_e32 vcc, 0, v17
	s_and_b64 exec, exec, vcc
	s_cbranch_execz .LBB33_61
; %bb.60:
	v_div_scale_f32 v31, s[4:5], v17, v17, 1.0
	v_rcp_f32_e32 v32, v31
	v_div_scale_f32 v33, vcc, 1.0, v17, 1.0
	v_fma_f32 v34, -v31, v32, 1.0
	v_fmac_f32_e32 v32, v34, v32
	v_mul_f32_e32 v34, v33, v32
	v_fma_f32 v35, -v31, v34, v33
	v_fmac_f32_e32 v34, v35, v32
	v_fma_f32 v31, -v31, v34, v33
	v_div_fmas_f32 v31, v31, v32, v34
	v_div_fixup_f32 v17, v31, v17, 1.0
	ds_write_b32 v247, v17
.LBB33_61:
	s_or_b64 exec, exec, s[2:3]
	s_waitcnt lgkmcnt(0)
	s_barrier
	ds_read_b32 v94, v247
	v_cmp_lt_u32_e32 vcc, 11, v246
	s_and_saveexec_b64 s[2:3], vcc
	s_cbranch_execz .LBB33_63
; %bb.62:
	ds_read2_b32 v[0:1], v248 offset0:12 offset1:13
	ds_read2_b32 v[2:3], v248 offset0:14 offset1:15
	ds_read_b32 v4, v248 offset:64
	s_waitcnt lgkmcnt(3)
	v_mul_f32_e32 v32, v45, v94
	v_mov_b32_e32 v93, v32
	s_waitcnt lgkmcnt(2)
	v_pk_fma_f32 v[30:31], v[32:33], v[0:1], v[12:13] op_sel_hi:[0,1,1] neg_lo:[1,0,0] neg_hi:[1,0,0]
	s_waitcnt lgkmcnt(1)
	v_pk_fma_f32 v[64:65], v[32:33], v[2:3], v[14:15] op_sel_hi:[0,1,1] neg_lo:[1,0,0] neg_hi:[1,0,0]
	s_waitcnt lgkmcnt(0)
	v_fma_f32 v16, -v32, v4, v245
	v_mov_b64_e32 v[144:145], v[112:113]
	v_mov_b32_e32 v18, v82
	v_mov_b32_e32 v19, v83
	;; [unrolled: 1-line block ×56, first 2 shown]
	v_mov_b64_e32 v[124:125], v[92:93]
	v_mov_b64_e32 v[122:123], v[90:91]
	v_mov_b64_e32 v[120:121], v[88:89]
	v_mov_b64_e32 v[118:119], v[86:87]
	v_mov_b64_e32 v[116:117], v[84:85]
	v_mov_b64_e32 v[114:115], v[82:83]
	v_mov_b32_e32 v66, v30
	v_mov_b32_e32 v69, v31
	;; [unrolled: 1-line block ×5, first 2 shown]
	v_mov_b64_e32 v[142:143], v[110:111]
	v_mov_b64_e32 v[140:141], v[108:109]
	;; [unrolled: 1-line block ×9, first 2 shown]
	scratch_store_dwordx4 off, v[18:21], off ; 16-byte Folded Spill
	s_nop 0
	scratch_store_dwordx4 off, v[22:25], off offset:16 ; 16-byte Folded Spill
	scratch_store_dwordx4 off, v[26:29], off offset:32 ; 16-byte Folded Spill
	;; [unrolled: 1-line block ×7, first 2 shown]
.LBB33_63:
	s_or_b64 exec, exec, s[2:3]
	v_cmp_eq_u32_e32 vcc, 12, v246
	s_waitcnt lgkmcnt(0)
	s_barrier
	s_and_saveexec_b64 s[2:3], vcc
	s_cbranch_execz .LBB33_66
; %bb.64:
	ds_write_b32 v247, v66
	ds_write2_b32 v248, v13, v14 offset0:13 offset1:14
	ds_write2_b32 v248, v15, v16 offset0:15 offset1:16
	ds_read_b32 v17, v247
	s_waitcnt lgkmcnt(0)
	v_cmp_neq_f32_e32 vcc, 0, v17
	s_and_b64 exec, exec, vcc
	s_cbranch_execz .LBB33_66
; %bb.65:
	v_div_scale_f32 v31, s[4:5], v17, v17, 1.0
	v_rcp_f32_e32 v32, v31
	v_div_scale_f32 v33, vcc, 1.0, v17, 1.0
	v_fma_f32 v34, -v31, v32, 1.0
	v_fmac_f32_e32 v32, v34, v32
	v_mul_f32_e32 v34, v33, v32
	v_fma_f32 v35, -v31, v34, v33
	v_fmac_f32_e32 v34, v35, v32
	v_fma_f32 v31, -v31, v34, v33
	v_div_fmas_f32 v31, v31, v32, v34
	v_div_fixup_f32 v17, v31, v17, 1.0
	ds_write_b32 v247, v17
.LBB33_66:
	s_or_b64 exec, exec, s[2:3]
	s_waitcnt lgkmcnt(0)
	s_barrier
	ds_read_b32 v82, v247
	v_cmp_lt_u32_e32 vcc, 12, v246
	s_and_saveexec_b64 s[2:3], vcc
	s_cbranch_execz .LBB33_68
; %bb.67:
	ds_read2_b32 v[0:1], v248 offset0:13 offset1:14
	ds_read2_b32 v[4:5], v248 offset0:15 offset1:16
	s_waitcnt lgkmcnt(2)
	v_mul_f32_e32 v126, v66, v82
	v_mov_b32_e32 v2, v13
	v_mov_b32_e32 v3, v14
	s_waitcnt lgkmcnt(1)
	v_pk_fma_f32 v[66:67], v[126:127], v[0:1], v[2:3] op_sel_hi:[0,1,1] neg_lo:[1,0,0] neg_hi:[1,0,0]
	v_mov_b32_e32 v0, v15
	v_mov_b32_e32 v1, v16
	s_waitcnt lgkmcnt(0)
	v_pk_fma_f32 v[244:245], v[126:127], v[4:5], v[0:1] op_sel_hi:[0,1,1] neg_lo:[1,0,0] neg_hi:[1,0,0]
	v_mov_b32_e32 v127, v66
	v_mov_b64_e32 v[18:19], v[114:115]
	v_mov_b64_e32 v[240:241], v[144:145]
	;; [unrolled: 1-line block ×3, first 2 shown]
	v_mov_b32_e32 v50, v114
	v_mov_b32_e32 v51, v115
	;; [unrolled: 1-line block ×32, first 2 shown]
	v_mov_b64_e32 v[222:223], v[126:127]
	v_mov_b64_e32 v[220:221], v[124:125]
	;; [unrolled: 1-line block ×21, first 2 shown]
	v_mov_b32_e32 v69, v66
	v_mov_b32_e32 v32, v67
	v_mov_b64_e32 v[238:239], v[142:143]
	v_mov_b64_e32 v[236:237], v[140:141]
	;; [unrolled: 1-line block ×8, first 2 shown]
	scratch_store_dwordx4 off, v[18:21], off ; 16-byte Folded Spill
	s_nop 0
	scratch_store_dwordx4 off, v[22:25], off offset:16 ; 16-byte Folded Spill
	scratch_store_dwordx4 off, v[26:29], off offset:32 ; 16-byte Folded Spill
	;; [unrolled: 1-line block ×7, first 2 shown]
.LBB33_68:
	s_or_b64 exec, exec, s[2:3]
	v_cmp_eq_u32_e32 vcc, 13, v246
	s_waitcnt lgkmcnt(0)
	s_barrier
	s_and_saveexec_b64 s[2:3], vcc
	s_cbranch_execz .LBB33_71
; %bb.69:
	ds_write_b32 v247, v69
	ds_write2_b32 v248, v14, v15 offset0:14 offset1:15
	ds_write_b32 v248, v245 offset:64
	ds_read_b32 v17, v247
	s_waitcnt lgkmcnt(0)
	v_cmp_neq_f32_e32 vcc, 0, v17
	s_and_b64 exec, exec, vcc
	s_cbranch_execz .LBB33_71
; %bb.70:
	v_div_scale_f32 v31, s[4:5], v17, v17, 1.0
	v_rcp_f32_e32 v32, v31
	v_div_scale_f32 v33, vcc, 1.0, v17, 1.0
	v_fma_f32 v34, -v31, v32, 1.0
	v_fmac_f32_e32 v32, v34, v32
	v_mul_f32_e32 v34, v33, v32
	v_fma_f32 v35, -v31, v34, v33
	v_fmac_f32_e32 v34, v35, v32
	v_fma_f32 v31, -v31, v34, v33
	v_div_fmas_f32 v31, v31, v32, v34
	v_div_fixup_f32 v17, v31, v17, 1.0
	ds_write_b32 v247, v17
.LBB33_71:
	s_or_b64 exec, exec, s[2:3]
	s_waitcnt lgkmcnt(0)
	s_barrier
	ds_read_b32 v32, v247
	v_cmp_lt_u32_e32 vcc, 13, v246
	s_and_saveexec_b64 s[2:3], vcc
	s_cbranch_execz .LBB33_73
; %bb.72:
	ds_read2_b32 v[0:1], v248 offset0:14 offset1:15
	ds_read_b32 v2, v248 offset:64
	s_waitcnt lgkmcnt(2)
	v_mul_f32_e32 v34, v69, v32
	v_mov_b32_e32 v31, v34
	v_mov_b64_e32 v[240:241], v[48:49]
	s_waitcnt lgkmcnt(1)
	v_pk_fma_f32 v[64:65], v[34:35], v[0:1], v[14:15] op_sel_hi:[0,1,1] neg_lo:[1,0,0] neg_hi:[1,0,0]
	s_waitcnt lgkmcnt(0)
	v_fma_f32 v16, -v34, v2, v245
	v_mov_b32_e32 v50, v18
	v_mov_b32_e32 v0, v18
	;; [unrolled: 1-line block ×14, first 2 shown]
	v_mov_b64_e32 v[238:239], v[46:47]
	v_mov_b64_e32 v[236:237], v[44:45]
	;; [unrolled: 1-line block ×15, first 2 shown]
	v_mov_b32_e32 v18, v64
	v_mov_b32_e32 v51, v19
	;; [unrolled: 1-line block ×17, first 2 shown]
	scratch_store_dwordx4 off, v[4:7], off  ; 16-byte Folded Spill
	s_nop 0
	scratch_store_dwordx4 off, v[8:11], off offset:16 ; 16-byte Folded Spill
	scratch_store_dwordx4 off, v[12:15], off offset:32 ; 16-byte Folded Spill
	;; [unrolled: 1-line block ×7, first 2 shown]
	v_mov_b32_e32 v244, v65
	v_mov_b32_e32 v245, v16
.LBB33_73:
	s_or_b64 exec, exec, s[2:3]
	v_cmp_eq_u32_e32 vcc, 14, v246
	s_waitcnt lgkmcnt(0)
	s_barrier
	s_and_saveexec_b64 s[2:3], vcc
	s_cbranch_execz .LBB33_76
; %bb.74:
	scratch_load_dwordx4 v[96:99], off, off ; 16-byte Folded Reload
	scratch_load_dwordx4 v[100:103], off, off offset:16 ; 16-byte Folded Reload
	scratch_load_dwordx4 v[104:107], off, off offset:32 ; 16-byte Folded Reload
	;; [unrolled: 1-line block ×7, first 2 shown]
	s_waitcnt vmcnt(4)
	ds_write_b32 v247, v110
	ds_write2_b32 v248, v15, v16 offset0:15 offset1:16
	ds_read_b32 v17, v247
	s_waitcnt lgkmcnt(0)
	v_cmp_neq_f32_e32 vcc, 0, v17
	s_and_b64 exec, exec, vcc
	s_cbranch_execz .LBB33_76
; %bb.75:
	v_div_scale_f32 v18, s[4:5], v17, v17, 1.0
	v_rcp_f32_e32 v19, v18
	v_div_scale_f32 v20, vcc, 1.0, v17, 1.0
	v_fma_f32 v21, -v18, v19, 1.0
	v_fmac_f32_e32 v19, v21, v19
	v_mul_f32_e32 v21, v20, v19
	v_fma_f32 v22, -v18, v21, v20
	v_fmac_f32_e32 v21, v22, v19
	v_fma_f32 v18, -v18, v21, v20
	v_div_fmas_f32 v18, v18, v19, v21
	v_div_fixup_f32 v17, v18, v17, 1.0
	ds_write_b32 v247, v17
.LBB33_76:
	s_or_b64 exec, exec, s[2:3]
	s_waitcnt lgkmcnt(0)
	s_barrier
	ds_read_b32 v33, v247
	v_cmp_lt_u32_e32 vcc, 14, v246
	s_and_saveexec_b64 s[2:3], vcc
	s_cbranch_execz .LBB33_78
; %bb.77:
	ds_read2_b32 v[0:1], v248 offset0:15 offset1:16
	scratch_load_dwordx4 v[34:37], off, off ; 16-byte Folded Reload
	scratch_load_dwordx4 v[38:41], off, off offset:16 ; 16-byte Folded Reload
	scratch_load_dwordx4 v[42:45], off, off offset:32 ; 16-byte Folded Reload
	;; [unrolled: 1-line block ×7, first 2 shown]
	v_mov_b32_e32 v2, v15
	v_mov_b32_e32 v3, v16
	s_waitcnt vmcnt(4) lgkmcnt(1)
	v_mul_f32_e32 v224, v48, v33
	s_waitcnt lgkmcnt(0)
	v_pk_fma_f32 v[244:245], v[224:225], v[0:1], v[2:3] op_sel_hi:[0,1,1] neg_lo:[1,0,0] neg_hi:[1,0,0]
	v_mov_b32_e32 v225, v244
	v_mov_b32_e32 v226, v245
	v_mov_b64_e32 v[0:1], v[210:211]
	s_waitcnt vmcnt(0)
	v_mov_b64_e32 v[50:51], v[210:211]
	v_mov_b64_e32 v[2:3], v[212:213]
	;; [unrolled: 1-line block ×31, first 2 shown]
.LBB33_78:
	s_or_b64 exec, exec, s[2:3]
	v_cmp_eq_u32_e32 vcc, 15, v246
	s_waitcnt lgkmcnt(0)
	s_barrier
	s_and_saveexec_b64 s[2:3], vcc
	s_cbranch_execz .LBB33_81
; %bb.79:
	ds_write_b32 v247, v244
	ds_write_b32 v248, v245 offset:64
	ds_read_b32 v17, v247
	s_waitcnt lgkmcnt(0)
	v_cmp_neq_f32_e32 vcc, 0, v17
	s_and_b64 exec, exec, vcc
	s_cbranch_execz .LBB33_81
; %bb.80:
	v_div_scale_f32 v18, s[4:5], v17, v17, 1.0
	v_rcp_f32_e32 v19, v18
	v_div_scale_f32 v20, vcc, 1.0, v17, 1.0
	v_fma_f32 v21, -v18, v19, 1.0
	v_fmac_f32_e32 v19, v21, v19
	v_mul_f32_e32 v21, v20, v19
	v_fma_f32 v22, -v18, v21, v20
	v_fmac_f32_e32 v21, v22, v19
	v_fma_f32 v18, -v18, v21, v20
	v_div_fmas_f32 v18, v18, v19, v21
	v_div_fixup_f32 v17, v18, v17, 1.0
	ds_write_b32 v247, v17
.LBB33_81:
	s_or_b64 exec, exec, s[2:3]
	s_waitcnt lgkmcnt(0)
	s_barrier
	ds_read_b32 v34, v247
	v_cmp_lt_u32_e32 vcc, 15, v246
	s_and_saveexec_b64 s[2:3], vcc
	s_cbranch_execz .LBB33_83
; %bb.82:
	ds_read_b32 v0, v248 offset:64
	s_waitcnt lgkmcnt(1)
	v_mul_f32_e32 v65, v244, v34
	s_waitcnt lgkmcnt(0)
	v_fma_f32 v66, -v65, v0, v245
	v_mov_b64_e32 v[0:1], v[50:51]
	v_mov_b64_e32 v[2:3], v[52:53]
	;; [unrolled: 1-line block ×9, first 2 shown]
	v_mov_b32_e32 v245, v66
	v_mov_b64_e32 v[18:19], v[68:69]
	v_mov_b64_e32 v[20:21], v[70:71]
	;; [unrolled: 1-line block ×7, first 2 shown]
.LBB33_83:
	s_or_b64 exec, exec, s[2:3]
	v_cmp_eq_u32_e32 vcc, 16, v246
	s_waitcnt lgkmcnt(0)
	s_barrier
	s_and_saveexec_b64 s[2:3], vcc
	s_cbranch_execz .LBB33_86
; %bb.84:
	v_cmp_neq_f32_e32 vcc, 0, v245
	ds_write_b32 v247, v245
	s_and_b64 exec, exec, vcc
	s_cbranch_execz .LBB33_86
; %bb.85:
	v_div_scale_f32 v17, s[4:5], v245, v245, 1.0
	v_rcp_f32_e32 v18, v17
	v_div_scale_f32 v19, vcc, 1.0, v245, 1.0
	v_fma_f32 v20, -v17, v18, 1.0
	v_fmac_f32_e32 v18, v20, v18
	v_mul_f32_e32 v20, v19, v18
	v_fma_f32 v21, -v17, v20, v19
	v_fmac_f32_e32 v20, v21, v18
	v_fma_f32 v17, -v17, v20, v19
	v_div_fmas_f32 v17, v17, v18, v20
	v_div_fixup_f32 v17, v17, v245, 1.0
	ds_write_b32 v247, v17
.LBB33_86:
	s_or_b64 exec, exec, s[2:3]
	s_waitcnt lgkmcnt(0)
	s_barrier
	ds_read_b32 v17, v247
	s_waitcnt lgkmcnt(0)
	s_barrier
	s_and_saveexec_b64 s[36:37], s[0:1]
	s_cbranch_execz .LBB33_89
; %bb.87:
	v_mov_b32_e32 v18, s6
	v_mov_b32_e32 v19, s7
	v_lshl_add_u64 v[18:19], v[250:251], 2, v[18:19]
	global_load_dword v21, v[18:19], off
	scratch_load_dword v20, off, off offset:1136 ; 4-byte Folded Reload
	v_cmp_neq_f32_e64 s[0:1], 0, v249
	v_cmp_eq_f32_e64 s[2:3], 0, v182
	v_cmp_eq_f32_e64 s[4:5], 0, v178
	;; [unrolled: 1-line block ×15, first 2 shown]
	s_waitcnt vmcnt(0)
	v_cmp_eq_f32_e32 vcc, 0, v20
	s_nop 1
	v_cndmask_b32_e64 v20, 0, 1, vcc
	s_or_b64 vcc, s[0:1], vcc
	v_cndmask_b32_e32 v20, 2, v20, vcc
	v_cmp_eq_u32_e32 vcc, 0, v20
	s_and_b64 s[0:1], s[2:3], vcc
	v_cndmask_b32_e64 v20, v20, 3, s[0:1]
	v_cmp_eq_u32_e32 vcc, 0, v20
	s_and_b64 s[0:1], s[4:5], vcc
	v_cndmask_b32_e64 v20, v20, 4, s[0:1]
	;; [unrolled: 3-line block ×15, first 2 shown]
	v_cmp_eq_u32_e32 vcc, 0, v21
	v_cmp_ne_u32_e64 s[0:1], 0, v20
	s_and_b64 s[0:1], vcc, s[0:1]
	s_and_b64 exec, exec, s[0:1]
	s_cbranch_execz .LBB33_89
; %bb.88:
	v_add_u32_e32 v20, s35, v20
	global_store_dword v[18:19], v20, off
.LBB33_89:
	s_or_b64 exec, exec, s[36:37]
	scratch_load_dwordx2 v[18:19], off, off offset:1024 ; 8-byte Folded Reload
	v_mul_f32_e32 v17, v245, v17
	global_store_dword v[242:243], v0, off
	v_cmp_lt_u32_e32 vcc, 16, v246
	s_waitcnt vmcnt(1)
	global_store_dword v[18:19], v1, off
	scratch_load_dwordx2 v[0:1], off, off offset:1032 ; 8-byte Folded Reload
	v_cndmask_b32_e32 v16, v16, v17, vcc
	s_waitcnt vmcnt(0)
	global_store_dword v[0:1], v2, off
	scratch_load_dwordx2 v[0:1], off, off offset:1040 ; 8-byte Folded Reload
	s_waitcnt vmcnt(0)
	global_store_dword v[0:1], v3, off
	scratch_load_dwordx2 v[0:1], off, off offset:1048 ; 8-byte Folded Reload
	;; [unrolled: 3-line block ×12, first 2 shown]
	s_waitcnt vmcnt(0)
	global_store_dword v[0:1], v14, off
	global_store_dword v[252:253], v15, off
	;; [unrolled: 1-line block ×3, first 2 shown]
.LBB33_90:
	s_endpgm
	.section	.rodata,"a",@progbits
	.p2align	6, 0x0
	.amdhsa_kernel _ZN9rocsolver6v33100L23getf2_npvt_small_kernelILi17EfiiPfEEvT1_T3_lS3_lPT2_S3_S3_
		.amdhsa_group_segment_fixed_size 0
		.amdhsa_private_segment_fixed_size 1272
		.amdhsa_kernarg_size 312
		.amdhsa_user_sgpr_count 2
		.amdhsa_user_sgpr_dispatch_ptr 0
		.amdhsa_user_sgpr_queue_ptr 0
		.amdhsa_user_sgpr_kernarg_segment_ptr 1
		.amdhsa_user_sgpr_dispatch_id 0
		.amdhsa_user_sgpr_kernarg_preload_length 0
		.amdhsa_user_sgpr_kernarg_preload_offset 0
		.amdhsa_user_sgpr_private_segment_size 0
		.amdhsa_uses_dynamic_stack 0
		.amdhsa_enable_private_segment 1
		.amdhsa_system_sgpr_workgroup_id_x 1
		.amdhsa_system_sgpr_workgroup_id_y 1
		.amdhsa_system_sgpr_workgroup_id_z 0
		.amdhsa_system_sgpr_workgroup_info 0
		.amdhsa_system_vgpr_workitem_id 1
		.amdhsa_next_free_vgpr 256
		.amdhsa_next_free_sgpr 38
		.amdhsa_accum_offset 256
		.amdhsa_reserve_vcc 1
		.amdhsa_float_round_mode_32 0
		.amdhsa_float_round_mode_16_64 0
		.amdhsa_float_denorm_mode_32 3
		.amdhsa_float_denorm_mode_16_64 3
		.amdhsa_dx10_clamp 1
		.amdhsa_ieee_mode 1
		.amdhsa_fp16_overflow 0
		.amdhsa_tg_split 0
		.amdhsa_exception_fp_ieee_invalid_op 0
		.amdhsa_exception_fp_denorm_src 0
		.amdhsa_exception_fp_ieee_div_zero 0
		.amdhsa_exception_fp_ieee_overflow 0
		.amdhsa_exception_fp_ieee_underflow 0
		.amdhsa_exception_fp_ieee_inexact 0
		.amdhsa_exception_int_div_zero 0
	.end_amdhsa_kernel
	.section	.text._ZN9rocsolver6v33100L23getf2_npvt_small_kernelILi17EfiiPfEEvT1_T3_lS3_lPT2_S3_S3_,"axG",@progbits,_ZN9rocsolver6v33100L23getf2_npvt_small_kernelILi17EfiiPfEEvT1_T3_lS3_lPT2_S3_S3_,comdat
.Lfunc_end33:
	.size	_ZN9rocsolver6v33100L23getf2_npvt_small_kernelILi17EfiiPfEEvT1_T3_lS3_lPT2_S3_S3_, .Lfunc_end33-_ZN9rocsolver6v33100L23getf2_npvt_small_kernelILi17EfiiPfEEvT1_T3_lS3_lPT2_S3_S3_
                                        ; -- End function
	.set _ZN9rocsolver6v33100L23getf2_npvt_small_kernelILi17EfiiPfEEvT1_T3_lS3_lPT2_S3_S3_.num_vgpr, 256
	.set _ZN9rocsolver6v33100L23getf2_npvt_small_kernelILi17EfiiPfEEvT1_T3_lS3_lPT2_S3_S3_.num_agpr, 0
	.set _ZN9rocsolver6v33100L23getf2_npvt_small_kernelILi17EfiiPfEEvT1_T3_lS3_lPT2_S3_S3_.numbered_sgpr, 38
	.set _ZN9rocsolver6v33100L23getf2_npvt_small_kernelILi17EfiiPfEEvT1_T3_lS3_lPT2_S3_S3_.num_named_barrier, 0
	.set _ZN9rocsolver6v33100L23getf2_npvt_small_kernelILi17EfiiPfEEvT1_T3_lS3_lPT2_S3_S3_.private_seg_size, 1272
	.set _ZN9rocsolver6v33100L23getf2_npvt_small_kernelILi17EfiiPfEEvT1_T3_lS3_lPT2_S3_S3_.uses_vcc, 1
	.set _ZN9rocsolver6v33100L23getf2_npvt_small_kernelILi17EfiiPfEEvT1_T3_lS3_lPT2_S3_S3_.uses_flat_scratch, 0
	.set _ZN9rocsolver6v33100L23getf2_npvt_small_kernelILi17EfiiPfEEvT1_T3_lS3_lPT2_S3_S3_.has_dyn_sized_stack, 0
	.set _ZN9rocsolver6v33100L23getf2_npvt_small_kernelILi17EfiiPfEEvT1_T3_lS3_lPT2_S3_S3_.has_recursion, 0
	.set _ZN9rocsolver6v33100L23getf2_npvt_small_kernelILi17EfiiPfEEvT1_T3_lS3_lPT2_S3_S3_.has_indirect_call, 0
	.section	.AMDGPU.csdata,"",@progbits
; Kernel info:
; codeLenInByte = 17532
; TotalNumSgprs: 44
; NumVgprs: 256
; NumAgprs: 0
; TotalNumVgprs: 256
; ScratchSize: 1272
; MemoryBound: 0
; FloatMode: 240
; IeeeMode: 1
; LDSByteSize: 0 bytes/workgroup (compile time only)
; SGPRBlocks: 5
; VGPRBlocks: 31
; NumSGPRsForWavesPerEU: 44
; NumVGPRsForWavesPerEU: 256
; AccumOffset: 256
; Occupancy: 2
; WaveLimiterHint : 0
; COMPUTE_PGM_RSRC2:SCRATCH_EN: 1
; COMPUTE_PGM_RSRC2:USER_SGPR: 2
; COMPUTE_PGM_RSRC2:TRAP_HANDLER: 0
; COMPUTE_PGM_RSRC2:TGID_X_EN: 1
; COMPUTE_PGM_RSRC2:TGID_Y_EN: 1
; COMPUTE_PGM_RSRC2:TGID_Z_EN: 0
; COMPUTE_PGM_RSRC2:TIDIG_COMP_CNT: 1
; COMPUTE_PGM_RSRC3_GFX90A:ACCUM_OFFSET: 63
; COMPUTE_PGM_RSRC3_GFX90A:TG_SPLIT: 0
	.section	.text._ZN9rocsolver6v33100L18getf2_small_kernelILi18EfiiPfEEvT1_T3_lS3_lPS3_llPT2_S3_S3_S5_l,"axG",@progbits,_ZN9rocsolver6v33100L18getf2_small_kernelILi18EfiiPfEEvT1_T3_lS3_lPS3_llPT2_S3_S3_S5_l,comdat
	.globl	_ZN9rocsolver6v33100L18getf2_small_kernelILi18EfiiPfEEvT1_T3_lS3_lPS3_llPT2_S3_S3_S5_l ; -- Begin function _ZN9rocsolver6v33100L18getf2_small_kernelILi18EfiiPfEEvT1_T3_lS3_lPS3_llPT2_S3_S3_S5_l
	.p2align	8
	.type	_ZN9rocsolver6v33100L18getf2_small_kernelILi18EfiiPfEEvT1_T3_lS3_lPS3_llPT2_S3_S3_S5_l,@function
_ZN9rocsolver6v33100L18getf2_small_kernelILi18EfiiPfEEvT1_T3_lS3_lPS3_llPT2_S3_S3_S5_l: ; @_ZN9rocsolver6v33100L18getf2_small_kernelILi18EfiiPfEEvT1_T3_lS3_lPS3_llPT2_S3_S3_S5_l
; %bb.0:
	s_load_dword s2, s[0:1], 0x6c
	s_load_dwordx2 s[14:15], s[0:1], 0x48
	v_bfe_u32 v4, v0, 10, 10
	s_waitcnt lgkmcnt(0)
	s_lshr_b32 s2, s2, 16
	s_mul_i32 s3, s3, s2
	v_add_u32_e32 v204, s3, v4
	v_cmp_gt_i32_e32 vcc, s14, v204
	s_and_saveexec_b64 s[2:3], vcc
	s_cbranch_execz .LBB34_305
; %bb.1:
	s_load_dwordx4 s[4:7], s[0:1], 0x50
	v_ashrrev_i32_e32 v205, 31, v204
	v_mov_b64_e32 v[206:207], 0
	s_waitcnt lgkmcnt(0)
	s_cmp_eq_u64 s[4:5], 0
	s_cselect_b64 s[16:17], -1, 0
	s_and_b64 vcc, exec, s[16:17]
	s_cbranch_vccnz .LBB34_3
; %bb.2:
	v_mul_lo_u32 v1, s7, v204
	v_mul_lo_u32 v5, s6, v205
	v_mad_u64_u32 v[2:3], s[2:3], s6, v204, 0
	v_add3_u32 v3, v3, v5, v1
	v_lshl_add_u64 v[206:207], v[2:3], 2, s[4:5]
.LBB34_3:
	s_load_dwordx4 s[24:27], s[0:1], 0x8
	s_load_dwordx8 s[4:11], s[0:1], 0x20
	s_load_dword s12, s[0:1], 0x18
	s_load_dword s22, s[0:1], 0x0
	s_waitcnt lgkmcnt(0)
	v_mov_b32_e32 v2, s24
	v_mul_lo_u32 v1, s5, v204
	v_mul_lo_u32 v5, s4, v205
	v_mad_u64_u32 v[6:7], s[2:3], s4, v204, 0
	v_mov_b32_e32 v3, s25
	v_add3_u32 v7, v7, v5, v1
	v_lshl_add_u64 v[2:3], v[6:7], 2, v[2:3]
	v_and_b32_e32 v1, 0x3ff, v0
	v_lshl_add_u64 v[202:203], s[26:27], 2, v[2:3]
	v_lshlrev_b32_e32 v2, 2, v1
	v_mov_b32_e32 v3, 0
	v_lshl_add_u64 v[6:7], v[202:203], 0, v[2:3]
	global_load_dword v96, v[6:7], off
	s_max_i32 s2, s22, 18
	s_add_i32 s14, s12, s12
	v_mul_lo_u32 v24, s2, v4
	v_add_u32_e32 v4, s14, v1
	v_add_u32_e32 v8, s12, v4
	v_add_u32_e32 v10, s12, v8
	v_add_u32_e32 v12, s12, v10
	v_add_u32_e32 v14, s12, v12
	s_ashr_i32 s13, s12, 31
	v_ashrrev_i32_e32 v5, 31, v4
	v_add_u32_e32 v16, s12, v14
	v_ashrrev_i32_e32 v9, 31, v8
	v_lshl_add_u64 v[4:5], v[4:5], 2, v[202:203]
	v_ashrrev_i32_e32 v11, 31, v10
	v_lshl_add_u64 v[6:7], s[12:13], 2, v[6:7]
	v_ashrrev_i32_e32 v13, 31, v12
	v_ashrrev_i32_e32 v15, 31, v14
	;; [unrolled: 1-line block ×3, first 2 shown]
	v_lshl_add_u64 v[8:9], v[8:9], 2, v[202:203]
	v_lshl_add_u64 v[10:11], v[10:11], 2, v[202:203]
	;; [unrolled: 1-line block ×5, first 2 shown]
	global_load_dword v213, v[6:7], off
	global_load_dword v180, v[4:5], off
	global_load_dword v201, v[8:9], off
	global_load_dword v60, v[10:11], off
	global_load_dword v67, v[12:13], off
	global_load_dword v230, v[14:15], off
	global_load_dword v25, v[18:19], off
	v_add_u32_e32 v4, s12, v16
	v_add_u32_e32 v6, s12, v4
	v_add_u32_e32 v8, s12, v6
	v_add_u32_e32 v10, s12, v8
	v_add_u32_e32 v12, s12, v10
	v_add_u32_e32 v14, s12, v12
	v_add_u32_e32 v16, s12, v14
	v_add_u32_e32 v18, s12, v16
	v_lshl_add_u32 v244, v24, 2, 0
	v_add_u32_e32 v20, s12, v18
	v_add_u32_e32 v2, v244, v2
	v_ashrrev_i32_e32 v21, 31, v20
	v_add_u32_e32 v22, s12, v20
	v_ashrrev_i32_e32 v5, 31, v4
	v_ashrrev_i32_e32 v7, 31, v6
	;; [unrolled: 1-line block ×8, first 2 shown]
	v_lshl_add_u64 v[20:21], v[20:21], 2, v[202:203]
	v_ashrrev_i32_e32 v23, 31, v22
	v_lshl_add_u64 v[4:5], v[4:5], 2, v[202:203]
	v_lshl_add_u64 v[6:7], v[6:7], 2, v[202:203]
	;; [unrolled: 1-line block ×9, first 2 shown]
	s_load_dwordx2 s[4:5], s[0:1], 0x40
	s_cmp_lt_i32 s22, 2
	v_lshlrev_b32_e32 v247, 2, v24
	s_waitcnt vmcnt(7)
	ds_write_b32 v2, v96
	global_load_dword v211, v[20:21], off
	global_load_dword v209, v[22:23], off
	;; [unrolled: 1-line block ×10, first 2 shown]
	s_waitcnt lgkmcnt(0)
	s_barrier
	ds_read_b32 v2, v244
	s_cbranch_scc1 .LBB34_6
; %bb.4:
	v_add3_u32 v4, v247, 0, 4
	v_mov_b32_e32 v3, 0
	s_mov_b32 s0, 1
.LBB34_5:                               ; =>This Inner Loop Header: Depth=1
	ds_read_b32 v5, v4
	v_mov_b32_e32 v6, s0
	s_add_i32 s0, s0, 1
	v_add_u32_e32 v4, 4, v4
	s_cmp_eq_u32 s22, s0
	s_waitcnt lgkmcnt(0)
	v_cmp_lt_f32_e64 vcc, |v2|, |v5|
	s_nop 1
	v_cndmask_b32_e32 v2, v2, v5, vcc
	v_cndmask_b32_e32 v3, v3, v6, vcc
	s_cbranch_scc0 .LBB34_5
.LBB34_6:
	v_cmp_ne_u32_e32 vcc, v1, v3
                                        ; implicit-def: $vgpr246
	s_and_saveexec_b64 s[0:1], vcc
	s_xor_b64 s[0:1], exec, s[0:1]
	s_cbranch_execz .LBB34_12
; %bb.7:
	v_cmp_eq_u32_e32 vcc, 0, v1
	s_and_saveexec_b64 s[2:3], vcc
	s_cbranch_execz .LBB34_11
; %bb.8:
	v_cmp_ne_u32_e32 vcc, 0, v3
	s_xor_b64 s[18:19], s[16:17], -1
	s_and_b64 s[20:21], s[18:19], vcc
	s_and_saveexec_b64 s[18:19], s[20:21]
	s_cbranch_execz .LBB34_10
; %bb.9:
	v_ashrrev_i32_e32 v5, 31, v3
	v_mov_b32_e32 v4, v3
	v_lshl_add_u64 v[4:5], v[4:5], 2, v[206:207]
	global_load_dword v1, v[4:5], off
	global_load_dword v6, v[206:207], off
	s_waitcnt vmcnt(1)
	global_store_dword v[206:207], v1, off
	s_waitcnt vmcnt(1)
	global_store_dword v[4:5], v6, off
.LBB34_10:
	s_or_b64 exec, exec, s[18:19]
	v_mov_b32_e32 v1, v3
.LBB34_11:
	s_or_b64 exec, exec, s[2:3]
	v_mov_b32_e32 v246, v1
                                        ; implicit-def: $vgpr1
.LBB34_12:
	s_or_saveexec_b64 s[0:1], s[0:1]
	v_mov_b32_e32 v245, v246
	s_xor_b64 exec, exec, s[0:1]
	s_cbranch_execz .LBB34_14
; %bb.13:
	v_mov_b32_e32 v245, v1
	v_mov_b32_e32 v246, 0
	s_waitcnt vmcnt(15)
	ds_write2_b32 v244, v213, v180 offset0:1 offset1:2
	s_waitcnt vmcnt(13)
	ds_write2_b32 v244, v201, v60 offset0:3 offset1:4
	;; [unrolled: 2-line block ×8, first 2 shown]
	ds_write_b32 v244, v209 offset:68
.LBB34_14:
	s_or_b64 exec, exec, s[0:1]
	s_waitcnt lgkmcnt(0)
	v_cmp_eq_f32_e64 s[0:1], 0, v2
	v_cmp_gt_i32_e32 vcc, 1, v246
	s_barrier
	s_and_saveexec_b64 s[2:3], vcc
	s_xor_b64 s[2:3], exec, s[2:3]
; %bb.15:
                                        ; implicit-def: $vgpr2
; %bb.16:
	s_andn2_saveexec_b64 s[2:3], s[2:3]
	s_cbranch_execz .LBB34_18
; %bb.17:
	v_div_scale_f32 v1, s[18:19], v2, v2, 1.0
	v_rcp_f32_e32 v3, v1
	s_waitcnt vmcnt(16)
	v_mov_b32_e32 v4, v213
	s_waitcnt vmcnt(15)
	v_mov_b32_e32 v5, v180
	;; [unrolled: 2-line block ×3, first 2 shown]
	v_fma_f32 v18, -v1, v3, 1.0
	v_fmac_f32_e32 v3, v18, v3
	v_div_scale_f32 v18, vcc, 1.0, v2, 1.0
	v_mul_f32_e32 v19, v18, v3
	v_fma_f32 v20, -v1, v19, v18
	v_fmac_f32_e32 v19, v20, v3
	v_fma_f32 v1, -v1, v19, v18
	v_div_fmas_f32 v1, v1, v3, v19
	v_div_fixup_f32 v1, v1, v2, 1.0
	v_cndmask_b32_e64 v1, v1, v2, s[0:1]
	ds_read2_b32 v[2:3], v244 offset0:1 offset1:2
	ds_read2_b32 v[18:19], v244 offset0:3 offset1:4
	;; [unrolled: 1-line block ×4, first 2 shown]
	s_waitcnt vmcnt(13)
	v_mov_b32_e32 v7, v60
	s_waitcnt vmcnt(12)
	v_mov_b32_e32 v8, v67
	s_waitcnt vmcnt(11)
	v_mov_b32_e32 v9, v230
	s_waitcnt vmcnt(10)
	v_mov_b32_e32 v10, v25
	s_waitcnt vmcnt(7)
	v_mov_b32_e32 v11, v54
	v_mul_f32_e32 v96, v96, v1
	s_waitcnt lgkmcnt(3)
	v_pk_fma_f32 v[2:3], v[96:97], v[2:3], v[4:5] op_sel_hi:[0,1,1] neg_lo:[1,0,0] neg_hi:[1,0,0]
	s_waitcnt lgkmcnt(2)
	v_pk_fma_f32 v[4:5], v[96:97], v[18:19], v[6:7] op_sel_hi:[0,1,1] neg_lo:[1,0,0] neg_hi:[1,0,0]
	;; [unrolled: 2-line block ×4, first 2 shown]
	ds_read2_b32 v[10:11], v244 offset0:9 offset1:10
	ds_read2_b32 v[18:19], v244 offset0:11 offset1:12
	;; [unrolled: 1-line block ×4, first 2 shown]
	ds_read_b32 v1, v244 offset:68
	s_waitcnt vmcnt(6)
	v_mov_b32_e32 v12, v223
	s_waitcnt vmcnt(5)
	v_mov_b32_e32 v13, v156
	;; [unrolled: 2-line block ×7, first 2 shown]
	s_waitcnt lgkmcnt(4)
	v_pk_fma_f32 v[10:11], v[96:97], v[10:11], v[12:13] op_sel_hi:[0,1,1] neg_lo:[1,0,0] neg_hi:[1,0,0]
	s_waitcnt lgkmcnt(3)
	v_pk_fma_f32 v[12:13], v[96:97], v[18:19], v[14:15] op_sel_hi:[0,1,1] neg_lo:[1,0,0] neg_hi:[1,0,0]
	;; [unrolled: 2-line block ×4, first 2 shown]
	s_waitcnt lgkmcnt(0)
	v_fma_f32 v209, -v96, v1, v209
	v_mov_b32_e32 v213, v2
	v_mov_b32_e32 v180, v3
	;; [unrolled: 1-line block ×15, first 2 shown]
.LBB34_18:
	s_or_b64 exec, exec, s[2:3]
	v_lshl_add_u32 v1, v246, 2, v244
	s_barrier
	s_waitcnt vmcnt(16)
	ds_write_b32 v1, v213
	s_waitcnt lgkmcnt(0)
	s_barrier
	ds_read_b32 v208, v244 offset:4
	s_mov_b32 s2, 2
	s_cmp_lt_i32 s22, 3
	v_mov_b32_e32 v2, 1
	s_cbranch_scc1 .LBB34_21
; %bb.19:
	v_add3_u32 v1, v247, 0, 8
	v_mov_b32_e32 v2, 1
.LBB34_20:                              ; =>This Inner Loop Header: Depth=1
	ds_read_b32 v3, v1
	v_mov_b32_e32 v4, s2
	s_add_i32 s2, s2, 1
	v_add_u32_e32 v1, 4, v1
	s_cmp_lg_u32 s22, s2
	s_waitcnt lgkmcnt(0)
	v_cmp_lt_f32_e64 vcc, |v208|, |v3|
	s_nop 1
	v_cndmask_b32_e32 v208, v208, v3, vcc
	v_cndmask_b32_e32 v2, v2, v4, vcc
	s_cbranch_scc1 .LBB34_20
.LBB34_21:
	v_cmp_ne_u32_e32 vcc, v246, v2
	s_and_saveexec_b64 s[2:3], vcc
	s_xor_b64 s[2:3], exec, s[2:3]
	s_cbranch_execz .LBB34_27
; %bb.22:
	v_cmp_eq_u32_e32 vcc, 1, v246
	s_and_saveexec_b64 s[18:19], vcc
	s_cbranch_execz .LBB34_26
; %bb.23:
	v_cmp_ne_u32_e32 vcc, 1, v2
	s_xor_b64 s[20:21], s[16:17], -1
	s_and_b64 s[24:25], s[20:21], vcc
	s_and_saveexec_b64 s[20:21], s[24:25]
	s_cbranch_execz .LBB34_25
; %bb.24:
	v_ashrrev_i32_e32 v3, 31, v2
	v_lshl_add_u64 v[4:5], v[2:3], 2, v[206:207]
	global_load_dword v1, v[4:5], off
	global_load_dword v3, v[206:207], off offset:4
	s_waitcnt vmcnt(1)
	global_store_dword v[206:207], v1, off offset:4
	s_waitcnt vmcnt(1)
	global_store_dword v[4:5], v3, off
.LBB34_25:
	s_or_b64 exec, exec, s[20:21]
	v_mov_b32_e32 v245, v2
	v_mov_b32_e32 v246, v2
.LBB34_26:
	s_or_b64 exec, exec, s[18:19]
.LBB34_27:
	s_or_saveexec_b64 s[2:3], s[2:3]
	v_mov_b32_e32 v97, v213
	s_waitcnt vmcnt(15)
	v_mov_b32_e32 v98, v180
	s_waitcnt vmcnt(14)
	v_mov_b32_e32 v99, v201
	s_waitcnt vmcnt(13)
	v_mov_b32_e32 v100, v60
	s_waitcnt vmcnt(12)
	v_mov_b32_e32 v101, v67
	s_waitcnt vmcnt(11)
	v_mov_b32_e32 v102, v230
	s_waitcnt vmcnt(10)
	v_mov_b32_e32 v7, v25
	v_mov_b32_e32 v103, v25
	s_waitcnt vmcnt(7)
	v_mov_b32_e32 v104, v54
	s_waitcnt vmcnt(6)
	;; [unrolled: 2-line block ×8, first 2 shown]
	v_mov_b32_e32 v111, v129
	v_mov_b32_e32 v112, v211
	;; [unrolled: 1-line block ×3, first 2 shown]
	s_xor_b64 exec, exec, s[2:3]
	s_cbranch_execz .LBB34_29
; %bb.28:
	v_mov_b32_e32 v246, 1
	ds_write2_b32 v244, v180, v201 offset0:2 offset1:3
	ds_write2_b32 v244, v60, v67 offset0:4 offset1:5
	;; [unrolled: 1-line block ×8, first 2 shown]
.LBB34_29:
	s_or_b64 exec, exec, s[2:3]
	v_mov_b32_e32 v56, v96
	v_mov_b32_e32 v57, v213
	;; [unrolled: 1-line block ×62, first 2 shown]
	v_mov_b64_e32 v[144:145], v[66:67]
	v_mov_b64_e32 v[92:93], v[42:43]
	v_mov_b32_e32 v137, v53
	v_mov_b32_e32 v136, v52
	;; [unrolled: 1-line block ×8, first 2 shown]
	v_mov_b64_e32 v[60:61], v[24:25]
	v_mov_b32_e32 v212, v96
	v_mov_b32_e32 v198, v96
	;; [unrolled: 1-line block ×17, first 2 shown]
	v_mov_b64_e32 v[142:143], v[64:65]
	v_mov_b64_e32 v[140:141], v[62:63]
	;; [unrolled: 1-line block ×13, first 2 shown]
	v_mov_b32_e32 v62, v26
	s_waitcnt lgkmcnt(0)
	v_mov_b64_e32 v[18:19], v[182:183]
	v_mov_b32_e32 v178, v96
	v_mov_b32_e32 v179, v213
	;; [unrolled: 1-line block ×11, first 2 shown]
	v_mov_b64_e32 v[20:21], v[184:185]
	v_mov_b64_e32 v[22:23], v[186:187]
	;; [unrolled: 1-line block ×15, first 2 shown]
	v_mov_b32_e32 v183, v169
	v_mov_b32_e32 v224, v96
	;; [unrolled: 1-line block ×12, first 2 shown]
	s_barrier
	v_mov_b32_e32 v47, v95
	scratch_store_dwordx4 off, v[82:85], off ; 16-byte Folded Spill
	s_nop 0
	scratch_store_dwordx4 off, v[86:89], off offset:16 ; 16-byte Folded Spill
	scratch_store_dwordx4 off, v[90:93], off offset:32 ; 16-byte Folded Spill
	;; [unrolled: 1-line block ×8, first 2 shown]
	s_nop 0
	scratch_store_dwordx4 off, v[162:165], off offset:912 ; 16-byte Folded Spill
	scratch_store_dwordx4 off, v[166:169], off offset:928 ; 16-byte Folded Spill
	;; [unrolled: 1-line block ×7, first 2 shown]
	v_mov_b32_e32 v225, v213
	v_mov_b32_e32 v227, v201
	;; [unrolled: 1-line block ×21, first 2 shown]
	v_mov_b64_e32 v[64:65], v[140:141]
	v_mov_b32_e32 v185, v223
	scratch_store_dwordx4 off, v[214:217], off offset:128 ; 16-byte Folded Spill
	s_nop 0
	scratch_store_dwordx4 off, v[218:221], off offset:144 ; 16-byte Folded Spill
	scratch_store_dwordx4 off, v[222:225], off offset:160 ; 16-byte Folded Spill
	;; [unrolled: 1-line block ×7, first 2 shown]
	v_mov_b32_e32 v121, v7
	v_mov_b32_e32 v124, v156
	v_mov_b64_e32 v[66:67], v[142:143]
	v_mov_b64_e32 v[68:69], v[144:145]
	v_mov_b32_e32 v48, v156
	v_mov_b32_e32 v184, v138
	scratch_store_dwordx4 off, v[130:133], off offset:256 ; 16-byte Folded Spill
	s_nop 0
	scratch_store_dwordx4 off, v[134:137], off offset:272 ; 16-byte Folded Spill
	scratch_store_dwordx4 off, v[138:141], off offset:288 ; 16-byte Folded Spill
	;; [unrolled: 1-line block ×7, first 2 shown]
	v_mov_b32_e32 v187, v7
	scratch_store_dwordx4 off, v[0:3], off offset:384 ; 16-byte Folded Spill
	s_nop 0
	scratch_store_dwordx4 off, v[4:7], off offset:400 ; 16-byte Folded Spill
	scratch_store_dwordx4 off, v[8:11], off offset:416 ; 16-byte Folded Spill
	;; [unrolled: 1-line block ×7, first 2 shown]
	v_mov_b32_e32 v115, v213
	v_mov_b32_e32 v117, v201
	;; [unrolled: 1-line block ×3, first 2 shown]
	v_cmp_neq_f32_e64 s[2:3], 0, v208
	v_cmp_lt_i32_e32 vcc, 1, v246
	v_mov_b32_e32 v46, v62
	v_mov_b32_e32 v186, v230
	scratch_store_dwordx4 off, v[224:227], off offset:512 ; 16-byte Folded Spill
	s_nop 0
	scratch_store_dwordx4 off, v[228:231], off offset:528 ; 16-byte Folded Spill
	scratch_store_dwordx4 off, v[232:235], off offset:544 ; 16-byte Folded Spill
	scratch_store_dwordx4 off, v[236:239], off offset:560 ; 16-byte Folded Spill
	scratch_store_dwordx4 off, v[240:243], off offset:576 ; 16-byte Folded Spill
	scratch_store_dwordx4 off, v[244:247], off offset:592 ; 16-byte Folded Spill
	scratch_store_dwordx4 off, v[248:251], off offset:608 ; 16-byte Folded Spill
	scratch_store_dwordx4 off, v[252:255], off offset:624 ; 16-byte Folded Spill
	scratch_store_dwordx4 off, v[64:67], off offset:640 ; 16-byte Folded Spill
	s_nop 0
	scratch_store_dwordx4 off, v[68:71], off offset:656 ; 16-byte Folded Spill
	scratch_store_dwordx4 off, v[72:75], off offset:672 ; 16-byte Folded Spill
	scratch_store_dwordx4 off, v[76:79], off offset:688 ; 16-byte Folded Spill
	scratch_store_dwordx4 off, v[80:83], off offset:704 ; 16-byte Folded Spill
	scratch_store_dwordx4 off, v[84:87], off offset:720 ; 16-byte Folded Spill
	scratch_store_dwordx4 off, v[88:91], off offset:736 ; 16-byte Folded Spill
	scratch_store_dwordx4 off, v[92:95], off offset:752 ; 16-byte Folded Spill
	;; [unrolled: 9-line block ×5, first 2 shown]
	s_and_saveexec_b64 s[18:19], vcc
	s_cbranch_execz .LBB34_31
; %bb.30:
	v_div_scale_f32 v1, s[20:21], v208, v208, 1.0
	v_rcp_f32_e32 v2, v1
	v_mov_b32_e32 v181, v201
	v_mov_b32_e32 v13, v69
	;; [unrolled: 1-line block ×3, first 2 shown]
	v_fma_f32 v3, -v1, v2, 1.0
	v_fmac_f32_e32 v2, v3, v2
	v_div_scale_f32 v3, vcc, 1.0, v208, 1.0
	v_mul_f32_e32 v4, v3, v2
	v_fma_f32 v5, -v1, v4, v3
	v_fmac_f32_e32 v4, v5, v2
	v_fma_f32 v1, -v1, v4, v3
	v_div_fmas_f32 v1, v1, v2, v4
	v_div_fixup_f32 v1, v1, v208, 1.0
	ds_read2_b32 v[2:3], v244 offset0:2 offset1:3
	ds_read2_b32 v[4:5], v244 offset0:4 offset1:5
	;; [unrolled: 1-line block ×4, first 2 shown]
	v_cndmask_b32_e64 v1, v208, v1, s[2:3]
	v_mul_f32_e32 v16, v213, v1
	s_waitcnt lgkmcnt(3)
	v_pk_fma_f32 v[180:181], v[16:17], v[2:3], v[180:181] op_sel_hi:[0,1,1] neg_lo:[1,0,0] neg_hi:[1,0,0]
	v_mov_b32_e32 v97, v16
	v_mov_b64_e32 v[242:243], v[126:127]
	v_mov_b64_e32 v[240:241], v[124:125]
	;; [unrolled: 1-line block ×16, first 2 shown]
	v_mov_b32_e32 v98, v180
	s_waitcnt lgkmcnt(2)
	v_pk_fma_f32 v[12:13], v[16:17], v[4:5], v[12:13] op_sel_hi:[0,1,1] neg_lo:[1,0,0] neg_hi:[1,0,0]
	s_waitcnt lgkmcnt(1)
	v_pk_fma_f32 v[186:187], v[16:17], v[6:7], v[186:187] op_sel_hi:[0,1,1] neg_lo:[1,0,0] neg_hi:[1,0,0]
	;; [unrolled: 2-line block ×3, first 2 shown]
	ds_read2_b32 v[2:3], v244 offset0:10 offset1:11
	ds_read2_b32 v[4:5], v244 offset0:12 offset1:13
	;; [unrolled: 1-line block ×4, first 2 shown]
	scratch_store_dwordx4 off, v[96:99], off offset:1152 ; 16-byte Folded Spill
	s_nop 0
	scratch_store_dwordx4 off, v[100:103], off offset:1168 ; 16-byte Folded Spill
	scratch_store_dwordx4 off, v[104:107], off offset:1184 ; 16-byte Folded Spill
	;; [unrolled: 1-line block ×7, first 2 shown]
	v_mov_b32_e32 v99, v181
	s_waitcnt lgkmcnt(3)
	v_pk_fma_f32 v[182:183], v[16:17], v[2:3], v[182:183] op_sel_hi:[0,1,1] neg_lo:[1,0,0] neg_hi:[1,0,0]
	v_mov_b32_e32 v178, v46
	v_mov_b32_e32 v179, v47
	s_waitcnt lgkmcnt(2)
	v_pk_fma_f32 v[178:179], v[16:17], v[4:5], v[178:179] op_sel_hi:[0,1,1] neg_lo:[1,0,0] neg_hi:[1,0,0]
	s_waitcnt lgkmcnt(1)
	v_pk_fma_f32 v[196:197], v[16:17], v[6:7], v[196:197] op_sel_hi:[0,1,1] neg_lo:[1,0,0] neg_hi:[1,0,0]
	v_mov_b32_e32 v208, v211
	s_waitcnt lgkmcnt(0)
	v_pk_fma_f32 v[208:209], v[16:17], v[8:9], v[208:209] op_sel_hi:[0,1,1] neg_lo:[1,0,0] neg_hi:[1,0,0]
	v_mov_b32_e32 v211, v208
	v_mov_b32_e32 v201, v181
	scratch_store_dwordx4 off, v[96:99], off offset:1024 ; 16-byte Folded Spill
	s_nop 0
	scratch_store_dwordx4 off, v[100:103], off offset:1040 ; 16-byte Folded Spill
	scratch_store_dwordx4 off, v[104:107], off offset:1056 ; 16-byte Folded Spill
	scratch_store_dwordx4 off, v[108:111], off offset:1072 ; 16-byte Folded Spill
	scratch_store_dwordx4 off, v[112:115], off offset:1088 ; 16-byte Folded Spill
	scratch_store_dwordx4 off, v[116:119], off offset:1104 ; 16-byte Folded Spill
	scratch_store_dwordx4 off, v[120:123], off offset:1120 ; 16-byte Folded Spill
	scratch_store_dwordx4 off, v[124:127], off offset:1136 ; 16-byte Folded Spill
	v_mov_b32_e32 v100, v12
	scratch_store_dwordx4 off, v[96:99], off offset:768 ; 16-byte Folded Spill
	s_nop 0
	scratch_store_dwordx4 off, v[100:103], off offset:784 ; 16-byte Folded Spill
	scratch_store_dwordx4 off, v[104:107], off offset:800 ; 16-byte Folded Spill
	scratch_store_dwordx4 off, v[108:111], off offset:816 ; 16-byte Folded Spill
	scratch_store_dwordx4 off, v[112:115], off offset:832 ; 16-byte Folded Spill
	scratch_store_dwordx4 off, v[116:119], off offset:848 ; 16-byte Folded Spill
	scratch_store_dwordx4 off, v[120:123], off offset:864 ; 16-byte Folded Spill
	scratch_store_dwordx4 off, v[124:127], off offset:880 ; 16-byte Folded Spill
	;; [unrolled: 10-line block ×7, first 2 shown]
	v_mov_b32_e32 v106, v182
	v_mov_b64_e32 v[176:177], v[126:127]
	v_mov_b64_e32 v[174:175], v[124:125]
	;; [unrolled: 1-line block ×16, first 2 shown]
	v_mov_b32_e32 v107, v183
	scratch_store_dwordx4 off, v[96:99], off offset:896 ; 16-byte Folded Spill
	s_nop 0
	scratch_store_dwordx4 off, v[100:103], off offset:912 ; 16-byte Folded Spill
	scratch_store_dwordx4 off, v[104:107], off offset:928 ; 16-byte Folded Spill
	;; [unrolled: 1-line block ×7, first 2 shown]
	v_mov_b32_e32 v108, v178
	v_mov_b64_e32 v[50:51], v[96:97]
	v_mov_b64_e32 v[52:53], v[98:99]
	;; [unrolled: 1-line block ×16, first 2 shown]
	v_mov_b32_e32 v109, v179
	scratch_store_dwordx4 off, v[96:99], off ; 16-byte Folded Spill
	s_nop 0
	scratch_store_dwordx4 off, v[100:103], off offset:16 ; 16-byte Folded Spill
	scratch_store_dwordx4 off, v[104:107], off offset:32 ; 16-byte Folded Spill
	scratch_store_dwordx4 off, v[108:111], off offset:48 ; 16-byte Folded Spill
	scratch_store_dwordx4 off, v[112:115], off offset:64 ; 16-byte Folded Spill
	scratch_store_dwordx4 off, v[116:119], off offset:80 ; 16-byte Folded Spill
	scratch_store_dwordx4 off, v[120:123], off offset:96 ; 16-byte Folded Spill
	scratch_store_dwordx4 off, v[124:127], off offset:112 ; 16-byte Folded Spill
	v_mov_b32_e32 v110, v196
	v_mov_b32_e32 v69, v13
	v_mov_b64_e32 v[18:19], v[96:97]
	v_mov_b64_e32 v[20:21], v[98:99]
	;; [unrolled: 1-line block ×16, first 2 shown]
	v_mov_b32_e32 v111, v197
	v_mov_b64_e32 v[144:145], v[126:127]
	v_mov_b64_e32 v[142:143], v[124:125]
	;; [unrolled: 1-line block ×16, first 2 shown]
	v_mov_b32_e32 v112, v208
	v_mov_b32_e32 v113, v209
	;; [unrolled: 1-line block ×5, first 2 shown]
.LBB34_31:
	s_or_b64 exec, exec, s[18:19]
	v_lshl_add_u32 v33, v246, 2, v244
	s_waitcnt vmcnt(63) expcnt(7) lgkmcnt(15)
	s_barrier
	ds_write_b32 v33, v180
	s_waitcnt lgkmcnt(0)
	s_barrier
	ds_read_b32 v33, v244 offset:8
	s_cmp_lt_i32 s22, 4
	v_mov_b32_e32 v34, 2
	s_cbranch_scc1 .LBB34_34
; %bb.32:
	v_mov_b32_e32 v34, 2
	v_add3_u32 v35, v247, 0, 12
	s_mov_b32 s18, 3
.LBB34_33:                              ; =>This Inner Loop Header: Depth=1
	ds_read_b32 v36, v35
	v_mov_b32_e32 v37, s18
	s_add_i32 s18, s18, 1
	v_add_u32_e32 v35, 4, v35
	s_cmp_lg_u32 s22, s18
	s_waitcnt lgkmcnt(0)
	v_cmp_lt_f32_e64 vcc, |v33|, |v36|
	s_nop 1
	v_cndmask_b32_e32 v33, v33, v36, vcc
	v_cndmask_b32_e32 v34, v34, v37, vcc
	s_cbranch_scc1 .LBB34_33
.LBB34_34:
	v_cndmask_b32_e64 v35, 2, 1, s[0:1]
	v_cndmask_b32_e64 v36, 0, 1, s[0:1]
	v_cndmask_b32_e64 v178, v35, v36, s[2:3]
	s_waitcnt lgkmcnt(0)
	v_cmp_eq_f32_e32 vcc, 0, v33
	s_and_saveexec_b64 s[0:1], vcc
	s_xor_b64 s[0:1], exec, s[0:1]
; %bb.35:
	v_cmp_ne_u32_e32 vcc, 0, v178
	s_nop 1
	v_cndmask_b32_e32 v178, 3, v178, vcc
; %bb.36:
	s_andn2_saveexec_b64 s[0:1], s[0:1]
	s_cbranch_execz .LBB34_38
; %bb.37:
	v_div_scale_f32 v35, s[2:3], v33, v33, 1.0
	v_rcp_f32_e32 v36, v35
	v_div_scale_f32 v37, vcc, 1.0, v33, 1.0
	v_fma_f32 v38, -v35, v36, 1.0
	v_fmac_f32_e32 v36, v38, v36
	v_mul_f32_e32 v38, v37, v36
	v_fma_f32 v39, -v35, v38, v37
	v_fmac_f32_e32 v38, v39, v36
	v_fma_f32 v35, -v35, v38, v37
	v_div_fmas_f32 v35, v35, v36, v38
	v_div_fixup_f32 v33, v35, v33, 1.0
.LBB34_38:
	s_or_b64 exec, exec, s[0:1]
	v_cmp_ne_u32_e32 vcc, v246, v34
	s_and_saveexec_b64 s[0:1], vcc
	s_xor_b64 s[0:1], exec, s[0:1]
	s_cbranch_execz .LBB34_44
; %bb.39:
	v_cmp_eq_u32_e32 vcc, 2, v246
	s_and_saveexec_b64 s[2:3], vcc
	s_cbranch_execz .LBB34_43
; %bb.40:
	v_cmp_ne_u32_e32 vcc, 2, v34
	s_xor_b64 s[18:19], s[16:17], -1
	s_and_b64 s[20:21], s[18:19], vcc
	s_and_saveexec_b64 s[18:19], s[20:21]
	s_cbranch_execz .LBB34_42
; %bb.41:
	v_ashrrev_i32_e32 v35, 31, v34
	v_lshl_add_u64 v[36:37], v[34:35], 2, v[206:207]
	global_load_dword v35, v[36:37], off
	global_load_dword v38, v[206:207], off offset:8
	s_waitcnt vmcnt(1)
	global_store_dword v[206:207], v35, off offset:8
	s_waitcnt vmcnt(1)
	global_store_dword v[36:37], v38, off
.LBB34_42:
	s_or_b64 exec, exec, s[18:19]
	v_mov_b32_e32 v245, v34
	v_mov_b32_e32 v246, v34
.LBB34_43:
	s_or_b64 exec, exec, s[2:3]
.LBB34_44:
	s_andn2_saveexec_b64 s[0:1], s[0:1]
	s_cbranch_execz .LBB34_46
; %bb.45:
	v_mov_b32_e32 v246, 2
	ds_write2_b32 v244, v99, v100 offset0:3 offset1:4
	ds_write2_b32 v244, v101, v102 offset0:5 offset1:6
	;; [unrolled: 1-line block ×7, first 2 shown]
	ds_write_b32 v244, v209 offset:68
.LBB34_46:
	s_or_b64 exec, exec, s[0:1]
	v_cmp_lt_i32_e32 vcc, 2, v246
	s_waitcnt lgkmcnt(0)
	s_barrier
	s_and_saveexec_b64 s[0:1], vcc
	s_cbranch_execz .LBB34_48
; %bb.47:
	ds_read2_b32 v[0:1], v244 offset0:3 offset1:4
	ds_read2_b32 v[18:19], v244 offset0:5 offset1:6
	;; [unrolled: 1-line block ×4, first 2 shown]
	v_mul_f32_e32 v214, v180, v33
	v_mov_b32_e32 v2, v99
	v_mov_b32_e32 v3, v100
	s_waitcnt lgkmcnt(3)
	v_pk_fma_f32 v[34:35], v[214:215], v[0:1], v[2:3] op_sel_hi:[0,1,1] neg_lo:[1,0,0] neg_hi:[1,0,0]
	v_mov_b32_e32 v0, v101
	v_mov_b32_e32 v1, v102
	s_waitcnt lgkmcnt(2)
	v_pk_fma_f32 v[36:37], v[214:215], v[18:19], v[0:1] op_sel_hi:[0,1,1] neg_lo:[1,0,0] neg_hi:[1,0,0]
	;; [unrolled: 4-line block ×4, first 2 shown]
	ds_read2_b32 v[0:1], v244 offset0:11 offset1:12
	ds_read2_b32 v[4:5], v244 offset0:13 offset1:14
	;; [unrolled: 1-line block ×3, first 2 shown]
	ds_read_b32 v8, v244 offset:68
	v_mov_b32_e32 v2, v107
	v_mov_b32_e32 v3, v108
	;; [unrolled: 1-line block ×3, first 2 shown]
	s_waitcnt lgkmcnt(3)
	v_pk_fma_f32 v[42:43], v[214:215], v[0:1], v[2:3] op_sel_hi:[0,1,1] neg_lo:[1,0,0] neg_hi:[1,0,0]
	v_mov_b32_e32 v0, v109
	v_mov_b32_e32 v1, v110
	s_waitcnt lgkmcnt(2)
	v_pk_fma_f32 v[44:45], v[214:215], v[4:5], v[0:1] op_sel_hi:[0,1,1] neg_lo:[1,0,0] neg_hi:[1,0,0]
	v_mov_b32_e32 v0, v111
	v_mov_b32_e32 v1, v112
	;; [unrolled: 4-line block ×3, first 2 shown]
	v_mov_b32_e32 v2, v214
	v_mov_b32_e32 v3, v34
	v_mov_b32_e32 v4, v35
	scratch_store_dwordx4 off, v[0:3], off offset:768 ; 16-byte Folded Spill
	s_nop 0
	scratch_store_dwordx4 off, v[4:7], off offset:784 ; 16-byte Folded Spill
	s_waitcnt lgkmcnt(0)
	scratch_store_dwordx4 off, v[8:11], off offset:800 ; 16-byte Folded Spill
	scratch_store_dwordx4 off, v[12:15], off offset:816 ; 16-byte Folded Spill
	;; [unrolled: 1-line block ×6, first 2 shown]
	v_mov_b32_e32 v5, v36
	v_mov_b32_e32 v215, v34
	;; [unrolled: 1-line block ×31, first 2 shown]
	scratch_store_dwordx4 off, v[0:3], off offset:640 ; 16-byte Folded Spill
	s_nop 0
	scratch_store_dwordx4 off, v[4:7], off offset:656 ; 16-byte Folded Spill
	scratch_store_dwordx4 off, v[8:11], off offset:672 ; 16-byte Folded Spill
	scratch_store_dwordx4 off, v[12:15], off offset:688 ; 16-byte Folded Spill
	scratch_store_dwordx4 off, v[16:19], off offset:704 ; 16-byte Folded Spill
	scratch_store_dwordx4 off, v[20:23], off offset:720 ; 16-byte Folded Spill
	scratch_store_dwordx4 off, v[24:27], off offset:736 ; 16-byte Folded Spill
	scratch_store_dwordx4 off, v[28:31], off offset:752 ; 16-byte Folded Spill
	v_mov_b32_e32 v6, v37
	scratch_store_dwordx4 off, v[0:3], off offset:512 ; 16-byte Folded Spill
	s_nop 0
	scratch_store_dwordx4 off, v[4:7], off offset:528 ; 16-byte Folded Spill
	scratch_store_dwordx4 off, v[8:11], off offset:544 ; 16-byte Folded Spill
	scratch_store_dwordx4 off, v[12:15], off offset:560 ; 16-byte Folded Spill
	scratch_store_dwordx4 off, v[16:19], off offset:576 ; 16-byte Folded Spill
	scratch_store_dwordx4 off, v[20:23], off offset:592 ; 16-byte Folded Spill
	scratch_store_dwordx4 off, v[24:27], off offset:608 ; 16-byte Folded Spill
	scratch_store_dwordx4 off, v[28:31], off offset:624 ; 16-byte Folded Spill
	v_mov_b32_e32 v7, v38
	;; [unrolled: 10-line block ×3, first 2 shown]
	v_mov_b32_e32 v11, v213
	v_mov_b32_e32 v12, v214
	;; [unrolled: 1-line block ×8, first 2 shown]
	scratch_store_dwordx4 off, v[10:13], off offset:256 ; 16-byte Folded Spill
	s_nop 0
	scratch_store_dwordx4 off, v[14:17], off offset:272 ; 16-byte Folded Spill
	scratch_store_dwordx4 off, v[18:21], off offset:288 ; 16-byte Folded Spill
	;; [unrolled: 1-line block ×7, first 2 shown]
	v_fma_f32 v113, -v214, v8, v209
	v_mov_b32_e32 v209, v113
	v_mov_b32_e32 v19, v40
	scratch_store_dwordx4 off, v[10:13], off offset:128 ; 16-byte Folded Spill
	s_nop 0
	scratch_store_dwordx4 off, v[14:17], off offset:144 ; 16-byte Folded Spill
	scratch_store_dwordx4 off, v[18:21], off offset:160 ; 16-byte Folded Spill
	;; [unrolled: 1-line block ×7, first 2 shown]
	v_mov_b32_e32 v21, v42
	v_mov_b32_e32 v20, v41
	;; [unrolled: 1-line block ×10, first 2 shown]
	scratch_store_dwordx4 off, v[10:13], off offset:896 ; 16-byte Folded Spill
	s_nop 0
	scratch_store_dwordx4 off, v[14:17], off offset:912 ; 16-byte Folded Spill
	scratch_store_dwordx4 off, v[18:21], off offset:928 ; 16-byte Folded Spill
	;; [unrolled: 1-line block ×7, first 2 shown]
	v_mov_b32_e32 v22, v43
	v_mov_b32_e32 v23, v44
	;; [unrolled: 1-line block ×10, first 2 shown]
	scratch_store_dwordx4 off, v[10:13], off ; 16-byte Folded Spill
	s_nop 0
	scratch_store_dwordx4 off, v[14:17], off offset:16 ; 16-byte Folded Spill
	scratch_store_dwordx4 off, v[18:21], off offset:32 ; 16-byte Folded Spill
	;; [unrolled: 1-line block ×7, first 2 shown]
	v_mov_b32_e32 v18, v212
	v_mov_b32_e32 v19, v213
	v_mov_b32_e32 v20, v214
	v_mov_b32_e32 v29, v42
	v_mov_b32_e32 v30, v43
	v_mov_b32_e32 v31, v44
	v_mov_b32_e32 v32, v45
	scratch_store_dwordx4 off, v[212:215], off offset:1024 ; 16-byte Folded Spill
	s_nop 0
	scratch_store_dwordx4 off, v[216:219], off offset:1040 ; 16-byte Folded Spill
	scratch_store_dwordx4 off, v[220:223], off offset:1056 ; 16-byte Folded Spill
	;; [unrolled: 1-line block ×8, first 2 shown]
	s_nop 0
	scratch_store_dwordx4 off, v[216:219], off offset:1168 ; 16-byte Folded Spill
	scratch_store_dwordx4 off, v[220:223], off offset:1184 ; 16-byte Folded Spill
	;; [unrolled: 1-line block ×7, first 2 shown]
	v_mov_b32_e32 v21, v34
	v_mov_b32_e32 v22, v35
	;; [unrolled: 1-line block ×32, first 2 shown]
.LBB34_48:
	s_or_b64 exec, exec, s[0:1]
	v_lshl_add_u32 v33, v246, 2, v244
	s_waitcnt vmcnt(63) expcnt(7) lgkmcnt(15)
	s_barrier
	ds_write_b32 v33, v201
	s_waitcnt lgkmcnt(0)
	s_barrier
	ds_read_b32 v33, v244 offset:12
	s_cmp_lt_i32 s22, 5
	v_mov_b32_e32 v34, 3
	s_cbranch_scc1 .LBB34_306
; %bb.49:
	scratch_load_dwordx4 v[212:215], off, off offset:896 ; 16-byte Folded Reload
	scratch_load_dwordx4 v[216:219], off, off offset:912 ; 16-byte Folded Reload
	scratch_load_dwordx4 v[220:223], off, off offset:928 ; 16-byte Folded Reload
	scratch_load_dwordx4 v[224:227], off, off offset:944 ; 16-byte Folded Reload
	scratch_load_dwordx4 v[228:231], off, off offset:960 ; 16-byte Folded Reload
	scratch_load_dwordx4 v[232:235], off, off offset:976 ; 16-byte Folded Reload
	scratch_load_dwordx4 v[236:239], off, off offset:992 ; 16-byte Folded Reload
	scratch_load_dwordx4 v[240:243], off, off offset:1008 ; 16-byte Folded Reload
	v_add3_u32 v35, v247, 0, 16
	v_mov_b32_e32 v34, 3
	s_mov_b32 s0, 4
.LBB34_50:                              ; =>This Inner Loop Header: Depth=1
	ds_read_b32 v36, v35
	v_mov_b32_e32 v37, s0
	s_add_i32 s0, s0, 1
	v_add_u32_e32 v35, 4, v35
	s_cmp_lg_u32 s22, s0
	s_waitcnt lgkmcnt(0)
	v_cmp_lt_f32_e64 vcc, |v33|, |v36|
	s_nop 1
	v_cndmask_b32_e32 v33, v33, v36, vcc
	v_cndmask_b32_e32 v34, v34, v37, vcc
	s_cbranch_scc1 .LBB34_50
; %bb.51:
	v_cmp_eq_f32_e32 vcc, 0, v33
	s_and_saveexec_b64 s[0:1], vcc
	s_xor_b64 s[0:1], exec, s[0:1]
.LBB34_52:
	v_cmp_ne_u32_e32 vcc, 0, v178
	s_nop 1
	v_cndmask_b32_e32 v178, 4, v178, vcc
.LBB34_53:
	s_andn2_saveexec_b64 s[0:1], s[0:1]
	s_cbranch_execz .LBB34_55
; %bb.54:
	v_div_scale_f32 v35, s[2:3], v33, v33, 1.0
	v_rcp_f32_e32 v36, v35
	v_div_scale_f32 v37, vcc, 1.0, v33, 1.0
	v_fma_f32 v38, -v35, v36, 1.0
	v_fmac_f32_e32 v36, v38, v36
	v_mul_f32_e32 v38, v37, v36
	v_fma_f32 v39, -v35, v38, v37
	v_fmac_f32_e32 v38, v39, v36
	v_fma_f32 v35, -v35, v38, v37
	v_div_fmas_f32 v35, v35, v36, v38
	v_div_fixup_f32 v33, v35, v33, 1.0
.LBB34_55:
	s_or_b64 exec, exec, s[0:1]
	v_cmp_ne_u32_e32 vcc, v246, v34
	s_and_saveexec_b64 s[0:1], vcc
	s_xor_b64 s[0:1], exec, s[0:1]
	s_cbranch_execz .LBB34_61
; %bb.56:
	v_cmp_eq_u32_e32 vcc, 3, v246
	s_and_saveexec_b64 s[2:3], vcc
	s_cbranch_execz .LBB34_60
; %bb.57:
	v_cmp_ne_u32_e32 vcc, 3, v34
	s_xor_b64 s[18:19], s[16:17], -1
	s_and_b64 s[20:21], s[18:19], vcc
	s_and_saveexec_b64 s[18:19], s[20:21]
	s_cbranch_execz .LBB34_59
; %bb.58:
	v_ashrrev_i32_e32 v35, 31, v34
	v_lshl_add_u64 v[36:37], v[34:35], 2, v[206:207]
	global_load_dword v35, v[36:37], off
	global_load_dword v38, v[206:207], off offset:12
	s_waitcnt vmcnt(1)
	global_store_dword v[206:207], v35, off offset:12
	s_waitcnt vmcnt(1)
	global_store_dword v[36:37], v38, off
.LBB34_59:
	s_or_b64 exec, exec, s[18:19]
	v_mov_b32_e32 v245, v34
	v_mov_b32_e32 v246, v34
.LBB34_60:
	s_or_b64 exec, exec, s[2:3]
.LBB34_61:
	s_or_saveexec_b64 s[0:1], s[0:1]
	v_mov_b32_e32 v5, v69
	s_xor_b64 exec, exec, s[0:1]
	s_cbranch_execz .LBB34_63
; %bb.62:
	v_mov_b32_e32 v246, 3
	ds_write2_b32 v244, v100, v101 offset0:4 offset1:5
	ds_write2_b32 v244, v102, v103 offset0:6 offset1:7
	;; [unrolled: 1-line block ×7, first 2 shown]
.LBB34_63:
	s_or_b64 exec, exec, s[0:1]
	v_cmp_lt_i32_e32 vcc, 3, v246
	s_waitcnt lgkmcnt(0)
	s_barrier
	s_and_saveexec_b64 s[0:1], vcc
	s_cbranch_execz .LBB34_65
; %bb.64:
	v_mul_f32_e32 v0, v201, v33
	ds_read2_b32 v[2:3], v244 offset0:4 offset1:5
	ds_read2_b32 v[18:19], v244 offset0:6 offset1:7
	;; [unrolled: 1-line block ×5, first 2 shown]
	s_waitcnt lgkmcnt(4)
	v_pk_fma_f32 v[76:77], v[0:1], v[2:3], v[100:101] op_sel_hi:[0,1,1] neg_lo:[1,0,0] neg_hi:[1,0,0]
	ds_read2_b32 v[2:3], v244 offset0:14 offset1:15
	scratch_load_dwordx4 v[114:117], off, off offset:1152 ; 16-byte Folded Reload
	scratch_load_dwordx4 v[118:121], off, off offset:1168 ; 16-byte Folded Reload
	;; [unrolled: 1-line block ×8, first 2 shown]
	v_mov_b32_e32 v7, v0
	v_mov_b32_e32 v8, v76
	;; [unrolled: 1-line block ×3, first 2 shown]
	s_waitcnt lgkmcnt(4)
	v_pk_fma_f32 v[70:71], v[0:1], v[18:19], v[102:103] op_sel_hi:[0,1,1] neg_lo:[1,0,0] neg_hi:[1,0,0]
	s_waitcnt lgkmcnt(3)
	v_pk_fma_f32 v[42:43], v[0:1], v[20:21], v[104:105] op_sel_hi:[0,1,1] neg_lo:[1,0,0] neg_hi:[1,0,0]
	;; [unrolled: 2-line block ×3, first 2 shown]
	v_mov_b32_e32 v75, v0
	v_mov_b32_e32 v67, v0
	;; [unrolled: 1-line block ×10, first 2 shown]
	s_waitcnt vmcnt(14)
	v_mov_b32_e32 v216, v76
	v_mov_b32_e32 v217, v77
	s_waitcnt vmcnt(6)
	v_mov_b32_e32 v118, v76
	v_mov_b32_e32 v119, v77
	;; [unrolled: 1-line block ×13, first 2 shown]
	scratch_store_dwordx4 off, v[4:7], off offset:640 ; 16-byte Folded Spill
	s_nop 0
	scratch_store_dwordx4 off, v[8:11], off offset:656 ; 16-byte Folded Spill
	scratch_store_dwordx4 off, v[12:15], off offset:672 ; 16-byte Folded Spill
	;; [unrolled: 1-line block ×4, first 2 shown]
	s_waitcnt lgkmcnt(1)
	scratch_store_dwordx4 off, v[24:27], off offset:720 ; 16-byte Folded Spill
	scratch_store_dwordx4 off, v[28:31], off offset:736 ; 16-byte Folded Spill
	;; [unrolled: 1-line block ×3, first 2 shown]
	v_mov_b32_e32 v26, v78
	v_mov_b32_e32 v27, v79
	;; [unrolled: 1-line block ×23, first 2 shown]
	scratch_store_dwordx4 off, v[26:29], off offset:384 ; 16-byte Folded Spill
	s_nop 0
	scratch_store_dwordx4 off, v[30:33], off offset:400 ; 16-byte Folded Spill
	scratch_store_dwordx4 off, v[34:37], off offset:416 ; 16-byte Folded Spill
	;; [unrolled: 1-line block ×7, first 2 shown]
	v_mov_b32_e32 v44, v78
	v_mov_b32_e32 v45, v79
	;; [unrolled: 1-line block ×10, first 2 shown]
	v_pk_fma_f32 v[156:157], v[0:1], v[24:25], v[106:107] op_sel_hi:[0,1,1] neg_lo:[1,0,0] neg_hi:[1,0,0]
	v_mov_b32_e32 v34, v78
	v_mov_b32_e32 v35, v79
	;; [unrolled: 1-line block ×12, first 2 shown]
	s_waitcnt vmcnt(21)
	v_mov_b32_e32 v124, v156
	v_mov_b32_e32 v125, v157
	;; [unrolled: 1-line block ×5, first 2 shown]
	scratch_store_dwordx4 off, v[44:47], off offset:128 ; 16-byte Folded Spill
	s_nop 0
	scratch_store_dwordx4 off, v[48:51], off offset:144 ; 16-byte Folded Spill
	scratch_store_dwordx4 off, v[52:55], off offset:160 ; 16-byte Folded Spill
	;; [unrolled: 1-line block ×7, first 2 shown]
	ds_read2_b32 v[4:5], v244 offset0:12 offset1:13
	v_mov_b32_e32 v12, v42
	v_mov_b32_e32 v13, v43
	v_mov_b32_e32 v104, v42
	v_mov_b32_e32 v105, v43
	s_waitcnt lgkmcnt(0)
	v_pk_fma_f32 v[62:63], v[0:1], v[4:5], v[108:109] op_sel_hi:[0,1,1] neg_lo:[1,0,0] neg_hi:[1,0,0]
	v_mov_b32_e32 v4, v78
	v_mov_b32_e32 v5, v79
	v_mov_b32_e32 v16, v62
	v_mov_b32_e32 v17, v63
	v_mov_b32_e32 v108, v62
	v_mov_b32_e32 v109, v63
	v_mov_b32_e32 v50, v78
	v_mov_b32_e32 v51, v79
	v_mov_b32_e32 v52, v80
	v_mov_b32_e32 v54, v76
	v_mov_b32_e32 v55, v77
	v_mov_b32_e32 v53, v0
	v_mov_b32_e32 v58, v42
	v_mov_b32_e32 v59, v43
	v_mov_b32_e32 v60, v156
	v_mov_b32_e32 v61, v157
	v_mov_b32_e32 v154, v42
	v_mov_b32_e32 v155, v43
	v_mov_b32_e32 v220, v42
	v_mov_b32_e32 v221, v43
	v_mov_b32_e32 v122, v42
	v_mov_b32_e32 v123, v43
	s_waitcnt vmcnt(28)
	v_mov_b32_e32 v126, v62
	v_mov_b32_e32 v127, v63
	;; [unrolled: 1-line block ×5, first 2 shown]
	scratch_store_dwordx4 off, v[4:7], off  ; 16-byte Folded Spill
	s_nop 0
	scratch_store_dwordx4 off, v[8:11], off offset:16 ; 16-byte Folded Spill
	scratch_store_dwordx4 off, v[12:15], off offset:32 ; 16-byte Folded Spill
	;; [unrolled: 1-line block ×7, first 2 shown]
	v_mov_b32_e32 v102, v70
	v_mov_b32_e32 v103, v71
	;; [unrolled: 1-line block ×5, first 2 shown]
	scratch_store_dwordx4 off, v[78:81], off offset:1024 ; 16-byte Folded Spill
	s_nop 0
	scratch_store_dwordx4 off, v[82:85], off offset:1040 ; 16-byte Folded Spill
	scratch_store_dwordx4 off, v[86:89], off offset:1056 ; 16-byte Folded Spill
	;; [unrolled: 1-line block ×7, first 2 shown]
	v_mov_b32_e32 v22, v76
	v_mov_b32_e32 v23, v77
	v_mov_b32_e32 v12, v76
	v_mov_b32_e32 v152, v70
	v_mov_b32_e32 v153, v71
	v_mov_b32_e32 v218, v70
	v_mov_b32_e32 v219, v71
	v_mov_b32_e32 v56, v70
	v_mov_b32_e32 v57, v71
	v_mov_b32_e32 v24, v70
	v_mov_b32_e32 v25, v71
	v_mov_b32_e32 v120, v70
	v_mov_b32_e32 v121, v71
	v_mov_b32_e32 v186, v70
	v_mov_b32_e32 v26, v42
	v_mov_b32_e32 v27, v43
	v_mov_b32_e32 v30, v62
	v_mov_b32_e32 v31, v63
	v_pk_fma_f32 v[32:33], v[0:1], v[2:3], v[110:111] op_sel_hi:[0,1,1] neg_lo:[1,0,0] neg_hi:[1,0,0]
	v_mov_b32_e32 v21, v0
	v_mov_b32_e32 v28, v156
	;; [unrolled: 1-line block ×9, first 2 shown]
	scratch_store_dwordx4 off, v[72:75], off offset:768 ; 16-byte Folded Spill
	s_nop 0
	scratch_store_dwordx4 off, v[76:79], off offset:784 ; 16-byte Folded Spill
	scratch_store_dwordx4 off, v[80:83], off offset:800 ; 16-byte Folded Spill
	;; [unrolled: 1-line block ×7, first 2 shown]
	v_mov_b32_e32 v5, v77
	scratch_store_dwordx4 off, v[64:67], off offset:512 ; 16-byte Folded Spill
	s_nop 0
	scratch_store_dwordx4 off, v[68:71], off offset:528 ; 16-byte Folded Spill
	scratch_store_dwordx4 off, v[72:75], off offset:544 ; 16-byte Folded Spill
	;; [unrolled: 1-line block ×8, first 2 shown]
	s_nop 0
	scratch_store_dwordx4 off, v[38:41], off offset:272 ; 16-byte Folded Spill
	scratch_store_dwordx4 off, v[42:45], off offset:288 ; 16-byte Folded Spill
	scratch_store_dwordx4 off, v[46:49], off offset:304 ; 16-byte Folded Spill
	scratch_store_dwordx4 off, v[50:53], off offset:320 ; 16-byte Folded Spill
	scratch_store_dwordx4 off, v[54:57], off offset:336 ; 16-byte Folded Spill
	scratch_store_dwordx4 off, v[58:61], off offset:352 ; 16-byte Folded Spill
	scratch_store_dwordx4 off, v[62:65], off offset:368 ; 16-byte Folded Spill
	v_mov_b32_e32 v187, v71
	v_mov_b32_e32 v48, v156
	;; [unrolled: 1-line block ×5, first 2 shown]
.LBB34_65:
	s_or_b64 exec, exec, s[0:1]
	v_lshl_add_u32 v33, v246, 2, v244
	s_waitcnt vmcnt(63) expcnt(7) lgkmcnt(15)
	s_barrier
	ds_write_b32 v33, v12
	s_waitcnt lgkmcnt(0)
	s_barrier
	ds_read_b32 v33, v244 offset:16
	s_cmp_lt_i32 s22, 6
	v_mov_b32_e32 v34, 4
	s_cbranch_scc1 .LBB34_68
; %bb.66:
	v_add3_u32 v35, v247, 0, 20
	v_mov_b32_e32 v34, 4
	s_mov_b32 s0, 5
.LBB34_67:                              ; =>This Inner Loop Header: Depth=1
	ds_read_b32 v36, v35
	v_mov_b32_e32 v37, s0
	s_add_i32 s0, s0, 1
	v_add_u32_e32 v35, 4, v35
	s_cmp_lg_u32 s22, s0
	s_waitcnt lgkmcnt(0)
	v_cmp_lt_f32_e64 vcc, |v33|, |v36|
	s_nop 1
	v_cndmask_b32_e32 v33, v33, v36, vcc
	v_cndmask_b32_e32 v34, v34, v37, vcc
	s_cbranch_scc1 .LBB34_67
.LBB34_68:
	s_waitcnt lgkmcnt(0)
	v_cmp_eq_f32_e32 vcc, 0, v33
	s_and_saveexec_b64 s[0:1], vcc
	s_xor_b64 s[0:1], exec, s[0:1]
; %bb.69:
	v_cmp_ne_u32_e32 vcc, 0, v178
	s_nop 1
	v_cndmask_b32_e32 v178, 5, v178, vcc
; %bb.70:
	s_andn2_saveexec_b64 s[0:1], s[0:1]
	s_cbranch_execz .LBB34_72
; %bb.71:
	v_div_scale_f32 v35, s[2:3], v33, v33, 1.0
	v_rcp_f32_e32 v36, v35
	v_div_scale_f32 v37, vcc, 1.0, v33, 1.0
	v_fma_f32 v38, -v35, v36, 1.0
	v_fmac_f32_e32 v36, v38, v36
	v_mul_f32_e32 v38, v37, v36
	v_fma_f32 v39, -v35, v38, v37
	v_fmac_f32_e32 v38, v39, v36
	v_fma_f32 v35, -v35, v38, v37
	v_div_fmas_f32 v35, v35, v36, v38
	v_div_fixup_f32 v33, v35, v33, 1.0
.LBB34_72:
	s_or_b64 exec, exec, s[0:1]
	v_cmp_ne_u32_e32 vcc, v246, v34
	s_and_saveexec_b64 s[0:1], vcc
	s_xor_b64 s[0:1], exec, s[0:1]
	s_cbranch_execz .LBB34_78
; %bb.73:
	v_cmp_eq_u32_e32 vcc, 4, v246
	s_and_saveexec_b64 s[2:3], vcc
	s_cbranch_execz .LBB34_77
; %bb.74:
	v_cmp_ne_u32_e32 vcc, 4, v34
	s_xor_b64 s[18:19], s[16:17], -1
	s_and_b64 s[20:21], s[18:19], vcc
	s_and_saveexec_b64 s[18:19], s[20:21]
	s_cbranch_execz .LBB34_76
; %bb.75:
	v_ashrrev_i32_e32 v35, 31, v34
	v_lshl_add_u64 v[36:37], v[34:35], 2, v[206:207]
	global_load_dword v35, v[36:37], off
	global_load_dword v38, v[206:207], off offset:16
	s_waitcnt vmcnt(1)
	global_store_dword v[206:207], v35, off offset:16
	s_waitcnt vmcnt(1)
	global_store_dword v[36:37], v38, off
.LBB34_76:
	s_or_b64 exec, exec, s[18:19]
	v_mov_b32_e32 v245, v34
	v_mov_b32_e32 v246, v34
.LBB34_77:
	s_or_b64 exec, exec, s[2:3]
.LBB34_78:
	s_andn2_saveexec_b64 s[0:1], s[0:1]
	s_cbranch_execz .LBB34_80
; %bb.79:
	v_mov_b32_e32 v246, 4
	ds_write2_b32 v244, v101, v102 offset0:5 offset1:6
	ds_write2_b32 v244, v103, v104 offset0:7 offset1:8
	ds_write2_b32 v244, v105, v106 offset0:9 offset1:10
	ds_write2_b32 v244, v107, v108 offset0:11 offset1:12
	ds_write2_b32 v244, v109, v110 offset0:13 offset1:14
	ds_write2_b32 v244, v111, v112 offset0:15 offset1:16
	ds_write_b32 v244, v209 offset:68
.LBB34_80:
	s_or_b64 exec, exec, s[0:1]
	v_cmp_lt_i32_e32 vcc, 4, v246
	s_waitcnt lgkmcnt(0)
	s_barrier
	s_and_saveexec_b64 s[0:1], vcc
	s_cbranch_execz .LBB34_82
; %bb.81:
	scratch_load_dwordx4 v[44:47], off, off offset:1024 ; 16-byte Folded Reload
	scratch_load_dwordx4 v[48:51], off, off offset:1040 ; 16-byte Folded Reload
	;; [unrolled: 1-line block ×8, first 2 shown]
	ds_read2_b32 v[0:1], v244 offset0:5 offset1:6
	ds_read2_b32 v[4:5], v244 offset0:7 offset1:8
	;; [unrolled: 1-line block ×4, first 2 shown]
	s_waitcnt vmcnt(6)
	v_mul_f32_e32 v48, v12, v33
	v_mov_b32_e32 v2, v101
	v_mov_b32_e32 v3, v102
	;; [unrolled: 1-line block ×3, first 2 shown]
	s_waitcnt vmcnt(5)
	v_mov_b32_e32 v54, v48
	v_mov_b32_e32 v150, v48
	;; [unrolled: 1-line block ×6, first 2 shown]
	s_waitcnt lgkmcnt(3)
	v_pk_fma_f32 v[34:35], v[48:49], v[0:1], v[2:3] op_sel_hi:[0,1,1] neg_lo:[1,0,0] neg_hi:[1,0,0]
	v_mov_b32_e32 v0, v103
	v_mov_b32_e32 v1, v104
	s_waitcnt lgkmcnt(2)
	v_pk_fma_f32 v[36:37], v[48:49], v[4:5], v[0:1] op_sel_hi:[0,1,1] neg_lo:[1,0,0] neg_hi:[1,0,0]
	v_mov_b32_e32 v0, v105
	v_mov_b32_e32 v1, v106
	;; [unrolled: 4-line block ×3, first 2 shown]
	s_waitcnt lgkmcnt(0)
	v_pk_fma_f32 v[40:41], v[48:49], v[20:21], v[0:1] op_sel_hi:[0,1,1] neg_lo:[1,0,0] neg_hi:[1,0,0]
	ds_read2_b32 v[0:1], v244 offset0:13 offset1:14
	ds_read2_b32 v[4:5], v244 offset0:15 offset1:16
	ds_read_b32 v6, v244 offset:68
	v_mov_b32_e32 v2, v109
	v_mov_b32_e32 v3, v110
	;; [unrolled: 1-line block ×3, first 2 shown]
	s_waitcnt lgkmcnt(2)
	v_pk_fma_f32 v[42:43], v[48:49], v[0:1], v[2:3] op_sel_hi:[0,1,1] neg_lo:[1,0,0] neg_hi:[1,0,0]
	v_mov_b32_e32 v0, v111
	v_mov_b32_e32 v1, v112
	;; [unrolled: 1-line block ×6, first 2 shown]
	s_waitcnt lgkmcnt(1)
	v_pk_fma_f32 v[210:211], v[48:49], v[4:5], v[0:1] op_sel_hi:[0,1,1] neg_lo:[1,0,0] neg_hi:[1,0,0]
	v_mov_b32_e32 v49, v34
	scratch_store_dwordx4 off, v[8:11], off offset:512 ; 16-byte Folded Spill
	s_nop 0
	scratch_store_dwordx4 off, v[12:15], off offset:528 ; 16-byte Folded Spill
	scratch_store_dwordx4 off, v[16:19], off offset:544 ; 16-byte Folded Spill
	;; [unrolled: 1-line block ×7, first 2 shown]
	v_mov_b32_e32 v50, v44
	v_mov_b32_e32 v51, v45
	;; [unrolled: 1-line block ×4, first 2 shown]
	s_waitcnt vmcnt(11)
	v_mov_b32_e32 v61, v40
	v_mov_b32_e32 v62, v41
	v_mov_b32_e32 v146, v44
	v_mov_b32_e32 v147, v45
	v_mov_b32_e32 v148, v46
	v_mov_b32_e32 v149, v47
	v_mov_b32_e32 v212, v44
	v_mov_b32_e32 v213, v45
	v_mov_b32_e32 v214, v46
	v_mov_b32_e32 v215, v47
	v_mov_b32_e32 v114, v44
	v_mov_b32_e32 v115, v45
	v_mov_b32_e32 v116, v46
	v_mov_b32_e32 v117, v47
	s_waitcnt lgkmcnt(0)
	v_fma_f32 v113, -v48, v6, v209
	v_mov_b32_e32 v96, v44
	v_mov_b32_e32 v97, v45
	;; [unrolled: 1-line block ×21, first 2 shown]
	scratch_store_dwordx4 off, v[8:11], off offset:384 ; 16-byte Folded Spill
	s_nop 0
	scratch_store_dwordx4 off, v[12:15], off offset:400 ; 16-byte Folded Spill
	scratch_store_dwordx4 off, v[16:19], off offset:416 ; 16-byte Folded Spill
	scratch_store_dwordx4 off, v[20:23], off offset:432 ; 16-byte Folded Spill
	scratch_store_dwordx4 off, v[24:27], off offset:448 ; 16-byte Folded Spill
	scratch_store_dwordx4 off, v[28:31], off offset:464 ; 16-byte Folded Spill
	scratch_store_dwordx4 off, v[32:35], off offset:480 ; 16-byte Folded Spill
	scratch_store_dwordx4 off, v[36:39], off offset:496 ; 16-byte Folded Spill
	v_mov_b32_e32 v16, v37
	scratch_store_dwordx4 off, v[8:11], off offset:256 ; 16-byte Folded Spill
	s_nop 0
	scratch_store_dwordx4 off, v[12:15], off offset:272 ; 16-byte Folded Spill
	scratch_store_dwordx4 off, v[16:19], off offset:288 ; 16-byte Folded Spill
	scratch_store_dwordx4 off, v[20:23], off offset:304 ; 16-byte Folded Spill
	scratch_store_dwordx4 off, v[24:27], off offset:320 ; 16-byte Folded Spill
	scratch_store_dwordx4 off, v[28:31], off offset:336 ; 16-byte Folded Spill
	scratch_store_dwordx4 off, v[32:35], off offset:352 ; 16-byte Folded Spill
	scratch_store_dwordx4 off, v[36:39], off offset:368 ; 16-byte Folded Spill
	v_mov_b32_e32 v17, v38
	;; [unrolled: 10-line block ×3, first 2 shown]
	v_mov_b32_e32 v20, v41
	v_mov_b32_e32 v21, v42
	;; [unrolled: 1-line block ×21, first 2 shown]
	scratch_store_dwordx4 off, v[8:11], off ; 16-byte Folded Spill
	s_nop 0
	scratch_store_dwordx4 off, v[12:15], off offset:16 ; 16-byte Folded Spill
	scratch_store_dwordx4 off, v[16:19], off offset:32 ; 16-byte Folded Spill
	;; [unrolled: 1-line block ×7, first 2 shown]
	v_mov_b32_e32 v18, v44
	v_mov_b32_e32 v19, v45
	;; [unrolled: 1-line block ×5, first 2 shown]
	scratch_store_dwordx4 off, v[44:47], off offset:640 ; 16-byte Folded Spill
	s_nop 0
	scratch_store_dwordx4 off, v[48:51], off offset:656 ; 16-byte Folded Spill
	scratch_store_dwordx4 off, v[52:55], off offset:672 ; 16-byte Folded Spill
	;; [unrolled: 1-line block ×4, first 2 shown]
	s_waitcnt vmcnt(47)
	scratch_store_dwordx4 off, v[64:67], off offset:720 ; 16-byte Folded Spill
	s_waitcnt vmcnt(47)
	scratch_store_dwordx4 off, v[68:71], off offset:736 ; 16-byte Folded Spill
	;; [unrolled: 2-line block ×3, first 2 shown]
	scratch_store_dwordx4 off, v[44:47], off offset:768 ; 16-byte Folded Spill
	s_nop 0
	scratch_store_dwordx4 off, v[48:51], off offset:784 ; 16-byte Folded Spill
	scratch_store_dwordx4 off, v[52:55], off offset:800 ; 16-byte Folded Spill
	;; [unrolled: 1-line block ×7, first 2 shown]
	v_mov_b32_e32 v29, v40
	v_mov_b32_e32 v30, v41
	;; [unrolled: 1-line block ×30, first 2 shown]
.LBB34_82:
	s_or_b64 exec, exec, s[0:1]
	v_lshl_add_u32 v33, v246, 2, v244
	s_barrier
	ds_write_b32 v33, v5
	s_waitcnt lgkmcnt(0)
	s_barrier
	ds_read_b32 v33, v244 offset:20
	s_cmp_lt_i32 s22, 7
	v_mov_b32_e32 v34, 5
	s_cbranch_scc1 .LBB34_85
; %bb.83:
	v_add3_u32 v35, v247, 0, 24
	v_mov_b32_e32 v34, 5
	s_mov_b32 s0, 6
.LBB34_84:                              ; =>This Inner Loop Header: Depth=1
	ds_read_b32 v36, v35
	v_mov_b32_e32 v37, s0
	s_add_i32 s0, s0, 1
	v_add_u32_e32 v35, 4, v35
	s_cmp_lg_u32 s22, s0
	s_waitcnt lgkmcnt(0)
	v_cmp_lt_f32_e64 vcc, |v33|, |v36|
	s_nop 1
	v_cndmask_b32_e32 v33, v33, v36, vcc
	v_cndmask_b32_e32 v34, v34, v37, vcc
	s_cbranch_scc1 .LBB34_84
.LBB34_85:
	s_waitcnt lgkmcnt(0)
	v_cmp_eq_f32_e32 vcc, 0, v33
	s_and_saveexec_b64 s[0:1], vcc
	s_xor_b64 s[0:1], exec, s[0:1]
; %bb.86:
	v_cmp_ne_u32_e32 vcc, 0, v178
	s_nop 1
	v_cndmask_b32_e32 v178, 6, v178, vcc
; %bb.87:
	s_andn2_saveexec_b64 s[0:1], s[0:1]
	s_cbranch_execz .LBB34_89
; %bb.88:
	v_div_scale_f32 v35, s[2:3], v33, v33, 1.0
	v_rcp_f32_e32 v36, v35
	v_div_scale_f32 v37, vcc, 1.0, v33, 1.0
	v_fma_f32 v38, -v35, v36, 1.0
	v_fmac_f32_e32 v36, v38, v36
	v_mul_f32_e32 v38, v37, v36
	v_fma_f32 v39, -v35, v38, v37
	v_fmac_f32_e32 v38, v39, v36
	v_fma_f32 v35, -v35, v38, v37
	v_div_fmas_f32 v35, v35, v36, v38
	v_div_fixup_f32 v33, v35, v33, 1.0
.LBB34_89:
	s_or_b64 exec, exec, s[0:1]
	v_cmp_ne_u32_e32 vcc, v246, v34
	s_and_saveexec_b64 s[0:1], vcc
	s_xor_b64 s[0:1], exec, s[0:1]
	s_cbranch_execz .LBB34_95
; %bb.90:
	v_cmp_eq_u32_e32 vcc, 5, v246
	s_and_saveexec_b64 s[2:3], vcc
	s_cbranch_execz .LBB34_94
; %bb.91:
	v_cmp_ne_u32_e32 vcc, 5, v34
	s_xor_b64 s[18:19], s[16:17], -1
	s_and_b64 s[20:21], s[18:19], vcc
	s_and_saveexec_b64 s[18:19], s[20:21]
	s_cbranch_execz .LBB34_93
; %bb.92:
	v_ashrrev_i32_e32 v35, 31, v34
	v_lshl_add_u64 v[36:37], v[34:35], 2, v[206:207]
	global_load_dword v35, v[36:37], off
	global_load_dword v38, v[206:207], off offset:20
	s_waitcnt vmcnt(1)
	global_store_dword v[206:207], v35, off offset:20
	s_waitcnt vmcnt(1)
	global_store_dword v[36:37], v38, off
.LBB34_93:
	s_or_b64 exec, exec, s[18:19]
	v_mov_b32_e32 v245, v34
	v_mov_b32_e32 v246, v34
.LBB34_94:
	s_or_b64 exec, exec, s[2:3]
.LBB34_95:
	s_andn2_saveexec_b64 s[0:1], s[0:1]
	s_cbranch_execz .LBB34_97
; %bb.96:
	v_mov_b32_e32 v246, 5
	ds_write2_b32 v244, v102, v103 offset0:6 offset1:7
	ds_write2_b32 v244, v104, v105 offset0:8 offset1:9
	;; [unrolled: 1-line block ×6, first 2 shown]
.LBB34_97:
	s_or_b64 exec, exec, s[0:1]
	v_cmp_lt_i32_e32 vcc, 5, v246
	s_waitcnt lgkmcnt(0)
	s_barrier
	s_and_saveexec_b64 s[0:1], vcc
	s_cbranch_execz .LBB34_99
; %bb.98:
	v_mul_f32_e32 v0, v5, v33
	ds_read2_b32 v[2:3], v244 offset0:6 offset1:7
	ds_read2_b32 v[4:5], v244 offset0:8 offset1:9
	;; [unrolled: 1-line block ×5, first 2 shown]
	s_waitcnt lgkmcnt(4)
	v_pk_fma_f32 v[70:71], v[0:1], v[2:3], v[102:103] op_sel_hi:[0,1,1] neg_lo:[1,0,0] neg_hi:[1,0,0]
	ds_read2_b32 v[2:3], v244 offset0:14 offset1:15
	scratch_load_dwordx4 v[72:75], off, off offset:768 ; 16-byte Folded Reload
	scratch_load_dwordx4 v[76:79], off, off offset:784 ; 16-byte Folded Reload
	scratch_load_dwordx4 v[80:83], off, off offset:800 ; 16-byte Folded Reload
	scratch_load_dwordx4 v[84:87], off, off offset:816 ; 16-byte Folded Reload
	scratch_load_dwordx4 v[88:91], off, off offset:832 ; 16-byte Folded Reload
	scratch_load_dwordx4 v[92:95], off, off offset:848 ; 16-byte Folded Reload
	scratch_load_dwordx4 v[96:99], off, off offset:864 ; 16-byte Folded Reload
	scratch_load_dwordx4 v[100:103], off, off offset:880 ; 16-byte Folded Reload
	s_waitcnt lgkmcnt(4)
	v_pk_fma_f32 v[42:43], v[0:1], v[4:5], v[104:105] op_sel_hi:[0,1,1] neg_lo:[1,0,0] neg_hi:[1,0,0]
	v_mov_b32_e32 v9, v0
	v_mov_b32_e32 v10, v70
	;; [unrolled: 1-line block ×3, first 2 shown]
	s_waitcnt lgkmcnt(3)
	v_pk_fma_f32 v[156:157], v[0:1], v[18:19], v[106:107] op_sel_hi:[0,1,1] neg_lo:[1,0,0] neg_hi:[1,0,0]
	s_waitcnt lgkmcnt(2)
	v_pk_fma_f32 v[112:113], v[0:1], v[20:21], v[112:113] op_sel_hi:[0,1,1] neg_lo:[1,0,0] neg_hi:[1,0,0]
	v_mov_b32_e32 v49, v0
	v_mov_b32_e32 v39, v0
	;; [unrolled: 1-line block ×11, first 2 shown]
	s_waitcnt vmcnt(14)
	v_mov_b32_e32 v218, v70
	v_mov_b32_e32 v219, v71
	;; [unrolled: 1-line block ×4, first 2 shown]
	s_waitcnt vmcnt(0)
	v_mov_b32_e32 v102, v70
	v_mov_b32_e32 v103, v71
	;; [unrolled: 1-line block ×25, first 2 shown]
	scratch_store_dwordx4 off, v[4:7], off offset:384 ; 16-byte Folded Spill
	s_nop 0
	scratch_store_dwordx4 off, v[8:11], off offset:400 ; 16-byte Folded Spill
	scratch_store_dwordx4 off, v[12:15], off offset:416 ; 16-byte Folded Spill
	;; [unrolled: 1-line block ×3, first 2 shown]
	s_waitcnt lgkmcnt(1)
	scratch_store_dwordx4 off, v[20:23], off offset:448 ; 16-byte Folded Spill
	scratch_store_dwordx4 off, v[24:27], off offset:464 ; 16-byte Folded Spill
	;; [unrolled: 1-line block ×4, first 2 shown]
	v_mov_b32_e32 v36, v46
	v_mov_b32_e32 v37, v47
	;; [unrolled: 1-line block ×20, first 2 shown]
	scratch_store_dwordx4 off, v[24:27], off offset:128 ; 16-byte Folded Spill
	s_nop 0
	scratch_store_dwordx4 off, v[28:31], off offset:144 ; 16-byte Folded Spill
	scratch_store_dwordx4 off, v[32:35], off offset:160 ; 16-byte Folded Spill
	scratch_store_dwordx4 off, v[36:39], off offset:176 ; 16-byte Folded Spill
	scratch_store_dwordx4 off, v[40:43], off offset:192 ; 16-byte Folded Spill
	scratch_store_dwordx4 off, v[44:47], off offset:208 ; 16-byte Folded Spill
	scratch_store_dwordx4 off, v[48:51], off offset:224 ; 16-byte Folded Spill
	scratch_store_dwordx4 off, v[52:55], off offset:240 ; 16-byte Folded Spill
	v_mov_b32_e32 v14, v156
	v_mov_b32_e32 v15, v157
	;; [unrolled: 1-line block ×3, first 2 shown]
	v_pk_fma_f32 v[62:63], v[0:1], v[22:23], v[108:109] op_sel_hi:[0,1,1] neg_lo:[1,0,0] neg_hi:[1,0,0]
	v_mov_b32_e32 v16, v62
	v_mov_b32_e32 v17, v63
	;; [unrolled: 1-line block ×15, first 2 shown]
	scratch_store_dwordx4 off, v[4:7], off  ; 16-byte Folded Spill
	s_nop 0
	scratch_store_dwordx4 off, v[8:11], off offset:16 ; 16-byte Folded Spill
	scratch_store_dwordx4 off, v[12:15], off offset:32 ; 16-byte Folded Spill
	;; [unrolled: 1-line block ×7, first 2 shown]
	v_mov_b32_e32 v146, v44
	v_mov_b32_e32 v147, v45
	v_mov_b32_e32 v148, v46
	v_mov_b32_e32 v149, v47
	v_mov_b32_e32 v150, v48
	v_mov_b32_e32 v212, v44
	v_mov_b32_e32 v213, v45
	v_mov_b32_e32 v214, v46
	v_mov_b32_e32 v215, v47
	v_mov_b32_e32 v216, v48
	v_mov_b32_e32 v18, v44
	v_mov_b32_e32 v19, v45
	v_mov_b32_e32 v20, v46
	v_mov_b32_e32 v21, v47
	v_mov_b32_e32 v22, v48
	v_mov_b32_e32 v24, v70
	v_mov_b32_e32 v25, v71
	v_mov_b32_e32 v30, v62
	v_mov_b32_e32 v31, v63
	v_mov_b32_e32 v114, v44
	v_mov_b32_e32 v115, v45
	v_mov_b32_e32 v116, v46
	v_mov_b32_e32 v117, v47
	v_mov_b32_e32 v118, v48
	v_mov_b32_e32 v96, v44
	v_mov_b32_e32 v97, v45
	v_mov_b32_e32 v98, v46
	v_mov_b32_e32 v99, v47
	v_mov_b32_e32 v100, v48
	scratch_store_dwordx4 off, v[44:47], off offset:640 ; 16-byte Folded Spill
	s_nop 0
	scratch_store_dwordx4 off, v[48:51], off offset:656 ; 16-byte Folded Spill
	scratch_store_dwordx4 off, v[52:55], off offset:672 ; 16-byte Folded Spill
	;; [unrolled: 1-line block ×7, first 2 shown]
	v_mov_b32_e32 v154, v42
	v_mov_b32_e32 v155, v43
	;; [unrolled: 1-line block ×11, first 2 shown]
	s_waitcnt lgkmcnt(0)
	v_pk_fma_f32 v[32:33], v[0:1], v[2:3], v[110:111] op_sel_hi:[0,1,1] neg_lo:[1,0,0] neg_hi:[1,0,0]
	v_mov_b32_e32 v23, v0
	v_mov_b32_e32 v28, v156
	;; [unrolled: 1-line block ×10, first 2 shown]
	scratch_store_dwordx4 off, v[64:67], off offset:512 ; 16-byte Folded Spill
	s_nop 0
	scratch_store_dwordx4 off, v[68:71], off offset:528 ; 16-byte Folded Spill
	scratch_store_dwordx4 off, v[72:75], off offset:544 ; 16-byte Folded Spill
	;; [unrolled: 1-line block ×8, first 2 shown]
	s_nop 0
	scratch_store_dwordx4 off, v[38:41], off offset:272 ; 16-byte Folded Spill
	scratch_store_dwordx4 off, v[42:45], off offset:288 ; 16-byte Folded Spill
	;; [unrolled: 1-line block ×7, first 2 shown]
	v_mov_b32_e32 v187, v71
	v_mov_b32_e32 v48, v156
	;; [unrolled: 1-line block ×5, first 2 shown]
.LBB34_99:
	s_or_b64 exec, exec, s[0:1]
	v_lshl_add_u32 v33, v246, 2, v244
	s_barrier
	ds_write_b32 v33, v186
	s_waitcnt lgkmcnt(0)
	s_barrier
	ds_read_b32 v33, v244 offset:24
	s_cmp_lt_i32 s22, 8
	v_mov_b32_e32 v34, 6
	s_cbranch_scc1 .LBB34_102
; %bb.100:
	v_add3_u32 v35, v247, 0, 28
	v_mov_b32_e32 v34, 6
	s_mov_b32 s0, 7
.LBB34_101:                             ; =>This Inner Loop Header: Depth=1
	ds_read_b32 v36, v35
	v_mov_b32_e32 v37, s0
	s_add_i32 s0, s0, 1
	v_add_u32_e32 v35, 4, v35
	s_cmp_lg_u32 s22, s0
	s_waitcnt lgkmcnt(0)
	v_cmp_lt_f32_e64 vcc, |v33|, |v36|
	s_nop 1
	v_cndmask_b32_e32 v33, v33, v36, vcc
	v_cndmask_b32_e32 v34, v34, v37, vcc
	s_cbranch_scc1 .LBB34_101
.LBB34_102:
	s_waitcnt lgkmcnt(0)
	v_cmp_eq_f32_e32 vcc, 0, v33
	s_and_saveexec_b64 s[0:1], vcc
	s_xor_b64 s[0:1], exec, s[0:1]
; %bb.103:
	v_cmp_ne_u32_e32 vcc, 0, v178
	s_nop 1
	v_cndmask_b32_e32 v178, 7, v178, vcc
; %bb.104:
	s_andn2_saveexec_b64 s[0:1], s[0:1]
	s_cbranch_execz .LBB34_106
; %bb.105:
	v_div_scale_f32 v35, s[2:3], v33, v33, 1.0
	v_rcp_f32_e32 v36, v35
	v_div_scale_f32 v37, vcc, 1.0, v33, 1.0
	v_fma_f32 v38, -v35, v36, 1.0
	v_fmac_f32_e32 v36, v38, v36
	v_mul_f32_e32 v38, v37, v36
	v_fma_f32 v39, -v35, v38, v37
	v_fmac_f32_e32 v38, v39, v36
	v_fma_f32 v35, -v35, v38, v37
	v_div_fmas_f32 v35, v35, v36, v38
	v_div_fixup_f32 v33, v35, v33, 1.0
.LBB34_106:
	s_or_b64 exec, exec, s[0:1]
	v_cmp_ne_u32_e32 vcc, v246, v34
	s_and_saveexec_b64 s[0:1], vcc
	s_xor_b64 s[0:1], exec, s[0:1]
	s_cbranch_execz .LBB34_112
; %bb.107:
	v_cmp_eq_u32_e32 vcc, 6, v246
	s_and_saveexec_b64 s[2:3], vcc
	s_cbranch_execz .LBB34_111
; %bb.108:
	v_cmp_ne_u32_e32 vcc, 6, v34
	s_xor_b64 s[18:19], s[16:17], -1
	s_and_b64 s[20:21], s[18:19], vcc
	s_and_saveexec_b64 s[18:19], s[20:21]
	s_cbranch_execz .LBB34_110
; %bb.109:
	v_ashrrev_i32_e32 v35, 31, v34
	v_lshl_add_u64 v[36:37], v[34:35], 2, v[206:207]
	global_load_dword v35, v[36:37], off
	global_load_dword v38, v[206:207], off offset:24
	s_waitcnt vmcnt(1)
	global_store_dword v[206:207], v35, off offset:24
	s_waitcnt vmcnt(1)
	global_store_dword v[36:37], v38, off
.LBB34_110:
	s_or_b64 exec, exec, s[18:19]
	v_mov_b32_e32 v245, v34
	v_mov_b32_e32 v246, v34
.LBB34_111:
	s_or_b64 exec, exec, s[2:3]
.LBB34_112:
	s_andn2_saveexec_b64 s[0:1], s[0:1]
	s_cbranch_execz .LBB34_114
; %bb.113:
	v_mov_b32_e32 v246, 6
	ds_write2_b32 v244, v103, v104 offset0:7 offset1:8
	ds_write2_b32 v244, v105, v106 offset0:9 offset1:10
	;; [unrolled: 1-line block ×5, first 2 shown]
	ds_write_b32 v244, v209 offset:68
.LBB34_114:
	s_or_b64 exec, exec, s[0:1]
	v_cmp_lt_i32_e32 vcc, 6, v246
	s_waitcnt lgkmcnt(0)
	s_barrier
	s_and_saveexec_b64 s[0:1], vcc
	s_cbranch_execz .LBB34_116
; %bb.115:
	scratch_load_dwordx4 v[42:45], off, off offset:640 ; 16-byte Folded Reload
	scratch_load_dwordx4 v[46:49], off, off offset:656 ; 16-byte Folded Reload
	;; [unrolled: 1-line block ×8, first 2 shown]
	ds_read2_b32 v[0:1], v244 offset0:7 offset1:8
	s_waitcnt vmcnt(6)
	v_mul_f32_e32 v48, v186, v33
	v_mov_b32_e32 v2, v103
	v_mov_b32_e32 v3, v104
	ds_read2_b32 v[4:5], v244 offset0:9 offset1:10
	ds_read2_b32 v[6:7], v244 offset0:11 offset1:12
	;; [unrolled: 1-line block ×3, first 2 shown]
	v_mov_b32_e32 v12, v48
	s_waitcnt vmcnt(4)
	v_mov_b32_e32 v56, v48
	v_mov_b32_e32 v152, v48
	;; [unrolled: 1-line block ×6, first 2 shown]
	s_waitcnt lgkmcnt(3)
	v_pk_fma_f32 v[34:35], v[48:49], v[0:1], v[2:3] op_sel_hi:[0,1,1] neg_lo:[1,0,0] neg_hi:[1,0,0]
	ds_read2_b32 v[2:3], v244 offset0:15 offset1:16
	v_mov_b32_e32 v0, v105
	v_mov_b32_e32 v1, v106
	s_waitcnt lgkmcnt(3)
	v_pk_fma_f32 v[36:37], v[48:49], v[4:5], v[0:1] op_sel_hi:[0,1,1] neg_lo:[1,0,0] neg_hi:[1,0,0]
	v_mov_b32_e32 v0, v107
	v_mov_b32_e32 v1, v108
	s_waitcnt lgkmcnt(2)
	v_pk_fma_f32 v[38:39], v[48:49], v[6:7], v[0:1] op_sel_hi:[0,1,1] neg_lo:[1,0,0] neg_hi:[1,0,0]
	;; [unrolled: 4-line block ×3, first 2 shown]
	v_mov_b32_e32 v0, v111
	v_mov_b32_e32 v1, v112
	;; [unrolled: 1-line block ×9, first 2 shown]
	ds_read_b32 v4, v244 offset:68
	s_waitcnt lgkmcnt(1)
	v_pk_fma_f32 v[210:211], v[48:49], v[2:3], v[0:1] op_sel_hi:[0,1,1] neg_lo:[1,0,0] neg_hi:[1,0,0]
	v_mov_b32_e32 v49, v34
	scratch_store_dwordx4 off, v[6:9], off offset:256 ; 16-byte Folded Spill
	s_nop 0
	scratch_store_dwordx4 off, v[10:13], off offset:272 ; 16-byte Folded Spill
	scratch_store_dwordx4 off, v[14:17], off offset:288 ; 16-byte Folded Spill
	scratch_store_dwordx4 off, v[18:21], off offset:304 ; 16-byte Folded Spill
	scratch_store_dwordx4 off, v[22:25], off offset:320 ; 16-byte Folded Spill
	scratch_store_dwordx4 off, v[26:29], off offset:336 ; 16-byte Folded Spill
	scratch_store_dwordx4 off, v[30:33], off offset:352 ; 16-byte Folded Spill
	scratch_store_dwordx4 off, v[34:37], off offset:368 ; 16-byte Folded Spill
	v_mov_b32_e32 v50, v42
	v_mov_b32_e32 v51, v43
	;; [unrolled: 1-line block ×6, first 2 shown]
	s_waitcnt vmcnt(11)
	v_mov_b32_e32 v61, v38
	s_waitcnt vmcnt(10)
	v_mov_b32_e32 v62, v39
	v_mov_b32_e32 v146, v42
	;; [unrolled: 1-line block ×19, first 2 shown]
	s_waitcnt lgkmcnt(0)
	v_fma_f32 v113, -v48, v4, v209
	v_mov_b32_e32 v96, v42
	v_mov_b32_e32 v97, v43
	;; [unrolled: 1-line block ×23, first 2 shown]
	scratch_store_dwordx4 off, v[6:9], off offset:128 ; 16-byte Folded Spill
	s_nop 0
	scratch_store_dwordx4 off, v[10:13], off offset:144 ; 16-byte Folded Spill
	scratch_store_dwordx4 off, v[14:17], off offset:160 ; 16-byte Folded Spill
	;; [unrolled: 1-line block ×7, first 2 shown]
	v_mov_b32_e32 v17, v38
	v_mov_b32_e32 v18, v39
	;; [unrolled: 1-line block ×16, first 2 shown]
	scratch_store_dwordx4 off, v[6:9], off  ; 16-byte Folded Spill
	s_nop 0
	scratch_store_dwordx4 off, v[10:13], off offset:16 ; 16-byte Folded Spill
	scratch_store_dwordx4 off, v[14:17], off offset:32 ; 16-byte Folded Spill
	;; [unrolled: 1-line block ×7, first 2 shown]
	v_mov_b32_e32 v18, v42
	v_mov_b32_e32 v19, v43
	;; [unrolled: 1-line block ×7, first 2 shown]
	scratch_store_dwordx4 off, v[42:45], off offset:384 ; 16-byte Folded Spill
	s_nop 0
	scratch_store_dwordx4 off, v[46:49], off offset:400 ; 16-byte Folded Spill
	scratch_store_dwordx4 off, v[50:53], off offset:416 ; 16-byte Folded Spill
	scratch_store_dwordx4 off, v[54:57], off offset:432 ; 16-byte Folded Spill
	scratch_store_dwordx4 off, v[58:61], off offset:448 ; 16-byte Folded Spill
	scratch_store_dwordx4 off, v[62:65], off offset:464 ; 16-byte Folded Spill
	s_waitcnt vmcnt(31)
	scratch_store_dwordx4 off, v[66:69], off offset:480 ; 16-byte Folded Spill
	s_waitcnt vmcnt(31)
	scratch_store_dwordx4 off, v[70:73], off offset:496 ; 16-byte Folded Spill
	scratch_store_dwordx4 off, v[42:45], off offset:512 ; 16-byte Folded Spill
	s_nop 0
	scratch_store_dwordx4 off, v[46:49], off offset:528 ; 16-byte Folded Spill
	scratch_store_dwordx4 off, v[50:53], off offset:544 ; 16-byte Folded Spill
	scratch_store_dwordx4 off, v[54:57], off offset:560 ; 16-byte Folded Spill
	scratch_store_dwordx4 off, v[58:61], off offset:576 ; 16-byte Folded Spill
	scratch_store_dwordx4 off, v[62:65], off offset:592 ; 16-byte Folded Spill
	scratch_store_dwordx4 off, v[66:69], off offset:608 ; 16-byte Folded Spill
	scratch_store_dwordx4 off, v[70:73], off offset:624 ; 16-byte Folded Spill
	v_mov_b32_e32 v29, v38
	v_mov_b32_e32 v30, v39
	v_mov_b32_e32 v31, v40
	v_mov_b32_e32 v32, v41
	v_mov_b32_e32 v46, v39
	v_mov_b32_e32 v47, v40
	v_mov_b32_e32 v25, v34
	v_mov_b32_e32 v26, v35
	v_mov_b32_e32 v27, v36
	v_mov_b32_e32 v28, v37
	v_mov_b32_e32 v121, v34
	v_mov_b32_e32 v122, v35
	v_mov_b32_e32 v123, v36
	v_mov_b32_e32 v124, v37
	v_mov_b32_e32 v103, v34
	v_mov_b32_e32 v104, v35
	v_mov_b32_e32 v105, v36
	v_mov_b32_e32 v106, v37
	v_mov_b32_e32 v187, v34
	v_mov_b32_e32 v184, v35
	v_mov_b32_e32 v185, v36
	v_mov_b32_e32 v48, v37
.LBB34_116:
	s_or_b64 exec, exec, s[0:1]
	v_lshl_add_u32 v33, v246, 2, v244
	s_barrier
	ds_write_b32 v33, v187
	s_waitcnt lgkmcnt(0)
	s_barrier
	ds_read_b32 v33, v244 offset:28
	s_cmp_lt_i32 s22, 9
	v_mov_b32_e32 v34, 7
	s_cbranch_scc1 .LBB34_119
; %bb.117:
	v_add3_u32 v35, v247, 0, 32
	v_mov_b32_e32 v34, 7
	s_mov_b32 s0, 8
.LBB34_118:                             ; =>This Inner Loop Header: Depth=1
	ds_read_b32 v36, v35
	v_mov_b32_e32 v37, s0
	s_add_i32 s0, s0, 1
	v_add_u32_e32 v35, 4, v35
	s_cmp_lg_u32 s22, s0
	s_waitcnt lgkmcnt(0)
	v_cmp_lt_f32_e64 vcc, |v33|, |v36|
	s_nop 1
	v_cndmask_b32_e32 v33, v33, v36, vcc
	v_cndmask_b32_e32 v34, v34, v37, vcc
	s_cbranch_scc1 .LBB34_118
.LBB34_119:
	s_waitcnt lgkmcnt(0)
	v_cmp_eq_f32_e32 vcc, 0, v33
	s_and_saveexec_b64 s[0:1], vcc
	s_xor_b64 s[0:1], exec, s[0:1]
; %bb.120:
	v_cmp_ne_u32_e32 vcc, 0, v178
	s_nop 1
	v_cndmask_b32_e32 v178, 8, v178, vcc
; %bb.121:
	s_andn2_saveexec_b64 s[0:1], s[0:1]
	s_cbranch_execz .LBB34_123
; %bb.122:
	v_div_scale_f32 v35, s[2:3], v33, v33, 1.0
	v_rcp_f32_e32 v36, v35
	v_div_scale_f32 v37, vcc, 1.0, v33, 1.0
	v_fma_f32 v38, -v35, v36, 1.0
	v_fmac_f32_e32 v36, v38, v36
	v_mul_f32_e32 v38, v37, v36
	v_fma_f32 v39, -v35, v38, v37
	v_fmac_f32_e32 v38, v39, v36
	v_fma_f32 v35, -v35, v38, v37
	v_div_fmas_f32 v35, v35, v36, v38
	v_div_fixup_f32 v33, v35, v33, 1.0
.LBB34_123:
	s_or_b64 exec, exec, s[0:1]
	v_cmp_ne_u32_e32 vcc, v246, v34
	s_and_saveexec_b64 s[0:1], vcc
	s_xor_b64 s[0:1], exec, s[0:1]
	s_cbranch_execz .LBB34_129
; %bb.124:
	v_cmp_eq_u32_e32 vcc, 7, v246
	s_and_saveexec_b64 s[2:3], vcc
	s_cbranch_execz .LBB34_128
; %bb.125:
	v_cmp_ne_u32_e32 vcc, 7, v34
	s_xor_b64 s[18:19], s[16:17], -1
	s_and_b64 s[20:21], s[18:19], vcc
	s_and_saveexec_b64 s[18:19], s[20:21]
	s_cbranch_execz .LBB34_127
; %bb.126:
	v_ashrrev_i32_e32 v35, 31, v34
	v_lshl_add_u64 v[36:37], v[34:35], 2, v[206:207]
	global_load_dword v35, v[36:37], off
	global_load_dword v38, v[206:207], off offset:28
	s_waitcnt vmcnt(1)
	global_store_dword v[206:207], v35, off offset:28
	s_waitcnt vmcnt(1)
	global_store_dword v[36:37], v38, off
.LBB34_127:
	s_or_b64 exec, exec, s[18:19]
	v_mov_b32_e32 v245, v34
	v_mov_b32_e32 v246, v34
.LBB34_128:
	s_or_b64 exec, exec, s[2:3]
.LBB34_129:
	s_andn2_saveexec_b64 s[0:1], s[0:1]
	s_cbranch_execz .LBB34_131
; %bb.130:
	v_mov_b32_e32 v246, 7
	ds_write2_b32 v244, v104, v105 offset0:8 offset1:9
	ds_write2_b32 v244, v106, v107 offset0:10 offset1:11
	;; [unrolled: 1-line block ×5, first 2 shown]
.LBB34_131:
	s_or_b64 exec, exec, s[0:1]
	v_cmp_lt_i32_e32 vcc, 7, v246
	s_waitcnt lgkmcnt(0)
	s_barrier
	s_and_saveexec_b64 s[0:1], vcc
	s_cbranch_execz .LBB34_133
; %bb.132:
	ds_read2_b32 v[2:3], v244 offset0:8 offset1:9
	ds_read2_b32 v[4:5], v244 offset0:10 offset1:11
	;; [unrolled: 1-line block ×5, first 2 shown]
	scratch_load_dwordx4 v[64:67], off, off offset:512 ; 16-byte Folded Reload
	scratch_load_dwordx4 v[68:71], off, off offset:528 ; 16-byte Folded Reload
	;; [unrolled: 1-line block ×8, first 2 shown]
	v_mul_f32_e32 v0, v187, v33
	s_waitcnt lgkmcnt(4)
	v_pk_fma_f32 v[42:43], v[0:1], v[2:3], v[104:105] op_sel_hi:[0,1,1] neg_lo:[1,0,0] neg_hi:[1,0,0]
	s_waitcnt lgkmcnt(3)
	v_pk_fma_f32 v[156:157], v[0:1], v[4:5], v[106:107] op_sel_hi:[0,1,1] neg_lo:[1,0,0] neg_hi:[1,0,0]
	;; [unrolled: 2-line block ×3, first 2 shown]
	v_mov_b32_e32 v9, v0
	v_mov_b32_e32 v10, v42
	;; [unrolled: 1-line block ×3, first 2 shown]
	s_waitcnt lgkmcnt(1)
	v_pk_fma_f32 v[112:113], v[0:1], v[18:19], v[112:113] op_sel_hi:[0,1,1] neg_lo:[1,0,0] neg_hi:[1,0,0]
	s_waitcnt vmcnt(6)
	v_mov_b32_e32 v71, v0
	v_mov_b32_e32 v41, v0
	;; [unrolled: 1-line block ×40, first 2 shown]
	scratch_store_dwordx4 off, v[2:5], off offset:128 ; 16-byte Folded Spill
	s_nop 0
	scratch_store_dwordx4 off, v[6:9], off offset:144 ; 16-byte Folded Spill
	scratch_store_dwordx4 off, v[10:13], off offset:160 ; 16-byte Folded Spill
	;; [unrolled: 1-line block ×3, first 2 shown]
	s_waitcnt lgkmcnt(0)
	scratch_store_dwordx4 off, v[18:21], off offset:192 ; 16-byte Folded Spill
	scratch_store_dwordx4 off, v[22:25], off offset:208 ; 16-byte Folded Spill
	;; [unrolled: 1-line block ×4, first 2 shown]
	v_mov_b32_e32 v12, v156
	v_mov_b32_e32 v13, v157
	;; [unrolled: 1-line block ×46, first 2 shown]
	scratch_store_dwordx4 off, v[2:5], off  ; 16-byte Folded Spill
	s_nop 0
	scratch_store_dwordx4 off, v[6:9], off offset:16 ; 16-byte Folded Spill
	scratch_store_dwordx4 off, v[10:13], off offset:32 ; 16-byte Folded Spill
	scratch_store_dwordx4 off, v[14:17], off offset:48 ; 16-byte Folded Spill
	scratch_store_dwordx4 off, v[18:21], off offset:64 ; 16-byte Folded Spill
	scratch_store_dwordx4 off, v[22:25], off offset:80 ; 16-byte Folded Spill
	scratch_store_dwordx4 off, v[26:29], off offset:96 ; 16-byte Folded Spill
	scratch_store_dwordx4 off, v[30:33], off offset:112 ; 16-byte Folded Spill
	v_mov_b32_e32 v18, v64
	v_mov_b32_e32 v19, v65
	;; [unrolled: 1-line block ×12, first 2 shown]
	v_pk_fma_f32 v[32:33], v[0:1], v[20:21], v[110:111] op_sel_hi:[0,1,1] neg_lo:[1,0,0] neg_hi:[1,0,0]
	v_mov_b32_e32 v20, v66
	v_mov_b32_e32 v21, v67
	scratch_store_dwordx4 off, v[64:67], off offset:384 ; 16-byte Folded Spill
	s_nop 0
	scratch_store_dwordx4 off, v[68:71], off offset:400 ; 16-byte Folded Spill
	s_waitcnt vmcnt(23)
	scratch_store_dwordx4 off, v[72:75], off offset:416 ; 16-byte Folded Spill
	s_waitcnt vmcnt(23)
	;; [unrolled: 2-line block ×6, first 2 shown]
	scratch_store_dwordx4 off, v[92:95], off offset:496 ; 16-byte Folded Spill
	v_mov_b32_e32 v128, v32
	v_mov_b32_e32 v129, v33
	;; [unrolled: 1-line block ×6, first 2 shown]
	scratch_store_dwordx4 off, v[34:37], off offset:256 ; 16-byte Folded Spill
	s_nop 0
	scratch_store_dwordx4 off, v[38:41], off offset:272 ; 16-byte Folded Spill
	scratch_store_dwordx4 off, v[42:45], off offset:288 ; 16-byte Folded Spill
	;; [unrolled: 1-line block ×7, first 2 shown]
	v_mov_b32_e32 v48, v156
	v_mov_b32_e32 v185, v43
	;; [unrolled: 1-line block ×4, first 2 shown]
.LBB34_133:
	s_or_b64 exec, exec, s[0:1]
	v_lshl_add_u32 v33, v246, 2, v244
	s_barrier
	ds_write_b32 v33, v184
	s_waitcnt lgkmcnt(0)
	s_barrier
	ds_read_b32 v33, v244 offset:32
	s_cmp_lt_i32 s22, 10
	v_mov_b32_e32 v34, 8
	s_cbranch_scc1 .LBB34_136
; %bb.134:
	v_add3_u32 v35, v247, 0, 36
	v_mov_b32_e32 v34, 8
	s_mov_b32 s0, 9
.LBB34_135:                             ; =>This Inner Loop Header: Depth=1
	ds_read_b32 v36, v35
	v_mov_b32_e32 v37, s0
	s_add_i32 s0, s0, 1
	v_add_u32_e32 v35, 4, v35
	s_cmp_lg_u32 s22, s0
	s_waitcnt lgkmcnt(0)
	v_cmp_lt_f32_e64 vcc, |v33|, |v36|
	s_nop 1
	v_cndmask_b32_e32 v33, v33, v36, vcc
	v_cndmask_b32_e32 v34, v34, v37, vcc
	s_cbranch_scc1 .LBB34_135
.LBB34_136:
	s_waitcnt lgkmcnt(0)
	v_cmp_eq_f32_e32 vcc, 0, v33
	s_and_saveexec_b64 s[0:1], vcc
	s_xor_b64 s[0:1], exec, s[0:1]
; %bb.137:
	v_cmp_ne_u32_e32 vcc, 0, v178
	s_nop 1
	v_cndmask_b32_e32 v178, 9, v178, vcc
; %bb.138:
	s_andn2_saveexec_b64 s[0:1], s[0:1]
	s_cbranch_execz .LBB34_140
; %bb.139:
	v_div_scale_f32 v35, s[2:3], v33, v33, 1.0
	v_rcp_f32_e32 v36, v35
	v_div_scale_f32 v37, vcc, 1.0, v33, 1.0
	v_fma_f32 v38, -v35, v36, 1.0
	v_fmac_f32_e32 v36, v38, v36
	v_mul_f32_e32 v38, v37, v36
	v_fma_f32 v39, -v35, v38, v37
	v_fmac_f32_e32 v38, v39, v36
	v_fma_f32 v35, -v35, v38, v37
	v_div_fmas_f32 v35, v35, v36, v38
	v_div_fixup_f32 v33, v35, v33, 1.0
.LBB34_140:
	s_or_b64 exec, exec, s[0:1]
	v_cmp_ne_u32_e32 vcc, v246, v34
	s_and_saveexec_b64 s[0:1], vcc
	s_xor_b64 s[0:1], exec, s[0:1]
	s_cbranch_execz .LBB34_146
; %bb.141:
	v_cmp_eq_u32_e32 vcc, 8, v246
	s_and_saveexec_b64 s[2:3], vcc
	s_cbranch_execz .LBB34_145
; %bb.142:
	v_cmp_ne_u32_e32 vcc, 8, v34
	s_xor_b64 s[18:19], s[16:17], -1
	s_and_b64 s[20:21], s[18:19], vcc
	s_and_saveexec_b64 s[18:19], s[20:21]
	s_cbranch_execz .LBB34_144
; %bb.143:
	v_ashrrev_i32_e32 v35, 31, v34
	v_lshl_add_u64 v[36:37], v[34:35], 2, v[206:207]
	global_load_dword v35, v[36:37], off
	global_load_dword v38, v[206:207], off offset:32
	s_waitcnt vmcnt(1)
	global_store_dword v[206:207], v35, off offset:32
	s_waitcnt vmcnt(1)
	global_store_dword v[36:37], v38, off
.LBB34_144:
	s_or_b64 exec, exec, s[18:19]
	v_mov_b32_e32 v245, v34
	v_mov_b32_e32 v246, v34
.LBB34_145:
	s_or_b64 exec, exec, s[2:3]
.LBB34_146:
	s_andn2_saveexec_b64 s[0:1], s[0:1]
	s_cbranch_execz .LBB34_148
; %bb.147:
	v_mov_b32_e32 v246, 8
	ds_write2_b32 v244, v105, v106 offset0:9 offset1:10
	ds_write2_b32 v244, v107, v108 offset0:11 offset1:12
	ds_write2_b32 v244, v109, v110 offset0:13 offset1:14
	ds_write2_b32 v244, v111, v112 offset0:15 offset1:16
	ds_write_b32 v244, v209 offset:68
.LBB34_148:
	s_or_b64 exec, exec, s[0:1]
	v_cmp_lt_i32_e32 vcc, 8, v246
	s_waitcnt lgkmcnt(0)
	s_barrier
	s_and_saveexec_b64 s[0:1], vcc
	s_cbranch_execz .LBB34_150
; %bb.149:
	scratch_load_dwordx4 v[40:43], off, off offset:384 ; 16-byte Folded Reload
	scratch_load_dwordx4 v[44:47], off, off offset:400 ; 16-byte Folded Reload
	;; [unrolled: 1-line block ×8, first 2 shown]
	ds_read2_b32 v[0:1], v244 offset0:9 offset1:10
	ds_read2_b32 v[4:5], v244 offset0:11 offset1:12
	;; [unrolled: 1-line block ×4, first 2 shown]
	s_waitcnt vmcnt(5)
	v_mul_f32_e32 v48, v184, v33
	v_mov_b32_e32 v2, v105
	v_mov_b32_e32 v3, v106
	;; [unrolled: 1-line block ×3, first 2 shown]
	s_waitcnt vmcnt(3)
	v_mov_b32_e32 v58, v48
	v_mov_b32_e32 v154, v48
	;; [unrolled: 1-line block ×7, first 2 shown]
	s_waitcnt lgkmcnt(3)
	v_pk_fma_f32 v[34:35], v[48:49], v[0:1], v[2:3] op_sel_hi:[0,1,1] neg_lo:[1,0,0] neg_hi:[1,0,0]
	v_mov_b32_e32 v0, v107
	v_mov_b32_e32 v1, v108
	s_waitcnt lgkmcnt(2)
	v_pk_fma_f32 v[36:37], v[48:49], v[4:5], v[0:1] op_sel_hi:[0,1,1] neg_lo:[1,0,0] neg_hi:[1,0,0]
	v_mov_b32_e32 v0, v109
	v_mov_b32_e32 v1, v110
	;; [unrolled: 4-line block ×3, first 2 shown]
	s_waitcnt lgkmcnt(0)
	v_pk_fma_f32 v[210:211], v[48:49], v[8:9], v[0:1] op_sel_hi:[0,1,1] neg_lo:[1,0,0] neg_hi:[1,0,0]
	ds_read_b32 v0, v244 offset:68
	v_mov_b32_e32 v2, v40
	v_mov_b32_e32 v3, v41
	v_mov_b32_e32 v4, v42
	v_mov_b32_e32 v5, v43
	v_mov_b32_e32 v6, v44
	v_mov_b32_e32 v7, v45
	v_mov_b32_e32 v8, v46
	v_mov_b32_e32 v9, v47
	v_mov_b32_e32 v11, v34
	v_mov_b32_e32 v12, v35
	v_mov_b32_e32 v13, v36
	v_mov_b32_e32 v14, v37
	v_mov_b32_e32 v15, v38
	v_mov_b32_e32 v49, v34
	v_mov_b32_e32 v52, v42
	v_mov_b32_e32 v53, v43
	v_mov_b32_e32 v54, v44
	v_mov_b32_e32 v55, v45
	v_mov_b32_e32 v56, v46
	v_mov_b32_e32 v57, v47
	v_mov_b32_e32 v59, v34
	s_waitcnt vmcnt(2)
	v_mov_b32_e32 v60, v35
	v_mov_b32_e32 v61, v36
	v_mov_b32_e32 v62, v37
	scratch_store_dwordx4 off, v[2:5], off  ; 16-byte Folded Spill
	s_nop 0
	scratch_store_dwordx4 off, v[6:9], off offset:16 ; 16-byte Folded Spill
	scratch_store_dwordx4 off, v[10:13], off offset:32 ; 16-byte Folded Spill
	;; [unrolled: 1-line block ×7, first 2 shown]
	v_mov_b32_e32 v146, v40
	v_mov_b32_e32 v147, v41
	;; [unrolled: 1-line block ×33, first 2 shown]
	s_waitcnt lgkmcnt(0)
	v_fma_f32 v113, -v48, v0, v209
	v_mov_b32_e32 v96, v40
	v_mov_b32_e32 v97, v41
	;; [unrolled: 1-line block ×8, first 2 shown]
	scratch_store_dwordx4 off, v[40:43], off offset:128 ; 16-byte Folded Spill
	s_nop 0
	scratch_store_dwordx4 off, v[44:47], off offset:144 ; 16-byte Folded Spill
	scratch_store_dwordx4 off, v[48:51], off offset:160 ; 16-byte Folded Spill
	;; [unrolled: 1-line block ×5, first 2 shown]
	s_waitcnt vmcnt(15)
	scratch_store_dwordx4 off, v[64:67], off offset:224 ; 16-byte Folded Spill
	s_waitcnt vmcnt(15)
	scratch_store_dwordx4 off, v[68:71], off offset:240 ; 16-byte Folded Spill
	scratch_store_dwordx4 off, v[40:43], off offset:256 ; 16-byte Folded Spill
	s_nop 0
	scratch_store_dwordx4 off, v[44:47], off offset:272 ; 16-byte Folded Spill
	scratch_store_dwordx4 off, v[48:51], off offset:288 ; 16-byte Folded Spill
	;; [unrolled: 1-line block ×7, first 2 shown]
	v_mov_b32_e32 v155, v34
	v_mov_b32_e32 v156, v35
	;; [unrolled: 1-line block ×34, first 2 shown]
.LBB34_150:
	s_or_b64 exec, exec, s[0:1]
	v_lshl_add_u32 v33, v246, 2, v244
	s_barrier
	ds_write_b32 v33, v185
	s_waitcnt lgkmcnt(0)
	s_barrier
	ds_read_b32 v33, v244 offset:36
	s_cmp_lt_i32 s22, 11
	v_mov_b32_e32 v34, 9
	s_cbranch_scc1 .LBB34_153
; %bb.151:
	v_add3_u32 v35, v247, 0, 40
	v_mov_b32_e32 v34, 9
	s_mov_b32 s0, 10
.LBB34_152:                             ; =>This Inner Loop Header: Depth=1
	ds_read_b32 v36, v35
	v_mov_b32_e32 v37, s0
	s_add_i32 s0, s0, 1
	v_add_u32_e32 v35, 4, v35
	s_cmp_lg_u32 s22, s0
	s_waitcnt lgkmcnt(0)
	v_cmp_lt_f32_e64 vcc, |v33|, |v36|
	s_nop 1
	v_cndmask_b32_e32 v33, v33, v36, vcc
	v_cndmask_b32_e32 v34, v34, v37, vcc
	s_cbranch_scc1 .LBB34_152
.LBB34_153:
	s_waitcnt lgkmcnt(0)
	v_cmp_eq_f32_e32 vcc, 0, v33
	s_and_saveexec_b64 s[0:1], vcc
	s_xor_b64 s[0:1], exec, s[0:1]
; %bb.154:
	v_cmp_ne_u32_e32 vcc, 0, v178
	s_nop 1
	v_cndmask_b32_e32 v178, 10, v178, vcc
; %bb.155:
	s_andn2_saveexec_b64 s[0:1], s[0:1]
	s_cbranch_execz .LBB34_157
; %bb.156:
	v_div_scale_f32 v35, s[2:3], v33, v33, 1.0
	v_rcp_f32_e32 v36, v35
	v_div_scale_f32 v37, vcc, 1.0, v33, 1.0
	v_fma_f32 v38, -v35, v36, 1.0
	v_fmac_f32_e32 v36, v38, v36
	v_mul_f32_e32 v38, v37, v36
	v_fma_f32 v39, -v35, v38, v37
	v_fmac_f32_e32 v38, v39, v36
	v_fma_f32 v35, -v35, v38, v37
	v_div_fmas_f32 v35, v35, v36, v38
	v_div_fixup_f32 v33, v35, v33, 1.0
.LBB34_157:
	s_or_b64 exec, exec, s[0:1]
	v_cmp_ne_u32_e32 vcc, v246, v34
	s_and_saveexec_b64 s[0:1], vcc
	s_xor_b64 s[0:1], exec, s[0:1]
	s_cbranch_execz .LBB34_163
; %bb.158:
	v_cmp_eq_u32_e32 vcc, 9, v246
	s_and_saveexec_b64 s[2:3], vcc
	s_cbranch_execz .LBB34_162
; %bb.159:
	v_cmp_ne_u32_e32 vcc, 9, v34
	s_xor_b64 s[18:19], s[16:17], -1
	s_and_b64 s[20:21], s[18:19], vcc
	s_and_saveexec_b64 s[18:19], s[20:21]
	s_cbranch_execz .LBB34_161
; %bb.160:
	v_ashrrev_i32_e32 v35, 31, v34
	v_lshl_add_u64 v[36:37], v[34:35], 2, v[206:207]
	global_load_dword v35, v[36:37], off
	global_load_dword v38, v[206:207], off offset:36
	s_waitcnt vmcnt(1)
	global_store_dword v[206:207], v35, off offset:36
	s_waitcnt vmcnt(1)
	global_store_dword v[36:37], v38, off
.LBB34_161:
	s_or_b64 exec, exec, s[18:19]
	v_mov_b32_e32 v245, v34
	v_mov_b32_e32 v246, v34
.LBB34_162:
	s_or_b64 exec, exec, s[2:3]
.LBB34_163:
	s_andn2_saveexec_b64 s[0:1], s[0:1]
	s_cbranch_execz .LBB34_165
; %bb.164:
	v_mov_b32_e32 v246, 9
	ds_write2_b32 v244, v106, v107 offset0:10 offset1:11
	ds_write2_b32 v244, v108, v109 offset0:12 offset1:13
	;; [unrolled: 1-line block ×4, first 2 shown]
.LBB34_165:
	s_or_b64 exec, exec, s[0:1]
	v_cmp_lt_i32_e32 vcc, 9, v246
	s_waitcnt lgkmcnt(0)
	s_barrier
	s_and_saveexec_b64 s[0:1], vcc
	s_cbranch_execz .LBB34_167
; %bb.166:
	ds_read2_b32 v[0:1], v244 offset0:10 offset1:11
	ds_read2_b32 v[2:3], v244 offset0:12 offset1:13
	;; [unrolled: 1-line block ×4, first 2 shown]
	scratch_load_dwordx4 v[64:67], off, off offset:256 ; 16-byte Folded Reload
	scratch_load_dwordx4 v[68:71], off, off offset:272 ; 16-byte Folded Reload
	;; [unrolled: 1-line block ×8, first 2 shown]
	v_mul_f32_e32 v8, v185, v33
	s_waitcnt lgkmcnt(3)
	v_pk_fma_f32 v[156:157], v[8:9], v[0:1], v[106:107] op_sel_hi:[0,1,1] neg_lo:[1,0,0] neg_hi:[1,0,0]
	s_waitcnt lgkmcnt(2)
	v_pk_fma_f32 v[62:63], v[8:9], v[2:3], v[108:109] op_sel_hi:[0,1,1] neg_lo:[1,0,0] neg_hi:[1,0,0]
	s_waitcnt lgkmcnt(1)
	v_pk_fma_f32 v[32:33], v[8:9], v[4:5], v[110:111] op_sel_hi:[0,1,1] neg_lo:[1,0,0] neg_hi:[1,0,0]
	v_mov_b32_e32 v19, v8
	v_mov_b32_e32 v20, v156
	;; [unrolled: 1-line block ×13, first 2 shown]
	s_waitcnt lgkmcnt(0)
	v_pk_fma_f32 v[112:113], v[8:9], v[6:7], v[112:113] op_sel_hi:[0,1,1] neg_lo:[1,0,0] neg_hi:[1,0,0]
	v_mov_b32_e32 v155, v8
	s_waitcnt vmcnt(13)
	v_mov_b32_e32 v221, v8
	v_mov_b32_e32 v222, v156
	;; [unrolled: 1-line block ×12, first 2 shown]
	s_waitcnt vmcnt(5)
	v_mov_b32_e32 v34, v64
	v_mov_b32_e32 v35, v65
	;; [unrolled: 1-line block ×42, first 2 shown]
	scratch_store_dwordx4 off, v[10:13], off ; 16-byte Folded Spill
	s_nop 0
	scratch_store_dwordx4 off, v[14:17], off offset:16 ; 16-byte Folded Spill
	scratch_store_dwordx4 off, v[18:21], off offset:32 ; 16-byte Folded Spill
	;; [unrolled: 1-line block ×7, first 2 shown]
	v_mov_b32_e32 v58, v42
	v_mov_b32_e32 v154, v42
	;; [unrolled: 1-line block ×35, first 2 shown]
	scratch_store_dwordx4 off, v[34:37], off offset:128 ; 16-byte Folded Spill
	s_nop 0
	scratch_store_dwordx4 off, v[38:41], off offset:144 ; 16-byte Folded Spill
	scratch_store_dwordx4 off, v[42:45], off offset:160 ; 16-byte Folded Spill
	;; [unrolled: 1-line block ×7, first 2 shown]
	v_mov_b32_e32 v128, v32
	v_mov_b32_e32 v129, v33
	v_mov_b32_e32 v110, v32
	v_mov_b32_e32 v111, v33
	v_mov_b32_e32 v48, v156
	v_mov_b32_e32 v196, v32
	v_mov_b32_e32 v197, v33
	v_mov_b32_e32 v46, v62
	v_mov_b32_e32 v47, v63
.LBB34_167:
	s_or_b64 exec, exec, s[0:1]
	v_lshl_add_u32 v33, v246, 2, v244
	s_barrier
	ds_write_b32 v33, v48
	s_waitcnt lgkmcnt(0)
	s_barrier
	ds_read_b32 v33, v244 offset:40
	s_cmp_lt_i32 s22, 12
	v_mov_b32_e32 v34, 10
	s_cbranch_scc1 .LBB34_170
; %bb.168:
	v_add3_u32 v35, v247, 0, 44
	v_mov_b32_e32 v34, 10
	s_mov_b32 s0, 11
.LBB34_169:                             ; =>This Inner Loop Header: Depth=1
	ds_read_b32 v36, v35
	v_mov_b32_e32 v37, s0
	s_add_i32 s0, s0, 1
	v_add_u32_e32 v35, 4, v35
	s_cmp_lg_u32 s22, s0
	s_waitcnt lgkmcnt(0)
	v_cmp_lt_f32_e64 vcc, |v33|, |v36|
	s_nop 1
	v_cndmask_b32_e32 v33, v33, v36, vcc
	v_cndmask_b32_e32 v34, v34, v37, vcc
	s_cbranch_scc1 .LBB34_169
.LBB34_170:
	s_waitcnt lgkmcnt(0)
	v_cmp_eq_f32_e32 vcc, 0, v33
	s_and_saveexec_b64 s[0:1], vcc
	s_xor_b64 s[0:1], exec, s[0:1]
; %bb.171:
	v_cmp_ne_u32_e32 vcc, 0, v178
	s_nop 1
	v_cndmask_b32_e32 v178, 11, v178, vcc
; %bb.172:
	s_andn2_saveexec_b64 s[0:1], s[0:1]
	s_cbranch_execz .LBB34_174
; %bb.173:
	v_div_scale_f32 v35, s[2:3], v33, v33, 1.0
	v_rcp_f32_e32 v36, v35
	v_div_scale_f32 v37, vcc, 1.0, v33, 1.0
	v_fma_f32 v38, -v35, v36, 1.0
	v_fmac_f32_e32 v36, v38, v36
	v_mul_f32_e32 v38, v37, v36
	v_fma_f32 v39, -v35, v38, v37
	v_fmac_f32_e32 v38, v39, v36
	v_fma_f32 v35, -v35, v38, v37
	v_div_fmas_f32 v35, v35, v36, v38
	v_div_fixup_f32 v33, v35, v33, 1.0
.LBB34_174:
	s_or_b64 exec, exec, s[0:1]
	v_cmp_ne_u32_e32 vcc, v246, v34
	s_and_saveexec_b64 s[0:1], vcc
	s_xor_b64 s[0:1], exec, s[0:1]
	s_cbranch_execz .LBB34_180
; %bb.175:
	v_cmp_eq_u32_e32 vcc, 10, v246
	s_and_saveexec_b64 s[2:3], vcc
	s_cbranch_execz .LBB34_179
; %bb.176:
	v_cmp_ne_u32_e32 vcc, 10, v34
	s_xor_b64 s[18:19], s[16:17], -1
	s_and_b64 s[20:21], s[18:19], vcc
	s_and_saveexec_b64 s[18:19], s[20:21]
	s_cbranch_execz .LBB34_178
; %bb.177:
	v_ashrrev_i32_e32 v35, 31, v34
	v_lshl_add_u64 v[36:37], v[34:35], 2, v[206:207]
	global_load_dword v35, v[36:37], off
	global_load_dword v38, v[206:207], off offset:40
	s_waitcnt vmcnt(1)
	global_store_dword v[206:207], v35, off offset:40
	s_waitcnt vmcnt(1)
	global_store_dword v[36:37], v38, off
.LBB34_178:
	s_or_b64 exec, exec, s[18:19]
	v_mov_b32_e32 v245, v34
	v_mov_b32_e32 v246, v34
.LBB34_179:
	s_or_b64 exec, exec, s[2:3]
.LBB34_180:
	s_andn2_saveexec_b64 s[0:1], s[0:1]
	s_cbranch_execz .LBB34_182
; %bb.181:
	v_mov_b32_e32 v246, 10
	ds_write2_b32 v244, v107, v108 offset0:11 offset1:12
	ds_write2_b32 v244, v109, v110 offset0:13 offset1:14
	ds_write2_b32 v244, v111, v112 offset0:15 offset1:16
	ds_write_b32 v244, v209 offset:68
.LBB34_182:
	s_or_b64 exec, exec, s[0:1]
	v_cmp_lt_i32_e32 vcc, 10, v246
	s_waitcnt lgkmcnt(0)
	s_barrier
	s_and_saveexec_b64 s[0:1], vcc
	s_cbranch_execz .LBB34_184
; %bb.183:
	scratch_load_dwordx4 v[146:149], off, off offset:128 ; 16-byte Folded Reload
	scratch_load_dwordx4 v[150:153], off, off offset:144 ; 16-byte Folded Reload
	;; [unrolled: 1-line block ×8, first 2 shown]
	ds_read2_b32 v[0:1], v244 offset0:11 offset1:12
	ds_read2_b32 v[4:5], v244 offset0:13 offset1:14
	;; [unrolled: 1-line block ×3, first 2 shown]
	ds_read_b32 v8, v244 offset:68
	s_waitcnt vmcnt(5)
	v_mul_f32_e32 v156, v48, v33
	v_mov_b32_e32 v2, v107
	v_mov_b32_e32 v3, v108
	;; [unrolled: 1-line block ×3, first 2 shown]
	s_waitcnt lgkmcnt(0)
	v_fma_f32 v113, -v156, v8, v209
	v_mov_b32_e32 v60, v156
	v_mov_b32_e32 v124, v156
	;; [unrolled: 1-line block ×6, first 2 shown]
	v_pk_fma_f32 v[34:35], v[156:157], v[0:1], v[2:3] op_sel_hi:[0,1,1] neg_lo:[1,0,0] neg_hi:[1,0,0]
	v_mov_b32_e32 v0, v109
	v_mov_b32_e32 v1, v110
	v_pk_fma_f32 v[36:37], v[156:157], v[4:5], v[0:1] op_sel_hi:[0,1,1] neg_lo:[1,0,0] neg_hi:[1,0,0]
	v_mov_b32_e32 v0, v111
	v_mov_b32_e32 v1, v112
	;; [unrolled: 3-line block ×3, first 2 shown]
	v_mov_b32_e32 v2, v148
	v_mov_b32_e32 v3, v149
	;; [unrolled: 1-line block ×12, first 2 shown]
	scratch_store_dwordx4 off, v[0:3], off  ; 16-byte Folded Spill
	s_nop 0
	scratch_store_dwordx4 off, v[4:7], off offset:16 ; 16-byte Folded Spill
	scratch_store_dwordx4 off, v[8:11], off offset:32 ; 16-byte Folded Spill
	;; [unrolled: 1-line block ×7, first 2 shown]
	s_waitcnt vmcnt(8)
	v_mov_b64_e32 v[242:243], v[176:177]
	v_mov_b32_e32 v52, v148
	v_mov_b32_e32 v53, v149
	v_mov_b32_e32 v54, v150
	v_mov_b32_e32 v55, v151
	v_mov_b32_e32 v56, v152
	v_mov_b32_e32 v57, v153
	v_mov_b32_e32 v58, v154
	v_mov_b32_e32 v59, v155
	v_mov_b32_e32 v61, v34
	v_mov_b32_e32 v62, v35
	v_mov_b32_e32 v18, v146
	v_mov_b32_e32 v19, v147
	v_mov_b32_e32 v20, v148
	v_mov_b32_e32 v21, v149
	v_mov_b32_e32 v22, v150
	v_mov_b32_e32 v23, v151
	v_mov_b32_e32 v24, v152
	v_mov_b32_e32 v25, v153
	v_mov_b32_e32 v26, v154
	v_mov_b32_e32 v27, v155
	v_mov_b32_e32 v28, v156
	v_mov_b32_e32 v29, v34
	v_mov_b32_e32 v30, v35
	v_mov_b32_e32 v31, v36
	v_mov_b32_e32 v32, v37
	v_mov_b32_e32 v114, v146
	v_mov_b32_e32 v115, v147
	v_mov_b32_e32 v116, v148
	v_mov_b32_e32 v117, v149
	v_mov_b32_e32 v118, v150
	v_mov_b32_e32 v119, v151
	v_mov_b32_e32 v120, v152
	v_mov_b32_e32 v121, v153
	v_mov_b32_e32 v122, v154
	v_mov_b32_e32 v123, v155
	v_mov_b32_e32 v125, v34
	v_mov_b32_e32 v126, v35
	v_mov_b32_e32 v127, v36
	v_mov_b32_e32 v128, v37
	v_mov_b32_e32 v129, v210
	v_mov_b32_e32 v96, v146
	v_mov_b32_e32 v97, v147
	v_mov_b32_e32 v98, v148
	v_mov_b32_e32 v99, v149
	v_mov_b32_e32 v100, v150
	v_mov_b32_e32 v101, v151
	v_mov_b32_e32 v102, v152
	v_mov_b32_e32 v103, v153
	v_mov_b32_e32 v104, v154
	v_mov_b32_e32 v105, v155
	v_mov_b32_e32 v107, v34
	v_mov_b32_e32 v108, v35
	v_mov_b32_e32 v109, v36
	v_mov_b32_e32 v110, v37
	v_mov_b32_e32 v111, v210
	v_mov_b32_e32 v112, v211
	v_mov_b64_e32 v[240:241], v[174:175]
	v_mov_b64_e32 v[238:239], v[172:173]
	;; [unrolled: 1-line block ×15, first 2 shown]
	v_mov_b32_e32 v183, v34
	v_mov_b32_e32 v46, v35
	;; [unrolled: 1-line block ×5, first 2 shown]
.LBB34_184:
	s_or_b64 exec, exec, s[0:1]
	v_lshl_add_u32 v33, v246, 2, v244
	s_barrier
	ds_write_b32 v33, v183
	s_waitcnt lgkmcnt(0)
	s_barrier
	ds_read_b32 v33, v244 offset:44
	s_cmp_lt_i32 s22, 13
	v_mov_b32_e32 v34, 11
	s_cbranch_scc1 .LBB34_187
; %bb.185:
	v_add3_u32 v35, v247, 0, 48
	v_mov_b32_e32 v34, 11
	s_mov_b32 s0, 12
.LBB34_186:                             ; =>This Inner Loop Header: Depth=1
	ds_read_b32 v36, v35
	v_mov_b32_e32 v37, s0
	s_add_i32 s0, s0, 1
	v_add_u32_e32 v35, 4, v35
	s_cmp_lg_u32 s22, s0
	s_waitcnt lgkmcnt(0)
	v_cmp_lt_f32_e64 vcc, |v33|, |v36|
	s_nop 1
	v_cndmask_b32_e32 v33, v33, v36, vcc
	v_cndmask_b32_e32 v34, v34, v37, vcc
	s_cbranch_scc1 .LBB34_186
.LBB34_187:
	s_waitcnt lgkmcnt(0)
	v_cmp_eq_f32_e32 vcc, 0, v33
	s_and_saveexec_b64 s[0:1], vcc
	s_xor_b64 s[0:1], exec, s[0:1]
; %bb.188:
	v_cmp_ne_u32_e32 vcc, 0, v178
	s_nop 1
	v_cndmask_b32_e32 v178, 12, v178, vcc
; %bb.189:
	s_andn2_saveexec_b64 s[0:1], s[0:1]
	s_cbranch_execz .LBB34_191
; %bb.190:
	v_div_scale_f32 v35, s[2:3], v33, v33, 1.0
	v_rcp_f32_e32 v36, v35
	v_div_scale_f32 v37, vcc, 1.0, v33, 1.0
	v_fma_f32 v38, -v35, v36, 1.0
	v_fmac_f32_e32 v36, v38, v36
	v_mul_f32_e32 v38, v37, v36
	v_fma_f32 v39, -v35, v38, v37
	v_fmac_f32_e32 v38, v39, v36
	v_fma_f32 v35, -v35, v38, v37
	v_div_fmas_f32 v35, v35, v36, v38
	v_div_fixup_f32 v33, v35, v33, 1.0
.LBB34_191:
	s_or_b64 exec, exec, s[0:1]
	v_cmp_ne_u32_e32 vcc, v246, v34
	s_and_saveexec_b64 s[0:1], vcc
	s_xor_b64 s[0:1], exec, s[0:1]
	s_cbranch_execz .LBB34_197
; %bb.192:
	v_cmp_eq_u32_e32 vcc, 11, v246
	s_and_saveexec_b64 s[2:3], vcc
	s_cbranch_execz .LBB34_196
; %bb.193:
	v_cmp_ne_u32_e32 vcc, 11, v34
	s_xor_b64 s[18:19], s[16:17], -1
	s_and_b64 s[20:21], s[18:19], vcc
	s_and_saveexec_b64 s[18:19], s[20:21]
	s_cbranch_execz .LBB34_195
; %bb.194:
	v_ashrrev_i32_e32 v35, 31, v34
	v_lshl_add_u64 v[36:37], v[34:35], 2, v[206:207]
	global_load_dword v35, v[36:37], off
	global_load_dword v38, v[206:207], off offset:44
	s_waitcnt vmcnt(1)
	global_store_dword v[206:207], v35, off offset:44
	s_waitcnt vmcnt(1)
	global_store_dword v[36:37], v38, off
.LBB34_195:
	s_or_b64 exec, exec, s[18:19]
	v_mov_b32_e32 v245, v34
	v_mov_b32_e32 v246, v34
.LBB34_196:
	s_or_b64 exec, exec, s[2:3]
.LBB34_197:
	s_andn2_saveexec_b64 s[0:1], s[0:1]
	s_cbranch_execz .LBB34_199
; %bb.198:
	v_mov_b32_e32 v246, 11
	ds_write2_b32 v244, v108, v109 offset0:12 offset1:13
	ds_write2_b32 v244, v110, v111 offset0:14 offset1:15
	;; [unrolled: 1-line block ×3, first 2 shown]
.LBB34_199:
	s_or_b64 exec, exec, s[0:1]
	v_cmp_lt_i32_e32 vcc, 11, v246
	s_waitcnt lgkmcnt(0)
	s_barrier
	s_and_saveexec_b64 s[0:1], vcc
	s_cbranch_execz .LBB34_201
; %bb.200:
	ds_read2_b32 v[0:1], v244 offset0:12 offset1:13
	ds_read2_b32 v[2:3], v244 offset0:14 offset1:15
	;; [unrolled: 1-line block ×3, first 2 shown]
	v_mul_f32_e32 v34, v183, v33
	v_mov_b32_e32 v6, v152
	s_waitcnt lgkmcnt(2)
	v_pk_fma_f32 v[62:63], v[34:35], v[0:1], v[108:109] op_sel_hi:[0,1,1] neg_lo:[1,0,0] neg_hi:[1,0,0]
	s_waitcnt lgkmcnt(1)
	v_pk_fma_f32 v[32:33], v[34:35], v[2:3], v[110:111] op_sel_hi:[0,1,1] neg_lo:[1,0,0] neg_hi:[1,0,0]
	;; [unrolled: 2-line block ×3, first 2 shown]
	v_mov_b32_e32 v0, v146
	v_mov_b32_e32 v1, v147
	v_mov_b32_e32 v2, v148
	v_mov_b32_e32 v3, v149
	v_mov_b32_e32 v4, v150
	v_mov_b32_e32 v5, v151
	v_mov_b32_e32 v7, v153
	v_mov_b32_e32 v8, v154
	v_mov_b32_e32 v9, v155
	v_mov_b32_e32 v10, v156
	v_mov_b32_e32 v11, v34
	v_mov_b32_e32 v12, v62
	v_mov_b32_e32 v13, v63
	v_mov_b32_e32 v157, v34
	scratch_store_dwordx4 off, v[0:3], off  ; 16-byte Folded Spill
	s_nop 0
	scratch_store_dwordx4 off, v[4:7], off offset:16 ; 16-byte Folded Spill
	scratch_store_dwordx4 off, v[8:11], off offset:32 ; 16-byte Folded Spill
	scratch_store_dwordx4 off, v[12:15], off offset:48 ; 16-byte Folded Spill
	scratch_store_dwordx4 off, v[16:19], off offset:64 ; 16-byte Folded Spill
	scratch_store_dwordx4 off, v[20:23], off offset:80 ; 16-byte Folded Spill
	scratch_store_dwordx4 off, v[24:27], off offset:96 ; 16-byte Folded Spill
	scratch_store_dwordx4 off, v[28:31], off offset:112 ; 16-byte Folded Spill
	s_waitcnt vmcnt(8)
	v_mov_b64_e32 v[242:243], v[176:177]
	v_mov_b32_e32 v50, v146
	v_mov_b32_e32 v51, v147
	;; [unrolled: 1-line block ×58, first 2 shown]
	v_mov_b64_e32 v[240:241], v[174:175]
	v_mov_b64_e32 v[238:239], v[172:173]
	;; [unrolled: 1-line block ×15, first 2 shown]
	v_mov_b32_e32 v46, v62
	v_mov_b32_e32 v211, v112
	;; [unrolled: 1-line block ×6, first 2 shown]
.LBB34_201:
	s_or_b64 exec, exec, s[0:1]
	v_lshl_add_u32 v33, v246, 2, v244
	s_barrier
	ds_write_b32 v33, v46
	s_waitcnt lgkmcnt(0)
	s_barrier
	ds_read_b32 v33, v244 offset:48
	s_cmp_lt_i32 s22, 14
	v_mov_b32_e32 v34, 12
	s_cbranch_scc1 .LBB34_307
; %bb.202:
	scratch_load_dwordx4 v[146:149], off, off ; 16-byte Folded Reload
	scratch_load_dwordx4 v[150:153], off, off offset:16 ; 16-byte Folded Reload
	scratch_load_dwordx4 v[154:157], off, off offset:32 ; 16-byte Folded Reload
	scratch_load_dwordx4 v[158:161], off, off offset:48 ; 16-byte Folded Reload
	scratch_load_dwordx4 v[162:165], off, off offset:64 ; 16-byte Folded Reload
	scratch_load_dwordx4 v[166:169], off, off offset:80 ; 16-byte Folded Reload
	scratch_load_dwordx4 v[170:173], off, off offset:96 ; 16-byte Folded Reload
	scratch_load_dwordx4 v[174:177], off, off offset:112 ; 16-byte Folded Reload
	v_add3_u32 v35, v247, 0, 52
	v_mov_b32_e32 v34, 12
	s_mov_b32 s0, 13
.LBB34_203:                             ; =>This Inner Loop Header: Depth=1
	ds_read_b32 v36, v35
	v_mov_b32_e32 v37, s0
	s_add_i32 s0, s0, 1
	v_add_u32_e32 v35, 4, v35
	s_cmp_lg_u32 s22, s0
	s_waitcnt lgkmcnt(0)
	v_cmp_lt_f32_e64 vcc, |v33|, |v36|
	s_nop 1
	v_cndmask_b32_e32 v33, v33, v36, vcc
	v_cndmask_b32_e32 v34, v34, v37, vcc
	s_cbranch_scc1 .LBB34_203
; %bb.204:
	v_cmp_eq_f32_e32 vcc, 0, v33
	s_and_saveexec_b64 s[0:1], vcc
	s_xor_b64 s[0:1], exec, s[0:1]
.LBB34_205:
	v_cmp_ne_u32_e32 vcc, 0, v178
	s_nop 1
	v_cndmask_b32_e32 v178, 13, v178, vcc
.LBB34_206:
	s_andn2_saveexec_b64 s[0:1], s[0:1]
	s_cbranch_execz .LBB34_208
; %bb.207:
	v_div_scale_f32 v35, s[2:3], v33, v33, 1.0
	v_rcp_f32_e32 v36, v35
	v_div_scale_f32 v37, vcc, 1.0, v33, 1.0
	v_fma_f32 v38, -v35, v36, 1.0
	v_fmac_f32_e32 v36, v38, v36
	v_mul_f32_e32 v38, v37, v36
	v_fma_f32 v39, -v35, v38, v37
	v_fmac_f32_e32 v38, v39, v36
	v_fma_f32 v35, -v35, v38, v37
	v_div_fmas_f32 v35, v35, v36, v38
	v_div_fixup_f32 v33, v35, v33, 1.0
.LBB34_208:
	s_or_b64 exec, exec, s[0:1]
	v_cmp_ne_u32_e32 vcc, v246, v34
	s_and_saveexec_b64 s[0:1], vcc
	s_xor_b64 s[0:1], exec, s[0:1]
	s_cbranch_execz .LBB34_214
; %bb.209:
	v_cmp_eq_u32_e32 vcc, 12, v246
	s_and_saveexec_b64 s[2:3], vcc
	s_cbranch_execz .LBB34_213
; %bb.210:
	v_cmp_ne_u32_e32 vcc, 12, v34
	s_xor_b64 s[18:19], s[16:17], -1
	s_and_b64 s[20:21], s[18:19], vcc
	s_and_saveexec_b64 s[18:19], s[20:21]
	s_cbranch_execz .LBB34_212
; %bb.211:
	v_ashrrev_i32_e32 v35, 31, v34
	v_lshl_add_u64 v[36:37], v[34:35], 2, v[206:207]
	global_load_dword v35, v[36:37], off
	global_load_dword v38, v[206:207], off offset:48
	s_waitcnt vmcnt(1)
	global_store_dword v[206:207], v35, off offset:48
	s_waitcnt vmcnt(1)
	global_store_dword v[36:37], v38, off
.LBB34_212:
	s_or_b64 exec, exec, s[18:19]
	v_mov_b32_e32 v245, v34
	v_mov_b32_e32 v246, v34
.LBB34_213:
	s_or_b64 exec, exec, s[2:3]
.LBB34_214:
	s_andn2_saveexec_b64 s[0:1], s[0:1]
	s_cbranch_execz .LBB34_216
; %bb.215:
	v_mov_b32_e32 v246, 12
	ds_write2_b32 v244, v109, v110 offset0:13 offset1:14
	ds_write2_b32 v244, v111, v112 offset0:15 offset1:16
	ds_write_b32 v244, v209 offset:68
.LBB34_216:
	s_or_b64 exec, exec, s[0:1]
	v_cmp_lt_i32_e32 vcc, 12, v246
	s_waitcnt lgkmcnt(0)
	s_barrier
	s_and_saveexec_b64 s[0:1], vcc
	s_cbranch_execz .LBB34_218
; %bb.217:
	ds_read2_b32 v[0:1], v244 offset0:13 offset1:14
	ds_read2_b32 v[4:5], v244 offset0:15 offset1:16
	ds_read_b32 v6, v244 offset:68
	s_waitcnt vmcnt(12)
	v_mul_f32_e32 v224, v46, v33
	v_mov_b32_e32 v2, v109
	v_mov_b32_e32 v3, v110
	s_waitcnt lgkmcnt(2)
	v_pk_fma_f32 v[34:35], v[224:225], v[0:1], v[2:3] op_sel_hi:[0,1,1] neg_lo:[1,0,0] neg_hi:[1,0,0]
	v_mov_b32_e32 v0, v111
	v_mov_b32_e32 v1, v112
	s_waitcnt lgkmcnt(1)
	v_pk_fma_f32 v[210:211], v[224:225], v[4:5], v[0:1] op_sel_hi:[0,1,1] neg_lo:[1,0,0] neg_hi:[1,0,0]
	s_waitcnt lgkmcnt(0)
	v_fma_f32 v113, -v224, v6, v209
	v_mov_b32_e32 v225, v34
	s_waitcnt vmcnt(0)
	v_mov_b64_e32 v[146:147], v[212:213]
	v_mov_b64_e32 v[50:51], v[212:213]
	v_mov_b32_e32 v18, v212
	v_mov_b32_e32 v19, v213
	;; [unrolled: 1-line block ×48, first 2 shown]
	v_mov_b64_e32 v[148:149], v[214:215]
	v_mov_b64_e32 v[150:151], v[216:217]
	;; [unrolled: 1-line block ×21, first 2 shown]
	v_mov_b32_e32 v47, v34
	v_mov_b32_e32 v196, v35
	;; [unrolled: 1-line block ×4, first 2 shown]
	v_mov_b64_e32 v[64:65], v[226:227]
	v_mov_b64_e32 v[66:67], v[228:229]
	;; [unrolled: 1-line block ×9, first 2 shown]
.LBB34_218:
	s_or_b64 exec, exec, s[0:1]
	v_lshl_add_u32 v33, v246, 2, v244
	s_barrier
	ds_write_b32 v33, v47
	s_waitcnt lgkmcnt(0)
	s_barrier
	ds_read_b32 v33, v244 offset:52
	s_cmp_lt_i32 s22, 15
	v_mov_b32_e32 v34, 13
	s_cbranch_scc1 .LBB34_221
; %bb.219:
	v_add3_u32 v35, v247, 0, 56
	v_mov_b32_e32 v34, 13
	s_mov_b32 s0, 14
.LBB34_220:                             ; =>This Inner Loop Header: Depth=1
	ds_read_b32 v36, v35
	v_mov_b32_e32 v37, s0
	s_add_i32 s0, s0, 1
	v_add_u32_e32 v35, 4, v35
	s_cmp_lg_u32 s22, s0
	s_waitcnt lgkmcnt(0)
	v_cmp_lt_f32_e64 vcc, |v33|, |v36|
	s_nop 1
	v_cndmask_b32_e32 v33, v33, v36, vcc
	v_cndmask_b32_e32 v34, v34, v37, vcc
	s_cbranch_scc1 .LBB34_220
.LBB34_221:
	s_waitcnt lgkmcnt(0)
	v_cmp_eq_f32_e32 vcc, 0, v33
	s_and_saveexec_b64 s[0:1], vcc
	s_xor_b64 s[0:1], exec, s[0:1]
; %bb.222:
	v_cmp_ne_u32_e32 vcc, 0, v178
	s_nop 1
	v_cndmask_b32_e32 v178, 14, v178, vcc
; %bb.223:
	s_andn2_saveexec_b64 s[0:1], s[0:1]
	s_cbranch_execz .LBB34_225
; %bb.224:
	v_div_scale_f32 v35, s[2:3], v33, v33, 1.0
	v_rcp_f32_e32 v36, v35
	v_div_scale_f32 v37, vcc, 1.0, v33, 1.0
	v_fma_f32 v38, -v35, v36, 1.0
	v_fmac_f32_e32 v36, v38, v36
	v_mul_f32_e32 v38, v37, v36
	v_fma_f32 v39, -v35, v38, v37
	v_fmac_f32_e32 v38, v39, v36
	v_fma_f32 v35, -v35, v38, v37
	v_div_fmas_f32 v35, v35, v36, v38
	v_div_fixup_f32 v33, v35, v33, 1.0
.LBB34_225:
	s_or_b64 exec, exec, s[0:1]
	v_cmp_ne_u32_e32 vcc, v246, v34
	s_and_saveexec_b64 s[0:1], vcc
	s_xor_b64 s[0:1], exec, s[0:1]
	s_cbranch_execz .LBB34_231
; %bb.226:
	v_cmp_eq_u32_e32 vcc, 13, v246
	s_and_saveexec_b64 s[2:3], vcc
	s_cbranch_execz .LBB34_230
; %bb.227:
	v_cmp_ne_u32_e32 vcc, 13, v34
	s_xor_b64 s[18:19], s[16:17], -1
	s_and_b64 s[20:21], s[18:19], vcc
	s_and_saveexec_b64 s[18:19], s[20:21]
	s_cbranch_execz .LBB34_229
; %bb.228:
	v_ashrrev_i32_e32 v35, 31, v34
	v_lshl_add_u64 v[36:37], v[34:35], 2, v[206:207]
	global_load_dword v35, v[36:37], off
	global_load_dword v38, v[206:207], off offset:52
	s_waitcnt vmcnt(1)
	global_store_dword v[206:207], v35, off offset:52
	s_waitcnt vmcnt(1)
	global_store_dword v[36:37], v38, off
.LBB34_229:
	s_or_b64 exec, exec, s[18:19]
	v_mov_b32_e32 v245, v34
	v_mov_b32_e32 v246, v34
.LBB34_230:
	s_or_b64 exec, exec, s[2:3]
.LBB34_231:
	s_andn2_saveexec_b64 s[0:1], s[0:1]
	s_cbranch_execz .LBB34_233
; %bb.232:
	v_mov_b32_e32 v246, 13
	ds_write2_b32 v244, v110, v111 offset0:14 offset1:15
	ds_write2_b32 v244, v112, v113 offset0:16 offset1:17
.LBB34_233:
	s_or_b64 exec, exec, s[0:1]
	v_cmp_lt_i32_e32 vcc, 13, v246
	s_waitcnt lgkmcnt(0)
	s_barrier
	s_and_saveexec_b64 s[0:1], vcc
	s_cbranch_execz .LBB34_235
; %bb.234:
	ds_read2_b32 v[0:1], v244 offset0:14 offset1:15
	ds_read2_b32 v[2:3], v244 offset0:16 offset1:17
	v_mul_f32_e32 v34, v47, v33
	v_mov_b32_e32 v63, v34
	s_waitcnt vmcnt(0)
	v_mov_b64_e32 v[176:177], v[80:81]
	s_waitcnt lgkmcnt(1)
	v_pk_fma_f32 v[32:33], v[34:35], v[0:1], v[110:111] op_sel_hi:[0,1,1] neg_lo:[1,0,0] neg_hi:[1,0,0]
	s_waitcnt lgkmcnt(0)
	v_pk_fma_f32 v[112:113], v[34:35], v[2:3], v[112:113] op_sel_hi:[0,1,1] neg_lo:[1,0,0] neg_hi:[1,0,0]
	v_mov_b32_e32 v18, v50
	v_mov_b32_e32 v19, v51
	;; [unrolled: 1-line block ×46, first 2 shown]
	v_mov_b64_e32 v[174:175], v[78:79]
	v_mov_b64_e32 v[172:173], v[76:77]
	;; [unrolled: 1-line block ×15, first 2 shown]
	v_mov_b32_e32 v196, v32
	v_mov_b32_e32 v197, v33
	;; [unrolled: 1-line block ×4, first 2 shown]
.LBB34_235:
	s_or_b64 exec, exec, s[0:1]
	v_lshl_add_u32 v33, v246, 2, v244
	s_barrier
	ds_write_b32 v33, v196
	s_waitcnt lgkmcnt(0)
	s_barrier
	ds_read_b32 v33, v244 offset:56
	s_cmp_lt_i32 s22, 16
	v_mov_b32_e32 v34, 14
	s_cbranch_scc1 .LBB34_238
; %bb.236:
	v_add3_u32 v35, v247, 0, 60
	v_mov_b32_e32 v34, 14
	s_mov_b32 s0, 15
.LBB34_237:                             ; =>This Inner Loop Header: Depth=1
	ds_read_b32 v36, v35
	v_mov_b32_e32 v37, s0
	s_add_i32 s0, s0, 1
	v_add_u32_e32 v35, 4, v35
	s_cmp_lg_u32 s22, s0
	s_waitcnt lgkmcnt(0)
	v_cmp_lt_f32_e64 vcc, |v33|, |v36|
	s_nop 1
	v_cndmask_b32_e32 v33, v33, v36, vcc
	v_cndmask_b32_e32 v34, v34, v37, vcc
	s_cbranch_scc1 .LBB34_237
.LBB34_238:
	s_waitcnt lgkmcnt(0)
	v_cmp_eq_f32_e32 vcc, 0, v33
	s_and_saveexec_b64 s[0:1], vcc
	s_xor_b64 s[0:1], exec, s[0:1]
; %bb.239:
	v_cmp_ne_u32_e32 vcc, 0, v178
	s_nop 1
	v_cndmask_b32_e32 v178, 15, v178, vcc
; %bb.240:
	s_andn2_saveexec_b64 s[0:1], s[0:1]
	s_cbranch_execz .LBB34_242
; %bb.241:
	v_div_scale_f32 v35, s[2:3], v33, v33, 1.0
	v_rcp_f32_e32 v36, v35
	v_div_scale_f32 v37, vcc, 1.0, v33, 1.0
	v_fma_f32 v38, -v35, v36, 1.0
	v_fmac_f32_e32 v36, v38, v36
	v_mul_f32_e32 v38, v37, v36
	v_fma_f32 v39, -v35, v38, v37
	v_fmac_f32_e32 v38, v39, v36
	v_fma_f32 v35, -v35, v38, v37
	v_div_fmas_f32 v35, v35, v36, v38
	v_div_fixup_f32 v33, v35, v33, 1.0
.LBB34_242:
	s_or_b64 exec, exec, s[0:1]
	v_cmp_ne_u32_e32 vcc, v246, v34
	s_and_saveexec_b64 s[0:1], vcc
	s_xor_b64 s[0:1], exec, s[0:1]
	s_cbranch_execz .LBB34_248
; %bb.243:
	v_cmp_eq_u32_e32 vcc, 14, v246
	s_and_saveexec_b64 s[2:3], vcc
	s_cbranch_execz .LBB34_247
; %bb.244:
	v_cmp_ne_u32_e32 vcc, 14, v34
	s_xor_b64 s[18:19], s[16:17], -1
	s_and_b64 s[20:21], s[18:19], vcc
	s_and_saveexec_b64 s[18:19], s[20:21]
	s_cbranch_execz .LBB34_246
; %bb.245:
	v_ashrrev_i32_e32 v35, 31, v34
	v_lshl_add_u64 v[36:37], v[34:35], 2, v[206:207]
	global_load_dword v35, v[36:37], off
	global_load_dword v38, v[206:207], off offset:56
	s_waitcnt vmcnt(1)
	global_store_dword v[206:207], v35, off offset:56
	s_waitcnt vmcnt(1)
	global_store_dword v[36:37], v38, off
.LBB34_246:
	s_or_b64 exec, exec, s[18:19]
	v_mov_b32_e32 v245, v34
	v_mov_b32_e32 v246, v34
.LBB34_247:
	s_or_b64 exec, exec, s[2:3]
.LBB34_248:
	s_andn2_saveexec_b64 s[0:1], s[0:1]
	s_cbranch_execz .LBB34_250
; %bb.249:
	v_mov_b32_e32 v246, 14
	ds_write2_b32 v244, v111, v112 offset0:15 offset1:16
	ds_write_b32 v244, v209 offset:68
.LBB34_250:
	s_or_b64 exec, exec, s[0:1]
	v_cmp_lt_i32_e32 vcc, 14, v246
	s_waitcnt lgkmcnt(0)
	s_barrier
	s_and_saveexec_b64 s[0:1], vcc
	s_cbranch_execz .LBB34_252
; %bb.251:
	ds_read2_b32 v[0:1], v244 offset0:15 offset1:16
	ds_read_b32 v4, v244 offset:68
	s_waitcnt vmcnt(4)
	v_mul_f32_e32 v160, v196, v33
	v_mov_b32_e32 v2, v111
	v_mov_b32_e32 v3, v112
	s_waitcnt lgkmcnt(1)
	v_pk_fma_f32 v[210:211], v[160:161], v[0:1], v[2:3] op_sel_hi:[0,1,1] neg_lo:[1,0,0] neg_hi:[1,0,0]
	s_waitcnt lgkmcnt(0)
	v_fma_f32 v113, -v160, v4, v209
	v_mov_b32_e32 v161, v210
	s_waitcnt vmcnt(0)
	v_mov_b64_e32 v[114:115], v[146:147]
	v_mov_b64_e32 v[18:19], v[146:147]
	v_mov_b32_e32 v96, v146
	v_mov_b32_e32 v97, v147
	;; [unrolled: 1-line block ×17, first 2 shown]
	v_mov_b64_e32 v[116:117], v[148:149]
	v_mov_b64_e32 v[118:119], v[150:151]
	;; [unrolled: 1-line block ×14, first 2 shown]
	v_mov_b32_e32 v197, v210
	v_mov_b32_e32 v209, v113
	v_mov_b64_e32 v[130:131], v[162:163]
	v_mov_b64_e32 v[132:133], v[164:165]
	;; [unrolled: 1-line block ×16, first 2 shown]
.LBB34_252:
	s_or_b64 exec, exec, s[0:1]
	v_lshl_add_u32 v33, v246, 2, v244
	s_barrier
	ds_write_b32 v33, v197
	s_waitcnt lgkmcnt(0)
	s_barrier
	ds_read_b32 v33, v244 offset:60
	s_cmp_lt_i32 s22, 17
	v_mov_b32_e32 v34, 15
	s_cbranch_scc1 .LBB34_255
; %bb.253:
	v_add3_u32 v35, v247, 0, 64
	v_mov_b32_e32 v34, 15
	s_mov_b32 s0, 16
.LBB34_254:                             ; =>This Inner Loop Header: Depth=1
	ds_read_b32 v36, v35
	v_mov_b32_e32 v37, s0
	s_add_i32 s0, s0, 1
	v_add_u32_e32 v35, 4, v35
	s_cmp_lg_u32 s22, s0
	s_waitcnt lgkmcnt(0)
	v_cmp_lt_f32_e64 vcc, |v33|, |v36|
	s_nop 1
	v_cndmask_b32_e32 v33, v33, v36, vcc
	v_cndmask_b32_e32 v34, v34, v37, vcc
	s_cbranch_scc1 .LBB34_254
.LBB34_255:
	s_waitcnt lgkmcnt(0)
	v_cmp_eq_f32_e32 vcc, 0, v33
	s_and_saveexec_b64 s[0:1], vcc
	s_xor_b64 s[0:1], exec, s[0:1]
; %bb.256:
	v_cmp_ne_u32_e32 vcc, 0, v178
	s_nop 1
	v_cndmask_b32_e32 v178, 16, v178, vcc
; %bb.257:
	s_andn2_saveexec_b64 s[0:1], s[0:1]
	s_cbranch_execz .LBB34_259
; %bb.258:
	v_div_scale_f32 v35, s[2:3], v33, v33, 1.0
	v_rcp_f32_e32 v36, v35
	v_div_scale_f32 v37, vcc, 1.0, v33, 1.0
	v_fma_f32 v38, -v35, v36, 1.0
	v_fmac_f32_e32 v36, v38, v36
	v_mul_f32_e32 v38, v37, v36
	v_fma_f32 v39, -v35, v38, v37
	v_fmac_f32_e32 v38, v39, v36
	v_fma_f32 v35, -v35, v38, v37
	v_div_fmas_f32 v35, v35, v36, v38
	v_div_fixup_f32 v33, v35, v33, 1.0
.LBB34_259:
	s_or_b64 exec, exec, s[0:1]
	v_cmp_ne_u32_e32 vcc, v246, v34
	s_and_saveexec_b64 s[0:1], vcc
	s_xor_b64 s[0:1], exec, s[0:1]
	s_cbranch_execz .LBB34_265
; %bb.260:
	v_cmp_eq_u32_e32 vcc, 15, v246
	s_and_saveexec_b64 s[2:3], vcc
	s_cbranch_execz .LBB34_264
; %bb.261:
	v_cmp_ne_u32_e32 vcc, 15, v34
	s_xor_b64 s[18:19], s[16:17], -1
	s_and_b64 s[20:21], s[18:19], vcc
	s_and_saveexec_b64 s[18:19], s[20:21]
	s_cbranch_execz .LBB34_263
; %bb.262:
	v_ashrrev_i32_e32 v35, 31, v34
	v_lshl_add_u64 v[36:37], v[34:35], 2, v[206:207]
	global_load_dword v35, v[36:37], off
	global_load_dword v38, v[206:207], off offset:60
	s_waitcnt vmcnt(1)
	global_store_dword v[206:207], v35, off offset:60
	s_waitcnt vmcnt(1)
	global_store_dword v[36:37], v38, off
.LBB34_263:
	s_or_b64 exec, exec, s[18:19]
	v_mov_b32_e32 v245, v34
	v_mov_b32_e32 v246, v34
.LBB34_264:
	s_or_b64 exec, exec, s[2:3]
.LBB34_265:
	s_andn2_saveexec_b64 s[0:1], s[0:1]
; %bb.266:
	v_mov_b32_e32 v246, 15
	ds_write2_b32 v244, v112, v113 offset0:16 offset1:17
; %bb.267:
	s_or_b64 exec, exec, s[0:1]
	v_cmp_lt_i32_e32 vcc, 15, v246
	s_waitcnt lgkmcnt(0)
	s_barrier
	s_and_saveexec_b64 s[0:1], vcc
	s_cbranch_execz .LBB34_269
; %bb.268:
	ds_read2_b32 v[2:3], v244 offset0:16 offset1:17
	v_mul_f32_e32 v34, v197, v33
	v_mov_b32_e32 v33, v34
	v_mov_b64_e32 v[144:145], v[48:49]
	v_mov_b32_e32 v96, v18
	s_waitcnt lgkmcnt(0)
	v_pk_fma_f32 v[112:113], v[34:35], v[2:3], v[112:113] op_sel_hi:[0,1,1] neg_lo:[1,0,0] neg_hi:[1,0,0]
	v_mov_b32_e32 v97, v19
	v_mov_b32_e32 v98, v20
	;; [unrolled: 1-line block ×15, first 2 shown]
	v_mov_b64_e32 v[128:129], v[32:33]
	v_mov_b64_e32 v[126:127], v[30:31]
	;; [unrolled: 1-line block ×8, first 2 shown]
	v_mov_b32_e32 v211, v112
	v_mov_b32_e32 v209, v113
	v_mov_b64_e32 v[142:143], v[46:47]
	v_mov_b64_e32 v[140:141], v[44:45]
	;; [unrolled: 1-line block ×7, first 2 shown]
.LBB34_269:
	s_or_b64 exec, exec, s[0:1]
	v_lshl_add_u32 v18, v246, 2, v244
	s_barrier
	ds_write_b32 v18, v211
	s_waitcnt lgkmcnt(0)
	s_barrier
	ds_read_b32 v20, v244 offset:64
	s_cmp_lt_i32 s22, 18
	v_mov_b32_e32 v18, 16
	s_cbranch_scc1 .LBB34_272
; %bb.270:
	v_add_u32_e32 v19, 0x44, v244
	v_mov_b32_e32 v18, 16
	s_mov_b32 s0, 17
.LBB34_271:                             ; =>This Inner Loop Header: Depth=1
	ds_read_b32 v21, v19
	v_mov_b32_e32 v22, s0
	s_add_i32 s0, s0, 1
	v_add_u32_e32 v19, 4, v19
	s_cmp_lg_u32 s22, s0
	s_waitcnt lgkmcnt(0)
	v_cmp_lt_f32_e64 vcc, |v20|, |v21|
	s_nop 1
	v_cndmask_b32_e32 v20, v20, v21, vcc
	v_cndmask_b32_e32 v18, v18, v22, vcc
	s_cbranch_scc1 .LBB34_271
.LBB34_272:
	s_waitcnt lgkmcnt(0)
	v_cmp_eq_f32_e32 vcc, 0, v20
	s_and_saveexec_b64 s[0:1], vcc
	s_xor_b64 s[0:1], exec, s[0:1]
; %bb.273:
	v_cmp_ne_u32_e32 vcc, 0, v178
	s_nop 1
	v_cndmask_b32_e32 v178, 17, v178, vcc
; %bb.274:
	s_andn2_saveexec_b64 s[0:1], s[0:1]
	s_cbranch_execz .LBB34_276
; %bb.275:
	v_div_scale_f32 v19, s[2:3], v20, v20, 1.0
	v_rcp_f32_e32 v21, v19
	v_div_scale_f32 v22, vcc, 1.0, v20, 1.0
	v_fma_f32 v23, -v19, v21, 1.0
	v_fmac_f32_e32 v21, v23, v21
	v_mul_f32_e32 v23, v22, v21
	v_fma_f32 v24, -v19, v23, v22
	v_fmac_f32_e32 v23, v24, v21
	v_fma_f32 v19, -v19, v23, v22
	v_div_fmas_f32 v19, v19, v21, v23
	v_div_fixup_f32 v20, v19, v20, 1.0
.LBB34_276:
	s_or_b64 exec, exec, s[0:1]
	v_cmp_ne_u32_e32 vcc, v246, v18
	s_and_saveexec_b64 s[0:1], vcc
	s_xor_b64 s[0:1], exec, s[0:1]
	s_cbranch_execz .LBB34_282
; %bb.277:
	v_cmp_eq_u32_e32 vcc, 16, v246
	s_and_saveexec_b64 s[2:3], vcc
	s_cbranch_execz .LBB34_281
; %bb.278:
	v_cmp_ne_u32_e32 vcc, 16, v18
	s_xor_b64 s[18:19], s[16:17], -1
	s_and_b64 s[20:21], s[18:19], vcc
	s_and_saveexec_b64 s[18:19], s[20:21]
	s_cbranch_execz .LBB34_280
; %bb.279:
	v_ashrrev_i32_e32 v19, 31, v18
	v_lshl_add_u64 v[22:23], v[18:19], 2, v[206:207]
	global_load_dword v19, v[22:23], off
	global_load_dword v21, v[206:207], off offset:64
	s_waitcnt vmcnt(1)
	global_store_dword v[206:207], v19, off offset:64
	s_waitcnt vmcnt(1)
	global_store_dword v[22:23], v21, off
.LBB34_280:
	s_or_b64 exec, exec, s[18:19]
	v_mov_b32_e32 v245, v18
	v_mov_b32_e32 v246, v18
.LBB34_281:
	s_or_b64 exec, exec, s[2:3]
.LBB34_282:
	s_andn2_saveexec_b64 s[0:1], s[0:1]
; %bb.283:
	v_mov_b32_e32 v246, 16
	ds_write_b32 v244, v209 offset:68
; %bb.284:
	s_or_b64 exec, exec, s[0:1]
	v_cmp_lt_i32_e32 vcc, 16, v246
	s_waitcnt lgkmcnt(0)
	s_barrier
	s_and_saveexec_b64 s[0:1], vcc
	s_cbranch_execz .LBB34_286
; %bb.285:
	ds_read_b32 v0, v244 offset:68
	v_mul_f32_e32 v130, v211, v20
	s_waitcnt lgkmcnt(0)
	v_fma_f32 v131, -v130, v0, v209
	v_mov_b64_e32 v[96:97], v[114:115]
	v_mov_b64_e32 v[98:99], v[116:117]
	;; [unrolled: 1-line block ×9, first 2 shown]
	v_mov_b32_e32 v209, v131
	v_mov_b64_e32 v[114:115], v[132:133]
	v_mov_b64_e32 v[116:117], v[134:135]
	v_mov_b64_e32 v[118:119], v[136:137]
	v_mov_b64_e32 v[120:121], v[138:139]
	v_mov_b64_e32 v[122:123], v[140:141]
	v_mov_b64_e32 v[124:125], v[142:143]
	v_mov_b64_e32 v[126:127], v[144:145]
.LBB34_286:
	s_or_b64 exec, exec, s[0:1]
	v_lshl_add_u32 v18, v246, 2, v244
	s_barrier
	ds_write_b32 v18, v209
	s_waitcnt lgkmcnt(0)
	s_barrier
	ds_read_b32 v22, v244 offset:68
	s_cmp_lt_i32 s22, 19
	v_mov_b32_e32 v18, 17
	s_cbranch_scc1 .LBB34_289
; %bb.287:
	v_add_u32_e32 v19, 0x48, v244
	v_mov_b32_e32 v18, 17
	s_mov_b32 s0, 18
.LBB34_288:                             ; =>This Inner Loop Header: Depth=1
	ds_read_b32 v20, v19
	v_mov_b32_e32 v21, s0
	s_add_i32 s0, s0, 1
	v_add_u32_e32 v19, 4, v19
	s_cmp_lg_u32 s22, s0
	s_waitcnt lgkmcnt(0)
	v_cmp_lt_f32_e64 vcc, |v22|, |v20|
	s_nop 1
	v_cndmask_b32_e32 v22, v22, v20, vcc
	v_cndmask_b32_e32 v18, v18, v21, vcc
	s_cbranch_scc1 .LBB34_288
.LBB34_289:
	s_waitcnt lgkmcnt(0)
	v_cmp_eq_f32_e32 vcc, 0, v22
	s_and_saveexec_b64 s[0:1], vcc
	s_xor_b64 s[0:1], exec, s[0:1]
; %bb.290:
	v_cmp_ne_u32_e32 vcc, 0, v178
	s_nop 1
	v_cndmask_b32_e32 v178, 18, v178, vcc
; %bb.291:
	s_andn2_saveexec_b64 s[0:1], s[0:1]
	s_cbranch_execz .LBB34_293
; %bb.292:
	v_div_scale_f32 v19, s[2:3], v22, v22, 1.0
	v_rcp_f32_e32 v20, v19
	v_div_scale_f32 v21, vcc, 1.0, v22, 1.0
	v_fma_f32 v23, -v19, v20, 1.0
	v_fmac_f32_e32 v20, v23, v20
	v_mul_f32_e32 v23, v21, v20
	v_fma_f32 v24, -v19, v23, v21
	v_fmac_f32_e32 v23, v24, v20
	v_fma_f32 v19, -v19, v23, v21
	v_div_fmas_f32 v19, v19, v20, v23
	v_div_fixup_f32 v22, v19, v22, 1.0
.LBB34_293:
	s_or_b64 exec, exec, s[0:1]
	v_cmp_ne_u32_e32 vcc, v246, v18
	v_mov_b32_e32 v20, 17
	s_and_saveexec_b64 s[0:1], vcc
	s_cbranch_execz .LBB34_299
; %bb.294:
	v_cmp_eq_u32_e32 vcc, 17, v246
	s_and_saveexec_b64 s[2:3], vcc
	s_cbranch_execz .LBB34_298
; %bb.295:
	v_cmp_ne_u32_e32 vcc, 17, v18
	s_xor_b64 s[16:17], s[16:17], -1
	s_and_b64 s[18:19], s[16:17], vcc
	s_and_saveexec_b64 s[16:17], s[18:19]
	s_cbranch_execz .LBB34_297
; %bb.296:
	v_ashrrev_i32_e32 v19, 31, v18
	v_lshl_add_u64 v[20:21], v[18:19], 2, v[206:207]
	global_load_dword v19, v[20:21], off
	global_load_dword v23, v[206:207], off offset:68
	s_waitcnt vmcnt(1)
	global_store_dword v[206:207], v19, off offset:68
	s_waitcnt vmcnt(1)
	global_store_dword v[20:21], v23, off
.LBB34_297:
	s_or_b64 exec, exec, s[16:17]
	v_mov_b32_e32 v245, v18
	v_mov_b32_e32 v246, v18
.LBB34_298:
	s_or_b64 exec, exec, s[2:3]
	v_mov_b32_e32 v20, v246
.LBB34_299:
	s_or_b64 exec, exec, s[0:1]
	v_cmp_gt_i32_e32 vcc, 18, v20
	v_ashrrev_i32_e32 v21, 31, v20
	s_barrier
	s_barrier
	s_and_saveexec_b64 s[0:1], vcc
	s_cbranch_execz .LBB34_301
; %bb.300:
	v_mul_lo_u32 v23, s11, v204
	v_mul_lo_u32 v26, s10, v205
	v_mad_u64_u32 v[24:25], s[2:3], s10, v204, 0
	v_mov_b32_e32 v18, s6
	v_mov_b32_e32 v19, s7
	v_add3_u32 v25, v25, v26, v23
	v_lshl_add_u64 v[18:19], v[24:25], 2, v[18:19]
	v_lshl_add_u64 v[18:19], s[8:9], 2, v[18:19]
	;; [unrolled: 1-line block ×3, first 2 shown]
	v_add3_u32 v23, v245, s15, 1
	global_store_dword v[18:19], v23, off
.LBB34_301:
	s_or_b64 exec, exec, s[0:1]
	v_cmp_eq_u32_e32 vcc, 0, v20
	s_and_saveexec_b64 s[2:3], vcc
	s_cbranch_execz .LBB34_304
; %bb.302:
	v_mov_b32_e32 v18, s4
	v_mov_b32_e32 v19, s5
	v_lshl_add_u64 v[18:19], v[204:205], 2, v[18:19]
	global_load_dword v23, v[18:19], off
	v_cmp_ne_u32_e64 s[0:1], 0, v178
	s_waitcnt vmcnt(0)
	v_cmp_eq_u32_e32 vcc, 0, v23
	s_and_b64 s[0:1], vcc, s[0:1]
	s_and_b64 exec, exec, s[0:1]
	s_cbranch_execz .LBB34_304
; %bb.303:
	v_add_u32_e32 v23, s15, v178
	global_store_dword v[18:19], v23, off
.LBB34_304:
	s_or_b64 exec, exec, s[2:3]
	v_mul_f32_e32 v18, v209, v22
	v_cmp_lt_i32_e32 vcc, 17, v20
	v_add_u32_e32 v0, s14, v20
	v_ashrrev_i32_e32 v1, 31, v0
	v_cndmask_b32_e32 v17, v113, v18, vcc
	v_lshl_add_u64 v[18:19], v[20:21], 2, v[202:203]
	global_store_dword v[18:19], v96, off
	v_lshl_add_u64 v[18:19], s[12:13], 2, v[18:19]
	global_store_dword v[18:19], v97, off
	v_lshl_add_u64 v[18:19], v[0:1], 2, v[202:203]
	v_add_u32_e32 v0, s12, v0
	v_ashrrev_i32_e32 v1, 31, v0
	global_store_dword v[18:19], v98, off
	v_lshl_add_u64 v[18:19], v[0:1], 2, v[202:203]
	v_add_u32_e32 v0, s12, v0
	v_ashrrev_i32_e32 v1, 31, v0
	v_lshl_add_u64 v[2:3], v[0:1], 2, v[202:203]
	v_add_u32_e32 v0, s12, v0
	v_ashrrev_i32_e32 v1, 31, v0
	global_store_dword v[18:19], v99, off
	global_store_dword v[2:3], v100, off
	v_lshl_add_u64 v[2:3], v[0:1], 2, v[202:203]
	v_add_u32_e32 v0, s12, v0
	v_ashrrev_i32_e32 v1, 31, v0
	global_store_dword v[2:3], v101, off
	v_lshl_add_u64 v[2:3], v[0:1], 2, v[202:203]
	v_add_u32_e32 v0, s12, v0
	v_ashrrev_i32_e32 v1, 31, v0
	;; [unrolled: 4-line block ×12, first 2 shown]
	v_lshl_add_u64 v[0:1], v[0:1], 2, v[202:203]
	global_store_dword v[2:3], v112, off
	global_store_dword v[0:1], v17, off
.LBB34_305:
	s_endpgm
.LBB34_306:
	scratch_load_dwordx4 v[212:215], off, off offset:896 ; 16-byte Folded Reload
	scratch_load_dwordx4 v[216:219], off, off offset:912 ; 16-byte Folded Reload
	;; [unrolled: 1-line block ×8, first 2 shown]
	s_waitcnt lgkmcnt(0)
	v_cmp_eq_f32_e32 vcc, 0, v33
	s_and_saveexec_b64 s[0:1], vcc
	s_xor_b64 s[0:1], exec, s[0:1]
	s_cbranch_execnz .LBB34_52
	s_branch .LBB34_53
.LBB34_307:
	scratch_load_dwordx4 v[146:149], off, off ; 16-byte Folded Reload
	scratch_load_dwordx4 v[150:153], off, off offset:16 ; 16-byte Folded Reload
	scratch_load_dwordx4 v[154:157], off, off offset:32 ; 16-byte Folded Reload
	;; [unrolled: 1-line block ×7, first 2 shown]
	s_waitcnt lgkmcnt(0)
	v_cmp_eq_f32_e32 vcc, 0, v33
	s_and_saveexec_b64 s[0:1], vcc
	s_xor_b64 s[0:1], exec, s[0:1]
	s_cbranch_execnz .LBB34_205
	s_branch .LBB34_206
	.section	.rodata,"a",@progbits
	.p2align	6, 0x0
	.amdhsa_kernel _ZN9rocsolver6v33100L18getf2_small_kernelILi18EfiiPfEEvT1_T3_lS3_lPS3_llPT2_S3_S3_S5_l
		.amdhsa_group_segment_fixed_size 0
		.amdhsa_private_segment_fixed_size 1284
		.amdhsa_kernarg_size 352
		.amdhsa_user_sgpr_count 2
		.amdhsa_user_sgpr_dispatch_ptr 0
		.amdhsa_user_sgpr_queue_ptr 0
		.amdhsa_user_sgpr_kernarg_segment_ptr 1
		.amdhsa_user_sgpr_dispatch_id 0
		.amdhsa_user_sgpr_kernarg_preload_length 0
		.amdhsa_user_sgpr_kernarg_preload_offset 0
		.amdhsa_user_sgpr_private_segment_size 0
		.amdhsa_uses_dynamic_stack 0
		.amdhsa_enable_private_segment 1
		.amdhsa_system_sgpr_workgroup_id_x 1
		.amdhsa_system_sgpr_workgroup_id_y 1
		.amdhsa_system_sgpr_workgroup_id_z 0
		.amdhsa_system_sgpr_workgroup_info 0
		.amdhsa_system_vgpr_workitem_id 1
		.amdhsa_next_free_vgpr 256
		.amdhsa_next_free_sgpr 28
		.amdhsa_accum_offset 256
		.amdhsa_reserve_vcc 1
		.amdhsa_float_round_mode_32 0
		.amdhsa_float_round_mode_16_64 0
		.amdhsa_float_denorm_mode_32 3
		.amdhsa_float_denorm_mode_16_64 3
		.amdhsa_dx10_clamp 1
		.amdhsa_ieee_mode 1
		.amdhsa_fp16_overflow 0
		.amdhsa_tg_split 0
		.amdhsa_exception_fp_ieee_invalid_op 0
		.amdhsa_exception_fp_denorm_src 0
		.amdhsa_exception_fp_ieee_div_zero 0
		.amdhsa_exception_fp_ieee_overflow 0
		.amdhsa_exception_fp_ieee_underflow 0
		.amdhsa_exception_fp_ieee_inexact 0
		.amdhsa_exception_int_div_zero 0
	.end_amdhsa_kernel
	.section	.text._ZN9rocsolver6v33100L18getf2_small_kernelILi18EfiiPfEEvT1_T3_lS3_lPS3_llPT2_S3_S3_S5_l,"axG",@progbits,_ZN9rocsolver6v33100L18getf2_small_kernelILi18EfiiPfEEvT1_T3_lS3_lPS3_llPT2_S3_S3_S5_l,comdat
.Lfunc_end34:
	.size	_ZN9rocsolver6v33100L18getf2_small_kernelILi18EfiiPfEEvT1_T3_lS3_lPS3_llPT2_S3_S3_S5_l, .Lfunc_end34-_ZN9rocsolver6v33100L18getf2_small_kernelILi18EfiiPfEEvT1_T3_lS3_lPS3_llPT2_S3_S3_S5_l
                                        ; -- End function
	.set _ZN9rocsolver6v33100L18getf2_small_kernelILi18EfiiPfEEvT1_T3_lS3_lPS3_llPT2_S3_S3_S5_l.num_vgpr, 256
	.set _ZN9rocsolver6v33100L18getf2_small_kernelILi18EfiiPfEEvT1_T3_lS3_lPS3_llPT2_S3_S3_S5_l.num_agpr, 0
	.set _ZN9rocsolver6v33100L18getf2_small_kernelILi18EfiiPfEEvT1_T3_lS3_lPS3_llPT2_S3_S3_S5_l.numbered_sgpr, 28
	.set _ZN9rocsolver6v33100L18getf2_small_kernelILi18EfiiPfEEvT1_T3_lS3_lPS3_llPT2_S3_S3_S5_l.num_named_barrier, 0
	.set _ZN9rocsolver6v33100L18getf2_small_kernelILi18EfiiPfEEvT1_T3_lS3_lPS3_llPT2_S3_S3_S5_l.private_seg_size, 1284
	.set _ZN9rocsolver6v33100L18getf2_small_kernelILi18EfiiPfEEvT1_T3_lS3_lPS3_llPT2_S3_S3_S5_l.uses_vcc, 1
	.set _ZN9rocsolver6v33100L18getf2_small_kernelILi18EfiiPfEEvT1_T3_lS3_lPS3_llPT2_S3_S3_S5_l.uses_flat_scratch, 0
	.set _ZN9rocsolver6v33100L18getf2_small_kernelILi18EfiiPfEEvT1_T3_lS3_lPS3_llPT2_S3_S3_S5_l.has_dyn_sized_stack, 0
	.set _ZN9rocsolver6v33100L18getf2_small_kernelILi18EfiiPfEEvT1_T3_lS3_lPS3_llPT2_S3_S3_S5_l.has_recursion, 0
	.set _ZN9rocsolver6v33100L18getf2_small_kernelILi18EfiiPfEEvT1_T3_lS3_lPS3_llPT2_S3_S3_S5_l.has_indirect_call, 0
	.section	.AMDGPU.csdata,"",@progbits
; Kernel info:
; codeLenInByte = 23336
; TotalNumSgprs: 34
; NumVgprs: 256
; NumAgprs: 0
; TotalNumVgprs: 256
; ScratchSize: 1284
; MemoryBound: 0
; FloatMode: 240
; IeeeMode: 1
; LDSByteSize: 0 bytes/workgroup (compile time only)
; SGPRBlocks: 4
; VGPRBlocks: 31
; NumSGPRsForWavesPerEU: 34
; NumVGPRsForWavesPerEU: 256
; AccumOffset: 256
; Occupancy: 2
; WaveLimiterHint : 0
; COMPUTE_PGM_RSRC2:SCRATCH_EN: 1
; COMPUTE_PGM_RSRC2:USER_SGPR: 2
; COMPUTE_PGM_RSRC2:TRAP_HANDLER: 0
; COMPUTE_PGM_RSRC2:TGID_X_EN: 1
; COMPUTE_PGM_RSRC2:TGID_Y_EN: 1
; COMPUTE_PGM_RSRC2:TGID_Z_EN: 0
; COMPUTE_PGM_RSRC2:TIDIG_COMP_CNT: 1
; COMPUTE_PGM_RSRC3_GFX90A:ACCUM_OFFSET: 63
; COMPUTE_PGM_RSRC3_GFX90A:TG_SPLIT: 0
	.section	.text._ZN9rocsolver6v33100L23getf2_npvt_small_kernelILi18EfiiPfEEvT1_T3_lS3_lPT2_S3_S3_,"axG",@progbits,_ZN9rocsolver6v33100L23getf2_npvt_small_kernelILi18EfiiPfEEvT1_T3_lS3_lPT2_S3_S3_,comdat
	.globl	_ZN9rocsolver6v33100L23getf2_npvt_small_kernelILi18EfiiPfEEvT1_T3_lS3_lPT2_S3_S3_ ; -- Begin function _ZN9rocsolver6v33100L23getf2_npvt_small_kernelILi18EfiiPfEEvT1_T3_lS3_lPT2_S3_S3_
	.p2align	8
	.type	_ZN9rocsolver6v33100L23getf2_npvt_small_kernelILi18EfiiPfEEvT1_T3_lS3_lPT2_S3_S3_,@function
_ZN9rocsolver6v33100L23getf2_npvt_small_kernelILi18EfiiPfEEvT1_T3_lS3_lPT2_S3_S3_: ; @_ZN9rocsolver6v33100L23getf2_npvt_small_kernelILi18EfiiPfEEvT1_T3_lS3_lPT2_S3_S3_
; %bb.0:
	s_load_dword s2, s[0:1], 0x44
	s_load_dwordx2 s[36:37], s[0:1], 0x30
	v_bfe_u32 v1, v0, 10, 10
	s_waitcnt lgkmcnt(0)
	s_lshr_b32 s8, s2, 16
	s_mul_i32 s3, s3, s8
	v_add_u32_e32 v252, s3, v1
	v_cmp_gt_i32_e32 vcc, s36, v252
	s_and_saveexec_b64 s[2:3], vcc
	s_cbranch_execz .LBB35_95
; %bb.1:
	s_load_dwordx4 s[12:15], s[0:1], 0x8
	s_load_dword s2, s[0:1], 0x18
	s_load_dwordx4 s[4:7], s[0:1], 0x20
	v_ashrrev_i32_e32 v253, 31, v252
	v_and_b32_e32 v242, 0x3ff, v0
	s_waitcnt lgkmcnt(0)
	v_mov_b32_e32 v2, s12
	v_mov_b32_e32 v3, s13
	v_mul_lo_u32 v0, s5, v252
	v_mul_lo_u32 v6, s4, v253
	v_mad_u64_u32 v[4:5], s[0:1], s4, v252, 0
	v_add3_u32 v5, v5, v6, v0
	v_lshl_add_u64 v[2:3], v[4:5], 2, v[2:3]
	v_lshl_add_u64 v[12:13], s[14:15], 2, v[2:3]
	v_lshlrev_b32_e32 v2, 2, v242
	v_mov_b32_e32 v3, 0
	s_add_i32 s0, s2, s2
	v_lshl_add_u64 v[246:247], v[12:13], 0, v[2:3]
	v_add_u32_e32 v2, s0, v242
	v_ashrrev_i32_e32 v3, 31, v2
	v_lshl_add_u64 v[22:23], v[2:3], 2, v[12:13]
	v_add_u32_e32 v2, s2, v2
	v_ashrrev_i32_e32 v3, 31, v2
	;; [unrolled: 3-line block ×12, first 2 shown]
	v_lshl_add_u64 v[30:31], v[2:3], 2, v[12:13]
	v_add_u32_e32 v2, s2, v2
	v_add_u32_e32 v10, s2, v2
	v_ashrrev_i32_e32 v3, 31, v2
	v_ashrrev_i32_e32 v11, 31, v10
	v_lshl_add_u64 v[32:33], v[2:3], 2, v[12:13]
	v_lshl_add_u64 v[254:255], v[10:11], 2, v[12:13]
	scratch_store_dwordx2 off, v[4:5], off offset:1424 ; 8-byte Folded Spill
	global_load_dword v11, v[4:5], off
	global_load_dword v2, v[6:7], off
	;; [unrolled: 1-line block ×3, first 2 shown]
	s_ashr_i32 s3, s2, 31
	scratch_store_dwordx2 off, v[6:7], off offset:1432 ; 8-byte Folded Spill
	scratch_store_dwordx2 off, v[14:15], off offset:1448 ; 8-byte Folded Spill
	global_load_dword v4, v[14:15], off
	global_load_dword v5, v[28:29], off
	v_lshl_add_u64 v[16:17], s[2:3], 2, v[246:247]
	global_load_dword v6, v[30:31], off
	v_add_u32_e32 v14, s2, v10
	v_ashrrev_i32_e32 v15, 31, v14
	scratch_store_dwordx2 off, v[8:9], off offset:1440 ; 8-byte Folded Spill
	scratch_store_dwordx2 off, v[28:29], off offset:1500 ; 8-byte Folded Spill
	;; [unrolled: 1-line block ×4, first 2 shown]
	v_lshl_add_u64 v[248:249], v[14:15], 2, v[12:13]
	v_add_u32_e32 v14, s2, v14
	global_load_dword v7, v[32:33], off
	global_load_dword v8, v[254:255], off
	v_ashrrev_i32_e32 v15, 31, v14
	scratch_store_dwordx2 off, v[16:17], off offset:1460 ; 8-byte Folded Spill
	scratch_store_dwordx2 off, v[22:23], off offset:1468 ; 8-byte Folded Spill
	scratch_store_dwordx2 off, v[24:25], off offset:1476 ; 8-byte Folded Spill
	scratch_store_dwordx2 off, v[26:27], off offset:1484 ; 8-byte Folded Spill
	v_lshl_add_u64 v[28:29], v[14:15], 2, v[12:13]
	global_load_dword v12, v[16:17], off
	global_load_dword v13, v[22:23], off
	;; [unrolled: 1-line block ×4, first 2 shown]
	s_nop 0
	global_load_dword v16, v[250:251], off
	global_load_dword v17, v[18:19], off
	s_mulk_i32 s8, 0x48
	scratch_store_dwordx2 off, v[18:19], off offset:1408 ; 8-byte Folded Spill
	scratch_store_dwordx2 off, v[20:21], off offset:1416 ; 8-byte Folded Spill
	global_load_dword v10, v[20:21], off
	global_load_dword v0, v[246:247], off
	;; [unrolled: 1-line block ×4, first 2 shown]
	s_movk_i32 s0, 0x48
	s_add_i32 s1, s8, 0
	v_mad_u32_u24 v245, v1, s0, 0
	v_lshl_add_u32 v244, v1, 2, s1
	v_cmp_ne_u32_e64 s[2:3], 0, v242
	v_cmp_eq_u32_e64 s[0:1], 0, v242
	scratch_store_dwordx2 off, v[28:29], off offset:1492 ; 8-byte Folded Spill
	s_and_saveexec_b64 s[4:5], s[0:1]
	s_cbranch_execz .LBB35_4
; %bb.2:
	s_waitcnt vmcnt(3)
	ds_write_b32 v244, v0
	ds_write2_b32 v245, v12, v13 offset0:1 offset1:2
	ds_write2_b32 v245, v14, v15 offset0:3 offset1:4
	;; [unrolled: 1-line block ×7, first 2 shown]
	s_waitcnt vmcnt(2)
	ds_write2_b32 v245, v8, v9 offset0:15 offset1:16
	s_waitcnt vmcnt(1)
	ds_write_b32 v245, v35 offset:68
	ds_read_b32 v1, v244
	s_waitcnt lgkmcnt(0)
	v_cmp_neq_f32_e32 vcc, 0, v1
	s_and_b64 exec, exec, vcc
	s_cbranch_execz .LBB35_4
; %bb.3:
	v_div_scale_f32 v18, s[8:9], v1, v1, 1.0
	v_rcp_f32_e32 v19, v18
	v_div_scale_f32 v20, vcc, 1.0, v1, 1.0
	v_fma_f32 v21, -v18, v19, 1.0
	v_fmac_f32_e32 v19, v21, v19
	v_mul_f32_e32 v21, v20, v19
	v_fma_f32 v22, -v18, v21, v20
	v_fmac_f32_e32 v21, v22, v19
	v_fma_f32 v18, -v18, v21, v20
	v_div_fmas_f32 v18, v18, v19, v21
	v_div_fixup_f32 v1, v18, v1, 1.0
	ds_write_b32 v244, v1
.LBB35_4:
	s_or_b64 exec, exec, s[4:5]
	s_waitcnt lgkmcnt(0)
	s_barrier
	ds_read_b32 v1, v244
                                        ; implicit-def: $vgpr51
                                        ; implicit-def: $vgpr151
                                        ; implicit-def: $vgpr18
                                        ; implicit-def: $vgpr80
                                        ; implicit-def: $vgpr227
                                        ; implicit-def: $vgpr28
                                        ; implicit-def: $vgpr177
                                        ; implicit-def: $vgpr90
                                        ; implicit-def: $vgpr185
                                        ; implicit-def: $vgpr196
                                        ; implicit-def: $vgpr157
                                        ; implicit-def: $vgpr136
                                        ; implicit-def: $vgpr189
                                        ; implicit-def: $vgpr166
	s_waitcnt lgkmcnt(0)
	scratch_store_dword off, v1, off offset:1456 ; 4-byte Folded Spill
	s_and_saveexec_b64 s[4:5], s[2:3]
	s_xor_b64 s[2:3], exec, s[4:5]
	s_cbranch_execz .LBB35_6
; %bb.5:
	ds_read2_b32 v[18:19], v245 offset0:1 offset1:2
	ds_read2_b32 v[20:21], v245 offset0:3 offset1:4
	;; [unrolled: 1-line block ×4, first 2 shown]
	scratch_load_dword v1, off, off offset:1456 ; 4-byte Folded Reload
	s_waitcnt vmcnt(0)
	v_mul_f32_e32 v0, v0, v1
	s_waitcnt lgkmcnt(3)
	v_pk_fma_f32 v[18:19], v[0:1], v[18:19], v[12:13] op_sel_hi:[0,1,1] neg_lo:[1,0,0] neg_hi:[1,0,0]
	s_waitcnt lgkmcnt(2)
	v_pk_fma_f32 v[20:21], v[0:1], v[20:21], v[14:15] op_sel_hi:[0,1,1] neg_lo:[1,0,0] neg_hi:[1,0,0]
	;; [unrolled: 2-line block ×4, first 2 shown]
	ds_read2_b32 v[10:11], v245 offset0:9 offset1:10
	ds_read2_b32 v[12:13], v245 offset0:11 offset1:12
	;; [unrolled: 1-line block ×4, first 2 shown]
	ds_read_b32 v1, v245 offset:68
	v_mov_b32_e32 v90, v25
	v_mov_b32_e32 v185, v24
	;; [unrolled: 1-line block ×4, first 2 shown]
	s_waitcnt lgkmcnt(0)
	v_pk_fma_f32 v[26:27], v[0:1], v[10:11], v[2:3] op_sel_hi:[0,1,1] neg_lo:[1,0,0] neg_hi:[1,0,0]
	v_pk_fma_f32 v[28:29], v[0:1], v[12:13], v[4:5] op_sel_hi:[0,1,1] neg_lo:[1,0,0] neg_hi:[1,0,0]
	;; [unrolled: 1-line block ×4, first 2 shown]
	v_fma_f32 v35, -v0, v1, v35
	v_mov_b32_e32 v34, v37
	v_mov_b32_e32 v32, v31
                                        ; implicit-def: $vgpr12
                                        ; implicit-def: $vgpr14
                                        ; implicit-def: $vgpr16
                                        ; implicit-def: $vgpr10
                                        ; implicit-def: $vgpr2
                                        ; implicit-def: $vgpr4
                                        ; implicit-def: $vgpr6
                                        ; implicit-def: $vgpr8
	v_mov_b32_e32 v51, v36
	v_mov_b32_e32 v151, v30
	;; [unrolled: 1-line block ×9, first 2 shown]
.LBB35_6:
	s_or_saveexec_b64 s[2:3], s[2:3]
	v_mov_b32_e32 v1, v18
	s_xor_b64 exec, exec, s[2:3]
	s_cbranch_execz .LBB35_8
; %bb.7:
	s_waitcnt vmcnt(19)
	v_mov_b32_e32 v32, v7
	s_waitcnt vmcnt(3)
	v_mov_b32_e32 v34, v9
	v_mov_b32_e32 v1, v12
	;; [unrolled: 1-line block ×15, first 2 shown]
.LBB35_8:
	s_or_b64 exec, exec, s[2:3]
	s_waitcnt vmcnt(30)
	v_mov_b32_e32 v2, v166
	s_waitcnt vmcnt(29)
	v_mov_b32_e32 v3, v189
	;; [unrolled: 2-line block ×4, first 2 shown]
                                        ; kill: def $vgpr196 killed $vgpr196 def $vgpr197
	s_waitcnt vmcnt(24)
	v_mov_b32_e32 v6, v196
	s_waitcnt vmcnt(19)
	v_mov_b32_e32 v7, v185
	;; [unrolled: 2-line block ×4, first 2 shown]
	v_mov_b32_e32 v10, v28
	v_mov_b32_e32 v11, v227
	;; [unrolled: 1-line block ×7, first 2 shown]
	s_waitcnt vmcnt(2)
	v_mov_b32_e32 v17, v35
	v_cmp_eq_u32_e32 vcc, 1, v242
	s_barrier
	s_and_saveexec_b64 s[2:3], vcc
	s_cbranch_execz .LBB35_11
; %bb.9:
	v_mov_b32_e32 v167, v189
	v_mov_b32_e32 v18, v136
	;; [unrolled: 1-line block ×3, first 2 shown]
	ds_write_b32 v244, v1
	ds_write2_b64 v245, v[166:167], v[18:19] offset0:1 offset1:2
	v_mov_b32_e32 v197, v185
	v_mov_b32_e32 v18, v90
	;; [unrolled: 1-line block ×3, first 2 shown]
	ds_write2_b64 v245, v[196:197], v[18:19] offset0:3 offset1:4
	v_mov_b32_e32 v29, v227
	v_mov_b32_e32 v18, v80
	;; [unrolled: 1-line block ×4, first 2 shown]
	ds_write2_b64 v245, v[28:29], v[18:19] offset0:5 offset1:6
	ds_write2_b64 v245, v[32:33], v[34:35] offset0:7 offset1:8
	ds_read_b32 v18, v244
	s_waitcnt lgkmcnt(0)
	v_cmp_neq_f32_e32 vcc, 0, v18
	s_and_b64 exec, exec, vcc
	s_cbranch_execz .LBB35_11
; %bb.10:
	v_div_scale_f32 v19, s[4:5], v18, v18, 1.0
	v_rcp_f32_e32 v20, v19
	v_div_scale_f32 v21, vcc, 1.0, v18, 1.0
	v_fma_f32 v22, -v19, v20, 1.0
	v_fmac_f32_e32 v20, v22, v20
	v_mul_f32_e32 v22, v21, v20
	v_fma_f32 v23, -v19, v22, v21
	v_fmac_f32_e32 v22, v23, v20
	v_fma_f32 v19, -v19, v22, v21
	v_div_fmas_f32 v19, v19, v20, v22
	v_div_fixup_f32 v18, v19, v18, 1.0
	ds_write_b32 v244, v18
.LBB35_11:
	s_or_b64 exec, exec, s[2:3]
	v_mov_b32_e32 v18, v0
	v_mov_b32_e32 v19, v1
	;; [unrolled: 1-line block ×41, first 2 shown]
	s_waitcnt lgkmcnt(0)
	s_barrier
	ds_read_b32 v243, v244
	scratch_store_dwordx4 off, v[18:21], off ; 16-byte Folded Spill
	s_nop 0
	scratch_store_dwordx4 off, v[22:25], off offset:16 ; 16-byte Folded Spill
	scratch_store_dwordx4 off, v[26:29], off offset:32 ; 16-byte Folded Spill
	;; [unrolled: 1-line block ×7, first 2 shown]
	v_mov_b32_e32 v164, v0
	v_mov_b32_e32 v165, v1
	;; [unrolled: 1-line block ×45, first 2 shown]
	v_cmp_lt_u32_e32 vcc, 1, v242
	v_mov_b32_e32 v186, v0
	v_mov_b32_e32 v187, v1
	;; [unrolled: 1-line block ×26, first 2 shown]
	v_mov_b64_e32 v[130:131], v[48:49]
	v_mov_b64_e32 v[128:129], v[46:47]
	;; [unrolled: 1-line block ×16, first 2 shown]
	v_mov_b32_e32 v25, v151
	scratch_store_dwordx4 off, v[138:141], off offset:1152 ; 16-byte Folded Spill
	s_nop 0
	scratch_store_dwordx4 off, v[142:145], off offset:1168 ; 16-byte Folded Spill
	scratch_store_dwordx4 off, v[146:149], off offset:1184 ; 16-byte Folded Spill
	;; [unrolled: 1-line block ×8, first 2 shown]
	s_nop 0
	scratch_store_dwordx4 off, v[220:223], off offset:144 ; 16-byte Folded Spill
	scratch_store_dwordx4 off, v[224:227], off offset:160 ; 16-byte Folded Spill
	;; [unrolled: 1-line block ×5, first 2 shown]
	s_waitcnt lgkmcnt(0)
	scratch_store_dwordx4 off, v[240:243], off offset:224 ; 16-byte Folded Spill
	scratch_store_dwordx4 off, v[244:247], off offset:240 ; 16-byte Folded Spill
	v_mov_b32_e32 v31, v177
	v_mov_b32_e32 v86, v136
	;; [unrolled: 1-line block ×21, first 2 shown]
	v_mov_b64_e32 v[240:241], v[228:229]
	v_mov_b64_e32 v[238:239], v[226:227]
	;; [unrolled: 1-line block ×16, first 2 shown]
	scratch_store_dwordx4 off, v[168:171], off offset:256 ; 16-byte Folded Spill
	s_nop 0
	scratch_store_dwordx4 off, v[172:175], off offset:272 ; 16-byte Folded Spill
	scratch_store_dwordx4 off, v[176:179], off offset:288 ; 16-byte Folded Spill
	scratch_store_dwordx4 off, v[180:183], off offset:304 ; 16-byte Folded Spill
	scratch_store_dwordx4 off, v[184:187], off offset:320 ; 16-byte Folded Spill
	scratch_store_dwordx4 off, v[188:191], off offset:336 ; 16-byte Folded Spill
	scratch_store_dwordx4 off, v[192:195], off offset:352 ; 16-byte Folded Spill
	scratch_store_dwordx4 off, v[196:199], off offset:368 ; 16-byte Folded Spill
	scratch_store_dwordx4 off, v[56:59], off offset:384 ; 16-byte Folded Spill
	s_nop 0
	scratch_store_dwordx4 off, v[60:63], off offset:400 ; 16-byte Folded Spill
	scratch_store_dwordx4 off, v[64:67], off offset:416 ; 16-byte Folded Spill
	scratch_store_dwordx4 off, v[68:71], off offset:432 ; 16-byte Folded Spill
	scratch_store_dwordx4 off, v[72:75], off offset:448 ; 16-byte Folded Spill
	scratch_store_dwordx4 off, v[76:79], off offset:464 ; 16-byte Folded Spill
	scratch_store_dwordx4 off, v[80:83], off offset:480 ; 16-byte Folded Spill
	scratch_store_dwordx4 off, v[84:87], off offset:496 ; 16-byte Folded Spill
	;; [unrolled: 9-line block ×3, first 2 shown]
	v_mov_b32_e32 v62, v136
	v_mov_b32_e32 v90, v196
	scratch_store_dwordx4 off, v[190:193], off offset:640 ; 16-byte Folded Spill
	s_nop 0
	scratch_store_dwordx4 off, v[194:197], off offset:656 ; 16-byte Folded Spill
	scratch_store_dwordx4 off, v[198:201], off offset:672 ; 16-byte Folded Spill
	scratch_store_dwordx4 off, v[202:205], off offset:688 ; 16-byte Folded Spill
	scratch_store_dwordx4 off, v[206:209], off offset:704 ; 16-byte Folded Spill
	scratch_store_dwordx4 off, v[210:213], off offset:720 ; 16-byte Folded Spill
	scratch_store_dwordx4 off, v[214:217], off offset:736 ; 16-byte Folded Spill
	scratch_store_dwordx4 off, v[218:221], off offset:752 ; 16-byte Folded Spill
	scratch_store_dwordx4 off, v[152:155], off offset:768 ; 16-byte Folded Spill
	s_nop 0
	scratch_store_dwordx4 off, v[156:159], off offset:784 ; 16-byte Folded Spill
	scratch_store_dwordx4 off, v[160:163], off offset:800 ; 16-byte Folded Spill
	scratch_store_dwordx4 off, v[164:167], off offset:816 ; 16-byte Folded Spill
	scratch_store_dwordx4 off, v[168:171], off offset:832 ; 16-byte Folded Spill
	scratch_store_dwordx4 off, v[172:175], off offset:848 ; 16-byte Folded Spill
	scratch_store_dwordx4 off, v[176:179], off offset:864 ; 16-byte Folded Spill
	scratch_store_dwordx4 off, v[180:183], off offset:880 ; 16-byte Folded Spill
	scratch_store_dwordx4 off, v[132:135], off offset:896 ; 16-byte Folded Spill
	s_nop 0
	scratch_store_dwordx4 off, v[136:139], off offset:912 ; 16-byte Folded Spill
	scratch_store_dwordx4 off, v[140:143], off offset:928 ; 16-byte Folded Spill
	scratch_store_dwordx4 off, v[144:147], off offset:944 ; 16-byte Folded Spill
	scratch_store_dwordx4 off, v[148:151], off offset:960 ; 16-byte Folded Spill
	scratch_store_dwordx4 off, v[152:155], off offset:976 ; 16-byte Folded Spill
	scratch_store_dwordx4 off, v[156:159], off offset:992 ; 16-byte Folded Spill
	scratch_store_dwordx4 off, v[160:163], off offset:1008 ; 16-byte Folded Spill
	scratch_store_dwordx4 off, v[186:189], off offset:1024 ; 16-byte Folded Spill
	s_nop 0
	scratch_store_dwordx4 off, v[190:193], off offset:1040 ; 16-byte Folded Spill
	scratch_store_dwordx4 off, v[194:197], off offset:1056 ; 16-byte Folded Spill
	scratch_store_dwordx4 off, v[198:201], off offset:1072 ; 16-byte Folded Spill
	scratch_store_dwordx4 off, v[202:205], off offset:1088 ; 16-byte Folded Spill
	scratch_store_dwordx4 off, v[206:209], off offset:1104 ; 16-byte Folded Spill
	scratch_store_dwordx4 off, v[210:213], off offset:1120 ; 16-byte Folded Spill
	scratch_store_dwordx4 off, v[214:217], off offset:1136 ; 16-byte Folded Spill
	scratch_store_dwordx4 off, v[164:167], off offset:1280 ; 16-byte Folded Spill
	s_nop 0
	scratch_store_dwordx4 off, v[168:171], off offset:1296 ; 16-byte Folded Spill
	scratch_store_dwordx4 off, v[172:175], off offset:1312 ; 16-byte Folded Spill
	scratch_store_dwordx4 off, v[176:179], off offset:1328 ; 16-byte Folded Spill
	scratch_store_dwordx4 off, v[180:183], off offset:1344 ; 16-byte Folded Spill
	scratch_store_dwordx4 off, v[184:187], off offset:1360 ; 16-byte Folded Spill
	scratch_store_dwordx4 off, v[188:191], off offset:1376 ; 16-byte Folded Spill
	scratch_store_dwordx4 off, v[192:195], off offset:1392 ; 16-byte Folded Spill
	scratch_store_dwordx4 off, v[0:3], off offset:1524 ; 16-byte Folded Spill
	s_nop 0
	scratch_store_dwordx4 off, v[4:7], off offset:1540 ; 16-byte Folded Spill
	scratch_store_dwordx4 off, v[8:11], off offset:1556 ; 16-byte Folded Spill
	scratch_store_dwordx4 off, v[12:15], off offset:1572 ; 16-byte Folded Spill
	scratch_store_dwordx4 off, v[16:19], off offset:1588 ; 16-byte Folded Spill
	scratch_store_dwordx4 off, v[20:23], off offset:1604 ; 16-byte Folded Spill
	scratch_store_dwordx4 off, v[24:27], off offset:1620 ; 16-byte Folded Spill
	scratch_store_dwordx4 off, v[28:31], off offset:1636 ; 16-byte Folded Spill
	s_and_saveexec_b64 s[2:3], vcc
	s_cbranch_execz .LBB35_13
; %bb.12:
	v_mov_b32_e32 v26, v62
	v_mov_b32_e32 v18, v52
	;; [unrolled: 1-line block ×3, first 2 shown]
	scratch_load_dwordx4 v[36:39], off, off ; 16-byte Folded Reload
	scratch_load_dwordx4 v[40:43], off, off offset:16 ; 16-byte Folded Reload
	scratch_load_dwordx4 v[44:47], off, off offset:32 ; 16-byte Folded Reload
	;; [unrolled: 1-line block ×7, first 2 shown]
	ds_read2_b64 v[2:5], v245 offset0:1 offset1:2
	ds_read2_b64 v[6:9], v245 offset0:3 offset1:4
	v_mov_b32_e32 v167, v189
	v_mov_b32_e32 v27, v157
	;; [unrolled: 1-line block ×6, first 2 shown]
	v_mul_f32_e32 v16, v1, v243
	s_waitcnt lgkmcnt(1)
	v_pk_fma_f32 v[166:167], v[16:17], v[2:3], v[166:167] op_sel_hi:[0,1,1] neg_lo:[1,0,0] neg_hi:[1,0,0]
	v_pk_fma_f32 v[26:27], v[16:17], v[4:5], v[26:27] op_sel_hi:[0,1,1] neg_lo:[1,0,0] neg_hi:[1,0,0]
	s_waitcnt lgkmcnt(0)
	v_pk_fma_f32 v[22:23], v[16:17], v[6:7], v[22:23] op_sel_hi:[0,1,1] neg_lo:[1,0,0] neg_hi:[1,0,0]
	v_pk_fma_f32 v[20:21], v[16:17], v[8:9], v[20:21] op_sel_hi:[0,1,1] neg_lo:[1,0,0] neg_hi:[1,0,0]
	ds_read2_b64 v[2:5], v245 offset0:5 offset1:6
	ds_read2_b64 v[6:9], v245 offset0:7 offset1:8
	v_mov_b32_e32 v19, v29
	v_mov_b32_e32 v1, v16
	;; [unrolled: 1-line block ×3, first 2 shown]
	s_waitcnt lgkmcnt(1)
	v_pk_fma_f32 v[18:19], v[16:17], v[2:3], v[18:19] op_sel_hi:[0,1,1] neg_lo:[1,0,0] neg_hi:[1,0,0]
	v_pk_fma_f32 v[24:25], v[16:17], v[4:5], v[24:25] op_sel_hi:[0,1,1] neg_lo:[1,0,0] neg_hi:[1,0,0]
	s_waitcnt lgkmcnt(0)
	v_pk_fma_f32 v[34:35], v[16:17], v[8:9], v[34:35] op_sel_hi:[0,1,1] neg_lo:[1,0,0] neg_hi:[1,0,0]
	s_waitcnt vmcnt(4)
	v_mov_b32_e32 v33, v51
	v_pk_fma_f32 v[32:33], v[16:17], v[6:7], v[32:33] op_sel_hi:[0,1,1] neg_lo:[1,0,0] neg_hi:[1,0,0]
	scratch_store_dwordx4 off, v[0:3], off offset:1524 ; 16-byte Folded Spill
	s_nop 0
	scratch_store_dwordx4 off, v[4:7], off offset:1540 ; 16-byte Folded Spill
	scratch_store_dwordx4 off, v[8:11], off offset:1556 ; 16-byte Folded Spill
	scratch_store_dwordx4 off, v[12:15], off offset:1572 ; 16-byte Folded Spill
	scratch_store_dwordx4 off, v[16:19], off offset:1588 ; 16-byte Folded Spill
	scratch_store_dwordx4 off, v[20:23], off offset:1604 ; 16-byte Folded Spill
	scratch_store_dwordx4 off, v[24:27], off offset:1620 ; 16-byte Folded Spill
	scratch_store_dwordx4 off, v[28:31], off offset:1636 ; 16-byte Folded Spill
	v_mov_b32_e32 v2, v166
	scratch_store_dwordx4 off, v[0:3], off offset:1280 ; 16-byte Folded Spill
	s_nop 0
	scratch_store_dwordx4 off, v[4:7], off offset:1296 ; 16-byte Folded Spill
	scratch_store_dwordx4 off, v[8:11], off offset:1312 ; 16-byte Folded Spill
	scratch_store_dwordx4 off, v[12:15], off offset:1328 ; 16-byte Folded Spill
	scratch_store_dwordx4 off, v[16:19], off offset:1344 ; 16-byte Folded Spill
	scratch_store_dwordx4 off, v[20:23], off offset:1360 ; 16-byte Folded Spill
	scratch_store_dwordx4 off, v[24:27], off offset:1376 ; 16-byte Folded Spill
	scratch_store_dwordx4 off, v[28:31], off offset:1392 ; 16-byte Folded Spill
	v_mov_b32_e32 v3, v167
	;; [unrolled: 10-line block ×9, first 2 shown]
	v_mov_b64_e32 v[240:241], v[30:31]
	v_mov_b64_e32 v[238:239], v[28:29]
	;; [unrolled: 1-line block ×16, first 2 shown]
	v_mov_b32_e32 v11, v19
	scratch_store_dwordx4 off, v[0:3], off offset:128 ; 16-byte Folded Spill
	s_nop 0
	scratch_store_dwordx4 off, v[4:7], off offset:144 ; 16-byte Folded Spill
	scratch_store_dwordx4 off, v[8:11], off offset:160 ; 16-byte Folded Spill
	;; [unrolled: 1-line block ×7, first 2 shown]
	v_mov_b32_e32 v12, v24
	v_mov_b64_e32 v[98:99], v[30:31]
	v_mov_b64_e32 v[96:97], v[28:29]
	;; [unrolled: 1-line block ×16, first 2 shown]
	v_mov_b32_e32 v13, v25
	scratch_store_dwordx4 off, v[0:3], off offset:1152 ; 16-byte Folded Spill
	s_nop 0
	scratch_store_dwordx4 off, v[4:7], off offset:1168 ; 16-byte Folded Spill
	scratch_store_dwordx4 off, v[8:11], off offset:1184 ; 16-byte Folded Spill
	;; [unrolled: 1-line block ×7, first 2 shown]
	v_mov_b32_e32 v14, v32
	v_mov_b64_e32 v[130:131], v[30:31]
	v_mov_b64_e32 v[128:129], v[28:29]
	;; [unrolled: 1-line block ×16, first 2 shown]
	v_mov_b32_e32 v15, v33
	s_waitcnt vmcnt(62)
	v_mov_b64_e32 v[66:67], v[30:31]
	v_mov_b64_e32 v[62:63], v[26:27]
	;; [unrolled: 1-line block ×16, first 2 shown]
	v_mov_b32_e32 v16, v34
	v_mov_b32_e32 v17, v35
	;; [unrolled: 1-line block ×11, first 2 shown]
	scratch_store_dwordx4 off, v[18:21], off ; 16-byte Folded Spill
	s_nop 0
	scratch_store_dwordx4 off, v[22:25], off offset:16 ; 16-byte Folded Spill
	scratch_store_dwordx4 off, v[26:29], off offset:32 ; 16-byte Folded Spill
	;; [unrolled: 1-line block ×7, first 2 shown]
.LBB35_13:
	s_or_b64 exec, exec, s[2:3]
	v_cmp_eq_u32_e32 vcc, 2, v242
	s_waitcnt vmcnt(63) expcnt(7) lgkmcnt(15)
	s_barrier
	s_and_saveexec_b64 s[2:3], vcc
	s_cbranch_execz .LBB35_16
; %bb.14:
	ds_write_b32 v244, v166
	ds_write2_b32 v245, v3, v4 offset0:3 offset1:4
	ds_write2_b32 v245, v5, v6 offset0:5 offset1:6
	;; [unrolled: 1-line block ×7, first 2 shown]
	ds_write_b32 v245, v35 offset:68
	ds_read_b32 v18, v244
	s_waitcnt lgkmcnt(0)
	v_cmp_neq_f32_e32 vcc, 0, v18
	s_and_b64 exec, exec, vcc
	s_cbranch_execz .LBB35_16
; %bb.15:
	v_div_scale_f32 v19, s[4:5], v18, v18, 1.0
	v_rcp_f32_e32 v20, v19
	v_div_scale_f32 v21, vcc, 1.0, v18, 1.0
	v_fma_f32 v22, -v19, v20, 1.0
	v_fmac_f32_e32 v20, v22, v20
	v_mul_f32_e32 v22, v21, v20
	v_fma_f32 v23, -v19, v22, v21
	v_fmac_f32_e32 v22, v23, v20
	v_fma_f32 v19, -v19, v22, v21
	v_div_fmas_f32 v19, v19, v20, v22
	v_div_fixup_f32 v18, v19, v18, 1.0
	ds_write_b32 v244, v18
.LBB35_16:
	s_or_b64 exec, exec, s[2:3]
	s_waitcnt lgkmcnt(0)
	s_barrier
	ds_read_b32 v33, v244
	v_cmp_lt_u32_e32 vcc, 2, v242
	s_mov_b64 s[2:3], exec
	scratch_load_dwordx4 v[116:119], off, off offset:1152 ; 16-byte Folded Reload
	scratch_load_dwordx4 v[120:123], off, off offset:1168 ; 16-byte Folded Reload
	;; [unrolled: 1-line block ×8, first 2 shown]
	s_and_b64 s[4:5], s[2:3], vcc
	s_mov_b64 exec, s[4:5]
	s_cbranch_execz .LBB35_18
; %bb.17:
	scratch_load_dwordx4 v[52:55], off, off offset:1524 ; 16-byte Folded Reload
	scratch_load_dwordx4 v[56:59], off, off offset:1540 ; 16-byte Folded Reload
	;; [unrolled: 1-line block ×8, first 2 shown]
	ds_read2_b32 v[0:1], v245 offset0:3 offset1:4
	ds_read2_b32 v[18:19], v245 offset0:5 offset1:6
	;; [unrolled: 1-line block ×4, first 2 shown]
	s_waitcnt vmcnt(7) lgkmcnt(4)
	v_mul_f32_e32 v54, v166, v33
	v_mov_b32_e32 v2, v3
	v_mov_b32_e32 v3, v4
	s_waitcnt vmcnt(3)
	v_mov_b32_e32 v70, v54
	v_mov_b32_e32 v212, v54
	;; [unrolled: 1-line block ×5, first 2 shown]
	s_waitcnt lgkmcnt(3)
	v_pk_fma_f32 v[24:25], v[54:55], v[0:1], v[2:3] op_sel_hi:[0,1,1] neg_lo:[1,0,0] neg_hi:[1,0,0]
	v_mov_b32_e32 v0, v5
	v_mov_b32_e32 v1, v6
	s_waitcnt lgkmcnt(2)
	v_pk_fma_f32 v[18:19], v[54:55], v[18:19], v[0:1] op_sel_hi:[0,1,1] neg_lo:[1,0,0] neg_hi:[1,0,0]
	v_mov_b32_e32 v0, v7
	v_mov_b32_e32 v1, v8
	;; [unrolled: 4-line block ×3, first 2 shown]
	s_waitcnt lgkmcnt(0)
	v_pk_fma_f32 v[22:23], v[54:55], v[22:23], v[0:1] op_sel_hi:[0,1,1] neg_lo:[1,0,0] neg_hi:[1,0,0]
	ds_read2_b32 v[0:1], v245 offset0:11 offset1:12
	ds_read2_b32 v[4:5], v245 offset0:13 offset1:14
	ds_read2_b32 v[6:7], v245 offset0:15 offset1:16
	ds_read_b32 v8, v245 offset:68
	v_mov_b32_e32 v2, v11
	v_mov_b32_e32 v3, v12
	;; [unrolled: 1-line block ×3, first 2 shown]
	s_waitcnt lgkmcnt(3)
	v_pk_fma_f32 v[26:27], v[54:55], v[0:1], v[2:3] op_sel_hi:[0,1,1] neg_lo:[1,0,0] neg_hi:[1,0,0]
	v_mov_b32_e32 v0, v13
	v_mov_b32_e32 v1, v14
	s_waitcnt lgkmcnt(2)
	v_pk_fma_f32 v[28:29], v[54:55], v[4:5], v[0:1] op_sel_hi:[0,1,1] neg_lo:[1,0,0] neg_hi:[1,0,0]
	v_mov_b32_e32 v0, v15
	v_mov_b32_e32 v1, v16
	s_waitcnt lgkmcnt(1)
	v_pk_fma_f32 v[30:31], v[54:55], v[6:7], v[0:1] op_sel_hi:[0,1,1] neg_lo:[1,0,0] neg_hi:[1,0,0]
	s_waitcnt lgkmcnt(0)
	v_fma_f32 v17, -v54, v8, v35
	v_mov_b32_e32 v0, v52
	v_mov_b32_e32 v1, v53
	;; [unrolled: 1-line block ×6, first 2 shown]
	scratch_store_dwordx4 off, v[0:3], off offset:896 ; 16-byte Folded Spill
	s_nop 0
	scratch_store_dwordx4 off, v[4:7], off offset:912 ; 16-byte Folded Spill
	scratch_store_dwordx4 off, v[8:11], off offset:928 ; 16-byte Folded Spill
	scratch_store_dwordx4 off, v[12:15], off offset:944 ; 16-byte Folded Spill
	scratch_store_dwordx4 off, v[16:19], off offset:960 ; 16-byte Folded Spill
	scratch_store_dwordx4 off, v[20:23], off offset:976 ; 16-byte Folded Spill
	scratch_store_dwordx4 off, v[24:27], off offset:992 ; 16-byte Folded Spill
	scratch_store_dwordx4 off, v[28:31], off offset:1008 ; 16-byte Folded Spill
	v_mov_b32_e32 v69, v53
	v_mov_b32_e32 v210, v52
	;; [unrolled: 1-line block ×10, first 2 shown]
	scratch_store_dwordx4 off, v[0:3], off offset:768 ; 16-byte Folded Spill
	s_nop 0
	scratch_store_dwordx4 off, v[4:7], off offset:784 ; 16-byte Folded Spill
	scratch_store_dwordx4 off, v[8:11], off offset:800 ; 16-byte Folded Spill
	scratch_store_dwordx4 off, v[12:15], off offset:816 ; 16-byte Folded Spill
	scratch_store_dwordx4 off, v[16:19], off offset:832 ; 16-byte Folded Spill
	scratch_store_dwordx4 off, v[20:23], off offset:848 ; 16-byte Folded Spill
	scratch_store_dwordx4 off, v[24:27], off offset:864 ; 16-byte Folded Spill
	scratch_store_dwordx4 off, v[28:31], off offset:880 ; 16-byte Folded Spill
	v_mov_b32_e32 v6, v19
	scratch_store_dwordx4 off, v[0:3], off offset:640 ; 16-byte Folded Spill
	s_nop 0
	scratch_store_dwordx4 off, v[4:7], off offset:656 ; 16-byte Folded Spill
	scratch_store_dwordx4 off, v[8:11], off offset:672 ; 16-byte Folded Spill
	scratch_store_dwordx4 off, v[12:15], off offset:688 ; 16-byte Folded Spill
	scratch_store_dwordx4 off, v[16:19], off offset:704 ; 16-byte Folded Spill
	scratch_store_dwordx4 off, v[20:23], off offset:720 ; 16-byte Folded Spill
	scratch_store_dwordx4 off, v[24:27], off offset:736 ; 16-byte Folded Spill
	scratch_store_dwordx4 off, v[28:31], off offset:752 ; 16-byte Folded Spill
	v_mov_b32_e32 v7, v20
	scratch_store_dwordx4 off, v[0:3], off offset:512 ; 16-byte Folded Spill
	s_nop 0
	scratch_store_dwordx4 off, v[4:7], off offset:528 ; 16-byte Folded Spill
	scratch_store_dwordx4 off, v[8:11], off offset:544 ; 16-byte Folded Spill
	scratch_store_dwordx4 off, v[12:15], off offset:560 ; 16-byte Folded Spill
	scratch_store_dwordx4 off, v[16:19], off offset:576 ; 16-byte Folded Spill
	scratch_store_dwordx4 off, v[20:23], off offset:592 ; 16-byte Folded Spill
	scratch_store_dwordx4 off, v[24:27], off offset:608 ; 16-byte Folded Spill
	scratch_store_dwordx4 off, v[28:31], off offset:624 ; 16-byte Folded Spill
	v_mov_b32_e32 v8, v21
	scratch_store_dwordx4 off, v[0:3], off offset:384 ; 16-byte Folded Spill
	s_nop 0
	scratch_store_dwordx4 off, v[4:7], off offset:400 ; 16-byte Folded Spill
	scratch_store_dwordx4 off, v[8:11], off offset:416 ; 16-byte Folded Spill
	scratch_store_dwordx4 off, v[12:15], off offset:432 ; 16-byte Folded Spill
	scratch_store_dwordx4 off, v[16:19], off offset:448 ; 16-byte Folded Spill
	scratch_store_dwordx4 off, v[20:23], off offset:464 ; 16-byte Folded Spill
	scratch_store_dwordx4 off, v[24:27], off offset:480 ; 16-byte Folded Spill
	scratch_store_dwordx4 off, v[28:31], off offset:496 ; 16-byte Folded Spill
	v_mov_b32_e32 v9, v22
	scratch_store_dwordx4 off, v[0:3], off offset:256 ; 16-byte Folded Spill
	s_nop 0
	scratch_store_dwordx4 off, v[4:7], off offset:272 ; 16-byte Folded Spill
	scratch_store_dwordx4 off, v[8:11], off offset:288 ; 16-byte Folded Spill
	scratch_store_dwordx4 off, v[12:15], off offset:304 ; 16-byte Folded Spill
	scratch_store_dwordx4 off, v[16:19], off offset:320 ; 16-byte Folded Spill
	scratch_store_dwordx4 off, v[20:23], off offset:336 ; 16-byte Folded Spill
	scratch_store_dwordx4 off, v[24:27], off offset:352 ; 16-byte Folded Spill
	scratch_store_dwordx4 off, v[28:31], off offset:368 ; 16-byte Folded Spill
	v_mov_b32_e32 v10, v23
	v_mov_b32_e32 v11, v26
	v_mov_b32_e32 v213, v24
	;; [unrolled: 1-line block ×9, first 2 shown]
	scratch_store_dwordx4 off, v[0:3], off offset:128 ; 16-byte Folded Spill
	s_nop 0
	scratch_store_dwordx4 off, v[4:7], off offset:144 ; 16-byte Folded Spill
	scratch_store_dwordx4 off, v[8:11], off offset:160 ; 16-byte Folded Spill
	;; [unrolled: 1-line block ×7, first 2 shown]
	v_mov_b32_e32 v71, v24
	s_waitcnt vmcnt(58)
	v_mov_b32_e32 v72, v25
	v_mov_b32_e32 v73, v18
	;; [unrolled: 1-line block ×4, first 2 shown]
	s_waitcnt vmcnt(57)
	v_mov_b32_e32 v76, v21
	v_mov_b32_e32 v77, v22
	;; [unrolled: 1-line block ×4, first 2 shown]
	s_waitcnt vmcnt(56)
	v_mov_b32_e32 v80, v27
	scratch_store_dwordx4 off, v[52:55], off offset:1024 ; 16-byte Folded Spill
	s_nop 0
	scratch_store_dwordx4 off, v[56:59], off offset:1040 ; 16-byte Folded Spill
	scratch_store_dwordx4 off, v[60:63], off offset:1056 ; 16-byte Folded Spill
	;; [unrolled: 1-line block ×8, first 2 shown]
	s_nop 0
	scratch_store_dwordx4 off, v[56:59], off offset:1296 ; 16-byte Folded Spill
	scratch_store_dwordx4 off, v[60:63], off offset:1312 ; 16-byte Folded Spill
	;; [unrolled: 1-line block ×7, first 2 shown]
	v_mov_b32_e32 v119, v24
	v_mov_b32_e32 v120, v25
	;; [unrolled: 1-line block ×56, first 2 shown]
	scratch_store_dwordx4 off, v[4:7], off  ; 16-byte Folded Spill
	s_nop 0
	scratch_store_dwordx4 off, v[8:11], off offset:16 ; 16-byte Folded Spill
	scratch_store_dwordx4 off, v[12:15], off offset:32 ; 16-byte Folded Spill
	;; [unrolled: 1-line block ×7, first 2 shown]
.LBB35_18:
	s_or_b64 exec, exec, s[2:3]
	v_cmp_eq_u32_e32 vcc, 3, v242
	s_waitcnt lgkmcnt(0)
	s_barrier
	s_and_saveexec_b64 s[2:3], vcc
	s_cbranch_execz .LBB35_21
; %bb.19:
	ds_write_b32 v244, v189
	ds_write2_b64 v245, v[4:5], v[6:7] offset0:2 offset1:3
	ds_write2_b64 v245, v[8:9], v[10:11] offset0:4 offset1:5
	;; [unrolled: 1-line block ×3, first 2 shown]
	ds_write_b64 v245, v[16:17] offset:64
	ds_read_b32 v18, v244
	s_waitcnt lgkmcnt(0)
	v_cmp_neq_f32_e32 vcc, 0, v18
	s_and_b64 exec, exec, vcc
	s_cbranch_execz .LBB35_21
; %bb.20:
	v_div_scale_f32 v19, s[4:5], v18, v18, 1.0
	v_rcp_f32_e32 v20, v19
	v_div_scale_f32 v21, vcc, 1.0, v18, 1.0
	v_fma_f32 v22, -v19, v20, 1.0
	v_fmac_f32_e32 v20, v22, v20
	v_mul_f32_e32 v22, v21, v20
	v_fma_f32 v23, -v19, v22, v21
	v_fmac_f32_e32 v22, v23, v20
	v_fma_f32 v19, -v19, v22, v21
	v_div_fmas_f32 v19, v19, v20, v22
	v_div_fixup_f32 v18, v19, v18, 1.0
	ds_write_b32 v244, v18
.LBB35_21:
	s_or_b64 exec, exec, s[2:3]
	s_waitcnt lgkmcnt(0)
	s_barrier
	ds_read_b32 v164, v244
	v_cmp_lt_u32_e32 vcc, 3, v242
	s_and_saveexec_b64 s[2:3], vcc
	s_cbranch_execz .LBB35_23
; %bb.22:
	ds_read2_b64 v[0:3], v245 offset0:2 offset1:3
	ds_read2_b64 v[18:21], v245 offset0:4 offset1:5
	ds_read_b64 v[22:23], v245 offset:64
	s_waitcnt lgkmcnt(3)
	v_mul_f32_e32 v24, v189, v164
	v_mov_b32_e32 v29, v24
	s_waitcnt lgkmcnt(2)
	v_pk_fma_f32 v[30:31], v[24:25], v[0:1], v[4:5] op_sel_hi:[0,1,1] neg_lo:[1,0,0] neg_hi:[1,0,0]
	v_pk_fma_f32 v[88:89], v[24:25], v[2:3], v[6:7] op_sel_hi:[0,1,1] neg_lo:[1,0,0] neg_hi:[1,0,0]
	ds_read2_b64 v[0:3], v245 offset0:6 offset1:7
	scratch_load_dwordx4 v[90:93], off, off offset:1280 ; 16-byte Folded Reload
	scratch_load_dwordx4 v[94:97], off, off offset:1296 ; 16-byte Folded Reload
	;; [unrolled: 1-line block ×8, first 2 shown]
	s_waitcnt lgkmcnt(2)
	v_pk_fma_f32 v[60:61], v[24:25], v[18:19], v[8:9] op_sel_hi:[0,1,1] neg_lo:[1,0,0] neg_hi:[1,0,0]
	s_waitcnt lgkmcnt(1)
	v_pk_fma_f32 v[16:17], v[24:25], v[22:23], v[16:17] op_sel_hi:[0,1,1] neg_lo:[1,0,0] neg_hi:[1,0,0]
	v_mov_b32_e32 v7, v24
	v_mov_b32_e32 v8, v30
	;; [unrolled: 1-line block ×10, first 2 shown]
	s_waitcnt vmcnt(14)
	v_mov_b32_e32 v122, v88
	v_mov_b32_e32 v123, v89
	s_waitcnt vmcnt(3)
	v_mov_b32_e32 v106, v88
	v_mov_b32_e32 v107, v89
	;; [unrolled: 1-line block ×11, first 2 shown]
	scratch_store_dwordx4 off, v[4:7], off offset:768 ; 16-byte Folded Spill
	s_nop 0
	scratch_store_dwordx4 off, v[8:11], off offset:784 ; 16-byte Folded Spill
	scratch_store_dwordx4 off, v[12:15], off offset:800 ; 16-byte Folded Spill
	;; [unrolled: 1-line block ×7, first 2 shown]
	v_mov_b32_e32 v36, v64
	v_mov_b32_e32 v82, v62
	;; [unrolled: 1-line block ×11, first 2 shown]
	scratch_store_dwordx4 off, v[34:37], off offset:512 ; 16-byte Folded Spill
	s_nop 0
	scratch_store_dwordx4 off, v[38:41], off offset:528 ; 16-byte Folded Spill
	scratch_store_dwordx4 off, v[42:45], off offset:544 ; 16-byte Folded Spill
	;; [unrolled: 1-line block ×7, first 2 shown]
	v_mov_b32_e32 v55, v24
	v_mov_b32_e32 v56, v30
	;; [unrolled: 1-line block ×5, first 2 shown]
	v_pk_fma_f32 v[220:221], v[24:25], v[20:21], v[10:11] op_sel_hi:[0,1,1] neg_lo:[1,0,0] neg_hi:[1,0,0]
	v_mov_b32_e32 v85, v24
	v_mov_b32_e32 v86, v30
	;; [unrolled: 1-line block ×3, first 2 shown]
	s_waitcnt lgkmcnt(0)
	v_pk_fma_f32 v[80:81], v[24:25], v[0:1], v[12:13] op_sel_hi:[0,1,1] neg_lo:[1,0,0] neg_hi:[1,0,0]
	v_mov_b32_e32 v71, v24
	v_mov_b32_e32 v72, v30
	v_mov_b32_e32 v73, v31
	v_mov_b32_e32 v78, v220
	v_mov_b32_e32 v79, v221
	v_mov_b32_e32 v128, v80
	v_mov_b32_e32 v129, v81
	s_waitcnt vmcnt(17)
	v_pk_fma_f32 v[114:115], v[24:25], v[2:3], v[14:15] op_sel_hi:[0,1,1] neg_lo:[1,0,0] neg_hi:[1,0,0]
	v_mov_b32_e32 v112, v80
	v_mov_b32_e32 v113, v81
	;; [unrolled: 1-line block ×12, first 2 shown]
	s_waitcnt vmcnt(16)
	v_mov_b32_e32 v120, v30
	v_mov_b32_e32 v121, v31
	v_mov_b32_e32 v4, v30
	v_mov_b32_e32 v5, v31
	v_mov_b32_e32 v213, v24
	v_mov_b32_e32 v119, v24
	v_mov_b32_e32 v126, v220
	v_mov_b32_e32 v127, v221
	v_mov_b32_e32 v3, v24
	v_mov_b32_e32 v10, v220
	v_mov_b32_e32 v11, v221
	v_mov_b32_e32 v14, v114
	v_mov_b32_e32 v15, v115
	v_mov_b32_e32 v52, v62
	v_mov_b32_e32 v53, v63
	v_mov_b32_e32 v54, v64
	v_mov_b32_e32 v42, v60
	v_mov_b32_e32 v43, v61
	scratch_store_dwordx4 off, v[34:37], off offset:256 ; 16-byte Folded Spill
	s_nop 0
	scratch_store_dwordx4 off, v[38:41], off offset:272 ; 16-byte Folded Spill
	scratch_store_dwordx4 off, v[42:45], off offset:288 ; 16-byte Folded Spill
	;; [unrolled: 1-line block ×7, first 2 shown]
	v_mov_b32_e32 v44, v220
	v_mov_b32_e32 v45, v221
	;; [unrolled: 1-line block ×7, first 2 shown]
	scratch_store_dwordx4 off, v[34:37], off offset:128 ; 16-byte Folded Spill
	s_nop 0
	scratch_store_dwordx4 off, v[38:41], off offset:144 ; 16-byte Folded Spill
	scratch_store_dwordx4 off, v[42:45], off offset:160 ; 16-byte Folded Spill
	;; [unrolled: 1-line block ×7, first 2 shown]
	v_mov_b32_e32 v42, v88
	v_mov_b32_e32 v43, v89
	;; [unrolled: 1-line block ×30, first 2 shown]
	scratch_store_dwordx4 off, v[62:65], off offset:1024 ; 16-byte Folded Spill
	s_nop 0
	scratch_store_dwordx4 off, v[66:69], off offset:1040 ; 16-byte Folded Spill
	scratch_store_dwordx4 off, v[70:73], off offset:1056 ; 16-byte Folded Spill
	;; [unrolled: 1-line block ×7, first 2 shown]
	v_mov_b32_e32 v108, v60
	v_mov_b32_e32 v109, v61
	;; [unrolled: 1-line block ×5, first 2 shown]
	scratch_store_dwordx4 off, v[26:29], off offset:896 ; 16-byte Folded Spill
	s_nop 0
	scratch_store_dwordx4 off, v[30:33], off offset:912 ; 16-byte Folded Spill
	scratch_store_dwordx4 off, v[34:37], off offset:928 ; 16-byte Folded Spill
	scratch_store_dwordx4 off, v[38:41], off offset:944 ; 16-byte Folded Spill
	scratch_store_dwordx4 off, v[42:45], off offset:960 ; 16-byte Folded Spill
	scratch_store_dwordx4 off, v[46:49], off offset:976 ; 16-byte Folded Spill
	scratch_store_dwordx4 off, v[50:53], off offset:992 ; 16-byte Folded Spill
	scratch_store_dwordx4 off, v[54:57], off offset:1008 ; 16-byte Folded Spill
	v_mov_b32_e32 v124, v60
	v_mov_b32_e32 v125, v61
	;; [unrolled: 1-line block ×6, first 2 shown]
	scratch_store_dwordx4 off, v[82:85], off offset:640 ; 16-byte Folded Spill
	s_nop 0
	scratch_store_dwordx4 off, v[86:89], off offset:656 ; 16-byte Folded Spill
	scratch_store_dwordx4 off, v[90:93], off offset:672 ; 16-byte Folded Spill
	;; [unrolled: 1-line block ×7, first 2 shown]
	v_mov_b32_e32 v84, v60
	scratch_store_dwordx4 off, v[52:55], off offset:384 ; 16-byte Folded Spill
	s_nop 0
	scratch_store_dwordx4 off, v[56:59], off offset:400 ; 16-byte Folded Spill
	scratch_store_dwordx4 off, v[60:63], off offset:416 ; 16-byte Folded Spill
	;; [unrolled: 1-line block ×7, first 2 shown]
	v_mov_b32_e32 v157, v31
	v_mov_b32_e32 v52, v220
	scratch_store_dwordx4 off, v[100:103], off ; 16-byte Folded Spill
	s_nop 0
	scratch_store_dwordx4 off, v[104:107], off offset:16 ; 16-byte Folded Spill
	scratch_store_dwordx4 off, v[108:111], off offset:32 ; 16-byte Folded Spill
	;; [unrolled: 1-line block ×7, first 2 shown]
	v_mov_b32_e32 v31, v61
	v_mov_b32_e32 v54, v80
	;; [unrolled: 1-line block ×3, first 2 shown]
.LBB35_23:
	s_or_b64 exec, exec, s[2:3]
	v_cmp_eq_u32_e32 vcc, 4, v242
	s_waitcnt lgkmcnt(0)
	s_barrier
	s_and_saveexec_b64 s[2:3], vcc
	s_cbranch_execz .LBB35_26
; %bb.24:
	ds_write_b32 v244, v62
	ds_write2_b32 v245, v5, v6 offset0:5 offset1:6
	ds_write2_b32 v245, v7, v8 offset0:7 offset1:8
	;; [unrolled: 1-line block ×6, first 2 shown]
	ds_write_b32 v245, v35 offset:68
	ds_read_b32 v18, v244
	s_waitcnt lgkmcnt(0)
	v_cmp_neq_f32_e32 vcc, 0, v18
	s_and_b64 exec, exec, vcc
	s_cbranch_execz .LBB35_26
; %bb.25:
	v_div_scale_f32 v19, s[4:5], v18, v18, 1.0
	v_rcp_f32_e32 v20, v19
	v_div_scale_f32 v21, vcc, 1.0, v18, 1.0
	v_fma_f32 v22, -v19, v20, 1.0
	v_fmac_f32_e32 v20, v22, v20
	v_mul_f32_e32 v22, v21, v20
	v_fma_f32 v23, -v19, v22, v21
	v_fmac_f32_e32 v22, v23, v20
	v_fma_f32 v19, -v19, v22, v21
	v_div_fmas_f32 v19, v19, v20, v22
	v_div_fixup_f32 v18, v19, v18, 1.0
	ds_write_b32 v244, v18
.LBB35_26:
	s_or_b64 exec, exec, s[2:3]
	s_waitcnt lgkmcnt(0)
	s_barrier
	ds_read_b32 v165, v244
	v_cmp_lt_u32_e32 vcc, 4, v242
	s_and_saveexec_b64 s[2:3], vcc
	s_cbranch_execz .LBB35_28
; %bb.27:
	scratch_load_dwordx4 v[64:67], off, off offset:1024 ; 16-byte Folded Reload
	scratch_load_dwordx4 v[68:71], off, off offset:1040 ; 16-byte Folded Reload
	;; [unrolled: 1-line block ×8, first 2 shown]
	ds_read2_b32 v[0:1], v245 offset0:5 offset1:6
	v_mov_b32_e32 v2, v5
	ds_read2_b32 v[4:5], v245 offset0:7 offset1:8
	ds_read2_b32 v[18:19], v245 offset0:9 offset1:10
	;; [unrolled: 1-line block ×3, first 2 shown]
	s_waitcnt lgkmcnt(4)
	v_mul_f32_e32 v56, v62, v165
	v_mov_b32_e32 v3, v6
	s_waitcnt lgkmcnt(3)
	v_pk_fma_f32 v[22:23], v[56:57], v[0:1], v[2:3] op_sel_hi:[0,1,1] neg_lo:[1,0,0] neg_hi:[1,0,0]
	v_mov_b32_e32 v0, v7
	v_mov_b32_e32 v1, v8
	s_waitcnt lgkmcnt(2)
	v_pk_fma_f32 v[24:25], v[56:57], v[4:5], v[0:1] op_sel_hi:[0,1,1] neg_lo:[1,0,0] neg_hi:[1,0,0]
	v_mov_b32_e32 v0, v9
	;; [unrolled: 4-line block ×3, first 2 shown]
	v_mov_b32_e32 v1, v12
	s_waitcnt lgkmcnt(0)
	v_pk_fma_f32 v[20:21], v[56:57], v[20:21], v[0:1] op_sel_hi:[0,1,1] neg_lo:[1,0,0] neg_hi:[1,0,0]
	ds_read2_b32 v[0:1], v245 offset0:13 offset1:14
	ds_read2_b32 v[4:5], v245 offset0:15 offset1:16
	ds_read_b32 v6, v245 offset:68
	v_mov_b32_e32 v2, v13
	v_mov_b32_e32 v3, v14
	s_waitcnt vmcnt(5)
	v_mov_b32_e32 v72, v56
	s_waitcnt lgkmcnt(2)
	v_pk_fma_f32 v[26:27], v[56:57], v[0:1], v[2:3] op_sel_hi:[0,1,1] neg_lo:[1,0,0] neg_hi:[1,0,0]
	v_mov_b32_e32 v0, v15
	v_mov_b32_e32 v1, v16
	s_waitcnt lgkmcnt(1)
	v_pk_fma_f32 v[28:29], v[56:57], v[4:5], v[0:1] op_sel_hi:[0,1,1] neg_lo:[1,0,0] neg_hi:[1,0,0]
	s_waitcnt lgkmcnt(0)
	v_fma_f32 v17, -v56, v6, v35
	v_mov_b32_e32 v4, v56
	v_mov_b32_e32 v5, v22
	;; [unrolled: 1-line block ×8, first 2 shown]
	v_mov_b64_e32 v[52:53], v[64:65]
	v_mov_b64_e32 v[54:55], v[66:67]
	v_mov_b32_e32 v0, v52
	v_mov_b32_e32 v1, v53
	;; [unrolled: 1-line block ×4, first 2 shown]
	scratch_store_dwordx4 off, v[0:3], off offset:640 ; 16-byte Folded Spill
	s_nop 0
	scratch_store_dwordx4 off, v[4:7], off offset:656 ; 16-byte Folded Spill
	scratch_store_dwordx4 off, v[8:11], off offset:672 ; 16-byte Folded Spill
	;; [unrolled: 1-line block ×7, first 2 shown]
	v_mov_b32_e32 v68, v52
	v_mov_b32_e32 v69, v53
	;; [unrolled: 1-line block ×21, first 2 shown]
	scratch_store_dwordx4 off, v[0:3], off offset:512 ; 16-byte Folded Spill
	s_nop 0
	scratch_store_dwordx4 off, v[4:7], off offset:528 ; 16-byte Folded Spill
	scratch_store_dwordx4 off, v[8:11], off offset:544 ; 16-byte Folded Spill
	scratch_store_dwordx4 off, v[12:15], off offset:560 ; 16-byte Folded Spill
	scratch_store_dwordx4 off, v[16:19], off offset:576 ; 16-byte Folded Spill
	scratch_store_dwordx4 off, v[20:23], off offset:592 ; 16-byte Folded Spill
	scratch_store_dwordx4 off, v[24:27], off offset:608 ; 16-byte Folded Spill
	scratch_store_dwordx4 off, v[28:31], off offset:624 ; 16-byte Folded Spill
	v_mov_b32_e32 v8, v25
	scratch_store_dwordx4 off, v[0:3], off offset:384 ; 16-byte Folded Spill
	s_nop 0
	scratch_store_dwordx4 off, v[4:7], off offset:400 ; 16-byte Folded Spill
	scratch_store_dwordx4 off, v[8:11], off offset:416 ; 16-byte Folded Spill
	scratch_store_dwordx4 off, v[12:15], off offset:432 ; 16-byte Folded Spill
	scratch_store_dwordx4 off, v[16:19], off offset:448 ; 16-byte Folded Spill
	scratch_store_dwordx4 off, v[20:23], off offset:464 ; 16-byte Folded Spill
	scratch_store_dwordx4 off, v[24:27], off offset:480 ; 16-byte Folded Spill
	scratch_store_dwordx4 off, v[28:31], off offset:496 ; 16-byte Folded Spill
	v_mov_b32_e32 v9, v18
	scratch_store_dwordx4 off, v[0:3], off offset:256 ; 16-byte Folded Spill
	s_nop 0
	scratch_store_dwordx4 off, v[4:7], off offset:272 ; 16-byte Folded Spill
	scratch_store_dwordx4 off, v[8:11], off offset:288 ; 16-byte Folded Spill
	scratch_store_dwordx4 off, v[12:15], off offset:304 ; 16-byte Folded Spill
	scratch_store_dwordx4 off, v[16:19], off offset:320 ; 16-byte Folded Spill
	scratch_store_dwordx4 off, v[20:23], off offset:336 ; 16-byte Folded Spill
	scratch_store_dwordx4 off, v[24:27], off offset:352 ; 16-byte Folded Spill
	scratch_store_dwordx4 off, v[28:31], off offset:368 ; 16-byte Folded Spill
	v_mov_b32_e32 v10, v19
	v_mov_b32_e32 v11, v20
	v_mov_b32_e32 v215, v22
	;; [unrolled: 1-line block ×7, first 2 shown]
	scratch_store_dwordx4 off, v[0:3], off offset:128 ; 16-byte Folded Spill
	s_nop 0
	scratch_store_dwordx4 off, v[4:7], off offset:144 ; 16-byte Folded Spill
	scratch_store_dwordx4 off, v[8:11], off offset:160 ; 16-byte Folded Spill
	;; [unrolled: 1-line block ×7, first 2 shown]
	v_mov_b32_e32 v73, v22
	v_mov_b32_e32 v74, v23
	;; [unrolled: 1-line block ×3, first 2 shown]
	s_waitcnt vmcnt(44)
	v_mov_b32_e32 v76, v25
	v_mov_b32_e32 v77, v18
	v_mov_b32_e32 v78, v19
	v_mov_b32_e32 v79, v20
	s_waitcnt vmcnt(43)
	v_mov_b32_e32 v80, v21
	scratch_store_dwordx4 off, v[52:55], off offset:768 ; 16-byte Folded Spill
	s_nop 0
	scratch_store_dwordx4 off, v[56:59], off offset:784 ; 16-byte Folded Spill
	scratch_store_dwordx4 off, v[60:63], off offset:800 ; 16-byte Folded Spill
	;; [unrolled: 1-line block ×8, first 2 shown]
	s_nop 0
	scratch_store_dwordx4 off, v[56:59], off offset:912 ; 16-byte Folded Spill
	scratch_store_dwordx4 off, v[60:63], off offset:928 ; 16-byte Folded Spill
	;; [unrolled: 1-line block ×7, first 2 shown]
	v_mov_b32_e32 v121, v22
	v_mov_b32_e32 v122, v23
	;; [unrolled: 1-line block ×39, first 2 shown]
	s_waitcnt vmcnt(57)
	v_mov_b32_e32 v90, v23
	v_mov_b32_e32 v89, v24
	;; [unrolled: 1-line block ×9, first 2 shown]
	scratch_store_dwordx4 off, v[4:7], off  ; 16-byte Folded Spill
	s_nop 0
	scratch_store_dwordx4 off, v[8:11], off offset:16 ; 16-byte Folded Spill
	scratch_store_dwordx4 off, v[12:15], off offset:32 ; 16-byte Folded Spill
	;; [unrolled: 1-line block ×7, first 2 shown]
.LBB35_28:
	s_or_b64 exec, exec, s[2:3]
	v_cmp_eq_u32_e32 vcc, 5, v242
	s_waitcnt lgkmcnt(0)
	s_barrier
	s_and_saveexec_b64 s[2:3], vcc
	s_cbranch_execz .LBB35_31
; %bb.29:
	ds_write_b32 v244, v157
	ds_write2_b64 v245, v[6:7], v[8:9] offset0:3 offset1:4
	ds_write2_b64 v245, v[10:11], v[12:13] offset0:5 offset1:6
	;; [unrolled: 1-line block ×3, first 2 shown]
	ds_read_b32 v18, v244
	s_waitcnt lgkmcnt(0)
	v_cmp_neq_f32_e32 vcc, 0, v18
	s_and_b64 exec, exec, vcc
	s_cbranch_execz .LBB35_31
; %bb.30:
	v_div_scale_f32 v19, s[4:5], v18, v18, 1.0
	v_rcp_f32_e32 v20, v19
	v_div_scale_f32 v21, vcc, 1.0, v18, 1.0
	v_fma_f32 v22, -v19, v20, 1.0
	v_fmac_f32_e32 v20, v22, v20
	v_mul_f32_e32 v22, v21, v20
	v_fma_f32 v23, -v19, v22, v21
	v_fmac_f32_e32 v22, v23, v20
	v_fma_f32 v19, -v19, v22, v21
	v_div_fmas_f32 v19, v19, v20, v22
	v_div_fixup_f32 v18, v19, v18, 1.0
	ds_write_b32 v244, v18
.LBB35_31:
	s_or_b64 exec, exec, s[2:3]
	s_waitcnt lgkmcnt(0)
	s_barrier
	ds_read_b32 v166, v244
	v_cmp_lt_u32_e32 vcc, 5, v242
	s_and_saveexec_b64 s[2:3], vcc
	s_cbranch_execz .LBB35_33
; %bb.32:
	ds_read2_b64 v[0:3], v245 offset0:3 offset1:4
	ds_read2_b64 v[18:21], v245 offset0:5 offset1:6
	;; [unrolled: 1-line block ×3, first 2 shown]
	scratch_load_dwordx4 v[62:65], off, off offset:896 ; 16-byte Folded Reload
	scratch_load_dwordx4 v[66:69], off, off offset:912 ; 16-byte Folded Reload
	;; [unrolled: 1-line block ×8, first 2 shown]
	s_waitcnt lgkmcnt(3)
	v_mul_f32_e32 v4, v157, v166
	s_waitcnt lgkmcnt(2)
	v_pk_fma_f32 v[30:31], v[4:5], v[0:1], v[6:7] op_sel_hi:[0,1,1] neg_lo:[1,0,0] neg_hi:[1,0,0]
	v_pk_fma_f32 v[60:61], v[4:5], v[2:3], v[8:9] op_sel_hi:[0,1,1] neg_lo:[1,0,0] neg_hi:[1,0,0]
	v_mov_b32_e32 v39, v4
	v_mov_b32_e32 v40, v30
	v_mov_b32_e32 v41, v31
	s_waitcnt lgkmcnt(0)
	v_pk_fma_f32 v[16:17], v[4:5], v[24:25], v[16:17] op_sel_hi:[0,1,1] neg_lo:[1,0,0] neg_hi:[1,0,0]
	v_pk_fma_f32 v[220:221], v[4:5], v[18:19], v[10:11] op_sel_hi:[0,1,1] neg_lo:[1,0,0] neg_hi:[1,0,0]
	s_waitcnt vmcnt(6)
	v_mov_b32_e32 v67, v4
	s_waitcnt vmcnt(3)
	v_pk_fma_f32 v[80:81], v[4:5], v[20:21], v[12:13] op_sel_hi:[0,1,1] neg_lo:[1,0,0] neg_hi:[1,0,0]
	v_mov_b32_e32 v73, v4
	v_mov_b32_e32 v74, v30
	;; [unrolled: 1-line block ×5, first 2 shown]
	v_pk_fma_f32 v[114:115], v[4:5], v[22:23], v[14:15] op_sel_hi:[0,1,1] neg_lo:[1,0,0] neg_hi:[1,0,0]
	v_mov_b32_e32 v29, v4
	v_mov_b32_e32 v215, v4
	;; [unrolled: 1-line block ×37, first 2 shown]
	scratch_store_dwordx4 off, v[34:37], off offset:512 ; 16-byte Folded Spill
	s_nop 0
	scratch_store_dwordx4 off, v[38:41], off offset:528 ; 16-byte Folded Spill
	scratch_store_dwordx4 off, v[42:45], off offset:544 ; 16-byte Folded Spill
	scratch_store_dwordx4 off, v[46:49], off offset:560 ; 16-byte Folded Spill
	scratch_store_dwordx4 off, v[50:53], off offset:576 ; 16-byte Folded Spill
	scratch_store_dwordx4 off, v[54:57], off offset:592 ; 16-byte Folded Spill
	scratch_store_dwordx4 off, v[58:61], off offset:608 ; 16-byte Folded Spill
	scratch_store_dwordx4 off, v[62:65], off offset:624 ; 16-byte Folded Spill
	v_mov_b32_e32 v56, v66
	v_mov_b32_e32 v57, v4
	;; [unrolled: 1-line block ×15, first 2 shown]
	scratch_store_dwordx4 off, v[34:37], off offset:256 ; 16-byte Folded Spill
	s_nop 0
	scratch_store_dwordx4 off, v[38:41], off offset:272 ; 16-byte Folded Spill
	scratch_store_dwordx4 off, v[42:45], off offset:288 ; 16-byte Folded Spill
	;; [unrolled: 1-line block ×7, first 2 shown]
	v_mov_b32_e32 v44, v220
	v_mov_b32_e32 v45, v221
	;; [unrolled: 1-line block ×8, first 2 shown]
	scratch_store_dwordx4 off, v[34:37], off offset:128 ; 16-byte Folded Spill
	s_nop 0
	scratch_store_dwordx4 off, v[38:41], off offset:144 ; 16-byte Folded Spill
	scratch_store_dwordx4 off, v[42:45], off offset:160 ; 16-byte Folded Spill
	;; [unrolled: 1-line block ×7, first 2 shown]
	v_mov_b32_e32 v41, v4
	v_mov_b32_e32 v40, v66
	;; [unrolled: 1-line block ×37, first 2 shown]
	scratch_store_dwordx4 off, v[62:65], off offset:768 ; 16-byte Folded Spill
	s_nop 0
	scratch_store_dwordx4 off, v[66:69], off offset:784 ; 16-byte Folded Spill
	scratch_store_dwordx4 off, v[70:73], off offset:800 ; 16-byte Folded Spill
	;; [unrolled: 1-line block ×4, first 2 shown]
	s_waitcnt vmcnt(31)
	scratch_store_dwordx4 off, v[82:85], off offset:848 ; 16-byte Folded Spill
	s_waitcnt vmcnt(31)
	scratch_store_dwordx4 off, v[86:89], off offset:864 ; 16-byte Folded Spill
	;; [unrolled: 2-line block ×3, first 2 shown]
	v_mov_b32_e32 v124, v60
	v_mov_b32_e32 v125, v61
	;; [unrolled: 1-line block ×3, first 2 shown]
	scratch_store_dwordx4 off, v[24:27], off offset:640 ; 16-byte Folded Spill
	s_nop 0
	scratch_store_dwordx4 off, v[28:31], off offset:656 ; 16-byte Folded Spill
	scratch_store_dwordx4 off, v[32:35], off offset:672 ; 16-byte Folded Spill
	;; [unrolled: 1-line block ×7, first 2 shown]
	v_mov_b32_e32 v108, v60
	v_mov_b32_e32 v109, v61
	;; [unrolled: 1-line block ×6, first 2 shown]
	scratch_store_dwordx4 off, v[52:55], off offset:384 ; 16-byte Folded Spill
	s_nop 0
	scratch_store_dwordx4 off, v[56:59], off offset:400 ; 16-byte Folded Spill
	scratch_store_dwordx4 off, v[60:63], off offset:416 ; 16-byte Folded Spill
	;; [unrolled: 1-line block ×7, first 2 shown]
	v_mov_b32_e32 v89, v31
	v_mov_b32_e32 v52, v220
	scratch_store_dwordx4 off, v[100:103], off ; 16-byte Folded Spill
	s_nop 0
	scratch_store_dwordx4 off, v[104:107], off offset:16 ; 16-byte Folded Spill
	scratch_store_dwordx4 off, v[108:111], off offset:32 ; 16-byte Folded Spill
	;; [unrolled: 1-line block ×7, first 2 shown]
	v_mov_b32_e32 v31, v61
	v_mov_b32_e32 v54, v80
	;; [unrolled: 1-line block ×3, first 2 shown]
.LBB35_33:
	s_or_b64 exec, exec, s[2:3]
	v_cmp_eq_u32_e32 vcc, 6, v242
	s_waitcnt lgkmcnt(0)
	s_barrier
	s_and_saveexec_b64 s[2:3], vcc
	s_cbranch_execz .LBB35_36
; %bb.34:
	ds_write_b32 v244, v90
	ds_write2_b32 v245, v7, v8 offset0:7 offset1:8
	ds_write2_b32 v245, v9, v10 offset0:9 offset1:10
	;; [unrolled: 1-line block ×5, first 2 shown]
	ds_write_b32 v245, v35 offset:68
	ds_read_b32 v18, v244
	s_waitcnt lgkmcnt(0)
	v_cmp_neq_f32_e32 vcc, 0, v18
	s_and_b64 exec, exec, vcc
	s_cbranch_execz .LBB35_36
; %bb.35:
	v_div_scale_f32 v19, s[4:5], v18, v18, 1.0
	v_rcp_f32_e32 v20, v19
	v_div_scale_f32 v21, vcc, 1.0, v18, 1.0
	v_fma_f32 v22, -v19, v20, 1.0
	v_fmac_f32_e32 v20, v22, v20
	v_mul_f32_e32 v22, v21, v20
	v_fma_f32 v23, -v19, v22, v21
	v_fmac_f32_e32 v22, v23, v20
	v_fma_f32 v19, -v19, v22, v21
	v_div_fmas_f32 v19, v19, v20, v22
	v_div_fixup_f32 v18, v19, v18, 1.0
	ds_write_b32 v244, v18
.LBB35_36:
	s_or_b64 exec, exec, s[2:3]
	s_waitcnt lgkmcnt(0)
	s_barrier
	ds_read_b32 v167, v244
	v_cmp_lt_u32_e32 vcc, 6, v242
	s_and_saveexec_b64 s[2:3], vcc
	s_cbranch_execz .LBB35_38
; %bb.37:
	scratch_load_dwordx4 v[52:55], off, off offset:768 ; 16-byte Folded Reload
	scratch_load_dwordx4 v[56:59], off, off offset:784 ; 16-byte Folded Reload
	;; [unrolled: 1-line block ×8, first 2 shown]
	ds_read2_b32 v[0:1], v245 offset0:7 offset1:8
	v_mov_b32_e32 v2, v7
	ds_read2_b32 v[4:5], v245 offset0:9 offset1:10
	ds_read2_b32 v[6:7], v245 offset0:11 offset1:12
	;; [unrolled: 1-line block ×3, first 2 shown]
	s_waitcnt vmcnt(6) lgkmcnt(4)
	v_mul_f32_e32 v58, v90, v167
	v_mov_b32_e32 v3, v8
	s_waitcnt vmcnt(2)
	v_mov_b32_e32 v74, v58
	v_mov_b32_e32 v216, v58
	;; [unrolled: 1-line block ×6, first 2 shown]
	s_waitcnt lgkmcnt(3)
	v_pk_fma_f32 v[20:21], v[58:59], v[0:1], v[2:3] op_sel_hi:[0,1,1] neg_lo:[1,0,0] neg_hi:[1,0,0]
	v_mov_b32_e32 v0, v9
	v_mov_b32_e32 v1, v10
	s_waitcnt lgkmcnt(2)
	v_pk_fma_f32 v[22:23], v[58:59], v[4:5], v[0:1] op_sel_hi:[0,1,1] neg_lo:[1,0,0] neg_hi:[1,0,0]
	ds_read2_b32 v[2:3], v245 offset0:15 offset1:16
	ds_read_b32 v4, v245 offset:68
	v_mov_b32_e32 v0, v11
	v_mov_b32_e32 v1, v12
	s_waitcnt lgkmcnt(3)
	v_pk_fma_f32 v[24:25], v[58:59], v[6:7], v[0:1] op_sel_hi:[0,1,1] neg_lo:[1,0,0] neg_hi:[1,0,0]
	v_mov_b32_e32 v0, v13
	v_mov_b32_e32 v1, v14
	s_waitcnt lgkmcnt(2)
	v_pk_fma_f32 v[18:19], v[58:59], v[18:19], v[0:1] op_sel_hi:[0,1,1] neg_lo:[1,0,0] neg_hi:[1,0,0]
	;; [unrolled: 4-line block ×3, first 2 shown]
	s_waitcnt lgkmcnt(0)
	v_fma_f32 v17, -v58, v4, v35
	v_mov_b32_e32 v0, v52
	v_mov_b32_e32 v1, v53
	;; [unrolled: 1-line block ×10, first 2 shown]
	scratch_store_dwordx4 off, v[0:3], off offset:384 ; 16-byte Folded Spill
	s_nop 0
	scratch_store_dwordx4 off, v[4:7], off offset:400 ; 16-byte Folded Spill
	scratch_store_dwordx4 off, v[8:11], off offset:416 ; 16-byte Folded Spill
	;; [unrolled: 1-line block ×7, first 2 shown]
	v_mov_b32_e32 v69, v53
	v_mov_b32_e32 v70, v54
	;; [unrolled: 1-line block ×30, first 2 shown]
	scratch_store_dwordx4 off, v[0:3], off offset:256 ; 16-byte Folded Spill
	s_nop 0
	scratch_store_dwordx4 off, v[4:7], off offset:272 ; 16-byte Folded Spill
	scratch_store_dwordx4 off, v[8:11], off offset:288 ; 16-byte Folded Spill
	;; [unrolled: 1-line block ×7, first 2 shown]
	v_mov_b32_e32 v10, v23
	v_mov_b32_e32 v11, v24
	;; [unrolled: 1-line block ×6, first 2 shown]
	scratch_store_dwordx4 off, v[0:3], off offset:128 ; 16-byte Folded Spill
	s_nop 0
	scratch_store_dwordx4 off, v[4:7], off offset:144 ; 16-byte Folded Spill
	scratch_store_dwordx4 off, v[8:11], off offset:160 ; 16-byte Folded Spill
	;; [unrolled: 1-line block ×7, first 2 shown]
	v_mov_b32_e32 v75, v20
	s_waitcnt vmcnt(25)
	v_mov_b32_e32 v76, v21
	v_mov_b32_e32 v77, v22
	;; [unrolled: 1-line block ×4, first 2 shown]
	s_waitcnt vmcnt(24)
	v_mov_b32_e32 v80, v25
	scratch_store_dwordx4 off, v[52:55], off offset:512 ; 16-byte Folded Spill
	s_nop 0
	scratch_store_dwordx4 off, v[56:59], off offset:528 ; 16-byte Folded Spill
	scratch_store_dwordx4 off, v[60:63], off offset:544 ; 16-byte Folded Spill
	scratch_store_dwordx4 off, v[64:67], off offset:560 ; 16-byte Folded Spill
	scratch_store_dwordx4 off, v[68:71], off offset:576 ; 16-byte Folded Spill
	scratch_store_dwordx4 off, v[72:75], off offset:592 ; 16-byte Folded Spill
	scratch_store_dwordx4 off, v[76:79], off offset:608 ; 16-byte Folded Spill
	scratch_store_dwordx4 off, v[80:83], off offset:624 ; 16-byte Folded Spill
	scratch_store_dwordx4 off, v[52:55], off offset:640 ; 16-byte Folded Spill
	s_nop 0
	scratch_store_dwordx4 off, v[56:59], off offset:656 ; 16-byte Folded Spill
	scratch_store_dwordx4 off, v[60:63], off offset:672 ; 16-byte Folded Spill
	;; [unrolled: 1-line block ×7, first 2 shown]
	v_mov_b32_e32 v123, v20
	v_mov_b32_e32 v124, v21
	;; [unrolled: 1-line block ×40, first 2 shown]
	scratch_store_dwordx4 off, v[4:7], off  ; 16-byte Folded Spill
	s_nop 0
	scratch_store_dwordx4 off, v[8:11], off offset:16 ; 16-byte Folded Spill
	scratch_store_dwordx4 off, v[12:15], off offset:32 ; 16-byte Folded Spill
	;; [unrolled: 1-line block ×7, first 2 shown]
.LBB35_38:
	s_or_b64 exec, exec, s[2:3]
	v_cmp_eq_u32_e32 vcc, 7, v242
	s_waitcnt lgkmcnt(0)
	s_barrier
	s_and_saveexec_b64 s[2:3], vcc
	s_cbranch_execz .LBB35_41
; %bb.39:
	ds_write_b32 v244, v89
	ds_write2_b64 v245, v[8:9], v[10:11] offset0:4 offset1:5
	ds_write2_b64 v245, v[12:13], v[14:15] offset0:6 offset1:7
	ds_write_b64 v245, v[16:17] offset:64
	ds_read_b32 v18, v244
	s_waitcnt lgkmcnt(0)
	v_cmp_neq_f32_e32 vcc, 0, v18
	s_and_b64 exec, exec, vcc
	s_cbranch_execz .LBB35_41
; %bb.40:
	v_div_scale_f32 v19, s[4:5], v18, v18, 1.0
	v_rcp_f32_e32 v20, v19
	v_div_scale_f32 v21, vcc, 1.0, v18, 1.0
	v_fma_f32 v22, -v19, v20, 1.0
	v_fmac_f32_e32 v20, v22, v20
	v_mul_f32_e32 v22, v21, v20
	v_fma_f32 v23, -v19, v22, v21
	v_fmac_f32_e32 v22, v23, v20
	v_fma_f32 v19, -v19, v22, v21
	v_div_fmas_f32 v19, v19, v20, v22
	v_div_fixup_f32 v18, v19, v18, 1.0
	ds_write_b32 v244, v18
.LBB35_41:
	s_or_b64 exec, exec, s[2:3]
	s_waitcnt lgkmcnt(0)
	s_barrier
	ds_read_b32 v168, v244
	v_cmp_lt_u32_e32 vcc, 7, v242
	s_and_saveexec_b64 s[2:3], vcc
	s_cbranch_execz .LBB35_43
; %bb.42:
	ds_read2_b64 v[0:3], v245 offset0:4 offset1:5
	ds_read2_b64 v[4:7], v245 offset0:6 offset1:7
	ds_read_b64 v[18:19], v245 offset:64
	scratch_load_dwordx4 v[34:37], off, off offset:640 ; 16-byte Folded Reload
	scratch_load_dwordx4 v[38:41], off, off offset:656 ; 16-byte Folded Reload
	;; [unrolled: 1-line block ×8, first 2 shown]
	s_waitcnt lgkmcnt(3)
	v_mul_f32_e32 v20, v89, v168
	s_waitcnt lgkmcnt(2)
	v_pk_fma_f32 v[30:31], v[20:21], v[0:1], v[8:9] op_sel_hi:[0,1,1] neg_lo:[1,0,0] neg_hi:[1,0,0]
	s_waitcnt vmcnt(1)
	v_mov_b32_e32 v59, v20
	v_mov_b32_e32 v41, v20
	;; [unrolled: 1-line block ×4, first 2 shown]
	v_pk_fma_f32 v[220:221], v[20:21], v[2:3], v[10:11] op_sel_hi:[0,1,1] neg_lo:[1,0,0] neg_hi:[1,0,0]
	s_waitcnt lgkmcnt(1)
	v_pk_fma_f32 v[80:81], v[20:21], v[4:5], v[12:13] op_sel_hi:[0,1,1] neg_lo:[1,0,0] neg_hi:[1,0,0]
	v_mov_b32_e32 v75, v20
	v_mov_b32_e32 v76, v30
	;; [unrolled: 1-line block ×7, first 2 shown]
	v_pk_fma_f32 v[114:115], v[20:21], v[6:7], v[14:15] op_sel_hi:[0,1,1] neg_lo:[1,0,0] neg_hi:[1,0,0]
	v_mov_b32_e32 v112, v80
	v_mov_b32_e32 v113, v81
	;; [unrolled: 1-line block ×4, first 2 shown]
	s_waitcnt lgkmcnt(0)
	v_pk_fma_f32 v[16:17], v[20:21], v[18:19], v[16:17] op_sel_hi:[0,1,1] neg_lo:[1,0,0] neg_hi:[1,0,0]
	v_mov_b32_e32 v29, v20
	v_mov_b32_e32 v32, v114
	;; [unrolled: 1-line block ×37, first 2 shown]
	scratch_store_dwordx4 off, v[34:37], off offset:256 ; 16-byte Folded Spill
	s_nop 0
	scratch_store_dwordx4 off, v[38:41], off offset:272 ; 16-byte Folded Spill
	scratch_store_dwordx4 off, v[42:45], off offset:288 ; 16-byte Folded Spill
	;; [unrolled: 1-line block ×6, first 2 shown]
	s_waitcnt vmcnt(7)
	scratch_store_dwordx4 off, v[62:65], off offset:368 ; 16-byte Folded Spill
	v_mov_b32_e32 v44, v220
	v_mov_b32_e32 v45, v221
	;; [unrolled: 1-line block ×9, first 2 shown]
	scratch_store_dwordx4 off, v[34:37], off offset:128 ; 16-byte Folded Spill
	s_nop 0
	scratch_store_dwordx4 off, v[38:41], off offset:144 ; 16-byte Folded Spill
	scratch_store_dwordx4 off, v[42:45], off offset:160 ; 16-byte Folded Spill
	;; [unrolled: 1-line block ×7, first 2 shown]
	v_mov_b32_e32 v48, v80
	v_mov_b32_e32 v49, v81
	;; [unrolled: 1-line block ×46, first 2 shown]
	scratch_store_dwordx4 off, v[52:55], off offset:512 ; 16-byte Folded Spill
	s_nop 0
	scratch_store_dwordx4 off, v[56:59], off offset:528 ; 16-byte Folded Spill
	scratch_store_dwordx4 off, v[60:63], off offset:544 ; 16-byte Folded Spill
	;; [unrolled: 1-line block ×8, first 2 shown]
	s_nop 0
	scratch_store_dwordx4 off, v[26:29], off offset:400 ; 16-byte Folded Spill
	scratch_store_dwordx4 off, v[30:33], off offset:416 ; 16-byte Folded Spill
	scratch_store_dwordx4 off, v[34:37], off offset:432 ; 16-byte Folded Spill
	scratch_store_dwordx4 off, v[38:41], off offset:448 ; 16-byte Folded Spill
	scratch_store_dwordx4 off, v[42:45], off offset:464 ; 16-byte Folded Spill
	scratch_store_dwordx4 off, v[46:49], off offset:480 ; 16-byte Folded Spill
	scratch_store_dwordx4 off, v[50:53], off offset:496 ; 16-byte Folded Spill
	s_nop 1
	v_mov_b32_e32 v52, v220
	v_mov_b32_e32 v29, v221
	;; [unrolled: 1-line block ×4, first 2 shown]
	scratch_store_dwordx4 off, v[100:103], off ; 16-byte Folded Spill
	s_nop 0
	scratch_store_dwordx4 off, v[104:107], off offset:16 ; 16-byte Folded Spill
	scratch_store_dwordx4 off, v[108:111], off offset:32 ; 16-byte Folded Spill
	;; [unrolled: 1-line block ×7, first 2 shown]
.LBB35_43:
	s_or_b64 exec, exec, s[2:3]
	v_cmp_eq_u32_e32 vcc, 8, v242
	s_waitcnt lgkmcnt(0)
	s_barrier
	s_and_saveexec_b64 s[2:3], vcc
	s_cbranch_execz .LBB35_46
; %bb.44:
	ds_write_b32 v244, v84
	ds_write2_b32 v245, v9, v10 offset0:9 offset1:10
	ds_write2_b32 v245, v11, v12 offset0:11 offset1:12
	;; [unrolled: 1-line block ×4, first 2 shown]
	ds_write_b32 v245, v35 offset:68
	ds_read_b32 v18, v244
	s_waitcnt lgkmcnt(0)
	v_cmp_neq_f32_e32 vcc, 0, v18
	s_and_b64 exec, exec, vcc
	s_cbranch_execz .LBB35_46
; %bb.45:
	v_div_scale_f32 v19, s[4:5], v18, v18, 1.0
	v_rcp_f32_e32 v20, v19
	v_div_scale_f32 v21, vcc, 1.0, v18, 1.0
	v_fma_f32 v22, -v19, v20, 1.0
	v_fmac_f32_e32 v20, v22, v20
	v_mul_f32_e32 v22, v21, v20
	v_fma_f32 v23, -v19, v22, v21
	v_fmac_f32_e32 v22, v23, v20
	v_fma_f32 v19, -v19, v22, v21
	v_div_fmas_f32 v19, v19, v20, v22
	v_div_fixup_f32 v18, v19, v18, 1.0
	ds_write_b32 v244, v18
.LBB35_46:
	s_or_b64 exec, exec, s[2:3]
	s_waitcnt lgkmcnt(0)
	s_barrier
	ds_read_b32 v169, v244
	v_cmp_lt_u32_e32 vcc, 8, v242
	s_and_saveexec_b64 s[2:3], vcc
	s_cbranch_execz .LBB35_48
; %bb.47:
	scratch_load_dwordx4 v[52:55], off, off offset:512 ; 16-byte Folded Reload
	scratch_load_dwordx4 v[56:59], off, off offset:528 ; 16-byte Folded Reload
	;; [unrolled: 1-line block ×8, first 2 shown]
	ds_read2_b32 v[0:1], v245 offset0:9 offset1:10
	s_waitcnt vmcnt(5) lgkmcnt(1)
	v_mul_f32_e32 v60, v84, v169
	v_mov_b32_e32 v2, v9
	v_mov_b32_e32 v3, v10
	ds_read2_b32 v[4:5], v245 offset0:11 offset1:12
	ds_read2_b32 v[6:7], v245 offset0:13 offset1:14
	;; [unrolled: 1-line block ×3, first 2 shown]
	s_waitcnt vmcnt(1)
	v_mov_b32_e32 v76, v60
	v_mov_b32_e32 v218, v60
	v_mov_b32_e32 v124, v60
	v_mov_b32_e32 v108, v60
	v_mov_b32_e32 v44, v60
	v_mov_b32_e32 v68, v52
	v_mov_b32_e32 v69, v53
	s_waitcnt lgkmcnt(3)
	v_pk_fma_f32 v[18:19], v[60:61], v[0:1], v[2:3] op_sel_hi:[0,1,1] neg_lo:[1,0,0] neg_hi:[1,0,0]
	ds_read_b32 v2, v245 offset:68
	v_mov_b32_e32 v0, v11
	v_mov_b32_e32 v1, v12
	s_waitcnt lgkmcnt(3)
	v_pk_fma_f32 v[20:21], v[60:61], v[4:5], v[0:1] op_sel_hi:[0,1,1] neg_lo:[1,0,0] neg_hi:[1,0,0]
	v_mov_b32_e32 v0, v13
	v_mov_b32_e32 v1, v14
	s_waitcnt lgkmcnt(2)
	v_pk_fma_f32 v[22:23], v[60:61], v[6:7], v[0:1] op_sel_hi:[0,1,1] neg_lo:[1,0,0] neg_hi:[1,0,0]
	;; [unrolled: 4-line block ×3, first 2 shown]
	s_waitcnt lgkmcnt(0)
	v_fma_f32 v17, -v60, v2, v35
	v_mov_b32_e32 v0, v52
	v_mov_b32_e32 v1, v53
	;; [unrolled: 1-line block ×15, first 2 shown]
	scratch_store_dwordx4 off, v[0:3], off offset:128 ; 16-byte Folded Spill
	s_nop 0
	scratch_store_dwordx4 off, v[4:7], off offset:144 ; 16-byte Folded Spill
	scratch_store_dwordx4 off, v[8:11], off offset:160 ; 16-byte Folded Spill
	;; [unrolled: 1-line block ×7, first 2 shown]
	v_mov_b32_e32 v70, v54
	v_mov_b32_e32 v71, v55
	;; [unrolled: 1-line block ×41, first 2 shown]
	s_waitcnt vmcnt(8)
	v_mov_b32_e32 v80, v21
	scratch_store_dwordx4 off, v[52:55], off offset:256 ; 16-byte Folded Spill
	s_nop 0
	scratch_store_dwordx4 off, v[56:59], off offset:272 ; 16-byte Folded Spill
	scratch_store_dwordx4 off, v[60:63], off offset:288 ; 16-byte Folded Spill
	;; [unrolled: 1-line block ×8, first 2 shown]
	s_nop 0
	scratch_store_dwordx4 off, v[56:59], off offset:400 ; 16-byte Folded Spill
	scratch_store_dwordx4 off, v[60:63], off offset:416 ; 16-byte Folded Spill
	;; [unrolled: 1-line block ×7, first 2 shown]
	v_mov_b32_e32 v125, v18
	v_mov_b32_e32 v126, v19
	;; [unrolled: 1-line block ×32, first 2 shown]
	scratch_store_dwordx4 off, v[4:7], off  ; 16-byte Folded Spill
	s_nop 0
	scratch_store_dwordx4 off, v[8:11], off offset:16 ; 16-byte Folded Spill
	scratch_store_dwordx4 off, v[12:15], off offset:32 ; 16-byte Folded Spill
	;; [unrolled: 1-line block ×7, first 2 shown]
.LBB35_48:
	s_or_b64 exec, exec, s[2:3]
	v_cmp_eq_u32_e32 vcc, 9, v242
	s_waitcnt lgkmcnt(0)
	s_barrier
	s_and_saveexec_b64 s[2:3], vcc
	s_cbranch_execz .LBB35_51
; %bb.49:
	ds_write_b32 v244, v31
	ds_write2_b64 v245, v[10:11], v[12:13] offset0:5 offset1:6
	ds_write2_b64 v245, v[14:15], v[16:17] offset0:7 offset1:8
	ds_read_b32 v18, v244
	s_waitcnt lgkmcnt(0)
	v_cmp_neq_f32_e32 vcc, 0, v18
	s_and_b64 exec, exec, vcc
	s_cbranch_execz .LBB35_51
; %bb.50:
	v_div_scale_f32 v19, s[4:5], v18, v18, 1.0
	v_rcp_f32_e32 v20, v19
	v_div_scale_f32 v21, vcc, 1.0, v18, 1.0
	v_fma_f32 v22, -v19, v20, 1.0
	v_fmac_f32_e32 v20, v22, v20
	v_mul_f32_e32 v22, v21, v20
	v_fma_f32 v23, -v19, v22, v21
	v_fmac_f32_e32 v22, v23, v20
	v_fma_f32 v19, -v19, v22, v21
	v_div_fmas_f32 v19, v19, v20, v22
	v_div_fixup_f32 v18, v19, v18, 1.0
	ds_write_b32 v244, v18
.LBB35_51:
	s_or_b64 exec, exec, s[2:3]
	s_waitcnt lgkmcnt(0)
	s_barrier
	ds_read_b32 v170, v244
	v_cmp_lt_u32_e32 vcc, 9, v242
	s_and_saveexec_b64 s[2:3], vcc
	s_cbranch_execz .LBB35_53
; %bb.52:
	ds_read2_b64 v[0:3], v245 offset0:5 offset1:6
	ds_read2_b64 v[4:7], v245 offset0:7 offset1:8
	scratch_load_dwordx4 v[34:37], off, off offset:384 ; 16-byte Folded Reload
	scratch_load_dwordx4 v[38:41], off, off offset:400 ; 16-byte Folded Reload
	scratch_load_dwordx4 v[42:45], off, off offset:416 ; 16-byte Folded Reload
	scratch_load_dwordx4 v[46:49], off, off offset:432 ; 16-byte Folded Reload
	scratch_load_dwordx4 v[50:53], off, off offset:448 ; 16-byte Folded Reload
	scratch_load_dwordx4 v[54:57], off, off offset:464 ; 16-byte Folded Reload
	scratch_load_dwordx4 v[58:61], off, off offset:480 ; 16-byte Folded Reload
	scratch_load_dwordx4 v[62:65], off, off offset:496 ; 16-byte Folded Reload
	s_waitcnt lgkmcnt(2)
	v_mul_f32_e32 v8, v31, v170
	v_mov_b32_e32 v27, v8
	s_waitcnt lgkmcnt(1)
	v_pk_fma_f32 v[220:221], v[8:9], v[0:1], v[10:11] op_sel_hi:[0,1,1] neg_lo:[1,0,0] neg_hi:[1,0,0]
	v_mov_b32_e32 v28, v220
	v_mov_b32_e32 v29, v221
	v_pk_fma_f32 v[80:81], v[8:9], v[2:3], v[12:13] op_sel_hi:[0,1,1] neg_lo:[1,0,0] neg_hi:[1,0,0]
	s_waitcnt vmcnt(1)
	v_mov_b32_e32 v61, v8
	v_mov_b32_e32 v77, v8
	;; [unrolled: 1-line block ×4, first 2 shown]
	s_waitcnt lgkmcnt(0)
	v_pk_fma_f32 v[114:115], v[8:9], v[4:5], v[14:15] op_sel_hi:[0,1,1] neg_lo:[1,0,0] neg_hi:[1,0,0]
	v_pk_fma_f32 v[16:17], v[8:9], v[6:7], v[16:17] op_sel_hi:[0,1,1] neg_lo:[1,0,0] neg_hi:[1,0,0]
	v_mov_b32_e32 v219, v8
	v_mov_b32_e32 v125, v8
	;; [unrolled: 1-line block ×38, first 2 shown]
	scratch_store_dwordx4 off, v[18:21], off offset:128 ; 16-byte Folded Spill
	s_nop 0
	scratch_store_dwordx4 off, v[22:25], off offset:144 ; 16-byte Folded Spill
	scratch_store_dwordx4 off, v[26:29], off offset:160 ; 16-byte Folded Spill
	;; [unrolled: 1-line block ×7, first 2 shown]
	v_mov_b32_e32 v68, v52
	v_mov_b32_e32 v69, v53
	v_mov_b32_e32 v70, v54
	v_mov_b32_e32 v71, v55
	v_mov_b32_e32 v72, v56
	v_mov_b32_e32 v73, v57
	v_mov_b32_e32 v74, v58
	v_mov_b32_e32 v75, v59
	v_mov_b32_e32 v76, v60
	v_mov_b32_e32 v210, v52
	v_mov_b32_e32 v211, v53
	v_mov_b32_e32 v212, v54
	v_mov_b32_e32 v213, v55
	v_mov_b32_e32 v214, v56
	v_mov_b32_e32 v215, v57
	v_mov_b32_e32 v216, v58
	v_mov_b32_e32 v217, v59
	v_mov_b32_e32 v218, v60
	v_mov_b32_e32 v116, v52
	v_mov_b32_e32 v117, v53
	v_mov_b32_e32 v118, v54
	v_mov_b32_e32 v119, v55
	v_mov_b32_e32 v120, v56
	v_mov_b32_e32 v121, v57
	v_mov_b32_e32 v122, v58
	v_mov_b32_e32 v123, v59
	v_mov_b32_e32 v124, v60
	v_mov_b32_e32 v100, v52
	v_mov_b32_e32 v101, v53
	v_mov_b32_e32 v102, v54
	v_mov_b32_e32 v103, v55
	v_mov_b32_e32 v104, v56
	v_mov_b32_e32 v105, v57
	v_mov_b32_e32 v106, v58
	v_mov_b32_e32 v107, v59
	v_mov_b32_e32 v108, v60
	v_mov_b32_e32 v45, v8
	v_mov_b32_e32 v36, v52
	v_mov_b32_e32 v37, v53
	v_mov_b32_e32 v38, v54
	v_mov_b32_e32 v39, v55
	v_mov_b32_e32 v40, v56
	v_mov_b32_e32 v41, v57
	v_mov_b32_e32 v42, v58
	v_mov_b32_e32 v43, v59
	v_mov_b32_e32 v44, v60
	v_mov_b32_e32 v48, v80
	v_mov_b32_e32 v49, v81
	v_mov_b32_e32 v0, v52
	v_mov_b32_e32 v1, v53
	v_mov_b32_e32 v2, v54
	v_mov_b32_e32 v3, v55
	v_mov_b32_e32 v4, v56
	v_mov_b32_e32 v5, v57
	v_mov_b32_e32 v6, v58
	v_mov_b32_e32 v7, v59
	v_mov_b32_e32 v8, v60
	scratch_store_dwordx4 off, v[52:55], off offset:256 ; 16-byte Folded Spill
	s_nop 0
	scratch_store_dwordx4 off, v[56:59], off offset:272 ; 16-byte Folded Spill
	s_waitcnt vmcnt(10)
	scratch_store_dwordx4 off, v[60:63], off offset:288 ; 16-byte Folded Spill
	scratch_store_dwordx4 off, v[64:67], off offset:304 ; 16-byte Folded Spill
	;; [unrolled: 1-line block ×6, first 2 shown]
	v_mov_b32_e32 v46, v220
	v_mov_b32_e32 v47, v221
	;; [unrolled: 1-line block ×6, first 2 shown]
	scratch_store_dwordx4 off, v[100:103], off ; 16-byte Folded Spill
	s_nop 0
	scratch_store_dwordx4 off, v[104:107], off offset:16 ; 16-byte Folded Spill
	scratch_store_dwordx4 off, v[108:111], off offset:32 ; 16-byte Folded Spill
	;; [unrolled: 1-line block ×7, first 2 shown]
	v_mov_b32_e32 v54, v80
	v_mov_b32_e32 v25, v81
.LBB35_53:
	s_or_b64 exec, exec, s[2:3]
	v_cmp_eq_u32_e32 vcc, 10, v242
	s_waitcnt lgkmcnt(0)
	s_barrier
	s_and_saveexec_b64 s[2:3], vcc
	s_cbranch_execz .LBB35_56
; %bb.54:
	ds_write_b32 v244, v52
	ds_write2_b32 v245, v11, v12 offset0:11 offset1:12
	ds_write2_b32 v245, v13, v14 offset0:13 offset1:14
	;; [unrolled: 1-line block ×3, first 2 shown]
	ds_write_b32 v245, v35 offset:68
	ds_read_b32 v18, v244
	s_waitcnt lgkmcnt(0)
	v_cmp_neq_f32_e32 vcc, 0, v18
	s_and_b64 exec, exec, vcc
	s_cbranch_execz .LBB35_56
; %bb.55:
	v_div_scale_f32 v19, s[4:5], v18, v18, 1.0
	v_rcp_f32_e32 v20, v19
	v_div_scale_f32 v21, vcc, 1.0, v18, 1.0
	v_fma_f32 v22, -v19, v20, 1.0
	v_fmac_f32_e32 v20, v22, v20
	v_mul_f32_e32 v22, v21, v20
	v_fma_f32 v23, -v19, v22, v21
	v_fmac_f32_e32 v22, v23, v20
	v_fma_f32 v19, -v19, v22, v21
	v_div_fmas_f32 v19, v19, v20, v22
	v_div_fixup_f32 v18, v19, v18, 1.0
	ds_write_b32 v244, v18
.LBB35_56:
	s_or_b64 exec, exec, s[2:3]
	s_waitcnt lgkmcnt(0)
	s_barrier
	ds_read_b32 v171, v244
	v_cmp_lt_u32_e32 vcc, 10, v242
	s_and_saveexec_b64 s[2:3], vcc
	s_cbranch_execz .LBB35_58
; %bb.57:
	scratch_load_dwordx4 v[196:199], off, off offset:256 ; 16-byte Folded Reload
	scratch_load_dwordx4 v[200:203], off, off offset:272 ; 16-byte Folded Reload
	;; [unrolled: 1-line block ×8, first 2 shown]
	ds_read2_b32 v[0:1], v245 offset0:11 offset1:12
	ds_read2_b32 v[4:5], v245 offset0:13 offset1:14
	;; [unrolled: 1-line block ×3, first 2 shown]
	ds_read_b32 v8, v245 offset:68
	s_waitcnt vmcnt(1) lgkmcnt(4)
	v_mul_f32_e32 v220, v52, v171
	v_mov_b32_e32 v2, v11
	v_mov_b32_e32 v3, v12
	;; [unrolled: 1-line block ×3, first 2 shown]
	s_waitcnt lgkmcnt(0)
	v_fma_f32 v17, -v220, v8, v35
	v_mov_b32_e32 v126, v220
	v_mov_b32_e32 v110, v220
	;; [unrolled: 1-line block ×5, first 2 shown]
	v_mov_b64_e32 v[218:219], v[204:205]
	v_mov_b64_e32 v[216:217], v[202:203]
	;; [unrolled: 1-line block ×4, first 2 shown]
	v_pk_fma_f32 v[18:19], v[220:221], v[0:1], v[2:3] op_sel_hi:[0,1,1] neg_lo:[1,0,0] neg_hi:[1,0,0]
	v_mov_b32_e32 v0, v13
	v_mov_b32_e32 v1, v14
	v_pk_fma_f32 v[20:21], v[220:221], v[4:5], v[0:1] op_sel_hi:[0,1,1] neg_lo:[1,0,0] neg_hi:[1,0,0]
	v_mov_b32_e32 v0, v15
	v_mov_b32_e32 v1, v16
	v_mov_b64_e32 v[210:211], v[196:197]
	v_pk_fma_f32 v[22:23], v[220:221], v[6:7], v[0:1] op_sel_hi:[0,1,1] neg_lo:[1,0,0] neg_hi:[1,0,0]
	v_mov_b32_e32 v221, v18
	v_mov_b32_e32 v68, v210
	v_mov_b32_e32 v69, v211
	v_mov_b32_e32 v70, v212
	v_mov_b32_e32 v71, v213
	v_mov_b32_e32 v72, v214
	v_mov_b32_e32 v73, v215
	v_mov_b32_e32 v74, v216
	v_mov_b32_e32 v75, v217
	v_mov_b32_e32 v76, v218
	v_mov_b32_e32 v77, v219
	v_mov_b32_e32 v79, v18
	v_mov_b32_e32 v80, v19
	v_mov_b32_e32 v116, v210
	v_mov_b32_e32 v117, v211
	v_mov_b32_e32 v118, v212
	v_mov_b32_e32 v119, v213
	v_mov_b32_e32 v120, v214
	v_mov_b32_e32 v121, v215
	v_mov_b32_e32 v122, v216
	v_mov_b32_e32 v123, v217
	v_mov_b32_e32 v124, v218
	v_mov_b32_e32 v125, v219
	v_mov_b32_e32 v127, v18
	v_mov_b32_e32 v128, v19
	v_mov_b32_e32 v129, v20
	v_mov_b32_e32 v100, v210
	v_mov_b32_e32 v101, v211
	v_mov_b32_e32 v102, v212
	v_mov_b32_e32 v103, v213
	v_mov_b32_e32 v104, v214
	v_mov_b32_e32 v105, v215
	v_mov_b32_e32 v106, v216
	v_mov_b32_e32 v107, v217
	v_mov_b32_e32 v108, v218
	v_mov_b32_e32 v109, v219
	v_mov_b32_e32 v111, v18
	v_mov_b32_e32 v112, v19
	v_mov_b32_e32 v113, v20
	v_mov_b32_e32 v114, v21
	v_mov_b32_e32 v36, v210
	v_mov_b32_e32 v37, v211
	v_mov_b32_e32 v38, v212
	v_mov_b32_e32 v39, v213
	v_mov_b32_e32 v40, v214
	v_mov_b32_e32 v41, v215
	v_mov_b32_e32 v42, v216
	v_mov_b32_e32 v43, v217
	v_mov_b32_e32 v44, v218
	v_mov_b32_e32 v45, v219
	v_mov_b32_e32 v47, v18
	v_mov_b32_e32 v48, v19
	v_mov_b32_e32 v49, v20
	v_mov_b32_e32 v50, v21
	v_mov_b32_e32 v51, v22
	v_mov_b32_e32 v0, v210
	v_mov_b32_e32 v1, v211
	v_mov_b32_e32 v2, v212
	v_mov_b32_e32 v3, v213
	v_mov_b32_e32 v4, v214
	v_mov_b32_e32 v5, v215
	v_mov_b32_e32 v6, v216
	v_mov_b32_e32 v7, v217
	v_mov_b32_e32 v8, v218
	v_mov_b32_e32 v9, v219
	v_mov_b32_e32 v11, v18
	v_mov_b32_e32 v12, v19
	v_mov_b32_e32 v13, v20
	v_mov_b32_e32 v14, v21
	v_mov_b32_e32 v15, v22
	v_mov_b32_e32 v16, v23
	v_mov_b32_e32 v32, v21
	v_mov_b32_e32 v34, v23
	v_mov_b32_e32 v29, v18
	v_mov_b32_e32 v54, v19
	v_mov_b32_e32 v25, v20
	v_mov_b32_e32 v19, v22
	scratch_store_dwordx4 off, v[210:213], off offset:128 ; 16-byte Folded Spill
	s_nop 0
	scratch_store_dwordx4 off, v[214:217], off offset:144 ; 16-byte Folded Spill
	scratch_store_dwordx4 off, v[218:221], off offset:160 ; 16-byte Folded Spill
	s_waitcnt vmcnt(3)
	scratch_store_dwordx4 off, v[222:225], off offset:176 ; 16-byte Folded Spill
	scratch_store_dwordx4 off, v[226:229], off offset:192 ; 16-byte Folded Spill
	;; [unrolled: 1-line block ×5, first 2 shown]
	scratch_store_dwordx4 off, v[4:7], off  ; 16-byte Folded Spill
	s_nop 0
	scratch_store_dwordx4 off, v[8:11], off offset:16 ; 16-byte Folded Spill
	scratch_store_dwordx4 off, v[12:15], off offset:32 ; 16-byte Folded Spill
	;; [unrolled: 1-line block ×7, first 2 shown]
.LBB35_58:
	s_or_b64 exec, exec, s[2:3]
	v_cmp_eq_u32_e32 vcc, 11, v242
	s_waitcnt lgkmcnt(0)
	s_barrier
	s_and_saveexec_b64 s[2:3], vcc
	s_cbranch_execz .LBB35_61
; %bb.59:
	ds_write_b32 v244, v29
	ds_write2_b64 v245, v[12:13], v[14:15] offset0:6 offset1:7
	ds_write_b64 v245, v[16:17] offset:64
	ds_read_b32 v18, v244
	s_waitcnt lgkmcnt(0)
	v_cmp_neq_f32_e32 vcc, 0, v18
	s_and_b64 exec, exec, vcc
	s_cbranch_execz .LBB35_61
; %bb.60:
	v_div_scale_f32 v19, s[4:5], v18, v18, 1.0
	v_rcp_f32_e32 v20, v19
	v_div_scale_f32 v21, vcc, 1.0, v18, 1.0
	v_fma_f32 v22, -v19, v20, 1.0
	v_fmac_f32_e32 v20, v22, v20
	v_mul_f32_e32 v22, v21, v20
	v_fma_f32 v23, -v19, v22, v21
	v_fmac_f32_e32 v22, v23, v20
	v_fma_f32 v19, -v19, v22, v21
	v_div_fmas_f32 v19, v19, v20, v22
	v_div_fixup_f32 v18, v19, v18, 1.0
	ds_write_b32 v244, v18
.LBB35_61:
	s_or_b64 exec, exec, s[2:3]
	s_waitcnt lgkmcnt(0)
	s_barrier
	ds_read_b32 v208, v244
	v_cmp_lt_u32_e32 vcc, 11, v242
	s_and_saveexec_b64 s[2:3], vcc
	s_cbranch_execz .LBB35_63
; %bb.62:
	ds_read2_b64 v[0:3], v245 offset0:6 offset1:7
	ds_read_b64 v[4:5], v245 offset:64
	s_waitcnt lgkmcnt(2)
	v_mul_f32_e32 v18, v29, v208
	v_mov_b32_e32 v221, v18
	v_mov_b32_e32 v68, v210
	s_waitcnt lgkmcnt(1)
	v_pk_fma_f32 v[80:81], v[18:19], v[0:1], v[12:13] op_sel_hi:[0,1,1] neg_lo:[1,0,0] neg_hi:[1,0,0]
	v_pk_fma_f32 v[114:115], v[18:19], v[2:3], v[14:15] op_sel_hi:[0,1,1] neg_lo:[1,0,0] neg_hi:[1,0,0]
	s_waitcnt lgkmcnt(0)
	v_pk_fma_f32 v[16:17], v[18:19], v[4:5], v[16:17] op_sel_hi:[0,1,1] neg_lo:[1,0,0] neg_hi:[1,0,0]
	v_mov_b32_e32 v69, v211
	v_mov_b32_e32 v70, v212
	;; [unrolled: 1-line block ×11, first 2 shown]
	s_waitcnt vmcnt(7)
	v_mov_b32_e32 v116, v210
	v_mov_b32_e32 v117, v211
	v_mov_b32_e32 v118, v212
	v_mov_b32_e32 v119, v213
	s_waitcnt vmcnt(6)
	v_mov_b32_e32 v120, v214
	v_mov_b32_e32 v121, v215
	v_mov_b32_e32 v122, v216
	v_mov_b32_e32 v123, v217
	;; [unrolled: 5-line block ×4, first 2 shown]
	v_mov_b32_e32 v102, v212
	v_mov_b32_e32 v103, v213
	;; [unrolled: 1-line block ×49, first 2 shown]
	scratch_store_dwordx4 off, v[210:213], off offset:128 ; 16-byte Folded Spill
	s_nop 0
	scratch_store_dwordx4 off, v[214:217], off offset:144 ; 16-byte Folded Spill
	scratch_store_dwordx4 off, v[218:221], off offset:160 ; 16-byte Folded Spill
	;; [unrolled: 1-line block ×7, first 2 shown]
	scratch_store_dwordx4 off, v[100:103], off ; 16-byte Folded Spill
	s_nop 0
	scratch_store_dwordx4 off, v[104:107], off offset:16 ; 16-byte Folded Spill
	scratch_store_dwordx4 off, v[108:111], off offset:32 ; 16-byte Folded Spill
	;; [unrolled: 1-line block ×7, first 2 shown]
.LBB35_63:
	s_or_b64 exec, exec, s[2:3]
	v_cmp_eq_u32_e32 vcc, 12, v242
	s_waitcnt lgkmcnt(0)
	s_barrier
	s_and_saveexec_b64 s[2:3], vcc
	s_cbranch_execz .LBB35_66
; %bb.64:
	ds_write_b32 v244, v54
	ds_write2_b32 v245, v13, v14 offset0:13 offset1:14
	ds_write2_b32 v245, v15, v16 offset0:15 offset1:16
	ds_write_b32 v245, v35 offset:68
	ds_read_b32 v18, v244
	s_waitcnt lgkmcnt(0)
	v_cmp_neq_f32_e32 vcc, 0, v18
	s_and_b64 exec, exec, vcc
	s_cbranch_execz .LBB35_66
; %bb.65:
	v_div_scale_f32 v19, s[4:5], v18, v18, 1.0
	v_rcp_f32_e32 v20, v19
	v_div_scale_f32 v21, vcc, 1.0, v18, 1.0
	v_fma_f32 v22, -v19, v20, 1.0
	v_fmac_f32_e32 v20, v22, v20
	v_mul_f32_e32 v22, v21, v20
	v_fma_f32 v23, -v19, v22, v21
	v_fmac_f32_e32 v22, v23, v20
	v_fma_f32 v19, -v19, v22, v21
	v_div_fmas_f32 v19, v19, v20, v22
	v_div_fixup_f32 v18, v19, v18, 1.0
	ds_write_b32 v244, v18
.LBB35_66:
	s_or_b64 exec, exec, s[2:3]
	s_waitcnt lgkmcnt(0)
	s_barrier
	ds_read_b32 v196, v244
	v_cmp_lt_u32_e32 vcc, 12, v242
	s_and_saveexec_b64 s[2:3], vcc
	s_cbranch_execz .LBB35_68
; %bb.67:
	scratch_load_dwordx4 v[68:71], off, off offset:128 ; 16-byte Folded Reload
	scratch_load_dwordx4 v[72:75], off, off offset:144 ; 16-byte Folded Reload
	;; [unrolled: 1-line block ×8, first 2 shown]
	ds_read2_b32 v[0:1], v245 offset0:13 offset1:14
	ds_read2_b32 v[4:5], v245 offset0:15 offset1:16
	ds_read_b32 v6, v245 offset:68
	s_waitcnt vmcnt(4) lgkmcnt(3)
	v_mul_f32_e32 v80, v54, v196
	v_mov_b32_e32 v2, v13
	v_mov_b32_e32 v3, v14
	;; [unrolled: 1-line block ×3, first 2 shown]
	s_waitcnt lgkmcnt(0)
	v_fma_f32 v17, -v80, v6, v35
	v_mov_b32_e32 v48, v80
	v_mov_b32_e32 v12, v80
	;; [unrolled: 1-line block ×6, first 2 shown]
	v_pk_fma_f32 v[18:19], v[80:81], v[0:1], v[2:3] op_sel_hi:[0,1,1] neg_lo:[1,0,0] neg_hi:[1,0,0]
	v_mov_b32_e32 v0, v15
	v_mov_b32_e32 v1, v16
	v_pk_fma_f32 v[20:21], v[80:81], v[4:5], v[0:1] op_sel_hi:[0,1,1] neg_lo:[1,0,0] neg_hi:[1,0,0]
	v_mov_b32_e32 v81, v18
	s_waitcnt vmcnt(0)
	v_mov_b64_e32 v[146:147], v[98:99]
	v_mov_b32_e32 v103, v71
	v_mov_b32_e32 v104, v72
	;; [unrolled: 1-line block ×42, first 2 shown]
	v_mov_b64_e32 v[144:145], v[96:97]
	v_mov_b64_e32 v[142:143], v[94:95]
	;; [unrolled: 1-line block ×15, first 2 shown]
	v_mov_b32_e32 v25, v18
	v_mov_b32_e32 v32, v19
	;; [unrolled: 1-line block ×4, first 2 shown]
	scratch_store_dwordx4 off, v[4:7], off  ; 16-byte Folded Spill
	s_nop 0
	scratch_store_dwordx4 off, v[8:11], off offset:16 ; 16-byte Folded Spill
	scratch_store_dwordx4 off, v[12:15], off offset:32 ; 16-byte Folded Spill
	;; [unrolled: 1-line block ×7, first 2 shown]
.LBB35_68:
	s_or_b64 exec, exec, s[2:3]
	v_cmp_eq_u32_e32 vcc, 13, v242
	s_waitcnt lgkmcnt(0)
	s_barrier
	s_and_saveexec_b64 s[2:3], vcc
	s_cbranch_execz .LBB35_71
; %bb.69:
	ds_write_b32 v244, v25
	ds_write2_b64 v245, v[14:15], v[16:17] offset0:7 offset1:8
	ds_read_b32 v18, v244
	s_waitcnt lgkmcnt(0)
	v_cmp_neq_f32_e32 vcc, 0, v18
	s_and_b64 exec, exec, vcc
	s_cbranch_execz .LBB35_71
; %bb.70:
	v_div_scale_f32 v19, s[4:5], v18, v18, 1.0
	v_rcp_f32_e32 v20, v19
	v_div_scale_f32 v21, vcc, 1.0, v18, 1.0
	v_fma_f32 v22, -v19, v20, 1.0
	v_fmac_f32_e32 v20, v22, v20
	v_mul_f32_e32 v22, v21, v20
	v_fma_f32 v23, -v19, v22, v21
	v_fmac_f32_e32 v22, v23, v20
	v_fma_f32 v19, -v19, v22, v21
	v_div_fmas_f32 v19, v19, v20, v22
	v_div_fixup_f32 v18, v19, v18, 1.0
	ds_write_b32 v244, v18
.LBB35_71:
	s_or_b64 exec, exec, s[2:3]
	s_waitcnt lgkmcnt(0)
	s_barrier
	ds_read_b32 v82, v244
	v_cmp_lt_u32_e32 vcc, 13, v242
	s_and_saveexec_b64 s[2:3], vcc
	s_cbranch_execz .LBB35_73
; %bb.72:
	ds_read2_b64 v[0:3], v245 offset0:7 offset1:8
	s_waitcnt lgkmcnt(1)
	v_mul_f32_e32 v18, v25, v82
	v_mov_b32_e32 v81, v18
	s_waitcnt vmcnt(0)
	v_mov_b64_e32 v[146:147], v[98:99]
	v_mov_b32_e32 v100, v68
	s_waitcnt lgkmcnt(0)
	v_pk_fma_f32 v[114:115], v[18:19], v[0:1], v[14:15] op_sel_hi:[0,1,1] neg_lo:[1,0,0] neg_hi:[1,0,0]
	v_pk_fma_f32 v[16:17], v[18:19], v[2:3], v[16:17] op_sel_hi:[0,1,1] neg_lo:[1,0,0] neg_hi:[1,0,0]
	v_mov_b32_e32 v101, v69
	v_mov_b32_e32 v102, v70
	;; [unrolled: 1-line block ×45, first 2 shown]
	v_mov_b64_e32 v[144:145], v[96:97]
	v_mov_b64_e32 v[142:143], v[94:95]
	;; [unrolled: 1-line block ×15, first 2 shown]
	v_mov_b32_e32 v32, v114
	v_mov_b32_e32 v34, v16
	;; [unrolled: 1-line block ×3, first 2 shown]
	scratch_store_dwordx4 off, v[100:103], off ; 16-byte Folded Spill
	s_nop 0
	scratch_store_dwordx4 off, v[104:107], off offset:16 ; 16-byte Folded Spill
	scratch_store_dwordx4 off, v[108:111], off offset:32 ; 16-byte Folded Spill
	;; [unrolled: 1-line block ×7, first 2 shown]
.LBB35_73:
	s_or_b64 exec, exec, s[2:3]
	v_cmp_eq_u32_e32 vcc, 14, v242
	s_waitcnt lgkmcnt(0)
	s_barrier
	s_and_saveexec_b64 s[2:3], vcc
	s_cbranch_execz .LBB35_76
; %bb.74:
	ds_write_b32 v244, v32
	ds_write2_b32 v245, v15, v16 offset0:15 offset1:16
	ds_write_b32 v245, v35 offset:68
	ds_read_b32 v18, v244
	s_waitcnt lgkmcnt(0)
	v_cmp_neq_f32_e32 vcc, 0, v18
	s_and_b64 exec, exec, vcc
	s_cbranch_execz .LBB35_76
; %bb.75:
	v_div_scale_f32 v19, s[4:5], v18, v18, 1.0
	v_rcp_f32_e32 v20, v19
	v_div_scale_f32 v21, vcc, 1.0, v18, 1.0
	v_fma_f32 v22, -v19, v20, 1.0
	v_fmac_f32_e32 v20, v22, v20
	v_mul_f32_e32 v22, v21, v20
	v_fma_f32 v23, -v19, v22, v21
	v_fmac_f32_e32 v22, v23, v20
	v_fma_f32 v19, -v19, v22, v21
	v_div_fmas_f32 v19, v19, v20, v22
	v_div_fixup_f32 v18, v19, v18, 1.0
	ds_write_b32 v244, v18
.LBB35_76:
	s_or_b64 exec, exec, s[2:3]
	s_waitcnt lgkmcnt(0)
	s_barrier
	ds_read_b32 v68, v244
	v_cmp_lt_u32_e32 vcc, 14, v242
	s_and_saveexec_b64 s[2:3], vcc
	s_cbranch_execz .LBB35_78
; %bb.77:
	ds_read2_b32 v[0:1], v245 offset0:15 offset1:16
	ds_read_b32 v4, v245 offset:68
	s_waitcnt vmcnt(4) lgkmcnt(2)
	v_mul_f32_e32 v130, v32, v68
	v_mov_b32_e32 v2, v15
	v_mov_b32_e32 v3, v16
	s_waitcnt lgkmcnt(1)
	v_pk_fma_f32 v[18:19], v[130:131], v[0:1], v[2:3] op_sel_hi:[0,1,1] neg_lo:[1,0,0] neg_hi:[1,0,0]
	s_waitcnt lgkmcnt(0)
	v_fma_f32 v17, -v130, v4, v35
	v_mov_b32_e32 v131, v18
	v_mov_b32_e32 v6, v122
	;; [unrolled: 1-line block ×12, first 2 shown]
	s_waitcnt vmcnt(0)
	v_mov_b64_e32 v[36:37], v[116:117]
	v_mov_b32_e32 v21, v18
	scratch_store_dwordx4 off, v[6:9], off  ; 16-byte Folded Spill
	s_nop 0
	scratch_store_dwordx4 off, v[10:13], off offset:16 ; 16-byte Folded Spill
	scratch_store_dwordx4 off, v[14:17], off offset:32 ; 16-byte Folded Spill
	;; [unrolled: 1-line block ×7, first 2 shown]
	v_mov_b32_e32 v0, v116
	v_mov_b32_e32 v1, v117
	;; [unrolled: 1-line block ×6, first 2 shown]
	v_mov_b64_e32 v[38:39], v[118:119]
	v_mov_b64_e32 v[40:41], v[120:121]
	;; [unrolled: 1-line block ×31, first 2 shown]
	v_mov_b32_e32 v34, v19
	v_mov_b32_e32 v35, v17
.LBB35_78:
	s_or_b64 exec, exec, s[2:3]
	v_cmp_eq_u32_e32 vcc, 15, v242
	s_waitcnt lgkmcnt(0)
	s_barrier
	s_and_saveexec_b64 s[2:3], vcc
	s_cbranch_execz .LBB35_81
; %bb.79:
	scratch_load_dwordx4 v[116:119], off, off ; 16-byte Folded Reload
	scratch_load_dwordx4 v[120:123], off, off offset:16 ; 16-byte Folded Reload
	scratch_load_dwordx4 v[124:127], off, off offset:32 ; 16-byte Folded Reload
	;; [unrolled: 1-line block ×7, first 2 shown]
	s_waitcnt vmcnt(4)
	ds_write_b32 v244, v131
	ds_write_b64 v245, v[16:17] offset:64
	ds_read_b32 v18, v244
	s_waitcnt lgkmcnt(0)
	v_cmp_neq_f32_e32 vcc, 0, v18
	s_and_b64 exec, exec, vcc
	s_cbranch_execz .LBB35_81
; %bb.80:
	v_div_scale_f32 v19, s[4:5], v18, v18, 1.0
	v_rcp_f32_e32 v20, v19
	v_div_scale_f32 v21, vcc, 1.0, v18, 1.0
	v_fma_f32 v22, -v19, v20, 1.0
	v_fmac_f32_e32 v20, v22, v20
	v_mul_f32_e32 v22, v21, v20
	v_fma_f32 v23, -v19, v22, v21
	v_fmac_f32_e32 v22, v23, v20
	v_fma_f32 v19, -v19, v22, v21
	v_div_fmas_f32 v19, v19, v20, v22
	v_div_fixup_f32 v18, v19, v18, 1.0
	ds_write_b32 v244, v18
.LBB35_81:
	s_or_b64 exec, exec, s[2:3]
	s_waitcnt lgkmcnt(0)
	s_barrier
	ds_read_b32 v32, v244
	v_cmp_lt_u32_e32 vcc, 15, v242
	s_and_saveexec_b64 s[2:3], vcc
	s_cbranch_execz .LBB35_83
; %bb.82:
	ds_read_b64 v[2:3], v245 offset:64
	scratch_load_dwordx4 v[34:37], off, off ; 16-byte Folded Reload
	scratch_load_dwordx4 v[38:41], off, off offset:16 ; 16-byte Folded Reload
	scratch_load_dwordx4 v[42:45], off, off offset:32 ; 16-byte Folded Reload
	;; [unrolled: 1-line block ×7, first 2 shown]
	v_mov_b32_e32 v0, v100
	v_mov_b32_e32 v1, v101
	;; [unrolled: 1-line block ×13, first 2 shown]
	s_waitcnt vmcnt(4) lgkmcnt(1)
	v_mul_f32_e32 v18, v49, v32
	v_mov_b32_e32 v115, v18
	s_waitcnt lgkmcnt(0)
	v_pk_fma_f32 v[16:17], v[18:19], v[2:3], v[16:17] op_sel_hi:[0,1,1] neg_lo:[1,0,0] neg_hi:[1,0,0]
	s_waitcnt vmcnt(0)
	v_mov_b64_e32 v[36:37], v[100:101]
	v_mov_b32_e32 v2, v102
	v_mov_b32_e32 v3, v103
	;; [unrolled: 1-line block ×3, first 2 shown]
	v_mov_b64_e32 v[38:39], v[102:103]
	v_mov_b64_e32 v[40:41], v[104:105]
	;; [unrolled: 1-line block ×7, first 2 shown]
	v_mov_b32_e32 v34, v16
	v_mov_b32_e32 v35, v17
	v_mov_b64_e32 v[52:53], v[116:117]
	v_mov_b64_e32 v[54:55], v[118:119]
	;; [unrolled: 1-line block ×8, first 2 shown]
.LBB35_83:
	s_or_b64 exec, exec, s[2:3]
	v_cmp_eq_u32_e32 vcc, 16, v242
	s_waitcnt lgkmcnt(0)
	s_barrier
	s_and_saveexec_b64 s[2:3], vcc
	s_cbranch_execz .LBB35_86
; %bb.84:
	ds_write_b32 v244, v34
	ds_write_b32 v245, v35 offset:68
	ds_read_b32 v18, v244
	s_waitcnt lgkmcnt(0)
	v_cmp_neq_f32_e32 vcc, 0, v18
	s_and_b64 exec, exec, vcc
	s_cbranch_execz .LBB35_86
; %bb.85:
	v_div_scale_f32 v19, s[4:5], v18, v18, 1.0
	v_rcp_f32_e32 v20, v19
	v_div_scale_f32 v21, vcc, 1.0, v18, 1.0
	v_fma_f32 v22, -v19, v20, 1.0
	v_fmac_f32_e32 v20, v22, v20
	v_mul_f32_e32 v22, v21, v20
	v_fma_f32 v23, -v19, v22, v21
	v_fmac_f32_e32 v22, v23, v20
	v_fma_f32 v19, -v19, v22, v21
	v_div_fmas_f32 v19, v19, v20, v22
	v_div_fixup_f32 v18, v19, v18, 1.0
	ds_write_b32 v244, v18
.LBB35_86:
	s_or_b64 exec, exec, s[2:3]
	s_waitcnt lgkmcnt(0)
	s_barrier
	ds_read_b32 v54, v244
	v_cmp_lt_u32_e32 vcc, 16, v242
	s_and_saveexec_b64 s[2:3], vcc
	s_cbranch_execz .LBB35_88
; %bb.87:
	ds_read_b32 v0, v245 offset:68
	s_waitcnt lgkmcnt(1)
	v_mul_f32_e32 v52, v34, v54
	s_waitcnt lgkmcnt(0)
	v_fma_f32 v53, -v52, v0, v35
	v_mov_b64_e32 v[0:1], v[36:37]
	v_mov_b64_e32 v[2:3], v[38:39]
	;; [unrolled: 1-line block ×9, first 2 shown]
	v_mov_b32_e32 v35, v53
	v_mov_b64_e32 v[18:19], v[54:55]
	v_mov_b64_e32 v[20:21], v[56:57]
	;; [unrolled: 1-line block ×7, first 2 shown]
.LBB35_88:
	s_or_b64 exec, exec, s[2:3]
	v_cmp_eq_u32_e32 vcc, 17, v242
	s_waitcnt lgkmcnt(0)
	s_barrier
	s_and_saveexec_b64 s[2:3], vcc
	s_cbranch_execz .LBB35_91
; %bb.89:
	v_cmp_neq_f32_e32 vcc, 0, v35
	ds_write_b32 v244, v35
	s_and_b64 exec, exec, vcc
	s_cbranch_execz .LBB35_91
; %bb.90:
	v_div_scale_f32 v18, s[4:5], v35, v35, 1.0
	v_rcp_f32_e32 v19, v18
	v_div_scale_f32 v20, vcc, 1.0, v35, 1.0
	v_fma_f32 v21, -v18, v19, 1.0
	v_fmac_f32_e32 v19, v21, v19
	v_mul_f32_e32 v21, v20, v19
	v_fma_f32 v22, -v18, v21, v20
	v_fmac_f32_e32 v21, v22, v19
	v_fma_f32 v18, -v18, v21, v20
	v_div_fmas_f32 v18, v18, v19, v21
	v_div_fixup_f32 v18, v18, v35, 1.0
	ds_write_b32 v244, v18
.LBB35_91:
	s_or_b64 exec, exec, s[2:3]
	s_waitcnt lgkmcnt(0)
	s_barrier
	ds_read_b32 v20, v244
	s_waitcnt lgkmcnt(0)
	s_barrier
	s_and_saveexec_b64 s[38:39], s[0:1]
	s_cbranch_execz .LBB35_94
; %bb.92:
	v_mov_b32_e32 v18, s6
	v_mov_b32_e32 v19, s7
	v_lshl_add_u64 v[18:19], v[252:253], 2, v[18:19]
	global_load_dword v22, v[18:19], off
	scratch_load_dword v21, off, off offset:1456 ; 4-byte Folded Reload
	v_cmp_neq_f32_e64 s[0:1], 0, v243
	v_cmp_eq_f32_e64 s[2:3], 0, v33
	v_cmp_eq_f32_e64 s[4:5], 0, v164
	;; [unrolled: 1-line block ×16, first 2 shown]
	s_waitcnt vmcnt(0)
	v_cmp_eq_f32_e32 vcc, 0, v21
	s_nop 1
	v_cndmask_b32_e64 v21, 0, 1, vcc
	s_or_b64 vcc, s[0:1], vcc
	v_cndmask_b32_e32 v21, 2, v21, vcc
	v_cmp_eq_u32_e32 vcc, 0, v21
	s_and_b64 s[0:1], s[2:3], vcc
	v_cndmask_b32_e64 v21, v21, 3, s[0:1]
	v_cmp_eq_u32_e32 vcc, 0, v21
	s_and_b64 s[0:1], s[4:5], vcc
	v_cndmask_b32_e64 v21, v21, 4, s[0:1]
	;; [unrolled: 3-line block ×16, first 2 shown]
	v_cmp_eq_u32_e32 vcc, 0, v22
	v_cmp_ne_u32_e64 s[0:1], 0, v21
	s_and_b64 s[0:1], vcc, s[0:1]
	s_and_b64 exec, exec, s[0:1]
	s_cbranch_execz .LBB35_94
; %bb.93:
	v_add_u32_e32 v21, s37, v21
	global_store_dword v[18:19], v21, off
.LBB35_94:
	s_or_b64 exec, exec, s[38:39]
	v_mul_f32_e32 v18, v35, v20
	v_cmp_lt_u32_e32 vcc, 17, v242
	global_store_dword v[246:247], v0, off
	s_nop 0
	v_cndmask_b32_e32 v17, v17, v18, vcc
	scratch_load_dwordx2 v[18:19], off, off offset:1460 ; 8-byte Folded Reload
	s_waitcnt vmcnt(0)
	global_store_dword v[18:19], v1, off
	scratch_load_dwordx2 v[0:1], off, off offset:1468 ; 8-byte Folded Reload
	s_waitcnt vmcnt(0)
	global_store_dword v[0:1], v2, off
	scratch_load_dwordx2 v[0:1], off, off offset:1476 ; 8-byte Folded Reload
	s_waitcnt vmcnt(0)
	global_store_dword v[0:1], v3, off
	scratch_load_dwordx2 v[0:1], off, off offset:1484 ; 8-byte Folded Reload
	s_waitcnt vmcnt(0)
	global_store_dword v[0:1], v4, off
	global_store_dword v[250:251], v5, off
	scratch_load_dwordx2 v[0:1], off, off offset:1408 ; 8-byte Folded Reload
	s_waitcnt vmcnt(0)
	global_store_dword v[0:1], v6, off
	scratch_load_dwordx2 v[0:1], off, off offset:1416 ; 8-byte Folded Reload
	s_waitcnt vmcnt(0)
	;; [unrolled: 3-line block ×9, first 2 shown]
	global_store_dword v[0:1], v14, off
	global_store_dword v[254:255], v15, off
	global_store_dword v[248:249], v16, off
	scratch_load_dwordx2 v[0:1], off, off offset:1492 ; 8-byte Folded Reload
	s_waitcnt vmcnt(0)
	global_store_dword v[0:1], v17, off
.LBB35_95:
	s_endpgm
	.section	.rodata,"a",@progbits
	.p2align	6, 0x0
	.amdhsa_kernel _ZN9rocsolver6v33100L23getf2_npvt_small_kernelILi18EfiiPfEEvT1_T3_lS3_lPT2_S3_S3_
		.amdhsa_group_segment_fixed_size 0
		.amdhsa_private_segment_fixed_size 1656
		.amdhsa_kernarg_size 312
		.amdhsa_user_sgpr_count 2
		.amdhsa_user_sgpr_dispatch_ptr 0
		.amdhsa_user_sgpr_queue_ptr 0
		.amdhsa_user_sgpr_kernarg_segment_ptr 1
		.amdhsa_user_sgpr_dispatch_id 0
		.amdhsa_user_sgpr_kernarg_preload_length 0
		.amdhsa_user_sgpr_kernarg_preload_offset 0
		.amdhsa_user_sgpr_private_segment_size 0
		.amdhsa_uses_dynamic_stack 0
		.amdhsa_enable_private_segment 1
		.amdhsa_system_sgpr_workgroup_id_x 1
		.amdhsa_system_sgpr_workgroup_id_y 1
		.amdhsa_system_sgpr_workgroup_id_z 0
		.amdhsa_system_sgpr_workgroup_info 0
		.amdhsa_system_vgpr_workitem_id 1
		.amdhsa_next_free_vgpr 256
		.amdhsa_next_free_sgpr 40
		.amdhsa_accum_offset 256
		.amdhsa_reserve_vcc 1
		.amdhsa_float_round_mode_32 0
		.amdhsa_float_round_mode_16_64 0
		.amdhsa_float_denorm_mode_32 3
		.amdhsa_float_denorm_mode_16_64 3
		.amdhsa_dx10_clamp 1
		.amdhsa_ieee_mode 1
		.amdhsa_fp16_overflow 0
		.amdhsa_tg_split 0
		.amdhsa_exception_fp_ieee_invalid_op 0
		.amdhsa_exception_fp_denorm_src 0
		.amdhsa_exception_fp_ieee_div_zero 0
		.amdhsa_exception_fp_ieee_overflow 0
		.amdhsa_exception_fp_ieee_underflow 0
		.amdhsa_exception_fp_ieee_inexact 0
		.amdhsa_exception_int_div_zero 0
	.end_amdhsa_kernel
	.section	.text._ZN9rocsolver6v33100L23getf2_npvt_small_kernelILi18EfiiPfEEvT1_T3_lS3_lPT2_S3_S3_,"axG",@progbits,_ZN9rocsolver6v33100L23getf2_npvt_small_kernelILi18EfiiPfEEvT1_T3_lS3_lPT2_S3_S3_,comdat
.Lfunc_end35:
	.size	_ZN9rocsolver6v33100L23getf2_npvt_small_kernelILi18EfiiPfEEvT1_T3_lS3_lPT2_S3_S3_, .Lfunc_end35-_ZN9rocsolver6v33100L23getf2_npvt_small_kernelILi18EfiiPfEEvT1_T3_lS3_lPT2_S3_S3_
                                        ; -- End function
	.set _ZN9rocsolver6v33100L23getf2_npvt_small_kernelILi18EfiiPfEEvT1_T3_lS3_lPT2_S3_S3_.num_vgpr, 256
	.set _ZN9rocsolver6v33100L23getf2_npvt_small_kernelILi18EfiiPfEEvT1_T3_lS3_lPT2_S3_S3_.num_agpr, 0
	.set _ZN9rocsolver6v33100L23getf2_npvt_small_kernelILi18EfiiPfEEvT1_T3_lS3_lPT2_S3_S3_.numbered_sgpr, 40
	.set _ZN9rocsolver6v33100L23getf2_npvt_small_kernelILi18EfiiPfEEvT1_T3_lS3_lPT2_S3_S3_.num_named_barrier, 0
	.set _ZN9rocsolver6v33100L23getf2_npvt_small_kernelILi18EfiiPfEEvT1_T3_lS3_lPT2_S3_S3_.private_seg_size, 1656
	.set _ZN9rocsolver6v33100L23getf2_npvt_small_kernelILi18EfiiPfEEvT1_T3_lS3_lPT2_S3_S3_.uses_vcc, 1
	.set _ZN9rocsolver6v33100L23getf2_npvt_small_kernelILi18EfiiPfEEvT1_T3_lS3_lPT2_S3_S3_.uses_flat_scratch, 0
	.set _ZN9rocsolver6v33100L23getf2_npvt_small_kernelILi18EfiiPfEEvT1_T3_lS3_lPT2_S3_S3_.has_dyn_sized_stack, 0
	.set _ZN9rocsolver6v33100L23getf2_npvt_small_kernelILi18EfiiPfEEvT1_T3_lS3_lPT2_S3_S3_.has_recursion, 0
	.set _ZN9rocsolver6v33100L23getf2_npvt_small_kernelILi18EfiiPfEEvT1_T3_lS3_lPT2_S3_S3_.has_indirect_call, 0
	.section	.AMDGPU.csdata,"",@progbits
; Kernel info:
; codeLenInByte = 20052
; TotalNumSgprs: 46
; NumVgprs: 256
; NumAgprs: 0
; TotalNumVgprs: 256
; ScratchSize: 1656
; MemoryBound: 0
; FloatMode: 240
; IeeeMode: 1
; LDSByteSize: 0 bytes/workgroup (compile time only)
; SGPRBlocks: 5
; VGPRBlocks: 31
; NumSGPRsForWavesPerEU: 46
; NumVGPRsForWavesPerEU: 256
; AccumOffset: 256
; Occupancy: 2
; WaveLimiterHint : 0
; COMPUTE_PGM_RSRC2:SCRATCH_EN: 1
; COMPUTE_PGM_RSRC2:USER_SGPR: 2
; COMPUTE_PGM_RSRC2:TRAP_HANDLER: 0
; COMPUTE_PGM_RSRC2:TGID_X_EN: 1
; COMPUTE_PGM_RSRC2:TGID_Y_EN: 1
; COMPUTE_PGM_RSRC2:TGID_Z_EN: 0
; COMPUTE_PGM_RSRC2:TIDIG_COMP_CNT: 1
; COMPUTE_PGM_RSRC3_GFX90A:ACCUM_OFFSET: 63
; COMPUTE_PGM_RSRC3_GFX90A:TG_SPLIT: 0
	.section	.text._ZN9rocsolver6v33100L18getf2_small_kernelILi19EfiiPfEEvT1_T3_lS3_lPS3_llPT2_S3_S3_S5_l,"axG",@progbits,_ZN9rocsolver6v33100L18getf2_small_kernelILi19EfiiPfEEvT1_T3_lS3_lPS3_llPT2_S3_S3_S5_l,comdat
	.globl	_ZN9rocsolver6v33100L18getf2_small_kernelILi19EfiiPfEEvT1_T3_lS3_lPS3_llPT2_S3_S3_S5_l ; -- Begin function _ZN9rocsolver6v33100L18getf2_small_kernelILi19EfiiPfEEvT1_T3_lS3_lPS3_llPT2_S3_S3_S5_l
	.p2align	8
	.type	_ZN9rocsolver6v33100L18getf2_small_kernelILi19EfiiPfEEvT1_T3_lS3_lPS3_llPT2_S3_S3_S5_l,@function
_ZN9rocsolver6v33100L18getf2_small_kernelILi19EfiiPfEEvT1_T3_lS3_lPS3_llPT2_S3_S3_S5_l: ; @_ZN9rocsolver6v33100L18getf2_small_kernelILi19EfiiPfEEvT1_T3_lS3_lPS3_llPT2_S3_S3_S5_l
; %bb.0:
	s_load_dword s2, s[0:1], 0x6c
	s_load_dwordx2 s[14:15], s[0:1], 0x48
	v_bfe_u32 v4, v0, 10, 10
	s_waitcnt lgkmcnt(0)
	s_lshr_b32 s2, s2, 16
	s_mul_i32 s3, s3, s2
	v_add_u32_e32 v6, s3, v4
	v_cmp_gt_i32_e32 vcc, s14, v6
	s_and_saveexec_b64 s[2:3], vcc
	s_cbranch_execz .LBB36_323
; %bb.1:
	s_load_dwordx4 s[4:7], s[0:1], 0x50
	v_ashrrev_i32_e32 v7, 31, v6
	v_mov_b64_e32 v[2:3], 0
	scratch_store_dwordx2 off, v[2:3], off offset:1156 ; 8-byte Folded Spill
	s_waitcnt lgkmcnt(0)
	s_cmp_eq_u64 s[4:5], 0
	s_cselect_b64 s[16:17], -1, 0
	s_and_b64 vcc, exec, s[16:17]
	s_cbranch_vccnz .LBB36_3
; %bb.2:
	v_mul_lo_u32 v1, s7, v6
	v_mul_lo_u32 v5, s6, v7
	v_mad_u64_u32 v[2:3], s[2:3], s6, v6, 0
	v_add3_u32 v3, v3, v5, v1
	v_lshl_add_u64 v[2:3], v[2:3], 2, s[4:5]
	scratch_store_dwordx2 off, v[2:3], off offset:1156 ; 8-byte Folded Spill
.LBB36_3:
	s_load_dwordx4 s[24:27], s[0:1], 0x8
	s_load_dwordx8 s[4:11], s[0:1], 0x20
	s_load_dword s12, s[0:1], 0x18
	s_load_dword s22, s[0:1], 0x0
	scratch_store_dwordx2 off, v[6:7], off offset:1804 ; 8-byte Folded Spill
	s_waitcnt lgkmcnt(0)
	v_mov_b32_e32 v2, s24
	v_mul_lo_u32 v1, s5, v6
	v_mul_lo_u32 v5, s4, v7
	v_mad_u64_u32 v[6:7], s[2:3], s4, v6, 0
	v_mov_b32_e32 v3, s25
	v_add3_u32 v7, v7, v5, v1
	v_lshl_add_u64 v[2:3], v[6:7], 2, v[2:3]
	v_and_b32_e32 v1, 0x3ff, v0
	v_lshl_add_u64 v[250:251], s[26:27], 2, v[2:3]
	v_lshlrev_b32_e32 v2, 2, v1
	v_mov_b32_e32 v3, 0
	v_lshl_add_u64 v[6:7], v[250:251], 0, v[2:3]
	global_load_dword v0, v[6:7], off
	s_max_i32 s2, s22, 19
	s_add_i32 s14, s12, s12
	v_mul_lo_u32 v40, s2, v4
	v_add_u32_e32 v4, s14, v1
	v_add_u32_e32 v8, s12, v4
	;; [unrolled: 1-line block ×16, first 2 shown]
	s_ashr_i32 s13, s12, 31
	v_lshl_add_u32 v252, v40, 2, 0
	v_ashrrev_i32_e32 v37, 31, v36
	v_add_u32_e32 v38, s12, v36
	v_ashrrev_i32_e32 v5, 31, v4
	v_ashrrev_i32_e32 v9, 31, v8
	v_add_u32_e32 v2, v252, v2
	v_ashrrev_i32_e32 v11, 31, v10
	v_lshl_add_u64 v[6:7], s[12:13], 2, v[6:7]
	v_ashrrev_i32_e32 v13, 31, v12
	v_ashrrev_i32_e32 v15, 31, v14
	;; [unrolled: 1-line block ×3, first 2 shown]
	v_lshl_add_u64 v[36:37], v[36:37], 2, v[250:251]
	v_ashrrev_i32_e32 v39, 31, v38
	v_ashrrev_i32_e32 v21, 31, v20
	;; [unrolled: 1-line block ×3, first 2 shown]
	v_lshl_add_u64 v[4:5], v[4:5], 2, v[250:251]
	v_lshl_add_u64 v[8:9], v[8:9], 2, v[250:251]
	;; [unrolled: 1-line block ×7, first 2 shown]
	global_load_dword v254, v[36:37], off
	global_load_dword v255, v[38:39], off
	;; [unrolled: 1-line block ×9, first 2 shown]
	v_ashrrev_i32_e32 v19, 31, v18
	v_lshl_add_u64 v[6:7], v[20:21], 2, v[250:251]
	v_ashrrev_i32_e32 v23, 31, v22
	v_ashrrev_i32_e32 v25, 31, v24
	;; [unrolled: 1-line block ×6, first 2 shown]
	v_lshl_add_u64 v[20:21], v[34:35], 2, v[250:251]
	v_lshl_add_u64 v[4:5], v[18:19], 2, v[250:251]
	;; [unrolled: 1-line block ×8, first 2 shown]
	s_load_dwordx2 s[4:5], s[0:1], 0x40
	s_cmp_lt_i32 s22, 2
	s_waitcnt vmcnt(9)
	ds_write_b32 v2, v0
	global_load_dword v180, v[20:21], off
	global_load_dword v226, v[4:5], off
	;; [unrolled: 1-line block ×9, first 2 shown]
	s_waitcnt lgkmcnt(0)
	s_barrier
	ds_read_b32 v2, v252
	v_mov_b32_e32 v36, v0
	v_lshlrev_b32_e32 v19, 2, v40
	s_cbranch_scc1 .LBB36_6
; %bb.4:
	v_add3_u32 v4, v19, 0, 4
	v_mov_b32_e32 v3, 0
	s_mov_b32 s0, 1
.LBB36_5:                               ; =>This Inner Loop Header: Depth=1
	ds_read_b32 v5, v4
	v_mov_b32_e32 v6, s0
	s_add_i32 s0, s0, 1
	v_add_u32_e32 v4, 4, v4
	s_cmp_eq_u32 s22, s0
	s_waitcnt lgkmcnt(0)
	v_cmp_lt_f32_e64 vcc, |v2|, |v5|
	s_nop 1
	v_cndmask_b32_e32 v2, v2, v5, vcc
	v_cndmask_b32_e32 v3, v3, v6, vcc
	s_cbranch_scc0 .LBB36_5
.LBB36_6:
	v_cmp_ne_u32_e32 vcc, v1, v3
                                        ; implicit-def: $vgpr253
	s_and_saveexec_b64 s[0:1], vcc
	s_xor_b64 s[0:1], exec, s[0:1]
	s_cbranch_execz .LBB36_12
; %bb.7:
	v_cmp_eq_u32_e32 vcc, 0, v1
	s_and_saveexec_b64 s[2:3], vcc
	s_cbranch_execz .LBB36_11
; %bb.8:
	v_cmp_ne_u32_e32 vcc, 0, v3
	s_xor_b64 s[18:19], s[16:17], -1
	s_and_b64 s[20:21], s[18:19], vcc
	s_and_saveexec_b64 s[18:19], s[20:21]
	s_cbranch_execz .LBB36_10
; %bb.9:
	scratch_load_dwordx2 v[8:9], off, off offset:1156 ; 8-byte Folded Reload
	v_ashrrev_i32_e32 v5, 31, v3
	v_mov_b32_e32 v4, v3
	s_waitcnt vmcnt(0)
	v_lshl_add_u64 v[4:5], v[4:5], 2, v[8:9]
	global_load_dword v1, v[4:5], off
	global_load_dword v6, v[8:9], off
	s_waitcnt vmcnt(1)
	global_store_dword v[8:9], v1, off
	s_waitcnt vmcnt(1)
	global_store_dword v[4:5], v6, off
.LBB36_10:
	s_or_b64 exec, exec, s[18:19]
	v_mov_b32_e32 v1, v3
.LBB36_11:
	s_or_b64 exec, exec, s[2:3]
	v_mov_b32_e32 v253, v1
                                        ; implicit-def: $vgpr1
.LBB36_12:
	s_or_saveexec_b64 s[0:1], s[0:1]
	scratch_store_dword off, v253, off offset:512 ; 4-byte Folded Spill
	s_xor_b64 exec, exec, s[0:1]
	s_cbranch_execz .LBB36_14
; %bb.13:
	v_mov_b32_e32 v253, 0
	s_waitcnt vmcnt(15)
	ds_write2_b32 v252, v41, v78 offset0:1 offset1:2
	s_waitcnt vmcnt(13)
	ds_write2_b32 v252, v59, v58 offset0:3 offset1:4
	;; [unrolled: 2-line block ×8, first 2 shown]
	ds_write2_b32 v252, v254, v255 offset0:17 offset1:18
	scratch_store_dword off, v1, off offset:512 ; 4-byte Folded Spill
.LBB36_14:
	s_or_b64 exec, exec, s[0:1]
	s_waitcnt lgkmcnt(0)
	v_cmp_eq_f32_e64 s[0:1], 0, v2
	v_cmp_gt_i32_e32 vcc, 1, v253
	s_barrier
	s_and_saveexec_b64 s[2:3], vcc
	s_xor_b64 s[2:3], exec, s[2:3]
; %bb.15:
                                        ; implicit-def: $vgpr2
; %bb.16:
	s_andn2_saveexec_b64 s[2:3], s[2:3]
	s_cbranch_execz .LBB36_18
; %bb.17:
	v_div_scale_f32 v1, s[18:19], v2, v2, 1.0
	v_rcp_f32_e32 v3, v1
	s_waitcnt vmcnt(7)
	v_mov_b32_e32 v12, v23
	v_mov_b32_e32 v0, v36
	;; [unrolled: 1-line block ×3, first 2 shown]
	v_fma_f32 v18, -v1, v3, 1.0
	v_fmac_f32_e32 v3, v18, v3
	v_div_scale_f32 v18, vcc, 1.0, v2, 1.0
	v_mul_f32_e32 v22, v18, v3
	v_fma_f32 v23, -v1, v22, v18
	v_fmac_f32_e32 v22, v23, v3
	v_fma_f32 v1, -v1, v22, v18
	v_div_fmas_f32 v1, v1, v3, v22
	v_div_fixup_f32 v1, v1, v2, 1.0
	v_cndmask_b32_e64 v1, v1, v2, s[0:1]
	ds_read2_b32 v[2:3], v252 offset0:1 offset1:2
	ds_read2_b32 v[22:23], v252 offset0:3 offset1:4
	;; [unrolled: 1-line block ×4, first 2 shown]
	v_mov_b32_e32 v5, v78
	v_mov_b32_e32 v6, v59
	;; [unrolled: 1-line block ×7, first 2 shown]
	v_mul_f32_e32 v0, v0, v1
	s_waitcnt lgkmcnt(3)
	v_pk_fma_f32 v[2:3], v[0:1], v[2:3], v[4:5] op_sel_hi:[0,1,1] neg_lo:[1,0,0] neg_hi:[1,0,0]
	s_waitcnt lgkmcnt(2)
	v_pk_fma_f32 v[4:5], v[0:1], v[22:23], v[6:7] op_sel_hi:[0,1,1] neg_lo:[1,0,0] neg_hi:[1,0,0]
	;; [unrolled: 2-line block ×4, first 2 shown]
	ds_read2_b32 v[10:11], v252 offset0:9 offset1:10
	ds_read2_b32 v[22:23], v252 offset0:11 offset1:12
	;; [unrolled: 1-line block ×5, first 2 shown]
	s_waitcnt vmcnt(6)
	v_mov_b32_e32 v13, v192
	s_waitcnt vmcnt(5)
	v_mov_b32_e32 v14, v205
	;; [unrolled: 2-line block ×6, first 2 shown]
	v_mov_b32_e32 v21, v180
	s_waitcnt lgkmcnt(4)
	v_pk_fma_f32 v[10:11], v[0:1], v[10:11], v[12:13] op_sel_hi:[0,1,1] neg_lo:[1,0,0] neg_hi:[1,0,0]
	s_waitcnt lgkmcnt(3)
	v_pk_fma_f32 v[12:13], v[0:1], v[22:23], v[14:15] op_sel_hi:[0,1,1] neg_lo:[1,0,0] neg_hi:[1,0,0]
	;; [unrolled: 2-line block ×4, first 2 shown]
	v_mov_b32_e32 v36, v0
	s_waitcnt lgkmcnt(0)
	v_pk_fma_f32 v[254:255], v[0:1], v[28:29], v[254:255] op_sel_hi:[0,1,1] neg_lo:[1,0,0] neg_hi:[1,0,0]
	v_mov_b32_e32 v41, v2
	v_mov_b32_e32 v78, v3
	;; [unrolled: 1-line block ×16, first 2 shown]
.LBB36_18:
	s_or_b64 exec, exec, s[2:3]
	v_lshl_add_u32 v1, v253, 2, v252
	s_barrier
	s_waitcnt vmcnt(16)
	ds_write_b32 v1, v41
	s_waitcnt lgkmcnt(0)
	s_barrier
	ds_read_b32 v181, v252 offset:4
	s_mov_b32 s2, 2
	s_cmp_lt_i32 s22, 3
	v_mov_b32_e32 v2, 1
	s_cbranch_scc1 .LBB36_21
; %bb.19:
	v_add3_u32 v1, v19, 0, 8
	v_mov_b32_e32 v2, 1
.LBB36_20:                              ; =>This Inner Loop Header: Depth=1
	ds_read_b32 v3, v1
	v_mov_b32_e32 v4, s2
	s_add_i32 s2, s2, 1
	v_add_u32_e32 v1, 4, v1
	s_cmp_lg_u32 s22, s2
	s_waitcnt lgkmcnt(0)
	v_cmp_lt_f32_e64 vcc, |v181|, |v3|
	s_nop 1
	v_cndmask_b32_e32 v181, v181, v3, vcc
	v_cndmask_b32_e32 v2, v2, v4, vcc
	s_cbranch_scc1 .LBB36_20
.LBB36_21:
	v_cmp_ne_u32_e32 vcc, v253, v2
	s_and_saveexec_b64 s[2:3], vcc
	s_xor_b64 s[2:3], exec, s[2:3]
	s_cbranch_execz .LBB36_27
; %bb.22:
	v_cmp_eq_u32_e32 vcc, 1, v253
	s_and_saveexec_b64 s[18:19], vcc
	s_cbranch_execz .LBB36_26
; %bb.23:
	v_cmp_ne_u32_e32 vcc, 1, v2
	s_xor_b64 s[20:21], s[16:17], -1
	s_and_b64 s[24:25], s[20:21], vcc
	s_and_saveexec_b64 s[20:21], s[24:25]
	s_cbranch_execz .LBB36_25
; %bb.24:
	scratch_load_dwordx2 v[6:7], off, off offset:1156 ; 8-byte Folded Reload
	v_ashrrev_i32_e32 v3, 31, v2
	s_waitcnt vmcnt(0)
	v_lshl_add_u64 v[4:5], v[2:3], 2, v[6:7]
	global_load_dword v1, v[4:5], off
	global_load_dword v3, v[6:7], off offset:4
	s_waitcnt vmcnt(1)
	global_store_dword v[6:7], v1, off offset:4
	s_waitcnt vmcnt(1)
	global_store_dword v[4:5], v3, off
.LBB36_25:
	s_or_b64 exec, exec, s[20:21]
	v_mov_b32_e32 v0, v2
	v_mov_b32_e32 v253, v2
	scratch_store_dword off, v0, off offset:512 ; 4-byte Folded Spill
.LBB36_26:
	s_or_b64 exec, exec, s[18:19]
.LBB36_27:
	s_or_saveexec_b64 s[2:3], s[2:3]
	v_mov_b32_e32 v1, v41
	v_mov_b32_e32 v37, v41
	s_waitcnt vmcnt(15)
	v_mov_b32_e32 v38, v78
	s_waitcnt vmcnt(14)
	;; [unrolled: 2-line block ×7, first 2 shown]
	v_mov_b32_e32 v230, v226
	v_mov_b32_e32 v44, v226
	s_waitcnt vmcnt(7)
	v_mov_b32_e32 v9, v23
	v_mov_b32_e32 v45, v23
	s_waitcnt vmcnt(6)
	v_mov_b32_e32 v46, v192
	s_waitcnt vmcnt(5)
	;; [unrolled: 2-line block ×6, first 2 shown]
	v_mov_b32_e32 v51, v35
	v_mov_b32_e32 v52, v180
	;; [unrolled: 1-line block ×4, first 2 shown]
	scratch_store_dwordx4 off, v[36:39], off ; 16-byte Folded Spill
	s_nop 0
	scratch_store_dwordx4 off, v[40:43], off offset:16 ; 16-byte Folded Spill
	scratch_store_dwordx4 off, v[44:47], off offset:32 ; 16-byte Folded Spill
	scratch_store_dwordx4 off, v[48:51], off offset:48 ; 16-byte Folded Spill
	scratch_store_dwordx4 off, v[52:55], off offset:64 ; 16-byte Folded Spill
	scratch_store_dwordx4 off, v[56:59], off offset:80 ; 16-byte Folded Spill
	scratch_store_dwordx4 off, v[60:63], off offset:96 ; 16-byte Folded Spill
	scratch_store_dwordx4 off, v[64:67], off offset:112 ; 16-byte Folded Spill
	s_xor_b64 exec, exec, s[2:3]
	s_cbranch_execz .LBB36_29
; %bb.28:
	v_mov_b32_e32 v253, 1
	ds_write2_b32 v252, v78, v59 offset0:2 offset1:3
	ds_write2_b32 v252, v58, v57 offset0:4 offset1:5
	;; [unrolled: 1-line block ×8, first 2 shown]
	ds_write_b32 v252, v255 offset:72
.LBB36_29:
	s_or_b64 exec, exec, s[2:3]
	scratch_load_dwordx4 v[130:133], off, off ; 16-byte Folded Reload
	scratch_load_dwordx4 v[134:137], off, off offset:16 ; 16-byte Folded Reload
	scratch_load_dwordx4 v[138:141], off, off offset:32 ; 16-byte Folded Reload
	;; [unrolled: 1-line block ×7, first 2 shown]
	v_mov_b32_e32 v16, v56
	v_mov_b32_e32 v54, v78
	;; [unrolled: 1-line block ×38, first 2 shown]
	s_waitcnt lgkmcnt(0)
	v_cmp_neq_f32_e64 s[2:3], 0, v181
	v_mov_b32_e32 v34, v72
	v_mov_b32_e32 v22, v78
	;; [unrolled: 1-line block ×36, first 2 shown]
	s_waitcnt vmcnt(4)
	v_mov_b64_e32 v[36:37], v[130:131]
	v_mov_b64_e32 v[38:39], v[132:133]
	v_mov_b64_e32 v[44:45], v[138:139]
	v_mov_b64_e32 v[48:49], v[142:143]
	v_mov_b64_e32 v[40:41], v[134:135]
	v_mov_b64_e32 v[42:43], v[136:137]
	v_mov_b64_e32 v[46:47], v[140:141]
	v_mov_b32_e32 v39, v1
	v_mov_b32_e32 v38, v36
	;; [unrolled: 1-line block ×4, first 2 shown]
	v_mov_b64_e32 v[50:51], v[144:145]
	v_mov_b32_e32 v76, v36
	v_mov_b32_e32 v46, v36
	;; [unrolled: 1-line block ×26, first 2 shown]
	v_mov_b64_e32 v[36:37], v[38:39]
	v_mov_b32_e32 v77, v39
	v_mov_b32_e32 v11, v39
	;; [unrolled: 1-line block ×28, first 2 shown]
	scratch_store_dwordx4 off, v[36:39], off offset:1548 ; 16-byte Folded Spill
	s_nop 0
	scratch_store_dwordx4 off, v[40:43], off offset:1564 ; 16-byte Folded Spill
	scratch_store_dwordx4 off, v[44:47], off offset:1580 ; 16-byte Folded Spill
	;; [unrolled: 1-line block ×7, first 2 shown]
	s_barrier
	s_waitcnt vmcnt(8)
	v_mov_b64_e32 v[162:163], v[34:35]
	v_mov_b32_e32 v37, v163
	v_mov_b64_e32 v[160:161], v[32:33]
	v_mov_b64_e32 v[158:159], v[30:31]
	;; [unrolled: 1-line block ×7, first 2 shown]
	v_mov_b32_e32 v122, v16
	v_mov_b32_e32 v124, v230
	;; [unrolled: 1-line block ×3, first 2 shown]
	v_cmp_lt_i32_e32 vcc, 1, v253
	v_mov_b32_e32 v100, v230
	v_mov_b32_e32 v128, v96
	;; [unrolled: 1-line block ×6, first 2 shown]
	scratch_store_dwordx4 off, v[164:167], off offset:256 ; 16-byte Folded Spill
	s_nop 0
	scratch_store_dwordx4 off, v[168:171], off offset:272 ; 16-byte Folded Spill
	scratch_store_dwordx4 off, v[172:175], off offset:288 ; 16-byte Folded Spill
	;; [unrolled: 1-line block ×8, first 2 shown]
	s_nop 0
	scratch_store_dwordx4 off, v[26:29], off offset:144 ; 16-byte Folded Spill
	scratch_store_dwordx4 off, v[30:33], off offset:160 ; 16-byte Folded Spill
	;; [unrolled: 1-line block ×7, first 2 shown]
	v_mov_b32_e32 v164, v72
	scratch_store_dwordx4 off, v[58:61], off offset:384 ; 16-byte Folded Spill
	s_nop 0
	scratch_store_dwordx4 off, v[62:65], off offset:400 ; 16-byte Folded Spill
	scratch_store_dwordx4 off, v[66:69], off offset:416 ; 16-byte Folded Spill
	scratch_store_dwordx4 off, v[70:73], off offset:432 ; 16-byte Folded Spill
	scratch_store_dwordx4 off, v[74:77], off offset:448 ; 16-byte Folded Spill
	scratch_store_dwordx4 off, v[78:81], off offset:464 ; 16-byte Folded Spill
	scratch_store_dwordx4 off, v[82:85], off offset:480 ; 16-byte Folded Spill
	scratch_store_dwordx4 off, v[86:89], off offset:496 ; 16-byte Folded Spill
	v_mov_b32_e32 v61, v205
	v_mov_b32_e32 v63, v9
	;; [unrolled: 1-line block ×3, first 2 shown]
	scratch_store_dwordx4 off, v[194:197], off offset:1292 ; 16-byte Folded Spill
	s_nop 0
	scratch_store_dwordx4 off, v[198:201], off offset:1308 ; 16-byte Folded Spill
	scratch_store_dwordx4 off, v[202:205], off offset:1324 ; 16-byte Folded Spill
	;; [unrolled: 1-line block ×8, first 2 shown]
	s_nop 0
	scratch_store_dwordx4 off, v[4:7], off offset:532 ; 16-byte Folded Spill
	scratch_store_dwordx4 off, v[8:11], off offset:548 ; 16-byte Folded Spill
	;; [unrolled: 1-line block ×7, first 2 shown]
	v_mov_b32_e32 v58, v96
	v_mov_b32_e32 v60, v192
	scratch_store_dwordx4 off, v[222:225], off offset:644 ; 16-byte Folded Spill
	s_nop 0
	scratch_store_dwordx4 off, v[226:229], off offset:660 ; 16-byte Folded Spill
	scratch_store_dwordx4 off, v[230:233], off offset:676 ; 16-byte Folded Spill
	;; [unrolled: 1-line block ×7, first 2 shown]
	v_mov_b32_e32 v75, v221
	v_mov_b32_e32 v62, v16
	scratch_store_dwordx4 off, v[214:217], off offset:772 ; 16-byte Folded Spill
	s_nop 0
	scratch_store_dwordx4 off, v[218:221], off offset:788 ; 16-byte Folded Spill
	scratch_store_dwordx4 off, v[222:225], off offset:804 ; 16-byte Folded Spill
	;; [unrolled: 1-line block ×8, first 2 shown]
	s_nop 0
	scratch_store_dwordx4 off, v[14:17], off offset:916 ; 16-byte Folded Spill
	scratch_store_dwordx4 off, v[18:21], off offset:932 ; 16-byte Folded Spill
	;; [unrolled: 1-line block ×7, first 2 shown]
	v_mov_b32_e32 v215, v57
	scratch_store_dwordx4 off, v[52:55], off offset:1028 ; 16-byte Folded Spill
	s_nop 0
	scratch_store_dwordx4 off, v[56:59], off offset:1044 ; 16-byte Folded Spill
	scratch_store_dwordx4 off, v[60:63], off offset:1060 ; 16-byte Folded Spill
	;; [unrolled: 1-line block ×7, first 2 shown]
	s_nop 1
	v_mov_b32_e32 v82, v44
	scratch_store_dwordx4 off, v[40:43], off offset:1164 ; 16-byte Folded Spill
	s_nop 0
	scratch_store_dwordx4 off, v[44:47], off offset:1180 ; 16-byte Folded Spill
	scratch_store_dwordx4 off, v[48:51], off offset:1196 ; 16-byte Folded Spill
	;; [unrolled: 1-line block ×7, first 2 shown]
	v_mov_b32_e32 v79, v49
	scratch_store_dwordx4 off, v[46:49], off offset:1420 ; 16-byte Folded Spill
	s_nop 0
	scratch_store_dwordx4 off, v[50:53], off offset:1436 ; 16-byte Folded Spill
	scratch_store_dwordx4 off, v[54:57], off offset:1452 ; 16-byte Folded Spill
	;; [unrolled: 1-line block ×8, first 2 shown]
	s_nop 0
	scratch_store_dwordx4 off, v[80:83], off offset:1692 ; 16-byte Folded Spill
	scratch_store_dwordx4 off, v[84:87], off offset:1708 ; 16-byte Folded Spill
	;; [unrolled: 1-line block ×7, first 2 shown]
	s_and_saveexec_b64 s[18:19], vcc
	s_cbranch_execz .LBB36_31
; %bb.30:
	scratch_load_dwordx4 v[20:23], off, off offset:128 ; 16-byte Folded Reload
	scratch_load_dwordx4 v[24:27], off, off offset:144 ; 16-byte Folded Reload
	;; [unrolled: 1-line block ×8, first 2 shown]
	v_div_scale_f32 v1, s[20:21], v181, v181, 1.0
	v_rcp_f32_e32 v2, v1
	v_mov_b32_e32 v214, v82
	v_mov_b32_e32 v220, v62
	;; [unrolled: 1-line block ×3, first 2 shown]
	v_fma_f32 v3, -v1, v2, 1.0
	v_fmac_f32_e32 v2, v3, v2
	v_div_scale_f32 v3, vcc, 1.0, v181, 1.0
	v_mul_f32_e32 v4, v3, v2
	v_fma_f32 v5, -v1, v4, v3
	v_fmac_f32_e32 v4, v5, v2
	v_fma_f32 v1, -v1, v4, v3
	v_div_fmas_f32 v1, v1, v2, v4
	v_div_fixup_f32 v1, v1, v181, 1.0
	v_cndmask_b32_e64 v1, v181, v1, s[2:3]
	v_mov_b32_e32 v218, v100
	v_mov_b32_e32 v219, v63
	;; [unrolled: 1-line block ×6, first 2 shown]
	s_waitcnt vmcnt(4)
	v_mov_b32_e32 v53, v35
	scratch_load_dwordx4 v[20:23], off, off offset:1548 ; 16-byte Folded Reload
	scratch_load_dwordx4 v[24:27], off, off offset:1564 ; 16-byte Folded Reload
	;; [unrolled: 1-line block ×8, first 2 shown]
	ds_read2_b32 v[2:3], v252 offset0:2 offset1:3
	ds_read2_b32 v[4:5], v252 offset0:4 offset1:5
	ds_read2_b32 v[6:7], v252 offset0:6 offset1:7
	ds_read2_b32 v[8:9], v252 offset0:8 offset1:9
	s_waitcnt vmcnt(7)
	v_mul_f32_e32 v18, v21, v1
	s_waitcnt lgkmcnt(3)
	v_pk_fma_f32 v[78:79], v[18:19], v[2:3], v[78:79] op_sel_hi:[0,1,1] neg_lo:[1,0,0] neg_hi:[1,0,0]
	s_waitcnt lgkmcnt(2)
	v_pk_fma_f32 v[214:215], v[18:19], v[4:5], v[214:215] op_sel_hi:[0,1,1] neg_lo:[1,0,0] neg_hi:[1,0,0]
	;; [unrolled: 2-line block ×4, first 2 shown]
	ds_read2_b32 v[2:3], v252 offset0:10 offset1:11
	ds_read2_b32 v[4:5], v252 offset0:12 offset1:13
	;; [unrolled: 1-line block ×4, first 2 shown]
	ds_read_b32 v1, v252 offset:72
	scratch_load_dwordx4 v[20:23], off, off ; 16-byte Folded Reload
	scratch_load_dwordx4 v[24:27], off, off offset:16 ; 16-byte Folded Reload
	scratch_load_dwordx4 v[28:31], off, off offset:32 ; 16-byte Folded Reload
	;; [unrolled: 1-line block ×7, first 2 shown]
	s_waitcnt lgkmcnt(4)
	v_pk_fma_f32 v[228:229], v[18:19], v[2:3], v[228:229] op_sel_hi:[0,1,1] neg_lo:[1,0,0] neg_hi:[1,0,0]
	s_waitcnt lgkmcnt(3)
	v_pk_fma_f32 v[58:59], v[18:19], v[4:5], v[58:59] op_sel_hi:[0,1,1] neg_lo:[1,0,0] neg_hi:[1,0,0]
	;; [unrolled: 2-line block ×3, first 2 shown]
	s_waitcnt lgkmcnt(0)
	v_fma_f32 v255, -v18, v1, v255
	v_mov_b32_e32 v1, v18
	v_pk_fma_f32 v[180:181], v[18:19], v[8:9], v[180:181] op_sel_hi:[0,1,1] neg_lo:[1,0,0] neg_hi:[1,0,0]
	v_mov_b32_e32 v254, v181
	v_mov_b32_e32 v82, v214
	v_mov_b32_e32 v62, v220
	v_mov_b32_e32 v75, v221
	v_mov_b32_e32 v63, v219
	v_mov_b32_e32 v60, v228
	v_mov_b32_e32 v61, v229
	s_waitcnt vmcnt(7)
	v_mov_b32_e32 v0, v20
	s_waitcnt vmcnt(0)
	v_mov_b64_e32 v[50:51], v[30:31]
	v_mov_b64_e32 v[48:49], v[28:29]
	;; [unrolled: 1-line block ×16, first 2 shown]
	scratch_store_dwordx4 off, v[20:23], off offset:1548 ; 16-byte Folded Spill
	s_nop 0
	scratch_store_dwordx4 off, v[24:27], off offset:1564 ; 16-byte Folded Spill
	scratch_store_dwordx4 off, v[28:31], off offset:1580 ; 16-byte Folded Spill
	;; [unrolled: 1-line block ×7, first 2 shown]
	v_mov_b32_e32 v2, v78
	v_mov_b32_e32 v37, v53
	scratch_store_dwordx4 off, v[0:3], off offset:1676 ; 16-byte Folded Spill
	s_nop 0
	scratch_store_dwordx4 off, v[4:7], off offset:1692 ; 16-byte Folded Spill
	scratch_store_dwordx4 off, v[8:11], off offset:1708 ; 16-byte Folded Spill
	scratch_store_dwordx4 off, v[12:15], off offset:1724 ; 16-byte Folded Spill
	scratch_store_dwordx4 off, v[16:19], off offset:1740 ; 16-byte Folded Spill
	scratch_store_dwordx4 off, v[20:23], off offset:1756 ; 16-byte Folded Spill
	scratch_store_dwordx4 off, v[24:27], off offset:1772 ; 16-byte Folded Spill
	scratch_store_dwordx4 off, v[28:31], off offset:1788 ; 16-byte Folded Spill
	v_mov_b32_e32 v3, v79
	scratch_store_dwordx4 off, v[0:3], off offset:1420 ; 16-byte Folded Spill
	s_nop 0
	scratch_store_dwordx4 off, v[4:7], off offset:1436 ; 16-byte Folded Spill
	scratch_store_dwordx4 off, v[8:11], off offset:1452 ; 16-byte Folded Spill
	scratch_store_dwordx4 off, v[12:15], off offset:1468 ; 16-byte Folded Spill
	scratch_store_dwordx4 off, v[16:19], off offset:1484 ; 16-byte Folded Spill
	scratch_store_dwordx4 off, v[20:23], off offset:1500 ; 16-byte Folded Spill
	scratch_store_dwordx4 off, v[24:27], off offset:1516 ; 16-byte Folded Spill
	scratch_store_dwordx4 off, v[28:31], off offset:1532 ; 16-byte Folded Spill
	v_mov_b32_e32 v4, v214
	scratch_store_dwordx4 off, v[0:3], off offset:1164 ; 16-byte Folded Spill
	s_nop 0
	scratch_store_dwordx4 off, v[4:7], off offset:1180 ; 16-byte Folded Spill
	scratch_store_dwordx4 off, v[8:11], off offset:1196 ; 16-byte Folded Spill
	scratch_store_dwordx4 off, v[12:15], off offset:1212 ; 16-byte Folded Spill
	scratch_store_dwordx4 off, v[16:19], off offset:1228 ; 16-byte Folded Spill
	scratch_store_dwordx4 off, v[20:23], off offset:1244 ; 16-byte Folded Spill
	scratch_store_dwordx4 off, v[24:27], off offset:1260 ; 16-byte Folded Spill
	scratch_store_dwordx4 off, v[28:31], off offset:1276 ; 16-byte Folded Spill
	v_mov_b32_e32 v5, v215
	scratch_store_dwordx4 off, v[0:3], off offset:1028 ; 16-byte Folded Spill
	s_nop 0
	scratch_store_dwordx4 off, v[4:7], off offset:1044 ; 16-byte Folded Spill
	scratch_store_dwordx4 off, v[8:11], off offset:1060 ; 16-byte Folded Spill
	scratch_store_dwordx4 off, v[12:15], off offset:1076 ; 16-byte Folded Spill
	scratch_store_dwordx4 off, v[16:19], off offset:1092 ; 16-byte Folded Spill
	scratch_store_dwordx4 off, v[20:23], off offset:1108 ; 16-byte Folded Spill
	scratch_store_dwordx4 off, v[24:27], off offset:1124 ; 16-byte Folded Spill
	scratch_store_dwordx4 off, v[28:31], off offset:1140 ; 16-byte Folded Spill
	v_mov_b32_e32 v6, v220
	scratch_store_dwordx4 off, v[0:3], off offset:900 ; 16-byte Folded Spill
	s_nop 0
	scratch_store_dwordx4 off, v[4:7], off offset:916 ; 16-byte Folded Spill
	scratch_store_dwordx4 off, v[8:11], off offset:932 ; 16-byte Folded Spill
	scratch_store_dwordx4 off, v[12:15], off offset:948 ; 16-byte Folded Spill
	scratch_store_dwordx4 off, v[16:19], off offset:964 ; 16-byte Folded Spill
	scratch_store_dwordx4 off, v[20:23], off offset:980 ; 16-byte Folded Spill
	scratch_store_dwordx4 off, v[24:27], off offset:996 ; 16-byte Folded Spill
	scratch_store_dwordx4 off, v[28:31], off offset:1012 ; 16-byte Folded Spill
	v_mov_b32_e32 v7, v221
	scratch_store_dwordx4 off, v[0:3], off offset:772 ; 16-byte Folded Spill
	s_nop 0
	scratch_store_dwordx4 off, v[4:7], off offset:788 ; 16-byte Folded Spill
	scratch_store_dwordx4 off, v[8:11], off offset:804 ; 16-byte Folded Spill
	scratch_store_dwordx4 off, v[12:15], off offset:820 ; 16-byte Folded Spill
	scratch_store_dwordx4 off, v[16:19], off offset:836 ; 16-byte Folded Spill
	scratch_store_dwordx4 off, v[20:23], off offset:852 ; 16-byte Folded Spill
	scratch_store_dwordx4 off, v[24:27], off offset:868 ; 16-byte Folded Spill
	scratch_store_dwordx4 off, v[28:31], off offset:884 ; 16-byte Folded Spill
	v_mov_b32_e32 v8, v218
	scratch_store_dwordx4 off, v[0:3], off offset:644 ; 16-byte Folded Spill
	s_nop 0
	scratch_store_dwordx4 off, v[4:7], off offset:660 ; 16-byte Folded Spill
	scratch_store_dwordx4 off, v[8:11], off offset:676 ; 16-byte Folded Spill
	scratch_store_dwordx4 off, v[12:15], off offset:692 ; 16-byte Folded Spill
	scratch_store_dwordx4 off, v[16:19], off offset:708 ; 16-byte Folded Spill
	scratch_store_dwordx4 off, v[20:23], off offset:724 ; 16-byte Folded Spill
	scratch_store_dwordx4 off, v[24:27], off offset:740 ; 16-byte Folded Spill
	scratch_store_dwordx4 off, v[28:31], off offset:756 ; 16-byte Folded Spill
	v_mov_b32_e32 v9, v219
	scratch_store_dwordx4 off, v[0:3], off offset:516 ; 16-byte Folded Spill
	s_nop 0
	scratch_store_dwordx4 off, v[4:7], off offset:532 ; 16-byte Folded Spill
	scratch_store_dwordx4 off, v[8:11], off offset:548 ; 16-byte Folded Spill
	scratch_store_dwordx4 off, v[12:15], off offset:564 ; 16-byte Folded Spill
	scratch_store_dwordx4 off, v[16:19], off offset:580 ; 16-byte Folded Spill
	scratch_store_dwordx4 off, v[20:23], off offset:596 ; 16-byte Folded Spill
	scratch_store_dwordx4 off, v[24:27], off offset:612 ; 16-byte Folded Spill
	scratch_store_dwordx4 off, v[28:31], off offset:628 ; 16-byte Folded Spill
	v_mov_b32_e32 v10, v228
	v_mov_b64_e32 v[212:213], v[30:31]
	v_mov_b64_e32 v[210:211], v[28:29]
	;; [unrolled: 1-line block ×16, first 2 shown]
	v_mov_b32_e32 v11, v229
	scratch_store_dwordx4 off, v[0:3], off offset:1292 ; 16-byte Folded Spill
	s_nop 0
	scratch_store_dwordx4 off, v[4:7], off offset:1308 ; 16-byte Folded Spill
	scratch_store_dwordx4 off, v[8:11], off offset:1324 ; 16-byte Folded Spill
	;; [unrolled: 1-line block ×7, first 2 shown]
	v_mov_b32_e32 v12, v58
	v_mov_b64_e32 v[114:115], v[30:31]
	v_mov_b64_e32 v[112:113], v[28:29]
	;; [unrolled: 1-line block ×16, first 2 shown]
	v_mov_b32_e32 v13, v59
	v_mov_b64_e32 v[146:147], v[30:31]
	v_mov_b64_e32 v[144:145], v[28:29]
	;; [unrolled: 1-line block ×16, first 2 shown]
	v_mov_b32_e32 v14, v52
	scratch_store_dwordx4 off, v[0:3], off offset:384 ; 16-byte Folded Spill
	s_nop 0
	scratch_store_dwordx4 off, v[4:7], off offset:400 ; 16-byte Folded Spill
	scratch_store_dwordx4 off, v[8:11], off offset:416 ; 16-byte Folded Spill
	;; [unrolled: 1-line block ×7, first 2 shown]
	v_mov_b32_e32 v15, v53
	v_mov_b32_e32 v100, v218
	v_mov_b64_e32 v[178:179], v[30:31]
	v_mov_b64_e32 v[176:177], v[28:29]
	;; [unrolled: 1-line block ×16, first 2 shown]
	v_mov_b32_e32 v16, v180
	scratch_store_dwordx4 off, v[0:3], off offset:256 ; 16-byte Folded Spill
	s_nop 0
	scratch_store_dwordx4 off, v[4:7], off offset:272 ; 16-byte Folded Spill
	scratch_store_dwordx4 off, v[8:11], off offset:288 ; 16-byte Folded Spill
	;; [unrolled: 1-line block ×7, first 2 shown]
	v_mov_b32_e32 v17, v181
	v_mov_b32_e32 v18, v255
	scratch_store_dwordx4 off, v[0:3], off  ; 16-byte Folded Spill
	s_nop 0
	scratch_store_dwordx4 off, v[4:7], off offset:16 ; 16-byte Folded Spill
	scratch_store_dwordx4 off, v[8:11], off offset:32 ; 16-byte Folded Spill
	;; [unrolled: 1-line block ×7, first 2 shown]
	v_mov_b32_e32 v164, v52
	scratch_store_dwordx4 off, v[22:25], off offset:128 ; 16-byte Folded Spill
	s_nop 0
	scratch_store_dwordx4 off, v[26:29], off offset:144 ; 16-byte Folded Spill
	scratch_store_dwordx4 off, v[30:33], off offset:160 ; 16-byte Folded Spill
	;; [unrolled: 1-line block ×7, first 2 shown]
.LBB36_31:
	s_or_b64 exec, exec, s[18:19]
	v_lshl_add_u32 v37, v253, 2, v252
	s_waitcnt vmcnt(63) expcnt(7) lgkmcnt(15)
	s_barrier
	ds_write_b32 v37, v78
	s_waitcnt lgkmcnt(0)
	s_barrier
	ds_read_b32 v37, v252 offset:8
	v_mov_b32_e32 v20, v78
	s_cmp_lt_i32 s22, 4
	v_mov_b32_e32 v38, 2
	s_cbranch_scc1 .LBB36_34
; %bb.32:
	v_mov_b32_e32 v38, 2
	v_add3_u32 v39, v19, 0, 12
	s_mov_b32 s18, 3
.LBB36_33:                              ; =>This Inner Loop Header: Depth=1
	ds_read_b32 v40, v39
	v_mov_b32_e32 v41, s18
	s_add_i32 s18, s18, 1
	v_add_u32_e32 v39, 4, v39
	s_cmp_lg_u32 s22, s18
	s_waitcnt lgkmcnt(0)
	v_cmp_lt_f32_e64 vcc, |v37|, |v40|
	s_nop 1
	v_cndmask_b32_e32 v37, v37, v40, vcc
	v_cndmask_b32_e32 v38, v38, v41, vcc
	s_cbranch_scc1 .LBB36_33
.LBB36_34:
	v_cndmask_b32_e64 v39, 2, 1, s[0:1]
	v_cndmask_b32_e64 v40, 0, 1, s[0:1]
	;; [unrolled: 1-line block ×3, first 2 shown]
	s_waitcnt lgkmcnt(0)
	v_cmp_eq_f32_e32 vcc, 0, v37
	s_and_saveexec_b64 s[0:1], vcc
	s_xor_b64 s[0:1], exec, s[0:1]
; %bb.35:
	v_cmp_ne_u32_e32 vcc, 0, v181
	s_nop 1
	v_cndmask_b32_e32 v181, 3, v181, vcc
; %bb.36:
	s_andn2_saveexec_b64 s[0:1], s[0:1]
	s_cbranch_execz .LBB36_38
; %bb.37:
	v_div_scale_f32 v39, s[2:3], v37, v37, 1.0
	v_rcp_f32_e32 v40, v39
	v_div_scale_f32 v41, vcc, 1.0, v37, 1.0
	v_fma_f32 v42, -v39, v40, 1.0
	v_fmac_f32_e32 v40, v42, v40
	v_mul_f32_e32 v42, v41, v40
	v_fma_f32 v43, -v39, v42, v41
	v_fmac_f32_e32 v42, v43, v40
	v_fma_f32 v39, -v39, v42, v41
	v_div_fmas_f32 v39, v39, v40, v42
	v_div_fixup_f32 v37, v39, v37, 1.0
.LBB36_38:
	s_or_b64 exec, exec, s[0:1]
	v_cmp_ne_u32_e32 vcc, v253, v38
	s_and_saveexec_b64 s[0:1], vcc
	s_xor_b64 s[0:1], exec, s[0:1]
	s_cbranch_execz .LBB36_44
; %bb.39:
	v_cmp_eq_u32_e32 vcc, 2, v253
	s_and_saveexec_b64 s[2:3], vcc
	s_cbranch_execz .LBB36_43
; %bb.40:
	v_cmp_ne_u32_e32 vcc, 2, v38
	s_xor_b64 s[18:19], s[16:17], -1
	s_and_b64 s[20:21], s[18:19], vcc
	s_and_saveexec_b64 s[18:19], s[20:21]
	s_cbranch_execz .LBB36_42
; %bb.41:
	scratch_load_dwordx2 v[44:45], off, off offset:1156 ; 8-byte Folded Reload
	v_ashrrev_i32_e32 v39, 31, v38
	s_waitcnt vmcnt(0)
	v_lshl_add_u64 v[40:41], v[38:39], 2, v[44:45]
	global_load_dword v39, v[40:41], off
	global_load_dword v42, v[44:45], off offset:8
	s_waitcnt vmcnt(1)
	global_store_dword v[44:45], v39, off offset:8
	s_waitcnt vmcnt(1)
	global_store_dword v[40:41], v42, off
.LBB36_42:
	s_or_b64 exec, exec, s[18:19]
	v_mov_b32_e32 v0, v38
	v_mov_b32_e32 v253, v38
	scratch_store_dword off, v0, off offset:512 ; 4-byte Folded Spill
.LBB36_43:
	s_or_b64 exec, exec, s[2:3]
.LBB36_44:
	s_or_saveexec_b64 s[0:1], s[0:1]
	v_mov_b32_e32 v165, v19
	s_xor_b64 exec, exec, s[0:1]
	s_cbranch_execz .LBB36_46
; %bb.45:
	scratch_load_dwordx4 v[218:221], off, off ; 16-byte Folded Reload
	scratch_load_dwordx4 v[222:225], off, off offset:16 ; 16-byte Folded Reload
	scratch_load_dwordx4 v[226:229], off, off offset:32 ; 16-byte Folded Reload
	;; [unrolled: 1-line block ×7, first 2 shown]
	v_mov_b32_e32 v19, v165
	v_mov_b32_e32 v253, 2
	s_waitcnt vmcnt(4)
	v_mov_b64_e32 v[0:1], v[218:219]
	v_mov_b64_e32 v[2:3], v[220:221]
	;; [unrolled: 1-line block ×3, first 2 shown]
	s_waitcnt vmcnt(3)
	v_mov_b32_e32 v16, v234
	v_mov_b64_e32 v[6:7], v[224:225]
	v_mov_b64_e32 v[8:9], v[226:227]
	;; [unrolled: 1-line block ×5, first 2 shown]
	v_mov_b32_e32 v17, v235
	v_mov_b32_e32 v18, v236
	ds_write2_b32 v252, v3, v4 offset0:3 offset1:4
	ds_write2_b32 v252, v5, v6 offset0:5 offset1:6
	;; [unrolled: 1-line block ×8, first 2 shown]
.LBB36_46:
	s_or_b64 exec, exec, s[0:1]
	v_cmp_lt_i32_e32 vcc, 2, v253
	s_waitcnt lgkmcnt(0)
	s_barrier
	s_and_saveexec_b64 s[0:1], vcc
	s_cbranch_execz .LBB36_48
; %bb.47:
	scratch_load_dwordx4 v[52:55], off, off offset:1548 ; 16-byte Folded Reload
	scratch_load_dwordx4 v[56:59], off, off offset:1564 ; 16-byte Folded Reload
	;; [unrolled: 1-line block ×8, first 2 shown]
	s_waitcnt vmcnt(7)
	v_mul_f32_e32 v54, v20, v37
	ds_read2_b32 v[0:1], v252 offset0:3 offset1:4
	scratch_load_dwordx4 v[20:23], off, off ; 16-byte Folded Reload
	scratch_load_dwordx4 v[24:27], off, off offset:16 ; 16-byte Folded Reload
	scratch_load_dwordx4 v[28:31], off, off offset:32 ; 16-byte Folded Reload
	;; [unrolled: 1-line block ×7, first 2 shown]
	v_mov_b32_e32 v184, v54
	v_mov_b32_e32 v86, v54
	v_mov_b32_e32 v118, v54
	v_mov_b32_e32 v150, v54
	v_mov_b32_e32 v182, v52
	v_mov_b32_e32 v183, v53
	v_mov_b32_e32 v84, v52
	v_mov_b32_e32 v85, v53
	v_mov_b32_e32 v116, v52
	v_mov_b32_e32 v117, v53
	v_mov_b32_e32 v148, v52
	s_waitcnt vmcnt(3)
	v_mov_b32_e32 v3, v23
	v_mov_b32_e32 v4, v24
	;; [unrolled: 1-line block ×16, first 2 shown]
	ds_read2_b32 v[20:21], v252 offset0:5 offset1:6
	ds_read2_b32 v[22:23], v252 offset0:7 offset1:8
	ds_read2_b32 v[24:25], v252 offset0:9 offset1:10
	v_mov_b32_e32 v2, v3
	v_mov_b32_e32 v3, v4
	s_waitcnt lgkmcnt(3)
	v_pk_fma_f32 v[38:39], v[54:55], v[0:1], v[2:3] op_sel_hi:[0,1,1] neg_lo:[1,0,0] neg_hi:[1,0,0]
	v_mov_b32_e32 v0, v5
	v_mov_b32_e32 v1, v6
	s_waitcnt vmcnt(2) lgkmcnt(2)
	v_pk_fma_f32 v[40:41], v[54:55], v[20:21], v[0:1] op_sel_hi:[0,1,1] neg_lo:[1,0,0] neg_hi:[1,0,0]
	v_mov_b32_e32 v0, v7
	v_mov_b32_e32 v1, v8
	s_waitcnt lgkmcnt(1)
	v_pk_fma_f32 v[42:43], v[54:55], v[22:23], v[0:1] op_sel_hi:[0,1,1] neg_lo:[1,0,0] neg_hi:[1,0,0]
	v_mov_b32_e32 v0, v9
	v_mov_b32_e32 v1, v10
	s_waitcnt vmcnt(1) lgkmcnt(0)
	v_pk_fma_f32 v[44:45], v[54:55], v[24:25], v[0:1] op_sel_hi:[0,1,1] neg_lo:[1,0,0] neg_hi:[1,0,0]
	ds_read2_b32 v[0:1], v252 offset0:11 offset1:12
	ds_read2_b32 v[4:5], v252 offset0:13 offset1:14
	;; [unrolled: 1-line block ×4, first 2 shown]
	v_mov_b32_e32 v2, v11
	v_mov_b32_e32 v3, v12
	;; [unrolled: 1-line block ×3, first 2 shown]
	s_waitcnt lgkmcnt(3)
	v_pk_fma_f32 v[46:47], v[54:55], v[0:1], v[2:3] op_sel_hi:[0,1,1] neg_lo:[1,0,0] neg_hi:[1,0,0]
	v_mov_b32_e32 v0, v13
	v_mov_b32_e32 v1, v14
	s_waitcnt vmcnt(0) lgkmcnt(2)
	v_pk_fma_f32 v[48:49], v[54:55], v[4:5], v[0:1] op_sel_hi:[0,1,1] neg_lo:[1,0,0] neg_hi:[1,0,0]
	v_mov_b32_e32 v0, v15
	v_mov_b32_e32 v1, v16
	s_waitcnt lgkmcnt(1)
	v_pk_fma_f32 v[50:51], v[54:55], v[6:7], v[0:1] op_sel_hi:[0,1,1] neg_lo:[1,0,0] neg_hi:[1,0,0]
	v_mov_b32_e32 v0, v17
	v_mov_b32_e32 v1, v18
	s_waitcnt lgkmcnt(0)
	v_pk_fma_f32 v[254:255], v[54:55], v[8:9], v[0:1] op_sel_hi:[0,1,1] neg_lo:[1,0,0] neg_hi:[1,0,0]
	v_mov_b32_e32 v0, v52
	v_mov_b32_e32 v1, v53
	;; [unrolled: 1-line block ×5, first 2 shown]
	scratch_store_dwordx4 off, v[0:3], off offset:1164 ; 16-byte Folded Spill
	s_nop 0
	scratch_store_dwordx4 off, v[4:7], off offset:1180 ; 16-byte Folded Spill
	scratch_store_dwordx4 off, v[8:11], off offset:1196 ; 16-byte Folded Spill
	;; [unrolled: 1-line block ×7, first 2 shown]
	v_mov_b32_e32 v5, v40
	v_mov_b32_e32 v55, v38
	;; [unrolled: 1-line block ×36, first 2 shown]
	scratch_store_dwordx4 off, v[0:3], off offset:1028 ; 16-byte Folded Spill
	s_nop 0
	scratch_store_dwordx4 off, v[4:7], off offset:1044 ; 16-byte Folded Spill
	scratch_store_dwordx4 off, v[8:11], off offset:1060 ; 16-byte Folded Spill
	scratch_store_dwordx4 off, v[12:15], off offset:1076 ; 16-byte Folded Spill
	scratch_store_dwordx4 off, v[16:19], off offset:1092 ; 16-byte Folded Spill
	scratch_store_dwordx4 off, v[20:23], off offset:1108 ; 16-byte Folded Spill
	scratch_store_dwordx4 off, v[24:27], off offset:1124 ; 16-byte Folded Spill
	scratch_store_dwordx4 off, v[28:31], off offset:1140 ; 16-byte Folded Spill
	v_mov_b32_e32 v6, v41
	v_mov_b32_e32 v155, v42
	;; [unrolled: 1-line block ×13, first 2 shown]
	scratch_store_dwordx4 off, v[0:3], off offset:900 ; 16-byte Folded Spill
	s_nop 0
	scratch_store_dwordx4 off, v[4:7], off offset:916 ; 16-byte Folded Spill
	scratch_store_dwordx4 off, v[8:11], off offset:932 ; 16-byte Folded Spill
	scratch_store_dwordx4 off, v[12:15], off offset:948 ; 16-byte Folded Spill
	scratch_store_dwordx4 off, v[16:19], off offset:964 ; 16-byte Folded Spill
	scratch_store_dwordx4 off, v[20:23], off offset:980 ; 16-byte Folded Spill
	scratch_store_dwordx4 off, v[24:27], off offset:996 ; 16-byte Folded Spill
	scratch_store_dwordx4 off, v[28:31], off offset:1012 ; 16-byte Folded Spill
	v_mov_b32_e32 v7, v42
	scratch_store_dwordx4 off, v[0:3], off offset:772 ; 16-byte Folded Spill
	s_nop 0
	scratch_store_dwordx4 off, v[4:7], off offset:788 ; 16-byte Folded Spill
	scratch_store_dwordx4 off, v[8:11], off offset:804 ; 16-byte Folded Spill
	scratch_store_dwordx4 off, v[12:15], off offset:820 ; 16-byte Folded Spill
	scratch_store_dwordx4 off, v[16:19], off offset:836 ; 16-byte Folded Spill
	scratch_store_dwordx4 off, v[20:23], off offset:852 ; 16-byte Folded Spill
	scratch_store_dwordx4 off, v[24:27], off offset:868 ; 16-byte Folded Spill
	scratch_store_dwordx4 off, v[28:31], off offset:884 ; 16-byte Folded Spill
	v_mov_b32_e32 v8, v43
	;; [unrolled: 10-line block ×4, first 2 shown]
	v_mov_b32_e32 v11, v46
	scratch_store_dwordx4 off, v[0:3], off offset:1292 ; 16-byte Folded Spill
	s_nop 0
	scratch_store_dwordx4 off, v[4:7], off offset:1308 ; 16-byte Folded Spill
	scratch_store_dwordx4 off, v[8:11], off offset:1324 ; 16-byte Folded Spill
	;; [unrolled: 1-line block ×7, first 2 shown]
	v_mov_b32_e32 v3, v38
	v_mov_b32_e32 v4, v39
	;; [unrolled: 1-line block ×11, first 2 shown]
	scratch_store_dwordx4 off, v[0:3], off offset:384 ; 16-byte Folded Spill
	s_nop 0
	scratch_store_dwordx4 off, v[4:7], off offset:400 ; 16-byte Folded Spill
	scratch_store_dwordx4 off, v[8:11], off offset:416 ; 16-byte Folded Spill
	;; [unrolled: 1-line block ×7, first 2 shown]
	v_mov_b32_e32 v3, v38
	v_mov_b32_e32 v4, v39
	;; [unrolled: 1-line block ×13, first 2 shown]
	scratch_store_dwordx4 off, v[0:3], off offset:256 ; 16-byte Folded Spill
	s_nop 0
	scratch_store_dwordx4 off, v[4:7], off offset:272 ; 16-byte Folded Spill
	scratch_store_dwordx4 off, v[8:11], off offset:288 ; 16-byte Folded Spill
	;; [unrolled: 1-line block ×7, first 2 shown]
	v_mov_b32_e32 v3, v38
	v_mov_b32_e32 v4, v39
	;; [unrolled: 1-line block ×15, first 2 shown]
	scratch_store_dwordx4 off, v[0:3], off  ; 16-byte Folded Spill
	s_nop 0
	scratch_store_dwordx4 off, v[4:7], off offset:16 ; 16-byte Folded Spill
	scratch_store_dwordx4 off, v[8:11], off offset:32 ; 16-byte Folded Spill
	;; [unrolled: 1-line block ×8, first 2 shown]
	s_nop 0
	scratch_store_dwordx4 off, v[56:59], off offset:1436 ; 16-byte Folded Spill
	scratch_store_dwordx4 off, v[60:63], off offset:1452 ; 16-byte Folded Spill
	;; [unrolled: 1-line block ×8, first 2 shown]
	s_nop 0
	scratch_store_dwordx4 off, v[56:59], off offset:1692 ; 16-byte Folded Spill
	scratch_store_dwordx4 off, v[60:63], off offset:1708 ; 16-byte Folded Spill
	;; [unrolled: 1-line block ×7, first 2 shown]
	s_nop 0
	v_mov_b32_e32 v79, v38
	v_mov_b32_e32 v82, v39
	;; [unrolled: 1-line block ×9, first 2 shown]
	scratch_store_dwordx4 off, v[22:25], off offset:128 ; 16-byte Folded Spill
	s_nop 0
	scratch_store_dwordx4 off, v[26:29], off offset:144 ; 16-byte Folded Spill
	scratch_store_dwordx4 off, v[30:33], off offset:160 ; 16-byte Folded Spill
	;; [unrolled: 1-line block ×7, first 2 shown]
	v_mov_b32_e32 v180, v51
.LBB36_48:
	s_or_b64 exec, exec, s[0:1]
	v_lshl_add_u32 v37, v253, 2, v252
	s_waitcnt vmcnt(63) expcnt(7) lgkmcnt(15)
	s_barrier
	ds_write_b32 v37, v79
	s_waitcnt lgkmcnt(0)
	s_barrier
	ds_read_b32 v37, v252 offset:12
	s_cmp_lt_i32 s22, 5
	v_mov_b32_e32 v38, 3
	s_cbranch_scc1 .LBB36_51
; %bb.49:
	scratch_load_dwordx4 v[218:221], off, off offset:1292 ; 16-byte Folded Reload
	scratch_load_dwordx4 v[222:225], off, off offset:1308 ; 16-byte Folded Reload
	;; [unrolled: 1-line block ×8, first 2 shown]
	v_add3_u32 v39, v19, 0, 16
	v_mov_b32_e32 v38, 3
	s_mov_b32 s0, 4
.LBB36_50:                              ; =>This Inner Loop Header: Depth=1
	ds_read_b32 v40, v39
	v_mov_b32_e32 v41, s0
	s_add_i32 s0, s0, 1
	v_add_u32_e32 v39, 4, v39
	s_cmp_lg_u32 s22, s0
	s_waitcnt lgkmcnt(0)
	v_cmp_lt_f32_e64 vcc, |v37|, |v40|
	s_nop 1
	v_cndmask_b32_e32 v37, v37, v40, vcc
	v_cndmask_b32_e32 v38, v38, v41, vcc
	s_cbranch_scc1 .LBB36_50
	s_branch .LBB36_52
.LBB36_51:
	scratch_load_dwordx4 v[218:221], off, off offset:1292 ; 16-byte Folded Reload
	scratch_load_dwordx4 v[222:225], off, off offset:1308 ; 16-byte Folded Reload
	;; [unrolled: 1-line block ×8, first 2 shown]
.LBB36_52:
	s_waitcnt lgkmcnt(0)
	v_cmp_eq_f32_e32 vcc, 0, v37
	s_mov_b64 s[0:1], exec
	s_and_b64 s[2:3], s[0:1], vcc
	s_xor_b64 s[0:1], s[2:3], s[0:1]
	v_mov_b32_e32 v214, v165
	s_mov_b64 exec, s[2:3]
; %bb.53:
	v_cmp_ne_u32_e32 vcc, 0, v181
	s_nop 1
	v_cndmask_b32_e32 v181, 4, v181, vcc
; %bb.54:
	s_andn2_saveexec_b64 s[0:1], s[0:1]
	s_cbranch_execz .LBB36_56
; %bb.55:
	v_div_scale_f32 v39, s[2:3], v37, v37, 1.0
	v_rcp_f32_e32 v40, v39
	v_div_scale_f32 v41, vcc, 1.0, v37, 1.0
	v_fma_f32 v42, -v39, v40, 1.0
	v_fmac_f32_e32 v40, v42, v40
	v_mul_f32_e32 v42, v41, v40
	v_fma_f32 v43, -v39, v42, v41
	v_fmac_f32_e32 v42, v43, v40
	v_fma_f32 v39, -v39, v42, v41
	v_div_fmas_f32 v39, v39, v40, v42
	v_div_fixup_f32 v37, v39, v37, 1.0
.LBB36_56:
	s_or_b64 exec, exec, s[0:1]
	v_cmp_ne_u32_e32 vcc, v253, v38
	s_and_saveexec_b64 s[0:1], vcc
	s_xor_b64 s[0:1], exec, s[0:1]
	s_cbranch_execz .LBB36_62
; %bb.57:
	v_cmp_eq_u32_e32 vcc, 3, v253
	s_and_saveexec_b64 s[2:3], vcc
	s_cbranch_execz .LBB36_61
; %bb.58:
	v_cmp_ne_u32_e32 vcc, 3, v38
	s_xor_b64 s[18:19], s[16:17], -1
	s_and_b64 s[20:21], s[18:19], vcc
	s_and_saveexec_b64 s[18:19], s[20:21]
	s_cbranch_execz .LBB36_60
; %bb.59:
	scratch_load_dwordx2 v[44:45], off, off offset:1156 ; 8-byte Folded Reload
	v_ashrrev_i32_e32 v39, 31, v38
	s_waitcnt vmcnt(0)
	v_lshl_add_u64 v[40:41], v[38:39], 2, v[44:45]
	global_load_dword v39, v[40:41], off
	global_load_dword v42, v[44:45], off offset:12
	s_waitcnt vmcnt(1)
	global_store_dword v[44:45], v39, off offset:12
	s_waitcnt vmcnt(1)
	global_store_dword v[40:41], v42, off
.LBB36_60:
	s_or_b64 exec, exec, s[18:19]
	v_mov_b32_e32 v0, v38
	v_mov_b32_e32 v253, v38
	scratch_store_dword off, v0, off offset:512 ; 4-byte Folded Spill
.LBB36_61:
	s_or_b64 exec, exec, s[2:3]
.LBB36_62:
	s_andn2_saveexec_b64 s[0:1], s[0:1]
	s_cbranch_execz .LBB36_64
; %bb.63:
	scratch_load_dwordx4 v[0:3], off, off   ; 16-byte Folded Reload
	scratch_load_dwordx4 v[4:7], off, off offset:16 ; 16-byte Folded Reload
	scratch_load_dwordx4 v[8:11], off, off offset:32 ; 16-byte Folded Reload
	;; [unrolled: 1-line block ×7, first 2 shown]
	v_mov_b32_e32 v253, 3
	s_waitcnt vmcnt(6)
	ds_write2_b32 v252, v4, v5 offset0:4 offset1:5
	ds_write2_b32 v252, v6, v7 offset0:6 offset1:7
	s_waitcnt vmcnt(5)
	ds_write2_b32 v252, v8, v9 offset0:8 offset1:9
	ds_write2_b32 v252, v10, v11 offset0:10 offset1:11
	;; [unrolled: 3-line block ×3, first 2 shown]
	s_waitcnt vmcnt(3)
	ds_write2_b32 v252, v16, v17 offset0:16 offset1:17
	ds_write_b32 v252, v255 offset:72
.LBB36_64:
	s_or_b64 exec, exec, s[0:1]
	v_cmp_lt_i32_e32 vcc, 3, v253
	s_waitcnt lgkmcnt(0)
	s_barrier
	s_and_saveexec_b64 s[0:1], vcc
	s_cbranch_execz .LBB36_66
; %bb.65:
	ds_read2_b32 v[0:1], v252 offset0:4 offset1:5
	ds_read2_b32 v[2:3], v252 offset0:6 offset1:7
	s_waitcnt vmcnt(2)
	ds_read2_b32 v[20:21], v252 offset0:8 offset1:9
	v_mul_f32_e32 v22, v79, v37
	s_waitcnt vmcnt(1)
	ds_read2_b32 v[24:25], v252 offset0:10 offset1:11
	scratch_load_dwordx4 v[26:29], off, off ; 16-byte Folded Reload
	scratch_load_dwordx4 v[30:33], off, off offset:16 ; 16-byte Folded Reload
	scratch_load_dwordx4 v[34:37], off, off offset:32 ; 16-byte Folded Reload
	;; [unrolled: 1-line block ×7, first 2 shown]
	s_waitcnt vmcnt(1)
	v_mov_b32_e32 v51, v22
	v_mov_b32_e32 v79, v22
	v_mov_b64_e32 v[4:5], v[30:31]
	v_mov_b64_e32 v[6:7], v[32:33]
	s_waitcnt lgkmcnt(3)
	v_pk_fma_f32 v[80:81], v[22:23], v[0:1], v[4:5] op_sel_hi:[0,1,1] neg_lo:[1,0,0] neg_hi:[1,0,0]
	s_waitcnt lgkmcnt(2)
	v_pk_fma_f32 v[74:75], v[22:23], v[2:3], v[6:7] op_sel_hi:[0,1,1] neg_lo:[1,0,0] neg_hi:[1,0,0]
	ds_read2_b32 v[0:1], v252 offset0:12 offset1:13
	ds_read2_b32 v[2:3], v252 offset0:14 offset1:15
	;; [unrolled: 1-line block ×3, first 2 shown]
	ds_read_b32 v6, v252 offset:72
	scratch_load_dwordx4 v[98:101], off, off offset:1676 ; 16-byte Folded Reload
	scratch_load_dwordx4 v[102:105], off, off offset:1692 ; 16-byte Folded Reload
	;; [unrolled: 1-line block ×8, first 2 shown]
	v_mov_b64_e32 v[12:13], v[38:39]
	v_mov_b64_e32 v[14:15], v[40:41]
	;; [unrolled: 1-line block ×5, first 2 shown]
	s_waitcnt lgkmcnt(3)
	v_pk_fma_f32 v[96:97], v[22:23], v[0:1], v[12:13] op_sel_hi:[0,1,1] neg_lo:[1,0,0] neg_hi:[1,0,0]
	s_waitcnt lgkmcnt(2)
	v_pk_fma_f32 v[144:145], v[22:23], v[2:3], v[14:15] op_sel_hi:[0,1,1] neg_lo:[1,0,0] neg_hi:[1,0,0]
	;; [unrolled: 2-line block ×3, first 2 shown]
	v_mov_b32_e32 v3, v22
	v_mov_b32_e32 v4, v80
	;; [unrolled: 1-line block ×3, first 2 shown]
	v_pk_fma_f32 v[46:47], v[22:23], v[20:21], v[8:9] op_sel_hi:[0,1,1] neg_lo:[1,0,0] neg_hi:[1,0,0]
	v_pk_fma_f32 v[192:193], v[22:23], v[24:25], v[10:11] op_sel_hi:[0,1,1] neg_lo:[1,0,0] neg_hi:[1,0,0]
	v_mov_b32_e32 v72, v80
	v_mov_b32_e32 v73, v81
	v_mov_b32_e32 v44, v74
	v_mov_b32_e32 v45, v75
	v_mov_b32_e32 v188, v74
	v_mov_b32_e32 v189, v75
	v_mov_b32_e32 v224, v74
	v_mov_b32_e32 v225, v75
	v_mov_b32_e32 v90, v74
	v_mov_b32_e32 v91, v75
	s_waitcnt vmcnt(1)
	v_mov_b32_e32 v122, v74
	v_mov_b32_e32 v123, v75
	;; [unrolled: 1-line block ×21, first 2 shown]
	s_waitcnt vmcnt(0)
	v_mov_b32_e32 v128, v96
	v_mov_b32_e32 v129, v97
	;; [unrolled: 1-line block ×34, first 2 shown]
	scratch_store_dwordx4 off, v[0:3], off offset:1028 ; 16-byte Folded Spill
	s_waitcnt lgkmcnt(0)
	scratch_store_dwordx4 off, v[4:7], off offset:1044 ; 16-byte Folded Spill
	scratch_store_dwordx4 off, v[8:11], off offset:1060 ; 16-byte Folded Spill
	;; [unrolled: 1-line block ×7, first 2 shown]
	v_mov_b32_e32 v8, v48
	v_mov_b32_e32 v9, v49
	;; [unrolled: 1-line block ×40, first 2 shown]
	scratch_store_dwordx4 off, v[8:11], off offset:772 ; 16-byte Folded Spill
	s_nop 0
	scratch_store_dwordx4 off, v[12:15], off offset:788 ; 16-byte Folded Spill
	scratch_store_dwordx4 off, v[16:19], off offset:804 ; 16-byte Folded Spill
	;; [unrolled: 1-line block ×7, first 2 shown]
	v_mov_b32_e32 v8, v48
	v_mov_b32_e32 v9, v49
	;; [unrolled: 1-line block ×12, first 2 shown]
	scratch_store_dwordx4 off, v[8:11], off offset:516 ; 16-byte Folded Spill
	s_nop 0
	scratch_store_dwordx4 off, v[12:15], off offset:532 ; 16-byte Folded Spill
	scratch_store_dwordx4 off, v[16:19], off offset:548 ; 16-byte Folded Spill
	;; [unrolled: 1-line block ×7, first 2 shown]
	v_mov_b32_e32 v20, v48
	v_mov_b32_e32 v21, v49
	v_mov_b32_e32 v26, v74
	v_mov_b32_e32 v27, v75
	v_mov_b32_e32 v14, v144
	v_mov_b32_e32 v15, v145
	v_mov_b32_e32 v8, v46
	v_mov_b32_e32 v9, v47
	v_mov_b32_e32 v10, v192
	v_mov_b32_e32 v11, v193
	v_mov_b32_e32 v12, v96
	v_mov_b32_e32 v13, v97
	v_mov_b32_e32 v24, v80
	v_mov_b32_e32 v25, v81
	v_mov_b32_e32 v32, v96
	v_mov_b32_e32 v33, v97
	v_mov_b32_e32 v28, v46
	v_mov_b32_e32 v29, v47
	v_mov_b32_e32 v34, v144
	v_mov_b32_e32 v35, v145
	v_mov_b32_e32 v30, v192
	v_mov_b32_e32 v31, v193
	v_mov_b32_e32 v185, v22
	v_mov_b32_e32 v221, v22
	v_mov_b32_e32 v87, v22
	v_mov_b32_e32 v119, v22
	v_mov_b32_e32 v133, v22
	v_mov_b32_e32 v23, v22
	v_fma_f32 v18, -v22, v6, v255
	v_mov_b32_e32 v151, v22
	v_mov_b32_e32 v22, v50
	;; [unrolled: 1-line block ×3, first 2 shown]
	scratch_store_dwordx4 off, v[48:51], off offset:1420 ; 16-byte Folded Spill
	s_nop 0
	scratch_store_dwordx4 off, v[52:55], off offset:1436 ; 16-byte Folded Spill
	scratch_store_dwordx4 off, v[56:59], off offset:1452 ; 16-byte Folded Spill
	;; [unrolled: 1-line block ×7, first 2 shown]
	v_mov_b32_e32 v16, v36
	v_mov_b32_e32 v17, v37
	v_mov_b64_e32 v[208:209], v[14:15]
	v_mov_b32_e32 v212, v18
	v_mov_b64_e32 v[206:207], v[12:13]
	v_mov_b64_e32 v[204:205], v[10:11]
	;; [unrolled: 1-line block ×7, first 2 shown]
	v_mov_b32_e32 v211, v17
	v_mov_b32_e32 v210, v16
	scratch_store_dwordx4 off, v[194:197], off ; 16-byte Folded Spill
	s_nop 0
	scratch_store_dwordx4 off, v[198:201], off offset:16 ; 16-byte Folded Spill
	scratch_store_dwordx4 off, v[202:205], off offset:32 ; 16-byte Folded Spill
	scratch_store_dwordx4 off, v[206:209], off offset:48 ; 16-byte Folded Spill
	scratch_store_dwordx4 off, v[210:213], off offset:64 ; 16-byte Folded Spill
	scratch_store_dwordx4 off, v[214:217], off offset:80 ; 16-byte Folded Spill
	scratch_store_dwordx4 off, v[218:221], off offset:96 ; 16-byte Folded Spill
	scratch_store_dwordx4 off, v[222:225], off offset:112 ; 16-byte Folded Spill
	v_mov_b64_e32 v[0:1], v[20:21]
	v_mov_b32_e32 v254, v37
	v_mov_b32_e32 v255, v18
	v_mov_b64_e32 v[2:3], v[22:23]
	v_mov_b64_e32 v[4:5], v[24:25]
	;; [unrolled: 1-line block ×7, first 2 shown]
	v_mov_b32_e32 v180, v36
	scratch_store_dwordx4 off, v[76:79], off offset:1164 ; 16-byte Folded Spill
	s_nop 0
	scratch_store_dwordx4 off, v[80:83], off offset:1180 ; 16-byte Folded Spill
	scratch_store_dwordx4 off, v[84:87], off offset:1196 ; 16-byte Folded Spill
	;; [unrolled: 1-line block ×7, first 2 shown]
	v_mov_b32_e32 v62, v74
	v_mov_b32_e32 v100, v46
	;; [unrolled: 1-line block ×3, first 2 shown]
	scratch_store_dwordx4 off, v[68:71], off offset:900 ; 16-byte Folded Spill
	s_nop 0
	scratch_store_dwordx4 off, v[72:75], off offset:916 ; 16-byte Folded Spill
	scratch_store_dwordx4 off, v[76:79], off offset:932 ; 16-byte Folded Spill
	scratch_store_dwordx4 off, v[80:83], off offset:948 ; 16-byte Folded Spill
	scratch_store_dwordx4 off, v[84:87], off offset:964 ; 16-byte Folded Spill
	scratch_store_dwordx4 off, v[88:91], off offset:980 ; 16-byte Folded Spill
	scratch_store_dwordx4 off, v[92:95], off offset:996 ; 16-byte Folded Spill
	scratch_store_dwordx4 off, v[96:99], off offset:1012 ; 16-byte Folded Spill
	scratch_store_dwordx4 off, v[38:41], off offset:644 ; 16-byte Folded Spill
	s_nop 0
	scratch_store_dwordx4 off, v[42:45], off offset:660 ; 16-byte Folded Spill
	scratch_store_dwordx4 off, v[46:49], off offset:676 ; 16-byte Folded Spill
	scratch_store_dwordx4 off, v[50:53], off offset:692 ; 16-byte Folded Spill
	scratch_store_dwordx4 off, v[54:57], off offset:708 ; 16-byte Folded Spill
	scratch_store_dwordx4 off, v[58:61], off offset:724 ; 16-byte Folded Spill
	scratch_store_dwordx4 off, v[62:65], off offset:740 ; 16-byte Folded Spill
	scratch_store_dwordx4 off, v[66:69], off offset:756 ; 16-byte Folded Spill
	;; [unrolled: 9-line block ×3, first 2 shown]
	v_mov_b32_e32 v60, v192
	v_mov_b32_e32 v61, v193
	v_mov_b32_e32 v58, v96
	v_mov_b32_e32 v59, v97
	v_mov_b32_e32 v63, v47
	v_mov_b32_e32 v67, v145
	scratch_store_dwordx4 off, v[52:55], off offset:128 ; 16-byte Folded Spill
	s_nop 0
	scratch_store_dwordx4 off, v[56:59], off offset:144 ; 16-byte Folded Spill
	scratch_store_dwordx4 off, v[60:63], off offset:160 ; 16-byte Folded Spill
	;; [unrolled: 1-line block ×8, first 2 shown]
	s_nop 0
	scratch_store_dwordx4 off, v[4:7], off offset:272 ; 16-byte Folded Spill
	scratch_store_dwordx4 off, v[8:11], off offset:288 ; 16-byte Folded Spill
	;; [unrolled: 1-line block ×7, first 2 shown]
.LBB36_66:
	s_or_b64 exec, exec, s[0:1]
	v_lshl_add_u32 v37, v253, 2, v252
	s_waitcnt vmcnt(63) expcnt(7) lgkmcnt(15)
	s_barrier
	ds_write_b32 v37, v82
	s_waitcnt lgkmcnt(0)
	s_barrier
	ds_read_b32 v37, v252 offset:16
	s_cmp_lt_i32 s22, 6
	v_mov_b32_e32 v38, 4
	s_cbranch_scc1 .LBB36_69
; %bb.67:
	v_add3_u32 v39, v214, 0, 20
	v_mov_b32_e32 v38, 4
	s_mov_b32 s0, 5
.LBB36_68:                              ; =>This Inner Loop Header: Depth=1
	ds_read_b32 v40, v39
	v_mov_b32_e32 v41, s0
	s_add_i32 s0, s0, 1
	v_add_u32_e32 v39, 4, v39
	s_cmp_lg_u32 s22, s0
	s_waitcnt lgkmcnt(0)
	v_cmp_lt_f32_e64 vcc, |v37|, |v40|
	s_nop 1
	v_cndmask_b32_e32 v37, v37, v40, vcc
	v_cndmask_b32_e32 v38, v38, v41, vcc
	s_cbranch_scc1 .LBB36_68
.LBB36_69:
	s_waitcnt lgkmcnt(0)
	v_cmp_eq_f32_e32 vcc, 0, v37
	s_and_saveexec_b64 s[0:1], vcc
	s_xor_b64 s[0:1], exec, s[0:1]
; %bb.70:
	v_cmp_ne_u32_e32 vcc, 0, v181
	s_nop 1
	v_cndmask_b32_e32 v181, 5, v181, vcc
; %bb.71:
	s_andn2_saveexec_b64 s[0:1], s[0:1]
	s_cbranch_execz .LBB36_73
; %bb.72:
	v_div_scale_f32 v39, s[2:3], v37, v37, 1.0
	v_rcp_f32_e32 v40, v39
	v_div_scale_f32 v41, vcc, 1.0, v37, 1.0
	v_fma_f32 v42, -v39, v40, 1.0
	v_fmac_f32_e32 v40, v42, v40
	v_mul_f32_e32 v42, v41, v40
	v_fma_f32 v43, -v39, v42, v41
	v_fmac_f32_e32 v42, v43, v40
	v_fma_f32 v39, -v39, v42, v41
	v_div_fmas_f32 v39, v39, v40, v42
	v_div_fixup_f32 v37, v39, v37, 1.0
.LBB36_73:
	s_or_b64 exec, exec, s[0:1]
	v_cmp_ne_u32_e32 vcc, v253, v38
	s_and_saveexec_b64 s[0:1], vcc
	s_xor_b64 s[0:1], exec, s[0:1]
	s_cbranch_execz .LBB36_79
; %bb.74:
	v_cmp_eq_u32_e32 vcc, 4, v253
	s_and_saveexec_b64 s[2:3], vcc
	s_cbranch_execz .LBB36_78
; %bb.75:
	v_cmp_ne_u32_e32 vcc, 4, v38
	s_xor_b64 s[18:19], s[16:17], -1
	s_and_b64 s[20:21], s[18:19], vcc
	s_and_saveexec_b64 s[18:19], s[20:21]
	s_cbranch_execz .LBB36_77
; %bb.76:
	scratch_load_dwordx2 v[44:45], off, off offset:1156 ; 8-byte Folded Reload
	v_ashrrev_i32_e32 v39, 31, v38
	s_waitcnt vmcnt(0)
	v_lshl_add_u64 v[40:41], v[38:39], 2, v[44:45]
	global_load_dword v39, v[40:41], off
	global_load_dword v42, v[44:45], off offset:16
	s_waitcnt vmcnt(1)
	global_store_dword v[44:45], v39, off offset:16
	s_waitcnt vmcnt(1)
	global_store_dword v[40:41], v42, off
.LBB36_77:
	s_or_b64 exec, exec, s[18:19]
	v_mov_b32_e32 v0, v38
	v_mov_b32_e32 v253, v38
	scratch_store_dword off, v0, off offset:512 ; 4-byte Folded Spill
.LBB36_78:
	s_or_b64 exec, exec, s[2:3]
.LBB36_79:
	s_andn2_saveexec_b64 s[0:1], s[0:1]
	s_cbranch_execz .LBB36_81
; %bb.80:
	scratch_load_dwordx4 v[0:3], off, off   ; 16-byte Folded Reload
	scratch_load_dwordx4 v[4:7], off, off offset:16 ; 16-byte Folded Reload
	scratch_load_dwordx4 v[8:11], off, off offset:32 ; 16-byte Folded Reload
	;; [unrolled: 1-line block ×7, first 2 shown]
	v_mov_b32_e32 v253, 4
	s_waitcnt vmcnt(6)
	ds_write2_b32 v252, v5, v6 offset0:5 offset1:6
	s_waitcnt vmcnt(5)
	ds_write2_b32 v252, v7, v8 offset0:7 offset1:8
	ds_write2_b32 v252, v9, v10 offset0:9 offset1:10
	s_waitcnt vmcnt(4)
	ds_write2_b32 v252, v11, v12 offset0:11 offset1:12
	;; [unrolled: 3-line block ×3, first 2 shown]
	ds_write2_b32 v252, v17, v18 offset0:17 offset1:18
.LBB36_81:
	s_or_b64 exec, exec, s[0:1]
	v_cmp_lt_i32_e32 vcc, 4, v253
	s_waitcnt lgkmcnt(0)
	s_barrier
	s_and_saveexec_b64 s[0:1], vcc
	s_cbranch_execz .LBB36_83
; %bb.82:
	scratch_load_dwordx4 v[0:3], off, off offset:1420 ; 16-byte Folded Reload
	scratch_load_dwordx4 v[4:7], off, off offset:1436 ; 16-byte Folded Reload
	;; [unrolled: 1-line block ×8, first 2 shown]
	v_mul_f32_e32 v56, v82, v37
	v_mov_b32_e32 v186, v56
	s_waitcnt vmcnt(14)
	v_mov_b32_e32 v222, v56
	v_mov_b32_e32 v88, v56
	;; [unrolled: 1-line block ×4, first 2 shown]
	s_waitcnt vmcnt(7)
	v_mov_b64_e32 v[54:55], v[2:3]
	v_mov_b64_e32 v[52:53], v[0:1]
	ds_read2_b32 v[0:1], v252 offset0:5 offset1:6
	scratch_load_dwordx4 v[20:23], off, off ; 16-byte Folded Reload
	scratch_load_dwordx4 v[24:27], off, off offset:16 ; 16-byte Folded Reload
	scratch_load_dwordx4 v[28:31], off, off offset:32 ; 16-byte Folded Reload
	;; [unrolled: 1-line block ×7, first 2 shown]
	v_mov_b32_e32 v182, v52
	v_mov_b32_e32 v183, v53
	;; [unrolled: 1-line block ×20, first 2 shown]
	s_waitcnt vmcnt(3)
	v_mov_b32_e32 v5, v25
	v_mov_b32_e32 v6, v26
	;; [unrolled: 1-line block ×3, first 2 shown]
	ds_read2_b32 v[4:5], v252 offset0:7 offset1:8
	ds_read2_b32 v[20:21], v252 offset0:9 offset1:10
	ds_read2_b32 v[22:23], v252 offset0:11 offset1:12
	v_mov_b32_e32 v7, v27
	v_mov_b32_e32 v8, v28
	v_mov_b32_e32 v17, v37
	v_mov_b32_e32 v3, v6
	v_mov_b32_e32 v9, v29
	v_mov_b32_e32 v10, v30
	v_mov_b32_e32 v18, v38
	s_waitcnt lgkmcnt(3)
	v_pk_fma_f32 v[38:39], v[56:57], v[0:1], v[2:3] op_sel_hi:[0,1,1] neg_lo:[1,0,0] neg_hi:[1,0,0]
	v_mov_b32_e32 v0, v7
	v_mov_b32_e32 v1, v8
	;; [unrolled: 1-line block ×4, first 2 shown]
	s_waitcnt vmcnt(2) lgkmcnt(2)
	v_pk_fma_f32 v[40:41], v[56:57], v[4:5], v[0:1] op_sel_hi:[0,1,1] neg_lo:[1,0,0] neg_hi:[1,0,0]
	v_mov_b32_e32 v0, v9
	v_mov_b32_e32 v1, v10
	s_waitcnt lgkmcnt(1)
	v_pk_fma_f32 v[42:43], v[56:57], v[20:21], v[0:1] op_sel_hi:[0,1,1] neg_lo:[1,0,0] neg_hi:[1,0,0]
	v_mov_b32_e32 v0, v11
	v_mov_b32_e32 v1, v12
	s_waitcnt vmcnt(1) lgkmcnt(0)
	v_pk_fma_f32 v[44:45], v[56:57], v[22:23], v[0:1] op_sel_hi:[0,1,1] neg_lo:[1,0,0] neg_hi:[1,0,0]
	ds_read2_b32 v[0:1], v252 offset0:13 offset1:14
	ds_read2_b32 v[4:5], v252 offset0:15 offset1:16
	;; [unrolled: 1-line block ×3, first 2 shown]
	v_mov_b32_e32 v13, v33
	v_mov_b32_e32 v14, v34
	;; [unrolled: 1-line block ×6, first 2 shown]
	s_waitcnt lgkmcnt(2)
	v_pk_fma_f32 v[46:47], v[56:57], v[0:1], v[2:3] op_sel_hi:[0,1,1] neg_lo:[1,0,0] neg_hi:[1,0,0]
	v_mov_b32_e32 v0, v15
	v_mov_b32_e32 v1, v16
	s_waitcnt vmcnt(0) lgkmcnt(1)
	v_pk_fma_f32 v[48:49], v[56:57], v[4:5], v[0:1] op_sel_hi:[0,1,1] neg_lo:[1,0,0] neg_hi:[1,0,0]
	v_mov_b32_e32 v0, v17
	v_mov_b32_e32 v1, v18
	s_waitcnt lgkmcnt(0)
	v_pk_fma_f32 v[254:255], v[56:57], v[6:7], v[0:1] op_sel_hi:[0,1,1] neg_lo:[1,0,0] neg_hi:[1,0,0]
	v_mov_b32_e32 v0, v52
	v_mov_b32_e32 v1, v53
	;; [unrolled: 1-line block ×7, first 2 shown]
	scratch_store_dwordx4 off, v[0:3], off offset:900 ; 16-byte Folded Spill
	s_nop 0
	scratch_store_dwordx4 off, v[4:7], off offset:916 ; 16-byte Folded Spill
	scratch_store_dwordx4 off, v[8:11], off offset:932 ; 16-byte Folded Spill
	;; [unrolled: 1-line block ×7, first 2 shown]
	v_mov_b32_e32 v7, v40
	v_mov_b32_e32 v57, v38
	;; [unrolled: 1-line block ×39, first 2 shown]
	scratch_store_dwordx4 off, v[0:3], off offset:772 ; 16-byte Folded Spill
	s_nop 0
	scratch_store_dwordx4 off, v[4:7], off offset:788 ; 16-byte Folded Spill
	scratch_store_dwordx4 off, v[8:11], off offset:804 ; 16-byte Folded Spill
	;; [unrolled: 1-line block ×7, first 2 shown]
	v_mov_b32_e32 v8, v41
	v_mov_b32_e32 v159, v44
	;; [unrolled: 1-line block ×9, first 2 shown]
	scratch_store_dwordx4 off, v[0:3], off offset:644 ; 16-byte Folded Spill
	s_nop 0
	scratch_store_dwordx4 off, v[4:7], off offset:660 ; 16-byte Folded Spill
	scratch_store_dwordx4 off, v[8:11], off offset:676 ; 16-byte Folded Spill
	;; [unrolled: 1-line block ×7, first 2 shown]
	v_mov_b32_e32 v5, v38
	v_mov_b32_e32 v6, v39
	v_mov_b32_e32 v7, v40
	v_mov_b32_e32 v9, v42
	scratch_store_dwordx4 off, v[0:3], off offset:516 ; 16-byte Folded Spill
	s_nop 0
	scratch_store_dwordx4 off, v[4:7], off offset:532 ; 16-byte Folded Spill
	scratch_store_dwordx4 off, v[8:11], off offset:548 ; 16-byte Folded Spill
	;; [unrolled: 1-line block ×7, first 2 shown]
	v_mov_b32_e32 v5, v38
	v_mov_b32_e32 v6, v39
	;; [unrolled: 1-line block ×9, first 2 shown]
	scratch_store_dwordx4 off, v[0:3], off offset:384 ; 16-byte Folded Spill
	s_nop 0
	scratch_store_dwordx4 off, v[4:7], off offset:400 ; 16-byte Folded Spill
	scratch_store_dwordx4 off, v[8:11], off offset:416 ; 16-byte Folded Spill
	;; [unrolled: 1-line block ×7, first 2 shown]
	v_mov_b32_e32 v5, v38
	v_mov_b32_e32 v6, v39
	;; [unrolled: 1-line block ×11, first 2 shown]
	scratch_store_dwordx4 off, v[0:3], off offset:256 ; 16-byte Folded Spill
	s_nop 0
	scratch_store_dwordx4 off, v[4:7], off offset:272 ; 16-byte Folded Spill
	scratch_store_dwordx4 off, v[8:11], off offset:288 ; 16-byte Folded Spill
	;; [unrolled: 1-line block ×7, first 2 shown]
	v_mov_b32_e32 v5, v38
	v_mov_b32_e32 v6, v39
	v_mov_b32_e32 v7, v40
	v_mov_b32_e32 v8, v41
	v_mov_b32_e32 v9, v42
	v_mov_b32_e32 v10, v43
	v_mov_b32_e32 v11, v44
	v_mov_b32_e32 v12, v45
	v_mov_b32_e32 v13, v46
	v_mov_b32_e32 v14, v47
	v_mov_b32_e32 v15, v48
	v_mov_b32_e32 v17, v254
	v_mov_b32_e32 v18, v255
	scratch_store_dwordx4 off, v[0:3], off  ; 16-byte Folded Spill
	s_nop 0
	scratch_store_dwordx4 off, v[4:7], off offset:16 ; 16-byte Folded Spill
	scratch_store_dwordx4 off, v[8:11], off offset:32 ; 16-byte Folded Spill
	scratch_store_dwordx4 off, v[12:15], off offset:48 ; 16-byte Folded Spill
	scratch_store_dwordx4 off, v[16:19], off offset:64 ; 16-byte Folded Spill
	scratch_store_dwordx4 off, v[20:23], off offset:80 ; 16-byte Folded Spill
	scratch_store_dwordx4 off, v[24:27], off offset:96 ; 16-byte Folded Spill
	scratch_store_dwordx4 off, v[28:31], off offset:112 ; 16-byte Folded Spill
	scratch_store_dwordx4 off, v[52:55], off offset:1028 ; 16-byte Folded Spill
	s_nop 0
	scratch_store_dwordx4 off, v[56:59], off offset:1044 ; 16-byte Folded Spill
	scratch_store_dwordx4 off, v[60:63], off offset:1060 ; 16-byte Folded Spill
	;; [unrolled: 1-line block ×8, first 2 shown]
	s_nop 0
	scratch_store_dwordx4 off, v[56:59], off offset:1180 ; 16-byte Folded Spill
	scratch_store_dwordx4 off, v[60:63], off offset:1196 ; 16-byte Folded Spill
	;; [unrolled: 1-line block ×7, first 2 shown]
	v_mov_b32_e32 v62, v39
	v_mov_b32_e32 v75, v40
	;; [unrolled: 1-line block ×7, first 2 shown]
	scratch_store_dwordx4 off, v[22:25], off offset:128 ; 16-byte Folded Spill
	s_nop 0
	scratch_store_dwordx4 off, v[26:29], off offset:144 ; 16-byte Folded Spill
	scratch_store_dwordx4 off, v[30:33], off offset:160 ; 16-byte Folded Spill
	scratch_store_dwordx4 off, v[34:37], off offset:176 ; 16-byte Folded Spill
	scratch_store_dwordx4 off, v[38:41], off offset:192 ; 16-byte Folded Spill
	scratch_store_dwordx4 off, v[42:45], off offset:208 ; 16-byte Folded Spill
	scratch_store_dwordx4 off, v[46:49], off offset:224 ; 16-byte Folded Spill
	scratch_store_dwordx4 off, v[50:53], off offset:240 ; 16-byte Folded Spill
	v_mov_b32_e32 v180, v49
.LBB36_83:
	s_or_b64 exec, exec, s[0:1]
	v_lshl_add_u32 v37, v253, 2, v252
	s_waitcnt vmcnt(63) expcnt(7) lgkmcnt(15)
	s_barrier
	ds_write_b32 v37, v215
	s_waitcnt lgkmcnt(0)
	s_barrier
	ds_read_b32 v37, v252 offset:20
	s_cmp_lt_i32 s22, 7
	v_mov_b32_e32 v38, 5
	s_cbranch_scc1 .LBB36_86
; %bb.84:
	v_add3_u32 v39, v214, 0, 24
	v_mov_b32_e32 v38, 5
	s_mov_b32 s0, 6
.LBB36_85:                              ; =>This Inner Loop Header: Depth=1
	ds_read_b32 v40, v39
	v_mov_b32_e32 v41, s0
	s_add_i32 s0, s0, 1
	v_add_u32_e32 v39, 4, v39
	s_cmp_lg_u32 s22, s0
	s_waitcnt lgkmcnt(0)
	v_cmp_lt_f32_e64 vcc, |v37|, |v40|
	s_nop 1
	v_cndmask_b32_e32 v37, v37, v40, vcc
	v_cndmask_b32_e32 v38, v38, v41, vcc
	s_cbranch_scc1 .LBB36_85
.LBB36_86:
	s_waitcnt lgkmcnt(0)
	v_cmp_eq_f32_e32 vcc, 0, v37
	s_and_saveexec_b64 s[0:1], vcc
	s_xor_b64 s[0:1], exec, s[0:1]
; %bb.87:
	v_cmp_ne_u32_e32 vcc, 0, v181
	s_nop 1
	v_cndmask_b32_e32 v181, 6, v181, vcc
; %bb.88:
	s_andn2_saveexec_b64 s[0:1], s[0:1]
	s_cbranch_execz .LBB36_90
; %bb.89:
	v_div_scale_f32 v39, s[2:3], v37, v37, 1.0
	v_rcp_f32_e32 v40, v39
	v_div_scale_f32 v41, vcc, 1.0, v37, 1.0
	v_fma_f32 v42, -v39, v40, 1.0
	v_fmac_f32_e32 v40, v42, v40
	v_mul_f32_e32 v42, v41, v40
	v_fma_f32 v43, -v39, v42, v41
	v_fmac_f32_e32 v42, v43, v40
	v_fma_f32 v39, -v39, v42, v41
	v_div_fmas_f32 v39, v39, v40, v42
	v_div_fixup_f32 v37, v39, v37, 1.0
.LBB36_90:
	s_or_b64 exec, exec, s[0:1]
	v_cmp_ne_u32_e32 vcc, v253, v38
	s_and_saveexec_b64 s[0:1], vcc
	s_xor_b64 s[0:1], exec, s[0:1]
	s_cbranch_execz .LBB36_96
; %bb.91:
	v_cmp_eq_u32_e32 vcc, 5, v253
	s_and_saveexec_b64 s[2:3], vcc
	s_cbranch_execz .LBB36_95
; %bb.92:
	v_cmp_ne_u32_e32 vcc, 5, v38
	s_xor_b64 s[18:19], s[16:17], -1
	s_and_b64 s[20:21], s[18:19], vcc
	s_and_saveexec_b64 s[18:19], s[20:21]
	s_cbranch_execz .LBB36_94
; %bb.93:
	scratch_load_dwordx2 v[44:45], off, off offset:1156 ; 8-byte Folded Reload
	v_ashrrev_i32_e32 v39, 31, v38
	s_waitcnt vmcnt(0)
	v_lshl_add_u64 v[40:41], v[38:39], 2, v[44:45]
	global_load_dword v39, v[40:41], off
	global_load_dword v42, v[44:45], off offset:20
	s_waitcnt vmcnt(1)
	global_store_dword v[44:45], v39, off offset:20
	s_waitcnt vmcnt(1)
	global_store_dword v[40:41], v42, off
.LBB36_94:
	s_or_b64 exec, exec, s[18:19]
	v_mov_b32_e32 v0, v38
	v_mov_b32_e32 v253, v38
	scratch_store_dword off, v0, off offset:512 ; 4-byte Folded Spill
.LBB36_95:
	s_or_b64 exec, exec, s[2:3]
.LBB36_96:
	s_andn2_saveexec_b64 s[0:1], s[0:1]
	s_cbranch_execz .LBB36_98
; %bb.97:
	scratch_load_dwordx4 v[0:3], off, off   ; 16-byte Folded Reload
	scratch_load_dwordx4 v[4:7], off, off offset:16 ; 16-byte Folded Reload
	scratch_load_dwordx4 v[8:11], off, off offset:32 ; 16-byte Folded Reload
	;; [unrolled: 1-line block ×7, first 2 shown]
	v_mov_b32_e32 v253, 5
	s_waitcnt vmcnt(6)
	ds_write2_b32 v252, v6, v7 offset0:6 offset1:7
	s_waitcnt vmcnt(5)
	ds_write2_b32 v252, v8, v9 offset0:8 offset1:9
	ds_write2_b32 v252, v10, v11 offset0:10 offset1:11
	s_waitcnt vmcnt(4)
	ds_write2_b32 v252, v12, v13 offset0:12 offset1:13
	;; [unrolled: 3-line block ×3, first 2 shown]
	ds_write_b32 v252, v255 offset:72
.LBB36_98:
	s_or_b64 exec, exec, s[0:1]
	v_cmp_lt_i32_e32 vcc, 5, v253
	s_waitcnt lgkmcnt(0)
	s_barrier
	s_and_saveexec_b64 s[0:1], vcc
	s_cbranch_execz .LBB36_100
; %bb.99:
	ds_read2_b32 v[0:1], v252 offset0:6 offset1:7
	ds_read2_b32 v[2:3], v252 offset0:8 offset1:9
	v_mul_f32_e32 v4, v215, v37
	s_waitcnt vmcnt(2)
	ds_read2_b32 v[20:21], v252 offset0:10 offset1:11
	ds_read2_b32 v[22:23], v252 offset0:12 offset1:13
	scratch_load_dwordx4 v[24:27], off, off ; 16-byte Folded Reload
	scratch_load_dwordx4 v[28:31], off, off offset:16 ; 16-byte Folded Reload
	scratch_load_dwordx4 v[32:35], off, off offset:32 ; 16-byte Folded Reload
	scratch_load_dwordx4 v[36:39], off, off offset:48 ; 16-byte Folded Reload
	scratch_load_dwordx4 v[40:43], off, off offset:64 ; 16-byte Folded Reload
	scratch_load_dwordx4 v[44:47], off, off offset:80 ; 16-byte Folded Reload
	scratch_load_dwordx4 v[48:51], off, off offset:96 ; 16-byte Folded Reload
	scratch_load_dwordx4 v[52:55], off, off offset:112 ; 16-byte Folded Reload
	v_mov_b32_e32 v81, v4
	v_mov_b32_e32 v89, v4
	;; [unrolled: 1-line block ×3, first 2 shown]
	s_waitcnt vmcnt(3)
	v_mov_b32_e32 v43, v4
	v_mov_b32_e32 v187, v4
	;; [unrolled: 1-line block ×5, first 2 shown]
	v_mov_b64_e32 v[6:7], v[30:31]
	v_mov_b64_e32 v[8:9], v[32:33]
	;; [unrolled: 1-line block ×4, first 2 shown]
	s_waitcnt lgkmcnt(3)
	v_pk_fma_f32 v[74:75], v[4:5], v[0:1], v[6:7] op_sel_hi:[0,1,1] neg_lo:[1,0,0] neg_hi:[1,0,0]
	s_waitcnt vmcnt(2) lgkmcnt(2)
	v_pk_fma_f32 v[46:47], v[4:5], v[2:3], v[8:9] op_sel_hi:[0,1,1] neg_lo:[1,0,0] neg_hi:[1,0,0]
	ds_read2_b32 v[0:1], v252 offset0:14 offset1:15
	ds_read2_b32 v[2:3], v252 offset0:16 offset1:17
	s_waitcnt lgkmcnt(3)
	v_pk_fma_f32 v[192:193], v[4:5], v[20:21], v[10:11] op_sel_hi:[0,1,1] neg_lo:[1,0,0] neg_hi:[1,0,0]
	s_waitcnt lgkmcnt(2)
	v_pk_fma_f32 v[96:97], v[4:5], v[22:23], v[12:13] op_sel_hi:[0,1,1] neg_lo:[1,0,0] neg_hi:[1,0,0]
	ds_read_b32 v5, v252 offset:72
	scratch_load_dwordx4 v[98:101], off, off offset:1164 ; 16-byte Folded Reload
	scratch_load_dwordx4 v[102:105], off, off offset:1180 ; 16-byte Folded Reload
	;; [unrolled: 1-line block ×8, first 2 shown]
	v_mov_b64_e32 v[16:17], v[40:41]
	v_mov_b64_e32 v[14:15], v[38:39]
	v_mov_b32_e32 v11, v4
	s_waitcnt lgkmcnt(0)
	v_pk_fma_f32 v[36:37], v[4:5], v[2:3], v[16:17] op_sel_hi:[0,1,1] neg_lo:[1,0,0] neg_hi:[1,0,0]
	v_mov_b32_e32 v12, v74
	v_mov_b32_e32 v13, v75
	v_pk_fma_f32 v[144:145], v[4:5], v[0:1], v[14:15] op_sel_hi:[0,1,1] neg_lo:[1,0,0] neg_hi:[1,0,0]
	v_mov_b32_e32 v90, v74
	v_mov_b32_e32 v91, v75
	;; [unrolled: 1-line block ×6, first 2 shown]
	s_waitcnt vmcnt(2)
	v_mov_b32_e32 v121, v4
	s_waitcnt vmcnt(0)
	v_mov_b32_e32 v128, v96
	v_mov_b32_e32 v129, v97
	;; [unrolled: 1-line block ×50, first 2 shown]
	scratch_store_dwordx4 off, v[6:9], off offset:772 ; 16-byte Folded Spill
	s_nop 0
	scratch_store_dwordx4 off, v[10:13], off offset:788 ; 16-byte Folded Spill
	scratch_store_dwordx4 off, v[14:17], off offset:804 ; 16-byte Folded Spill
	;; [unrolled: 1-line block ×7, first 2 shown]
	v_mov_b32_e32 v6, v76
	v_mov_b32_e32 v7, v77
	;; [unrolled: 1-line block ×53, first 2 shown]
	scratch_store_dwordx4 off, v[6:9], off offset:516 ; 16-byte Folded Spill
	s_nop 0
	scratch_store_dwordx4 off, v[10:13], off offset:532 ; 16-byte Folded Spill
	scratch_store_dwordx4 off, v[14:17], off offset:548 ; 16-byte Folded Spill
	;; [unrolled: 1-line block ×7, first 2 shown]
	v_mov_b32_e32 v25, v4
	v_fma_f32 v18, -v4, v5, v255
	v_mov_b32_e32 v5, v4
	v_mov_b32_e32 v20, v76
	;; [unrolled: 1-line block ×11, first 2 shown]
	scratch_store_dwordx4 off, v[76:79], off offset:1028 ; 16-byte Folded Spill
	s_nop 0
	scratch_store_dwordx4 off, v[80:83], off offset:1044 ; 16-byte Folded Spill
	scratch_store_dwordx4 off, v[84:87], off offset:1060 ; 16-byte Folded Spill
	;; [unrolled: 1-line block ×7, first 2 shown]
	v_mov_b32_e32 v14, v144
	v_mov_b32_e32 v15, v145
	v_mov_b32_e32 v6, v74
	v_mov_b32_e32 v7, v75
	v_mov_b32_e32 v8, v46
	v_mov_b32_e32 v9, v47
	v_mov_b32_e32 v10, v192
	v_mov_b32_e32 v11, v193
	v_mov_b64_e32 v[208:209], v[14:15]
	v_mov_b64_e32 v[206:207], v[12:13]
	;; [unrolled: 1-line block ×8, first 2 shown]
	v_mov_b32_e32 v26, v74
	v_mov_b32_e32 v27, v75
	;; [unrolled: 1-line block ×9, first 2 shown]
	v_mov_b64_e32 v[0:1], v[20:21]
	v_mov_b32_e32 v255, v18
	v_mov_b64_e32 v[2:3], v[22:23]
	v_mov_b64_e32 v[4:5], v[24:25]
	;; [unrolled: 1-line block ×7, first 2 shown]
	v_mov_b32_e32 v16, v36
	v_mov_b32_e32 v17, v37
	;; [unrolled: 1-line block ×5, first 2 shown]
	scratch_store_dwordx4 off, v[194:197], off ; 16-byte Folded Spill
	s_nop 0
	scratch_store_dwordx4 off, v[198:201], off offset:16 ; 16-byte Folded Spill
	scratch_store_dwordx4 off, v[202:205], off offset:32 ; 16-byte Folded Spill
	;; [unrolled: 1-line block ×8, first 2 shown]
	s_nop 0
	scratch_store_dwordx4 off, v[72:75], off offset:916 ; 16-byte Folded Spill
	scratch_store_dwordx4 off, v[76:79], off offset:932 ; 16-byte Folded Spill
	;; [unrolled: 1-line block ×7, first 2 shown]
	v_mov_b32_e32 v254, v37
	v_mov_b32_e32 v180, v36
	scratch_store_dwordx4 off, v[38:41], off offset:644 ; 16-byte Folded Spill
	s_nop 0
	scratch_store_dwordx4 off, v[42:45], off offset:660 ; 16-byte Folded Spill
	scratch_store_dwordx4 off, v[46:49], off offset:676 ; 16-byte Folded Spill
	scratch_store_dwordx4 off, v[50:53], off offset:692 ; 16-byte Folded Spill
	scratch_store_dwordx4 off, v[54:57], off offset:708 ; 16-byte Folded Spill
	scratch_store_dwordx4 off, v[58:61], off offset:724 ; 16-byte Folded Spill
	scratch_store_dwordx4 off, v[62:65], off offset:740 ; 16-byte Folded Spill
	scratch_store_dwordx4 off, v[66:69], off offset:756 ; 16-byte Folded Spill
	scratch_store_dwordx4 off, v[130:133], off offset:384 ; 16-byte Folded Spill
	s_nop 0
	scratch_store_dwordx4 off, v[134:137], off offset:400 ; 16-byte Folded Spill
	scratch_store_dwordx4 off, v[138:141], off offset:416 ; 16-byte Folded Spill
	;; [unrolled: 1-line block ×7, first 2 shown]
	v_mov_b32_e32 v60, v192
	v_mov_b32_e32 v61, v193
	;; [unrolled: 1-line block ×6, first 2 shown]
	scratch_store_dwordx4 off, v[52:55], off offset:128 ; 16-byte Folded Spill
	s_nop 0
	scratch_store_dwordx4 off, v[56:59], off offset:144 ; 16-byte Folded Spill
	scratch_store_dwordx4 off, v[60:63], off offset:160 ; 16-byte Folded Spill
	;; [unrolled: 1-line block ×8, first 2 shown]
	s_nop 0
	scratch_store_dwordx4 off, v[4:7], off offset:272 ; 16-byte Folded Spill
	scratch_store_dwordx4 off, v[8:11], off offset:288 ; 16-byte Folded Spill
	;; [unrolled: 1-line block ×7, first 2 shown]
.LBB36_100:
	s_or_b64 exec, exec, s[0:1]
	v_lshl_add_u32 v37, v253, 2, v252
	s_waitcnt vmcnt(63) expcnt(7) lgkmcnt(15)
	s_barrier
	ds_write_b32 v37, v62
	s_waitcnt lgkmcnt(0)
	s_barrier
	ds_read_b32 v37, v252 offset:24
	s_cmp_lt_i32 s22, 8
	v_mov_b32_e32 v38, 6
	s_cbranch_scc1 .LBB36_103
; %bb.101:
	v_add3_u32 v39, v214, 0, 28
	v_mov_b32_e32 v38, 6
	s_mov_b32 s0, 7
.LBB36_102:                             ; =>This Inner Loop Header: Depth=1
	ds_read_b32 v40, v39
	v_mov_b32_e32 v41, s0
	s_add_i32 s0, s0, 1
	v_add_u32_e32 v39, 4, v39
	s_cmp_lg_u32 s22, s0
	s_waitcnt lgkmcnt(0)
	v_cmp_lt_f32_e64 vcc, |v37|, |v40|
	s_nop 1
	v_cndmask_b32_e32 v37, v37, v40, vcc
	v_cndmask_b32_e32 v38, v38, v41, vcc
	s_cbranch_scc1 .LBB36_102
.LBB36_103:
	s_waitcnt lgkmcnt(0)
	v_cmp_eq_f32_e32 vcc, 0, v37
	s_and_saveexec_b64 s[0:1], vcc
	s_xor_b64 s[0:1], exec, s[0:1]
; %bb.104:
	v_cmp_ne_u32_e32 vcc, 0, v181
	s_nop 1
	v_cndmask_b32_e32 v181, 7, v181, vcc
; %bb.105:
	s_andn2_saveexec_b64 s[0:1], s[0:1]
	s_cbranch_execz .LBB36_107
; %bb.106:
	v_div_scale_f32 v39, s[2:3], v37, v37, 1.0
	v_rcp_f32_e32 v40, v39
	v_div_scale_f32 v41, vcc, 1.0, v37, 1.0
	v_fma_f32 v42, -v39, v40, 1.0
	v_fmac_f32_e32 v40, v42, v40
	v_mul_f32_e32 v42, v41, v40
	v_fma_f32 v43, -v39, v42, v41
	v_fmac_f32_e32 v42, v43, v40
	v_fma_f32 v39, -v39, v42, v41
	v_div_fmas_f32 v39, v39, v40, v42
	v_div_fixup_f32 v37, v39, v37, 1.0
.LBB36_107:
	s_or_b64 exec, exec, s[0:1]
	v_cmp_ne_u32_e32 vcc, v253, v38
	s_and_saveexec_b64 s[0:1], vcc
	s_xor_b64 s[0:1], exec, s[0:1]
	s_cbranch_execz .LBB36_113
; %bb.108:
	v_cmp_eq_u32_e32 vcc, 6, v253
	s_and_saveexec_b64 s[2:3], vcc
	s_cbranch_execz .LBB36_112
; %bb.109:
	v_cmp_ne_u32_e32 vcc, 6, v38
	s_xor_b64 s[18:19], s[16:17], -1
	s_and_b64 s[20:21], s[18:19], vcc
	s_and_saveexec_b64 s[18:19], s[20:21]
	s_cbranch_execz .LBB36_111
; %bb.110:
	scratch_load_dwordx2 v[44:45], off, off offset:1156 ; 8-byte Folded Reload
	v_ashrrev_i32_e32 v39, 31, v38
	s_waitcnt vmcnt(0)
	v_lshl_add_u64 v[40:41], v[38:39], 2, v[44:45]
	global_load_dword v39, v[40:41], off
	global_load_dword v42, v[44:45], off offset:24
	s_waitcnt vmcnt(1)
	global_store_dword v[44:45], v39, off offset:24
	s_waitcnt vmcnt(1)
	global_store_dword v[40:41], v42, off
.LBB36_111:
	s_or_b64 exec, exec, s[18:19]
	v_mov_b32_e32 v0, v38
	v_mov_b32_e32 v253, v38
	scratch_store_dword off, v0, off offset:512 ; 4-byte Folded Spill
.LBB36_112:
	s_or_b64 exec, exec, s[2:3]
.LBB36_113:
	s_andn2_saveexec_b64 s[0:1], s[0:1]
	s_cbranch_execz .LBB36_115
; %bb.114:
	scratch_load_dwordx4 v[0:3], off, off   ; 16-byte Folded Reload
	scratch_load_dwordx4 v[4:7], off, off offset:16 ; 16-byte Folded Reload
	scratch_load_dwordx4 v[8:11], off, off offset:32 ; 16-byte Folded Reload
	;; [unrolled: 1-line block ×7, first 2 shown]
	v_mov_b32_e32 v253, 6
	s_waitcnt vmcnt(5)
	ds_write2_b32 v252, v7, v8 offset0:7 offset1:8
	ds_write2_b32 v252, v9, v10 offset0:9 offset1:10
	s_waitcnt vmcnt(4)
	ds_write2_b32 v252, v11, v12 offset0:11 offset1:12
	ds_write2_b32 v252, v13, v14 offset0:13 offset1:14
	;; [unrolled: 3-line block ×3, first 2 shown]
.LBB36_115:
	s_or_b64 exec, exec, s[0:1]
	v_cmp_lt_i32_e32 vcc, 6, v253
	s_waitcnt lgkmcnt(0)
	s_barrier
	s_and_saveexec_b64 s[0:1], vcc
	s_cbranch_execz .LBB36_117
; %bb.116:
	scratch_load_dwordx4 v[0:3], off, off offset:1028 ; 16-byte Folded Reload
	scratch_load_dwordx4 v[4:7], off, off offset:1044 ; 16-byte Folded Reload
	;; [unrolled: 1-line block ×8, first 2 shown]
	v_mul_f32_e32 v74, v62, v37
	v_mov_b32_e32 v90, v74
	v_mov_b32_e32 v188, v74
	s_waitcnt vmcnt(14)
	v_mov_b32_e32 v224, v74
	v_mov_b32_e32 v122, v74
	;; [unrolled: 1-line block ×3, first 2 shown]
	s_waitcnt vmcnt(6)
	v_mov_b64_e32 v[72:73], v[4:5]
	v_mov_b64_e32 v[70:71], v[2:3]
	;; [unrolled: 1-line block ×3, first 2 shown]
	ds_read2_b32 v[0:1], v252 offset0:7 offset1:8
	scratch_load_dwordx4 v[20:23], off, off ; 16-byte Folded Reload
	scratch_load_dwordx4 v[24:27], off, off offset:16 ; 16-byte Folded Reload
	scratch_load_dwordx4 v[28:31], off, off offset:32 ; 16-byte Folded Reload
	;; [unrolled: 1-line block ×7, first 2 shown]
	v_mov_b32_e32 v84, v68
	v_mov_b32_e32 v85, v69
	;; [unrolled: 1-line block ×30, first 2 shown]
	s_waitcnt vmcnt(3)
	v_mov_b32_e32 v7, v27
	v_mov_b32_e32 v8, v28
	;; [unrolled: 1-line block ×3, first 2 shown]
	ds_read2_b32 v[4:5], v252 offset0:9 offset1:10
	ds_read2_b32 v[6:7], v252 offset0:11 offset1:12
	;; [unrolled: 1-line block ×3, first 2 shown]
	v_mov_b32_e32 v9, v29
	v_mov_b32_e32 v10, v30
	;; [unrolled: 1-line block ×11, first 2 shown]
	s_waitcnt lgkmcnt(3)
	v_pk_fma_f32 v[38:39], v[74:75], v[0:1], v[2:3] op_sel_hi:[0,1,1] neg_lo:[1,0,0] neg_hi:[1,0,0]
	v_mov_b32_e32 v0, v9
	v_mov_b32_e32 v1, v10
	ds_read2_b32 v[2:3], v252 offset0:15 offset1:16
	s_waitcnt vmcnt(2) lgkmcnt(3)
	v_pk_fma_f32 v[40:41], v[74:75], v[4:5], v[0:1] op_sel_hi:[0,1,1] neg_lo:[1,0,0] neg_hi:[1,0,0]
	ds_read2_b32 v[4:5], v252 offset0:17 offset1:18
	v_mov_b32_e32 v0, v11
	v_mov_b32_e32 v1, v12
	s_waitcnt lgkmcnt(3)
	v_pk_fma_f32 v[42:43], v[74:75], v[6:7], v[0:1] op_sel_hi:[0,1,1] neg_lo:[1,0,0] neg_hi:[1,0,0]
	v_mov_b32_e32 v0, v13
	v_mov_b32_e32 v1, v14
	s_waitcnt vmcnt(1) lgkmcnt(2)
	v_pk_fma_f32 v[44:45], v[74:75], v[20:21], v[0:1] op_sel_hi:[0,1,1] neg_lo:[1,0,0] neg_hi:[1,0,0]
	v_mov_b32_e32 v0, v15
	v_mov_b32_e32 v1, v16
	s_waitcnt lgkmcnt(1)
	v_pk_fma_f32 v[46:47], v[74:75], v[2:3], v[0:1] op_sel_hi:[0,1,1] neg_lo:[1,0,0] neg_hi:[1,0,0]
	v_mov_b32_e32 v0, v17
	v_mov_b32_e32 v1, v18
	s_waitcnt lgkmcnt(0)
	v_pk_fma_f32 v[254:255], v[74:75], v[4:5], v[0:1] op_sel_hi:[0,1,1] neg_lo:[1,0,0] neg_hi:[1,0,0]
	v_mov_b32_e32 v0, v68
	v_mov_b32_e32 v1, v69
	;; [unrolled: 1-line block ×9, first 2 shown]
	scratch_store_dwordx4 off, v[0:3], off offset:644 ; 16-byte Folded Spill
	s_nop 0
	scratch_store_dwordx4 off, v[4:7], off offset:660 ; 16-byte Folded Spill
	scratch_store_dwordx4 off, v[8:11], off offset:676 ; 16-byte Folded Spill
	;; [unrolled: 1-line block ×7, first 2 shown]
	v_mov_b32_e32 v7, v38
	v_mov_b32_e32 v9, v40
	;; [unrolled: 1-line block ×37, first 2 shown]
	scratch_store_dwordx4 off, v[0:3], off offset:516 ; 16-byte Folded Spill
	s_nop 0
	scratch_store_dwordx4 off, v[4:7], off offset:532 ; 16-byte Folded Spill
	scratch_store_dwordx4 off, v[8:11], off offset:548 ; 16-byte Folded Spill
	;; [unrolled: 1-line block ×7, first 2 shown]
	v_mov_b32_e32 v7, v38
	v_mov_b32_e32 v8, v39
	;; [unrolled: 1-line block ×12, first 2 shown]
	scratch_store_dwordx4 off, v[0:3], off offset:384 ; 16-byte Folded Spill
	s_nop 0
	scratch_store_dwordx4 off, v[4:7], off offset:400 ; 16-byte Folded Spill
	scratch_store_dwordx4 off, v[8:11], off offset:416 ; 16-byte Folded Spill
	;; [unrolled: 1-line block ×7, first 2 shown]
	v_mov_b32_e32 v7, v38
	v_mov_b32_e32 v8, v39
	;; [unrolled: 1-line block ×9, first 2 shown]
	scratch_store_dwordx4 off, v[0:3], off offset:256 ; 16-byte Folded Spill
	s_nop 0
	scratch_store_dwordx4 off, v[4:7], off offset:272 ; 16-byte Folded Spill
	scratch_store_dwordx4 off, v[8:11], off offset:288 ; 16-byte Folded Spill
	;; [unrolled: 1-line block ×7, first 2 shown]
	v_mov_b32_e32 v7, v38
	v_mov_b32_e32 v8, v39
	;; [unrolled: 1-line block ×11, first 2 shown]
	scratch_store_dwordx4 off, v[0:3], off  ; 16-byte Folded Spill
	s_nop 0
	scratch_store_dwordx4 off, v[4:7], off offset:16 ; 16-byte Folded Spill
	scratch_store_dwordx4 off, v[8:11], off offset:32 ; 16-byte Folded Spill
	scratch_store_dwordx4 off, v[12:15], off offset:48 ; 16-byte Folded Spill
	scratch_store_dwordx4 off, v[16:19], off offset:64 ; 16-byte Folded Spill
	scratch_store_dwordx4 off, v[20:23], off offset:80 ; 16-byte Folded Spill
	scratch_store_dwordx4 off, v[24:27], off offset:96 ; 16-byte Folded Spill
	scratch_store_dwordx4 off, v[28:31], off offset:112 ; 16-byte Folded Spill
	scratch_store_dwordx4 off, v[68:71], off offset:772 ; 16-byte Folded Spill
	s_nop 0
	scratch_store_dwordx4 off, v[72:75], off offset:788 ; 16-byte Folded Spill
	scratch_store_dwordx4 off, v[76:79], off offset:804 ; 16-byte Folded Spill
	scratch_store_dwordx4 off, v[80:83], off offset:820 ; 16-byte Folded Spill
	scratch_store_dwordx4 off, v[84:87], off offset:836 ; 16-byte Folded Spill
	scratch_store_dwordx4 off, v[88:91], off offset:852 ; 16-byte Folded Spill
	scratch_store_dwordx4 off, v[92:95], off offset:868 ; 16-byte Folded Spill
	scratch_store_dwordx4 off, v[96:99], off offset:884 ; 16-byte Folded Spill
	scratch_store_dwordx4 off, v[68:71], off offset:900 ; 16-byte Folded Spill
	;; [unrolled: 9-line block ×3, first 2 shown]
	s_nop 0
	scratch_store_dwordx4 off, v[26:29], off offset:144 ; 16-byte Folded Spill
	scratch_store_dwordx4 off, v[30:33], off offset:160 ; 16-byte Folded Spill
	scratch_store_dwordx4 off, v[34:37], off offset:176 ; 16-byte Folded Spill
	scratch_store_dwordx4 off, v[38:41], off offset:192 ; 16-byte Folded Spill
	scratch_store_dwordx4 off, v[42:45], off offset:208 ; 16-byte Folded Spill
	s_waitcnt vmcnt(62)
	scratch_store_dwordx4 off, v[46:49], off offset:224 ; 16-byte Folded Spill
	scratch_store_dwordx4 off, v[50:53], off offset:240 ; 16-byte Folded Spill
	v_mov_b32_e32 v180, v47
.LBB36_117:
	s_or_b64 exec, exec, s[0:1]
	v_lshl_add_u32 v37, v253, 2, v252
	s_waitcnt vmcnt(63) expcnt(7) lgkmcnt(15)
	s_barrier
	ds_write_b32 v37, v75
	s_waitcnt lgkmcnt(0)
	s_barrier
	ds_read_b32 v37, v252 offset:28
	s_cmp_lt_i32 s22, 9
	v_mov_b32_e32 v38, 7
	s_cbranch_scc1 .LBB36_120
; %bb.118:
	v_add3_u32 v39, v214, 0, 32
	v_mov_b32_e32 v38, 7
	s_mov_b32 s0, 8
.LBB36_119:                             ; =>This Inner Loop Header: Depth=1
	ds_read_b32 v40, v39
	v_mov_b32_e32 v41, s0
	s_add_i32 s0, s0, 1
	v_add_u32_e32 v39, 4, v39
	s_cmp_lg_u32 s22, s0
	s_waitcnt lgkmcnt(0)
	v_cmp_lt_f32_e64 vcc, |v37|, |v40|
	s_nop 1
	v_cndmask_b32_e32 v37, v37, v40, vcc
	v_cndmask_b32_e32 v38, v38, v41, vcc
	s_cbranch_scc1 .LBB36_119
.LBB36_120:
	s_waitcnt lgkmcnt(0)
	v_cmp_eq_f32_e32 vcc, 0, v37
	s_and_saveexec_b64 s[0:1], vcc
	s_xor_b64 s[0:1], exec, s[0:1]
; %bb.121:
	v_cmp_ne_u32_e32 vcc, 0, v181
	s_nop 1
	v_cndmask_b32_e32 v181, 8, v181, vcc
; %bb.122:
	s_andn2_saveexec_b64 s[0:1], s[0:1]
	s_cbranch_execz .LBB36_124
; %bb.123:
	v_div_scale_f32 v39, s[2:3], v37, v37, 1.0
	v_rcp_f32_e32 v40, v39
	v_div_scale_f32 v41, vcc, 1.0, v37, 1.0
	v_fma_f32 v42, -v39, v40, 1.0
	v_fmac_f32_e32 v40, v42, v40
	v_mul_f32_e32 v42, v41, v40
	v_fma_f32 v43, -v39, v42, v41
	v_fmac_f32_e32 v42, v43, v40
	v_fma_f32 v39, -v39, v42, v41
	v_div_fmas_f32 v39, v39, v40, v42
	v_div_fixup_f32 v37, v39, v37, 1.0
.LBB36_124:
	s_or_b64 exec, exec, s[0:1]
	v_cmp_ne_u32_e32 vcc, v253, v38
	s_and_saveexec_b64 s[0:1], vcc
	s_xor_b64 s[0:1], exec, s[0:1]
	s_cbranch_execz .LBB36_130
; %bb.125:
	v_cmp_eq_u32_e32 vcc, 7, v253
	s_and_saveexec_b64 s[2:3], vcc
	s_cbranch_execz .LBB36_129
; %bb.126:
	v_cmp_ne_u32_e32 vcc, 7, v38
	s_xor_b64 s[18:19], s[16:17], -1
	s_and_b64 s[20:21], s[18:19], vcc
	s_and_saveexec_b64 s[18:19], s[20:21]
	s_cbranch_execz .LBB36_128
; %bb.127:
	scratch_load_dwordx2 v[44:45], off, off offset:1156 ; 8-byte Folded Reload
	v_ashrrev_i32_e32 v39, 31, v38
	s_waitcnt vmcnt(0)
	v_lshl_add_u64 v[40:41], v[38:39], 2, v[44:45]
	global_load_dword v39, v[40:41], off
	global_load_dword v42, v[44:45], off offset:28
	s_waitcnt vmcnt(1)
	global_store_dword v[44:45], v39, off offset:28
	s_waitcnt vmcnt(1)
	global_store_dword v[40:41], v42, off
.LBB36_128:
	s_or_b64 exec, exec, s[18:19]
	v_mov_b32_e32 v0, v38
	v_mov_b32_e32 v253, v38
	scratch_store_dword off, v0, off offset:512 ; 4-byte Folded Spill
.LBB36_129:
	s_or_b64 exec, exec, s[2:3]
.LBB36_130:
	s_andn2_saveexec_b64 s[0:1], s[0:1]
	s_cbranch_execz .LBB36_132
; %bb.131:
	scratch_load_dwordx4 v[0:3], off, off   ; 16-byte Folded Reload
	scratch_load_dwordx4 v[4:7], off, off offset:16 ; 16-byte Folded Reload
	scratch_load_dwordx4 v[8:11], off, off offset:32 ; 16-byte Folded Reload
	;; [unrolled: 1-line block ×7, first 2 shown]
	v_mov_b32_e32 v253, 7
	s_waitcnt vmcnt(5)
	ds_write2_b32 v252, v8, v9 offset0:8 offset1:9
	ds_write2_b32 v252, v10, v11 offset0:10 offset1:11
	s_waitcnt vmcnt(4)
	ds_write2_b32 v252, v12, v13 offset0:12 offset1:13
	ds_write2_b32 v252, v14, v15 offset0:14 offset1:15
	s_waitcnt vmcnt(3)
	ds_write2_b32 v252, v16, v17 offset0:16 offset1:17
	ds_write_b32 v252, v255 offset:72
.LBB36_132:
	s_or_b64 exec, exec, s[0:1]
	v_cmp_lt_i32_e32 vcc, 7, v253
	s_waitcnt lgkmcnt(0)
	s_barrier
	s_and_saveexec_b64 s[0:1], vcc
	s_cbranch_execz .LBB36_134
; %bb.133:
	ds_read2_b32 v[0:1], v252 offset0:8 offset1:9
	v_mul_f32_e32 v2, v75, v37
	ds_read2_b32 v[4:5], v252 offset0:10 offset1:11
	ds_read2_b32 v[6:7], v252 offset0:12 offset1:13
	s_waitcnt vmcnt(2)
	ds_read2_b32 v[20:21], v252 offset0:14 offset1:15
	scratch_load_dwordx4 v[22:25], off, off ; 16-byte Folded Reload
	scratch_load_dwordx4 v[26:29], off, off offset:16 ; 16-byte Folded Reload
	scratch_load_dwordx4 v[30:33], off, off offset:32 ; 16-byte Folded Reload
	;; [unrolled: 1-line block ×7, first 2 shown]
	v_mov_b32_e32 v75, v2
	v_mov_b32_e32 v91, v2
	s_waitcnt vmcnt(2)
	v_mov_b32_e32 v45, v2
	v_mov_b32_e32 v189, v2
	;; [unrolled: 1-line block ×5, first 2 shown]
	v_mov_b64_e32 v[8:9], v[30:31]
	v_mov_b64_e32 v[10:11], v[32:33]
	;; [unrolled: 1-line block ×4, first 2 shown]
	s_waitcnt vmcnt(1) lgkmcnt(3)
	v_pk_fma_f32 v[46:47], v[2:3], v[0:1], v[8:9] op_sel_hi:[0,1,1] neg_lo:[1,0,0] neg_hi:[1,0,0]
	ds_read2_b32 v[0:1], v252 offset0:16 offset1:17
	s_waitcnt lgkmcnt(3)
	v_pk_fma_f32 v[192:193], v[2:3], v[4:5], v[10:11] op_sel_hi:[0,1,1] neg_lo:[1,0,0] neg_hi:[1,0,0]
	s_waitcnt lgkmcnt(2)
	v_pk_fma_f32 v[96:97], v[2:3], v[6:7], v[12:13] op_sel_hi:[0,1,1] neg_lo:[1,0,0] neg_hi:[1,0,0]
	s_waitcnt lgkmcnt(1)
	v_pk_fma_f32 v[144:145], v[2:3], v[20:21], v[14:15] op_sel_hi:[0,1,1] neg_lo:[1,0,0] neg_hi:[1,0,0]
	ds_read_b32 v3, v252 offset:72
	scratch_load_dwordx4 v[98:101], off, off offset:900 ; 16-byte Folded Reload
	scratch_load_dwordx4 v[102:105], off, off offset:916 ; 16-byte Folded Reload
	;; [unrolled: 1-line block ×8, first 2 shown]
	v_mov_b64_e32 v[16:17], v[38:39]
	v_mov_b32_e32 v11, v2
	v_mov_b32_e32 v12, v46
	;; [unrolled: 1-line block ×3, first 2 shown]
	s_waitcnt lgkmcnt(0)
	v_pk_fma_f32 v[36:37], v[2:3], v[0:1], v[16:17] op_sel_hi:[0,1,1] neg_lo:[1,0,0] neg_hi:[1,0,0]
	v_mov_b32_e32 v92, v46
	v_mov_b32_e32 v93, v47
	;; [unrolled: 1-line block ×4, first 2 shown]
	s_waitcnt vmcnt(1)
	v_mov_b32_e32 v123, v2
	s_waitcnt vmcnt(0)
	v_mov_b32_e32 v128, v96
	v_mov_b32_e32 v129, v97
	v_mov_b32_e32 v142, v96
	v_mov_b32_e32 v143, v97
	v_mov_b32_e32 v160, v96
	v_mov_b32_e32 v161, v97
	v_mov_b32_e32 v138, v46
	v_mov_b32_e32 v139, v47
	v_mov_b32_e32 v140, v192
	v_mov_b32_e32 v141, v193
	v_mov_b32_e32 v156, v46
	v_mov_b32_e32 v157, v47
	v_mov_b32_e32 v158, v192
	v_mov_b32_e32 v159, v193
	v_mov_b32_e32 v190, v46
	v_mov_b32_e32 v191, v47
	v_mov_b32_e32 v226, v46
	v_mov_b32_e32 v227, v47
	v_mov_b32_e32 v124, v46
	v_mov_b32_e32 v125, v47
	v_mov_b32_e32 v162, v144
	v_mov_b32_e32 v163, v145
	v_mov_b32_e32 v164, v144
	v_mov_b32_e32 v228, v192
	v_mov_b32_e32 v229, v193
	v_mov_b32_e32 v126, v192
	v_mov_b32_e32 v127, v193
	v_mov_b32_e32 v254, v37
	v_mov_b32_e32 v180, v36
	v_mov_b32_e32 v68, v98
	v_mov_b32_e32 v69, v99
	v_mov_b32_e32 v70, v100
	v_mov_b32_e32 v71, v101
	v_mov_b32_e32 v72, v102
	v_mov_b32_e32 v73, v103
	v_mov_b32_e32 v74, v104
	v_mov_b32_e32 v4, v68
	v_mov_b32_e32 v5, v69
	v_mov_b32_e32 v6, v70
	v_mov_b32_e32 v7, v71
	v_mov_b32_e32 v8, v72
	v_mov_b32_e32 v9, v73
	v_mov_b32_e32 v10, v74
	scratch_store_dwordx4 off, v[4:7], off offset:516 ; 16-byte Folded Spill
	s_nop 0
	scratch_store_dwordx4 off, v[8:11], off offset:532 ; 16-byte Folded Spill
	scratch_store_dwordx4 off, v[12:15], off offset:548 ; 16-byte Folded Spill
	;; [unrolled: 1-line block ×7, first 2 shown]
	v_mov_b32_e32 v84, v68
	v_mov_b32_e32 v85, v69
	;; [unrolled: 1-line block ×43, first 2 shown]
	v_fma_f32 v18, -v2, v3, v255
	v_mov_b32_e32 v7, v2
	v_mov_b32_e32 v148, v68
	;; [unrolled: 1-line block ×26, first 2 shown]
	scratch_store_dwordx4 off, v[68:71], off offset:772 ; 16-byte Folded Spill
	s_nop 0
	scratch_store_dwordx4 off, v[72:75], off offset:788 ; 16-byte Folded Spill
	scratch_store_dwordx4 off, v[76:79], off offset:804 ; 16-byte Folded Spill
	;; [unrolled: 1-line block ×7, first 2 shown]
	v_mov_b32_e32 v14, v144
	v_mov_b32_e32 v15, v145
	v_mov_b32_e32 v8, v46
	v_mov_b32_e32 v9, v47
	v_mov_b32_e32 v10, v192
	v_mov_b32_e32 v11, v193
	v_mov_b32_e32 v16, v36
	v_mov_b32_e32 v17, v37
	v_mov_b64_e32 v[208:209], v[14:15]
	v_mov_b32_e32 v212, v18
	v_mov_b64_e32 v[206:207], v[12:13]
	v_mov_b64_e32 v[204:205], v[10:11]
	;; [unrolled: 1-line block ×7, first 2 shown]
	v_mov_b32_e32 v211, v17
	v_mov_b32_e32 v210, v16
	v_mov_b32_e32 v28, v46
	v_mov_b32_e32 v29, v47
	v_mov_b32_e32 v34, v144
	v_mov_b32_e32 v35, v145
	scratch_store_dwordx4 off, v[194:197], off ; 16-byte Folded Spill
	s_nop 0
	scratch_store_dwordx4 off, v[198:201], off offset:16 ; 16-byte Folded Spill
	scratch_store_dwordx4 off, v[202:205], off offset:32 ; 16-byte Folded Spill
	;; [unrolled: 1-line block ×7, first 2 shown]
	v_mov_b32_e32 v100, v46
	scratch_store_dwordx4 off, v[38:41], off offset:644 ; 16-byte Folded Spill
	s_nop 0
	scratch_store_dwordx4 off, v[42:45], off offset:660 ; 16-byte Folded Spill
	scratch_store_dwordx4 off, v[46:49], off offset:676 ; 16-byte Folded Spill
	;; [unrolled: 1-line block ×8, first 2 shown]
	s_nop 0
	scratch_store_dwordx4 off, v[134:137], off offset:400 ; 16-byte Folded Spill
	scratch_store_dwordx4 off, v[138:141], off offset:416 ; 16-byte Folded Spill
	;; [unrolled: 1-line block ×7, first 2 shown]
	v_mov_b32_e32 v30, v192
	v_mov_b32_e32 v31, v193
	v_mov_b64_e32 v[0:1], v[20:21]
	v_mov_b32_e32 v255, v18
	v_mov_b32_e32 v60, v192
	;; [unrolled: 1-line block ×5, first 2 shown]
	v_mov_b64_e32 v[2:3], v[22:23]
	v_mov_b64_e32 v[4:5], v[24:25]
	;; [unrolled: 1-line block ×7, first 2 shown]
	v_mov_b32_e32 v63, v47
	v_mov_b32_e32 v67, v145
	scratch_store_dwordx4 off, v[52:55], off offset:128 ; 16-byte Folded Spill
	s_nop 0
	scratch_store_dwordx4 off, v[56:59], off offset:144 ; 16-byte Folded Spill
	scratch_store_dwordx4 off, v[60:63], off offset:160 ; 16-byte Folded Spill
	;; [unrolled: 1-line block ×8, first 2 shown]
	s_nop 0
	scratch_store_dwordx4 off, v[4:7], off offset:272 ; 16-byte Folded Spill
	scratch_store_dwordx4 off, v[8:11], off offset:288 ; 16-byte Folded Spill
	;; [unrolled: 1-line block ×7, first 2 shown]
.LBB36_134:
	s_or_b64 exec, exec, s[0:1]
	v_lshl_add_u32 v37, v253, 2, v252
	s_barrier
	ds_write_b32 v37, v100
	s_waitcnt lgkmcnt(0)
	s_barrier
	ds_read_b32 v37, v252 offset:32
	s_cmp_lt_i32 s22, 10
	v_mov_b32_e32 v38, 8
	s_cbranch_scc1 .LBB36_137
; %bb.135:
	v_add3_u32 v39, v214, 0, 36
	v_mov_b32_e32 v38, 8
	s_mov_b32 s0, 9
.LBB36_136:                             ; =>This Inner Loop Header: Depth=1
	ds_read_b32 v40, v39
	v_mov_b32_e32 v41, s0
	s_add_i32 s0, s0, 1
	v_add_u32_e32 v39, 4, v39
	s_cmp_lg_u32 s22, s0
	s_waitcnt lgkmcnt(0)
	v_cmp_lt_f32_e64 vcc, |v37|, |v40|
	s_nop 1
	v_cndmask_b32_e32 v37, v37, v40, vcc
	v_cndmask_b32_e32 v38, v38, v41, vcc
	s_cbranch_scc1 .LBB36_136
.LBB36_137:
	s_waitcnt lgkmcnt(0)
	v_cmp_eq_f32_e32 vcc, 0, v37
	s_and_saveexec_b64 s[0:1], vcc
	s_xor_b64 s[0:1], exec, s[0:1]
; %bb.138:
	v_cmp_ne_u32_e32 vcc, 0, v181
	s_nop 1
	v_cndmask_b32_e32 v181, 9, v181, vcc
; %bb.139:
	s_andn2_saveexec_b64 s[0:1], s[0:1]
	s_cbranch_execz .LBB36_141
; %bb.140:
	v_div_scale_f32 v39, s[2:3], v37, v37, 1.0
	v_rcp_f32_e32 v40, v39
	v_div_scale_f32 v41, vcc, 1.0, v37, 1.0
	v_fma_f32 v42, -v39, v40, 1.0
	v_fmac_f32_e32 v40, v42, v40
	v_mul_f32_e32 v42, v41, v40
	v_fma_f32 v43, -v39, v42, v41
	v_fmac_f32_e32 v42, v43, v40
	v_fma_f32 v39, -v39, v42, v41
	v_div_fmas_f32 v39, v39, v40, v42
	v_div_fixup_f32 v37, v39, v37, 1.0
.LBB36_141:
	s_or_b64 exec, exec, s[0:1]
	v_cmp_ne_u32_e32 vcc, v253, v38
	s_and_saveexec_b64 s[0:1], vcc
	s_xor_b64 s[0:1], exec, s[0:1]
	s_cbranch_execz .LBB36_147
; %bb.142:
	v_cmp_eq_u32_e32 vcc, 8, v253
	s_and_saveexec_b64 s[2:3], vcc
	s_cbranch_execz .LBB36_146
; %bb.143:
	v_cmp_ne_u32_e32 vcc, 8, v38
	s_xor_b64 s[18:19], s[16:17], -1
	s_and_b64 s[20:21], s[18:19], vcc
	s_and_saveexec_b64 s[18:19], s[20:21]
	s_cbranch_execz .LBB36_145
; %bb.144:
	scratch_load_dwordx2 v[44:45], off, off offset:1156 ; 8-byte Folded Reload
	v_ashrrev_i32_e32 v39, 31, v38
	s_waitcnt vmcnt(0)
	v_lshl_add_u64 v[40:41], v[38:39], 2, v[44:45]
	global_load_dword v39, v[40:41], off
	global_load_dword v42, v[44:45], off offset:32
	s_waitcnt vmcnt(1)
	global_store_dword v[44:45], v39, off offset:32
	s_waitcnt vmcnt(1)
	global_store_dword v[40:41], v42, off
.LBB36_145:
	s_or_b64 exec, exec, s[18:19]
	v_mov_b32_e32 v0, v38
	v_mov_b32_e32 v253, v38
	scratch_store_dword off, v0, off offset:512 ; 4-byte Folded Spill
.LBB36_146:
	s_or_b64 exec, exec, s[2:3]
.LBB36_147:
	s_andn2_saveexec_b64 s[0:1], s[0:1]
	s_cbranch_execz .LBB36_149
; %bb.148:
	scratch_load_dwordx4 v[0:3], off, off   ; 16-byte Folded Reload
	scratch_load_dwordx4 v[4:7], off, off offset:16 ; 16-byte Folded Reload
	scratch_load_dwordx4 v[8:11], off, off offset:32 ; 16-byte Folded Reload
	;; [unrolled: 1-line block ×7, first 2 shown]
	v_mov_b32_e32 v253, 8
	s_waitcnt vmcnt(5)
	ds_write2_b32 v252, v9, v10 offset0:9 offset1:10
	s_waitcnt vmcnt(4)
	ds_write2_b32 v252, v11, v12 offset0:11 offset1:12
	ds_write2_b32 v252, v13, v14 offset0:13 offset1:14
	s_waitcnt vmcnt(3)
	ds_write2_b32 v252, v15, v16 offset0:15 offset1:16
	ds_write2_b32 v252, v17, v18 offset0:17 offset1:18
.LBB36_149:
	s_or_b64 exec, exec, s[0:1]
	v_cmp_lt_i32_e32 vcc, 8, v253
	s_waitcnt lgkmcnt(0)
	s_barrier
	s_and_saveexec_b64 s[0:1], vcc
	s_cbranch_execz .LBB36_151
; %bb.150:
	scratch_load_dwordx4 v[68:71], off, off offset:772 ; 16-byte Folded Reload
	scratch_load_dwordx4 v[72:75], off, off offset:788 ; 16-byte Folded Reload
	;; [unrolled: 1-line block ×8, first 2 shown]
	s_waitcnt vmcnt(5)
	v_mul_f32_e32 v76, v100, v37
	ds_read2_b32 v[0:1], v252 offset0:9 offset1:10
	scratch_load_dwordx4 v[20:23], off, off ; 16-byte Folded Reload
	scratch_load_dwordx4 v[24:27], off, off offset:16 ; 16-byte Folded Reload
	scratch_load_dwordx4 v[28:31], off, off offset:32 ; 16-byte Folded Reload
	scratch_load_dwordx4 v[32:35], off, off offset:48 ; 16-byte Folded Reload
	scratch_load_dwordx4 v[36:39], off, off offset:64 ; 16-byte Folded Reload
	scratch_load_dwordx4 v[40:43], off, off offset:80 ; 16-byte Folded Reload
	scratch_load_dwordx4 v[44:47], off, off offset:96 ; 16-byte Folded Reload
	scratch_load_dwordx4 v[48:51], off, off offset:112 ; 16-byte Folded Reload
	s_waitcnt vmcnt(9)
	v_mov_b32_e32 v92, v76
	v_mov_b32_e32 v190, v76
	;; [unrolled: 1-line block ×12, first 2 shown]
	s_waitcnt vmcnt(3)
	v_mov_b32_e32 v9, v29
	v_mov_b32_e32 v10, v30
	;; [unrolled: 1-line block ×4, first 2 shown]
	ds_read2_b32 v[4:5], v252 offset0:11 offset1:12
	ds_read2_b32 v[6:7], v252 offset0:13 offset1:14
	;; [unrolled: 1-line block ×3, first 2 shown]
	v_mov_b32_e32 v11, v31
	v_mov_b32_e32 v12, v32
	;; [unrolled: 1-line block ×8, first 2 shown]
	s_waitcnt lgkmcnt(3)
	v_pk_fma_f32 v[38:39], v[76:77], v[0:1], v[2:3] op_sel_hi:[0,1,1] neg_lo:[1,0,0] neg_hi:[1,0,0]
	ds_read2_b32 v[2:3], v252 offset0:17 offset1:18
	v_mov_b32_e32 v0, v11
	v_mov_b32_e32 v1, v12
	s_waitcnt vmcnt(2) lgkmcnt(3)
	v_pk_fma_f32 v[40:41], v[76:77], v[4:5], v[0:1] op_sel_hi:[0,1,1] neg_lo:[1,0,0] neg_hi:[1,0,0]
	v_mov_b32_e32 v0, v13
	v_mov_b32_e32 v1, v14
	s_waitcnt lgkmcnt(2)
	v_pk_fma_f32 v[42:43], v[76:77], v[6:7], v[0:1] op_sel_hi:[0,1,1] neg_lo:[1,0,0] neg_hi:[1,0,0]
	v_mov_b32_e32 v0, v15
	v_mov_b32_e32 v1, v16
	s_waitcnt vmcnt(1) lgkmcnt(1)
	v_pk_fma_f32 v[44:45], v[76:77], v[8:9], v[0:1] op_sel_hi:[0,1,1] neg_lo:[1,0,0] neg_hi:[1,0,0]
	v_mov_b32_e32 v0, v17
	v_mov_b32_e32 v1, v18
	s_waitcnt lgkmcnt(0)
	v_pk_fma_f32 v[254:255], v[76:77], v[2:3], v[0:1] op_sel_hi:[0,1,1] neg_lo:[1,0,0] neg_hi:[1,0,0]
	v_mov_b32_e32 v0, v68
	v_mov_b32_e32 v1, v69
	;; [unrolled: 1-line block ×15, first 2 shown]
	scratch_store_dwordx4 off, v[0:3], off offset:384 ; 16-byte Folded Spill
	s_nop 0
	scratch_store_dwordx4 off, v[4:7], off offset:400 ; 16-byte Folded Spill
	scratch_store_dwordx4 off, v[8:11], off offset:416 ; 16-byte Folded Spill
	scratch_store_dwordx4 off, v[12:15], off offset:432 ; 16-byte Folded Spill
	scratch_store_dwordx4 off, v[16:19], off offset:448 ; 16-byte Folded Spill
	scratch_store_dwordx4 off, v[20:23], off offset:464 ; 16-byte Folded Spill
	scratch_store_dwordx4 off, v[24:27], off offset:480 ; 16-byte Folded Spill
	scratch_store_dwordx4 off, v[28:31], off offset:496 ; 16-byte Folded Spill
	v_mov_b32_e32 v9, v38
	v_mov_b32_e32 v10, v39
	;; [unrolled: 1-line block ×37, first 2 shown]
	scratch_store_dwordx4 off, v[0:3], off offset:256 ; 16-byte Folded Spill
	s_nop 0
	scratch_store_dwordx4 off, v[4:7], off offset:272 ; 16-byte Folded Spill
	scratch_store_dwordx4 off, v[8:11], off offset:288 ; 16-byte Folded Spill
	;; [unrolled: 1-line block ×7, first 2 shown]
	v_mov_b32_e32 v9, v38
	v_mov_b32_e32 v10, v39
	;; [unrolled: 1-line block ×37, first 2 shown]
	scratch_store_dwordx4 off, v[0:3], off  ; 16-byte Folded Spill
	s_nop 0
	scratch_store_dwordx4 off, v[4:7], off offset:16 ; 16-byte Folded Spill
	scratch_store_dwordx4 off, v[8:11], off offset:32 ; 16-byte Folded Spill
	;; [unrolled: 1-line block ×8, first 2 shown]
	s_nop 0
	scratch_store_dwordx4 off, v[72:75], off offset:532 ; 16-byte Folded Spill
	scratch_store_dwordx4 off, v[76:79], off offset:548 ; 16-byte Folded Spill
	;; [unrolled: 1-line block ×8, first 2 shown]
	s_nop 0
	scratch_store_dwordx4 off, v[72:75], off offset:660 ; 16-byte Folded Spill
	scratch_store_dwordx4 off, v[76:79], off offset:676 ; 16-byte Folded Spill
	;; [unrolled: 1-line block ×7, first 2 shown]
	v_mov_b32_e32 v61, v40
	v_mov_b32_e32 v58, v41
	;; [unrolled: 1-line block ×4, first 2 shown]
	scratch_store_dwordx4 off, v[22:25], off offset:128 ; 16-byte Folded Spill
	s_nop 0
	scratch_store_dwordx4 off, v[26:29], off offset:144 ; 16-byte Folded Spill
	scratch_store_dwordx4 off, v[30:33], off offset:160 ; 16-byte Folded Spill
	;; [unrolled: 1-line block ×5, first 2 shown]
	s_waitcnt vmcnt(46)
	scratch_store_dwordx4 off, v[46:49], off offset:224 ; 16-byte Folded Spill
	scratch_store_dwordx4 off, v[50:53], off offset:240 ; 16-byte Folded Spill
	v_mov_b32_e32 v180, v45
.LBB36_151:
	s_or_b64 exec, exec, s[0:1]
	v_lshl_add_u32 v37, v253, 2, v252
	s_barrier
	ds_write_b32 v37, v63
	s_waitcnt lgkmcnt(0)
	s_barrier
	ds_read_b32 v37, v252 offset:36
	s_cmp_lt_i32 s22, 11
	v_mov_b32_e32 v38, 9
	s_cbranch_scc1 .LBB36_154
; %bb.152:
	v_add3_u32 v39, v214, 0, 40
	v_mov_b32_e32 v38, 9
	s_mov_b32 s0, 10
.LBB36_153:                             ; =>This Inner Loop Header: Depth=1
	ds_read_b32 v40, v39
	v_mov_b32_e32 v41, s0
	s_add_i32 s0, s0, 1
	v_add_u32_e32 v39, 4, v39
	s_cmp_lg_u32 s22, s0
	s_waitcnt lgkmcnt(0)
	v_cmp_lt_f32_e64 vcc, |v37|, |v40|
	s_nop 1
	v_cndmask_b32_e32 v37, v37, v40, vcc
	v_cndmask_b32_e32 v38, v38, v41, vcc
	s_cbranch_scc1 .LBB36_153
.LBB36_154:
	s_waitcnt lgkmcnt(0)
	v_cmp_eq_f32_e32 vcc, 0, v37
	s_and_saveexec_b64 s[0:1], vcc
	s_xor_b64 s[0:1], exec, s[0:1]
; %bb.155:
	v_cmp_ne_u32_e32 vcc, 0, v181
	s_nop 1
	v_cndmask_b32_e32 v181, 10, v181, vcc
; %bb.156:
	s_andn2_saveexec_b64 s[0:1], s[0:1]
	s_cbranch_execz .LBB36_158
; %bb.157:
	v_div_scale_f32 v39, s[2:3], v37, v37, 1.0
	v_rcp_f32_e32 v40, v39
	v_div_scale_f32 v41, vcc, 1.0, v37, 1.0
	v_fma_f32 v42, -v39, v40, 1.0
	v_fmac_f32_e32 v40, v42, v40
	v_mul_f32_e32 v42, v41, v40
	v_fma_f32 v43, -v39, v42, v41
	v_fmac_f32_e32 v42, v43, v40
	v_fma_f32 v39, -v39, v42, v41
	v_div_fmas_f32 v39, v39, v40, v42
	v_div_fixup_f32 v37, v39, v37, 1.0
.LBB36_158:
	s_or_b64 exec, exec, s[0:1]
	v_cmp_ne_u32_e32 vcc, v253, v38
	s_and_saveexec_b64 s[0:1], vcc
	s_xor_b64 s[0:1], exec, s[0:1]
	s_cbranch_execz .LBB36_164
; %bb.159:
	v_cmp_eq_u32_e32 vcc, 9, v253
	s_and_saveexec_b64 s[2:3], vcc
	s_cbranch_execz .LBB36_163
; %bb.160:
	v_cmp_ne_u32_e32 vcc, 9, v38
	s_xor_b64 s[18:19], s[16:17], -1
	s_and_b64 s[20:21], s[18:19], vcc
	s_and_saveexec_b64 s[18:19], s[20:21]
	s_cbranch_execz .LBB36_162
; %bb.161:
	scratch_load_dwordx2 v[44:45], off, off offset:1156 ; 8-byte Folded Reload
	v_ashrrev_i32_e32 v39, 31, v38
	s_waitcnt vmcnt(0)
	v_lshl_add_u64 v[40:41], v[38:39], 2, v[44:45]
	global_load_dword v39, v[40:41], off
	global_load_dword v42, v[44:45], off offset:36
	s_waitcnt vmcnt(1)
	global_store_dword v[44:45], v39, off offset:36
	s_waitcnt vmcnt(1)
	global_store_dword v[40:41], v42, off
.LBB36_162:
	s_or_b64 exec, exec, s[18:19]
	v_mov_b32_e32 v0, v38
	v_mov_b32_e32 v253, v38
	scratch_store_dword off, v0, off offset:512 ; 4-byte Folded Spill
.LBB36_163:
	s_or_b64 exec, exec, s[2:3]
.LBB36_164:
	s_andn2_saveexec_b64 s[0:1], s[0:1]
	s_cbranch_execz .LBB36_166
; %bb.165:
	scratch_load_dwordx4 v[0:3], off, off   ; 16-byte Folded Reload
	scratch_load_dwordx4 v[4:7], off, off offset:16 ; 16-byte Folded Reload
	scratch_load_dwordx4 v[8:11], off, off offset:32 ; 16-byte Folded Reload
	;; [unrolled: 1-line block ×7, first 2 shown]
	v_mov_b32_e32 v253, 9
	s_waitcnt vmcnt(5)
	ds_write2_b32 v252, v10, v11 offset0:10 offset1:11
	s_waitcnt vmcnt(4)
	ds_write2_b32 v252, v12, v13 offset0:12 offset1:13
	ds_write2_b32 v252, v14, v15 offset0:14 offset1:15
	s_waitcnt vmcnt(3)
	ds_write2_b32 v252, v16, v17 offset0:16 offset1:17
	ds_write_b32 v252, v255 offset:72
.LBB36_166:
	s_or_b64 exec, exec, s[0:1]
	v_cmp_lt_i32_e32 vcc, 9, v253
	s_waitcnt lgkmcnt(0)
	s_barrier
	s_and_saveexec_b64 s[0:1], vcc
	s_cbranch_execz .LBB36_168
; %bb.167:
	ds_read2_b32 v[0:1], v252 offset0:10 offset1:11
	ds_read2_b32 v[2:3], v252 offset0:12 offset1:13
	;; [unrolled: 1-line block ×4, first 2 shown]
	v_mul_f32_e32 v8, v63, v37
	scratch_load_dwordx4 v[10:13], off, off ; 16-byte Folded Reload
	scratch_load_dwordx4 v[14:17], off, off offset:16 ; 16-byte Folded Reload
	scratch_load_dwordx4 v[18:21], off, off offset:32 ; 16-byte Folded Reload
	scratch_load_dwordx4 v[22:25], off, off offset:48 ; 16-byte Folded Reload
	scratch_load_dwordx4 v[26:29], off, off offset:64 ; 16-byte Folded Reload
	scratch_load_dwordx4 v[30:33], off, off offset:80 ; 16-byte Folded Reload
	scratch_load_dwordx4 v[34:37], off, off offset:96 ; 16-byte Folded Reload
	scratch_load_dwordx4 v[38:41], off, off offset:112 ; 16-byte Folded Reload
	v_mov_b32_e32 v47, v8
	v_mov_b32_e32 v191, v8
	s_waitcnt vmcnt(13)
	v_mov_b32_e32 v227, v8
	v_mov_b32_e32 v93, v8
	;; [unrolled: 1-line block ×3, first 2 shown]
	s_waitcnt vmcnt(3)
	v_mov_b32_e32 v29, v8
	v_mov_b32_e32 v157, v8
	v_mov_b64_e32 v[10:11], v[20:21]
	s_waitcnt lgkmcnt(3)
	v_pk_fma_f32 v[192:193], v[8:9], v[0:1], v[10:11] op_sel_hi:[0,1,1] neg_lo:[1,0,0] neg_hi:[1,0,0]
	ds_read_b32 v0, v252 offset:72
	scratch_load_dwordx4 v[98:101], off, off offset:644 ; 16-byte Folded Reload
	scratch_load_dwordx4 v[102:105], off, off offset:660 ; 16-byte Folded Reload
	;; [unrolled: 1-line block ×8, first 2 shown]
	v_mov_b64_e32 v[12:13], v[22:23]
	v_mov_b64_e32 v[14:15], v[24:25]
	;; [unrolled: 1-line block ×3, first 2 shown]
	s_waitcnt lgkmcnt(3)
	v_pk_fma_f32 v[96:97], v[8:9], v[2:3], v[12:13] op_sel_hi:[0,1,1] neg_lo:[1,0,0] neg_hi:[1,0,0]
	s_waitcnt lgkmcnt(2)
	v_pk_fma_f32 v[76:77], v[8:9], v[4:5], v[14:15] op_sel_hi:[0,1,1] neg_lo:[1,0,0] neg_hi:[1,0,0]
	s_waitcnt vmcnt(9) lgkmcnt(1)
	v_pk_fma_f32 v[36:37], v[8:9], v[6:7], v[16:17] op_sel_hi:[0,1,1] neg_lo:[1,0,0] neg_hi:[1,0,0]
	s_waitcnt vmcnt(1)
	v_mov_b32_e32 v125, v8
	s_waitcnt lgkmcnt(0)
	v_fma_f32 v18, -v8, v0, v255
	v_mov_b32_e32 v9, v8
	v_mov_b32_e32 v14, v76
	;; [unrolled: 1-line block ×29, first 2 shown]
	s_waitcnt vmcnt(0)
	v_mov_b32_e32 v126, v192
	v_mov_b32_e32 v127, v193
	;; [unrolled: 1-line block ×93, first 2 shown]
	scratch_store_dwordx4 off, v[38:41], off offset:516 ; 16-byte Folded Spill
	s_nop 0
	scratch_store_dwordx4 off, v[42:45], off offset:532 ; 16-byte Folded Spill
	scratch_store_dwordx4 off, v[46:49], off offset:548 ; 16-byte Folded Spill
	;; [unrolled: 1-line block ×7, first 2 shown]
	v_mov_b64_e32 v[208:209], v[14:15]
	v_mov_b64_e32 v[206:207], v[12:13]
	;; [unrolled: 1-line block ×8, first 2 shown]
	scratch_store_dwordx4 off, v[194:197], off ; 16-byte Folded Spill
	s_nop 0
	scratch_store_dwordx4 off, v[198:201], off offset:16 ; 16-byte Folded Spill
	scratch_store_dwordx4 off, v[202:205], off offset:32 ; 16-byte Folded Spill
	;; [unrolled: 1-line block ×8, first 2 shown]
	s_nop 0
	scratch_store_dwordx4 off, v[66:69], off offset:400 ; 16-byte Folded Spill
	scratch_store_dwordx4 off, v[70:73], off offset:416 ; 16-byte Folded Spill
	;; [unrolled: 1-line block ×7, first 2 shown]
	v_mov_b64_e32 v[0:1], v[20:21]
	v_mov_b32_e32 v60, v192
	v_mov_b32_e32 v61, v193
	;; [unrolled: 1-line block ×4, first 2 shown]
	v_mov_b64_e32 v[2:3], v[22:23]
	v_mov_b64_e32 v[4:5], v[24:25]
	;; [unrolled: 1-line block ×7, first 2 shown]
	v_mov_b32_e32 v67, v77
	scratch_store_dwordx4 off, v[52:55], off offset:128 ; 16-byte Folded Spill
	s_nop 0
	scratch_store_dwordx4 off, v[56:59], off offset:144 ; 16-byte Folded Spill
	scratch_store_dwordx4 off, v[60:63], off offset:160 ; 16-byte Folded Spill
	;; [unrolled: 1-line block ×8, first 2 shown]
	s_nop 0
	scratch_store_dwordx4 off, v[4:7], off offset:272 ; 16-byte Folded Spill
	scratch_store_dwordx4 off, v[8:11], off offset:288 ; 16-byte Folded Spill
	;; [unrolled: 1-line block ×7, first 2 shown]
.LBB36_168:
	s_or_b64 exec, exec, s[0:1]
	v_lshl_add_u32 v37, v253, 2, v252
	s_barrier
	ds_write_b32 v37, v60
	s_waitcnt lgkmcnt(0)
	s_barrier
	ds_read_b32 v37, v252 offset:40
	s_cmp_lt_i32 s22, 12
	v_mov_b32_e32 v38, 10
	s_cbranch_scc1 .LBB36_171
; %bb.169:
	v_add3_u32 v39, v214, 0, 44
	v_mov_b32_e32 v38, 10
	s_mov_b32 s0, 11
.LBB36_170:                             ; =>This Inner Loop Header: Depth=1
	ds_read_b32 v40, v39
	v_mov_b32_e32 v41, s0
	s_add_i32 s0, s0, 1
	v_add_u32_e32 v39, 4, v39
	s_cmp_lg_u32 s22, s0
	s_waitcnt lgkmcnt(0)
	v_cmp_lt_f32_e64 vcc, |v37|, |v40|
	s_nop 1
	v_cndmask_b32_e32 v37, v37, v40, vcc
	v_cndmask_b32_e32 v38, v38, v41, vcc
	s_cbranch_scc1 .LBB36_170
.LBB36_171:
	s_waitcnt lgkmcnt(0)
	v_cmp_eq_f32_e32 vcc, 0, v37
	s_and_saveexec_b64 s[0:1], vcc
	s_xor_b64 s[0:1], exec, s[0:1]
; %bb.172:
	v_cmp_ne_u32_e32 vcc, 0, v181
	s_nop 1
	v_cndmask_b32_e32 v181, 11, v181, vcc
; %bb.173:
	s_andn2_saveexec_b64 s[0:1], s[0:1]
	s_cbranch_execz .LBB36_175
; %bb.174:
	v_div_scale_f32 v39, s[2:3], v37, v37, 1.0
	v_rcp_f32_e32 v40, v39
	v_div_scale_f32 v41, vcc, 1.0, v37, 1.0
	v_fma_f32 v42, -v39, v40, 1.0
	v_fmac_f32_e32 v40, v42, v40
	v_mul_f32_e32 v42, v41, v40
	v_fma_f32 v43, -v39, v42, v41
	v_fmac_f32_e32 v42, v43, v40
	v_fma_f32 v39, -v39, v42, v41
	v_div_fmas_f32 v39, v39, v40, v42
	v_div_fixup_f32 v37, v39, v37, 1.0
.LBB36_175:
	s_or_b64 exec, exec, s[0:1]
	v_cmp_ne_u32_e32 vcc, v253, v38
	s_and_saveexec_b64 s[0:1], vcc
	s_xor_b64 s[0:1], exec, s[0:1]
	s_cbranch_execz .LBB36_181
; %bb.176:
	v_cmp_eq_u32_e32 vcc, 10, v253
	s_and_saveexec_b64 s[2:3], vcc
	s_cbranch_execz .LBB36_180
; %bb.177:
	v_cmp_ne_u32_e32 vcc, 10, v38
	s_xor_b64 s[18:19], s[16:17], -1
	s_and_b64 s[20:21], s[18:19], vcc
	s_and_saveexec_b64 s[18:19], s[20:21]
	s_cbranch_execz .LBB36_179
; %bb.178:
	scratch_load_dwordx2 v[44:45], off, off offset:1156 ; 8-byte Folded Reload
	v_ashrrev_i32_e32 v39, 31, v38
	s_waitcnt vmcnt(0)
	v_lshl_add_u64 v[40:41], v[38:39], 2, v[44:45]
	global_load_dword v39, v[40:41], off
	global_load_dword v42, v[44:45], off offset:40
	s_waitcnt vmcnt(1)
	global_store_dword v[44:45], v39, off offset:40
	s_waitcnt vmcnt(1)
	global_store_dword v[40:41], v42, off
.LBB36_179:
	s_or_b64 exec, exec, s[18:19]
	v_mov_b32_e32 v0, v38
	v_mov_b32_e32 v253, v38
	scratch_store_dword off, v0, off offset:512 ; 4-byte Folded Spill
.LBB36_180:
	s_or_b64 exec, exec, s[2:3]
.LBB36_181:
	s_andn2_saveexec_b64 s[0:1], s[0:1]
	s_cbranch_execz .LBB36_183
; %bb.182:
	scratch_load_dwordx4 v[0:3], off, off   ; 16-byte Folded Reload
	scratch_load_dwordx4 v[4:7], off, off offset:16 ; 16-byte Folded Reload
	scratch_load_dwordx4 v[8:11], off, off offset:32 ; 16-byte Folded Reload
	;; [unrolled: 1-line block ×7, first 2 shown]
	v_mov_b32_e32 v253, 10
	s_waitcnt vmcnt(4)
	ds_write2_b32 v252, v11, v12 offset0:11 offset1:12
	ds_write2_b32 v252, v13, v14 offset0:13 offset1:14
	s_waitcnt vmcnt(3)
	ds_write2_b32 v252, v15, v16 offset0:15 offset1:16
	ds_write2_b32 v252, v17, v18 offset0:17 offset1:18
.LBB36_183:
	s_or_b64 exec, exec, s[0:1]
	v_cmp_lt_i32_e32 vcc, 10, v253
	s_waitcnt lgkmcnt(0)
	s_barrier
	s_and_saveexec_b64 s[0:1], vcc
	s_cbranch_execz .LBB36_185
; %bb.184:
	scratch_load_dwordx4 v[182:185], off, off offset:516 ; 16-byte Folded Reload
	scratch_load_dwordx4 v[186:189], off, off offset:532 ; 16-byte Folded Reload
	;; [unrolled: 1-line block ×8, first 2 shown]
	s_waitcnt vmcnt(5)
	v_mul_f32_e32 v192, v60, v37
	ds_read2_b32 v[0:1], v252 offset0:11 offset1:12
	scratch_load_dwordx4 v[20:23], off, off ; 16-byte Folded Reload
	scratch_load_dwordx4 v[24:27], off, off offset:16 ; 16-byte Folded Reload
	scratch_load_dwordx4 v[28:31], off, off offset:32 ; 16-byte Folded Reload
	;; [unrolled: 1-line block ×7, first 2 shown]
	ds_read2_b32 v[4:5], v252 offset0:13 offset1:14
	ds_read2_b32 v[6:7], v252 offset0:15 offset1:16
	;; [unrolled: 1-line block ×3, first 2 shown]
	v_mov_b32_e32 v10, v192
	v_mov_b32_e32 v94, v192
	;; [unrolled: 1-line block ×12, first 2 shown]
	s_waitcnt vmcnt(3)
	v_mov_b32_e32 v11, v31
	v_mov_b32_e32 v12, v32
	;; [unrolled: 1-line block ×10, first 2 shown]
	s_waitcnt lgkmcnt(3)
	v_pk_fma_f32 v[38:39], v[192:193], v[0:1], v[2:3] op_sel_hi:[0,1,1] neg_lo:[1,0,0] neg_hi:[1,0,0]
	v_mov_b32_e32 v0, v13
	v_mov_b32_e32 v1, v14
	s_waitcnt vmcnt(2) lgkmcnt(2)
	v_pk_fma_f32 v[40:41], v[192:193], v[4:5], v[0:1] op_sel_hi:[0,1,1] neg_lo:[1,0,0] neg_hi:[1,0,0]
	v_mov_b32_e32 v0, v15
	v_mov_b32_e32 v1, v16
	s_waitcnt lgkmcnt(1)
	v_pk_fma_f32 v[42:43], v[192:193], v[6:7], v[0:1] op_sel_hi:[0,1,1] neg_lo:[1,0,0] neg_hi:[1,0,0]
	v_mov_b32_e32 v0, v17
	v_mov_b32_e32 v1, v18
	s_waitcnt lgkmcnt(0)
	v_pk_fma_f32 v[254:255], v[192:193], v[8:9], v[0:1] op_sel_hi:[0,1,1] neg_lo:[1,0,0] neg_hi:[1,0,0]
	v_mov_b32_e32 v0, v182
	v_mov_b32_e32 v1, v183
	;; [unrolled: 1-line block ×14, first 2 shown]
	scratch_store_dwordx4 off, v[0:3], off offset:384 ; 16-byte Folded Spill
	s_nop 0
	scratch_store_dwordx4 off, v[4:7], off offset:400 ; 16-byte Folded Spill
	scratch_store_dwordx4 off, v[8:11], off offset:416 ; 16-byte Folded Spill
	;; [unrolled: 1-line block ×7, first 2 shown]
	v_mov_b32_e32 v11, v38
	v_mov_b32_e32 v12, v39
	;; [unrolled: 1-line block ×21, first 2 shown]
	v_mov_b64_e32 v[248:249], v[212:213]
	v_mov_b32_e32 v91, v189
	v_mov_b32_e32 v92, v190
	;; [unrolled: 1-line block ×21, first 2 shown]
	scratch_store_dwordx4 off, v[0:3], off offset:256 ; 16-byte Folded Spill
	s_nop 0
	scratch_store_dwordx4 off, v[4:7], off offset:272 ; 16-byte Folded Spill
	scratch_store_dwordx4 off, v[8:11], off offset:288 ; 16-byte Folded Spill
	;; [unrolled: 1-line block ×7, first 2 shown]
	v_mov_b32_e32 v11, v38
	v_mov_b32_e32 v12, v39
	;; [unrolled: 1-line block ×9, first 2 shown]
	v_mov_b64_e32 v[246:247], v[210:211]
	v_mov_b64_e32 v[244:245], v[208:209]
	;; [unrolled: 1-line block ×15, first 2 shown]
	scratch_store_dwordx4 off, v[0:3], off  ; 16-byte Folded Spill
	s_nop 0
	scratch_store_dwordx4 off, v[4:7], off offset:16 ; 16-byte Folded Spill
	scratch_store_dwordx4 off, v[8:11], off offset:32 ; 16-byte Folded Spill
	;; [unrolled: 1-line block ×8, first 2 shown]
	s_nop 0
	scratch_store_dwordx4 off, v[26:29], off offset:144 ; 16-byte Folded Spill
	scratch_store_dwordx4 off, v[30:33], off offset:160 ; 16-byte Folded Spill
	;; [unrolled: 1-line block ×4, first 2 shown]
	s_waitcnt vmcnt(30)
	scratch_store_dwordx4 off, v[42:45], off offset:208 ; 16-byte Folded Spill
	s_waitcnt vmcnt(30)
	scratch_store_dwordx4 off, v[46:49], off offset:224 ; 16-byte Folded Spill
	scratch_store_dwordx4 off, v[50:53], off offset:240 ; 16-byte Folded Spill
	v_mov_b32_e32 v180, v43
.LBB36_185:
	s_or_b64 exec, exec, s[0:1]
	v_lshl_add_u32 v37, v253, 2, v252
	s_barrier
	ds_write_b32 v37, v61
	s_waitcnt lgkmcnt(0)
	s_barrier
	ds_read_b32 v37, v252 offset:44
	s_cmp_lt_i32 s22, 13
	v_mov_b32_e32 v38, 11
	s_cbranch_scc1 .LBB36_188
; %bb.186:
	v_add3_u32 v39, v214, 0, 48
	v_mov_b32_e32 v38, 11
	s_mov_b32 s0, 12
.LBB36_187:                             ; =>This Inner Loop Header: Depth=1
	ds_read_b32 v40, v39
	v_mov_b32_e32 v41, s0
	s_add_i32 s0, s0, 1
	v_add_u32_e32 v39, 4, v39
	s_cmp_lg_u32 s22, s0
	s_waitcnt lgkmcnt(0)
	v_cmp_lt_f32_e64 vcc, |v37|, |v40|
	s_nop 1
	v_cndmask_b32_e32 v37, v37, v40, vcc
	v_cndmask_b32_e32 v38, v38, v41, vcc
	s_cbranch_scc1 .LBB36_187
.LBB36_188:
	s_waitcnt lgkmcnt(0)
	v_cmp_eq_f32_e32 vcc, 0, v37
	s_and_saveexec_b64 s[0:1], vcc
	s_xor_b64 s[0:1], exec, s[0:1]
; %bb.189:
	v_cmp_ne_u32_e32 vcc, 0, v181
	s_nop 1
	v_cndmask_b32_e32 v181, 12, v181, vcc
; %bb.190:
	s_andn2_saveexec_b64 s[0:1], s[0:1]
	s_cbranch_execz .LBB36_192
; %bb.191:
	v_div_scale_f32 v39, s[2:3], v37, v37, 1.0
	v_rcp_f32_e32 v40, v39
	v_div_scale_f32 v41, vcc, 1.0, v37, 1.0
	v_fma_f32 v42, -v39, v40, 1.0
	v_fmac_f32_e32 v40, v42, v40
	v_mul_f32_e32 v42, v41, v40
	v_fma_f32 v43, -v39, v42, v41
	v_fmac_f32_e32 v42, v43, v40
	v_fma_f32 v39, -v39, v42, v41
	v_div_fmas_f32 v39, v39, v40, v42
	v_div_fixup_f32 v37, v39, v37, 1.0
.LBB36_192:
	s_or_b64 exec, exec, s[0:1]
	v_cmp_ne_u32_e32 vcc, v253, v38
	s_and_saveexec_b64 s[0:1], vcc
	s_xor_b64 s[0:1], exec, s[0:1]
	s_cbranch_execz .LBB36_198
; %bb.193:
	v_cmp_eq_u32_e32 vcc, 11, v253
	s_and_saveexec_b64 s[2:3], vcc
	s_cbranch_execz .LBB36_197
; %bb.194:
	v_cmp_ne_u32_e32 vcc, 11, v38
	s_xor_b64 s[18:19], s[16:17], -1
	s_and_b64 s[20:21], s[18:19], vcc
	s_and_saveexec_b64 s[18:19], s[20:21]
	s_cbranch_execz .LBB36_196
; %bb.195:
	scratch_load_dwordx2 v[44:45], off, off offset:1156 ; 8-byte Folded Reload
	v_ashrrev_i32_e32 v39, 31, v38
	s_waitcnt vmcnt(0)
	v_lshl_add_u64 v[40:41], v[38:39], 2, v[44:45]
	global_load_dword v39, v[40:41], off
	global_load_dword v42, v[44:45], off offset:44
	s_waitcnt vmcnt(1)
	global_store_dword v[44:45], v39, off offset:44
	s_waitcnt vmcnt(1)
	global_store_dword v[40:41], v42, off
.LBB36_196:
	s_or_b64 exec, exec, s[18:19]
	v_mov_b32_e32 v0, v38
	v_mov_b32_e32 v253, v38
	scratch_store_dword off, v0, off offset:512 ; 4-byte Folded Spill
.LBB36_197:
	s_or_b64 exec, exec, s[2:3]
.LBB36_198:
	s_andn2_saveexec_b64 s[0:1], s[0:1]
	s_cbranch_execz .LBB36_200
; %bb.199:
	scratch_load_dwordx4 v[0:3], off, off   ; 16-byte Folded Reload
	scratch_load_dwordx4 v[4:7], off, off offset:16 ; 16-byte Folded Reload
	scratch_load_dwordx4 v[8:11], off, off offset:32 ; 16-byte Folded Reload
	;; [unrolled: 1-line block ×7, first 2 shown]
	v_mov_b32_e32 v253, 11
	s_waitcnt vmcnt(4)
	ds_write2_b32 v252, v12, v13 offset0:12 offset1:13
	ds_write2_b32 v252, v14, v15 offset0:14 offset1:15
	s_waitcnt vmcnt(3)
	ds_write2_b32 v252, v16, v17 offset0:16 offset1:17
	ds_write_b32 v252, v255 offset:72
.LBB36_200:
	s_or_b64 exec, exec, s[0:1]
	v_cmp_lt_i32_e32 vcc, 11, v253
	s_waitcnt lgkmcnt(0)
	s_barrier
	s_and_saveexec_b64 s[0:1], vcc
	s_cbranch_execz .LBB36_202
; %bb.201:
	ds_read2_b32 v[0:1], v252 offset0:12 offset1:13
	ds_read2_b32 v[2:3], v252 offset0:14 offset1:15
	;; [unrolled: 1-line block ×3, first 2 shown]
	ds_read_b32 v6, v252 offset:72
	v_mul_f32_e32 v38, v61, v37
	scratch_load_dwordx4 v[40:43], off, off ; 16-byte Folded Reload
	scratch_load_dwordx4 v[44:47], off, off offset:16 ; 16-byte Folded Reload
	scratch_load_dwordx4 v[48:51], off, off offset:32 ; 16-byte Folded Reload
	;; [unrolled: 1-line block ×7, first 2 shown]
	v_mov_b32_e32 v193, v38
	s_waitcnt vmcnt(8)
	v_mov_b64_e32 v[248:249], v[212:213]
	s_waitcnt lgkmcnt(0)
	v_fma_f32 v18, -v38, v6, v255
	v_mov_b32_e32 v84, v182
	v_mov_b32_e32 v85, v183
	;; [unrolled: 1-line block ×22, first 2 shown]
	s_waitcnt vmcnt(7)
	v_mov_b32_e32 v40, v182
	v_mov_b32_e32 v41, v183
	v_mov_b32_e32 v42, v184
	v_mov_b32_e32 v43, v185
	s_waitcnt vmcnt(6)
	v_mov_b32_e32 v44, v186
	v_mov_b32_e32 v45, v187
	v_mov_b32_e32 v46, v188
	v_mov_b32_e32 v47, v189
	;; [unrolled: 5-line block ×3, first 2 shown]
	v_mov_b32_e32 v149, v183
	v_mov_b32_e32 v150, v184
	;; [unrolled: 1-line block ×27, first 2 shown]
	v_mov_b64_e32 v[246:247], v[210:211]
	v_mov_b64_e32 v[244:245], v[208:209]
	v_mov_b64_e32 v[242:243], v[206:207]
	v_mov_b64_e32 v[240:241], v[204:205]
	v_mov_b64_e32 v[238:239], v[202:203]
	v_mov_b64_e32 v[236:237], v[200:201]
	v_mov_b64_e32 v[234:235], v[198:199]
	v_mov_b64_e32 v[232:233], v[196:197]
	v_mov_b64_e32 v[230:231], v[194:195]
	v_mov_b64_e32 v[228:229], v[192:193]
	v_mov_b64_e32 v[226:227], v[190:191]
	v_mov_b64_e32 v[224:225], v[188:189]
	s_waitcnt vmcnt(3)
	v_mov_b64_e32 v[12:13], v[52:53]
	v_mov_b64_e32 v[14:15], v[54:55]
	;; [unrolled: 1-line block ×3, first 2 shown]
	v_pk_fma_f32 v[54:55], v[38:39], v[2:3], v[14:15] op_sel_hi:[0,1,1] neg_lo:[1,0,0] neg_hi:[1,0,0]
	v_pk_fma_f32 v[96:97], v[38:39], v[0:1], v[12:13] op_sel_hi:[0,1,1] neg_lo:[1,0,0] neg_hi:[1,0,0]
	;; [unrolled: 1-line block ×3, first 2 shown]
	v_mov_b32_e32 v14, v54
	v_mov_b32_e32 v15, v55
	;; [unrolled: 1-line block ×12, first 2 shown]
	v_mov_b64_e32 v[222:223], v[186:187]
	v_mov_b64_e32 v[220:221], v[184:185]
	;; [unrolled: 1-line block ×4, first 2 shown]
	v_mov_b32_e32 v200, v18
	v_mov_b32_e32 v51, v38
	;; [unrolled: 1-line block ×4, first 2 shown]
	v_mov_b64_e32 v[194:195], v[12:13]
	v_mov_b64_e32 v[192:193], v[10:11]
	v_mov_b64_e32 v[190:191], v[8:9]
	v_mov_b64_e32 v[188:189], v[6:7]
	v_mov_b64_e32 v[186:187], v[4:5]
	v_mov_b64_e32 v[184:185], v[2:3]
	v_mov_b64_e32 v[182:183], v[0:1]
	v_mov_b32_e32 v199, v17
	v_mov_b32_e32 v198, v16
	;; [unrolled: 1-line block ×8, first 2 shown]
	scratch_store_dwordx4 off, v[182:185], off ; 16-byte Folded Spill
	s_nop 0
	scratch_store_dwordx4 off, v[186:189], off offset:16 ; 16-byte Folded Spill
	scratch_store_dwordx4 off, v[190:193], off offset:32 ; 16-byte Folded Spill
	;; [unrolled: 1-line block ×7, first 2 shown]
	v_mov_b32_e32 v164, v54
	scratch_store_dwordx4 off, v[40:43], off offset:384 ; 16-byte Folded Spill
	s_nop 0
	scratch_store_dwordx4 off, v[44:47], off offset:400 ; 16-byte Folded Spill
	scratch_store_dwordx4 off, v[48:51], off offset:416 ; 16-byte Folded Spill
	;; [unrolled: 1-line block ×4, first 2 shown]
	s_waitcnt vmcnt(15)
	scratch_store_dwordx4 off, v[60:63], off offset:464 ; 16-byte Folded Spill
	s_waitcnt vmcnt(15)
	scratch_store_dwordx4 off, v[64:67], off offset:480 ; 16-byte Folded Spill
	;; [unrolled: 2-line block ×3, first 2 shown]
	v_mov_b32_e32 v31, v38
	v_mov_b32_e32 v32, v96
	;; [unrolled: 1-line block ×3, first 2 shown]
	v_mov_b64_e32 v[0:1], v[20:21]
	v_mov_b32_e32 v95, v38
	v_mov_b32_e32 v127, v38
	;; [unrolled: 1-line block ×10, first 2 shown]
	v_mov_b64_e32 v[2:3], v[22:23]
	v_mov_b64_e32 v[4:5], v[24:25]
	;; [unrolled: 1-line block ×7, first 2 shown]
	v_mov_b32_e32 v16, v36
	v_mov_b32_e32 v180, v36
	v_mov_b32_e32 v67, v55
	scratch_store_dwordx4 off, v[52:55], off offset:128 ; 16-byte Folded Spill
	s_nop 0
	scratch_store_dwordx4 off, v[56:59], off offset:144 ; 16-byte Folded Spill
	scratch_store_dwordx4 off, v[60:63], off offset:160 ; 16-byte Folded Spill
	;; [unrolled: 1-line block ×8, first 2 shown]
	s_nop 0
	scratch_store_dwordx4 off, v[4:7], off offset:272 ; 16-byte Folded Spill
	scratch_store_dwordx4 off, v[8:11], off offset:288 ; 16-byte Folded Spill
	;; [unrolled: 1-line block ×7, first 2 shown]
.LBB36_202:
	s_or_b64 exec, exec, s[0:1]
	v_lshl_add_u32 v37, v253, 2, v252
	s_barrier
	ds_write_b32 v37, v58
	s_waitcnt lgkmcnt(0)
	s_barrier
	ds_read_b32 v37, v252 offset:48
	s_cmp_lt_i32 s22, 14
	v_mov_b32_e32 v38, 12
	s_cbranch_scc1 .LBB36_205
; %bb.203:
	v_add3_u32 v39, v214, 0, 52
	v_mov_b32_e32 v38, 12
	s_mov_b32 s0, 13
.LBB36_204:                             ; =>This Inner Loop Header: Depth=1
	ds_read_b32 v40, v39
	v_mov_b32_e32 v41, s0
	s_add_i32 s0, s0, 1
	v_add_u32_e32 v39, 4, v39
	s_cmp_lg_u32 s22, s0
	s_waitcnt lgkmcnt(0)
	v_cmp_lt_f32_e64 vcc, |v37|, |v40|
	s_nop 1
	v_cndmask_b32_e32 v37, v37, v40, vcc
	v_cndmask_b32_e32 v38, v38, v41, vcc
	s_cbranch_scc1 .LBB36_204
.LBB36_205:
	s_waitcnt lgkmcnt(0)
	v_cmp_eq_f32_e32 vcc, 0, v37
	s_and_saveexec_b64 s[0:1], vcc
	s_xor_b64 s[0:1], exec, s[0:1]
; %bb.206:
	v_cmp_ne_u32_e32 vcc, 0, v181
	s_nop 1
	v_cndmask_b32_e32 v181, 13, v181, vcc
; %bb.207:
	s_andn2_saveexec_b64 s[0:1], s[0:1]
	s_cbranch_execz .LBB36_209
; %bb.208:
	v_div_scale_f32 v39, s[2:3], v37, v37, 1.0
	v_rcp_f32_e32 v40, v39
	v_div_scale_f32 v41, vcc, 1.0, v37, 1.0
	v_fma_f32 v42, -v39, v40, 1.0
	v_fmac_f32_e32 v40, v42, v40
	v_mul_f32_e32 v42, v41, v40
	v_fma_f32 v43, -v39, v42, v41
	v_fmac_f32_e32 v42, v43, v40
	v_fma_f32 v39, -v39, v42, v41
	v_div_fmas_f32 v39, v39, v40, v42
	v_div_fixup_f32 v37, v39, v37, 1.0
.LBB36_209:
	s_or_b64 exec, exec, s[0:1]
	v_cmp_ne_u32_e32 vcc, v253, v38
	s_and_saveexec_b64 s[0:1], vcc
	s_xor_b64 s[0:1], exec, s[0:1]
	s_cbranch_execz .LBB36_215
; %bb.210:
	v_cmp_eq_u32_e32 vcc, 12, v253
	s_and_saveexec_b64 s[2:3], vcc
	s_cbranch_execz .LBB36_214
; %bb.211:
	v_cmp_ne_u32_e32 vcc, 12, v38
	s_xor_b64 s[18:19], s[16:17], -1
	s_and_b64 s[20:21], s[18:19], vcc
	s_and_saveexec_b64 s[18:19], s[20:21]
	s_cbranch_execz .LBB36_213
; %bb.212:
	scratch_load_dwordx2 v[44:45], off, off offset:1156 ; 8-byte Folded Reload
	v_ashrrev_i32_e32 v39, 31, v38
	s_waitcnt vmcnt(0)
	v_lshl_add_u64 v[40:41], v[38:39], 2, v[44:45]
	global_load_dword v39, v[40:41], off
	global_load_dword v42, v[44:45], off offset:48
	s_waitcnt vmcnt(1)
	global_store_dword v[44:45], v39, off offset:48
	s_waitcnt vmcnt(1)
	global_store_dword v[40:41], v42, off
.LBB36_213:
	s_or_b64 exec, exec, s[18:19]
	v_mov_b32_e32 v0, v38
	v_mov_b32_e32 v253, v38
	scratch_store_dword off, v0, off offset:512 ; 4-byte Folded Spill
.LBB36_214:
	s_or_b64 exec, exec, s[2:3]
.LBB36_215:
	s_andn2_saveexec_b64 s[0:1], s[0:1]
	s_cbranch_execz .LBB36_217
; %bb.216:
	scratch_load_dwordx4 v[0:3], off, off   ; 16-byte Folded Reload
	scratch_load_dwordx4 v[4:7], off, off offset:16 ; 16-byte Folded Reload
	scratch_load_dwordx4 v[8:11], off, off offset:32 ; 16-byte Folded Reload
	;; [unrolled: 1-line block ×7, first 2 shown]
	v_mov_b32_e32 v253, 12
	s_waitcnt vmcnt(4)
	ds_write2_b32 v252, v13, v14 offset0:13 offset1:14
	s_waitcnt vmcnt(3)
	ds_write2_b32 v252, v15, v16 offset0:15 offset1:16
	ds_write2_b32 v252, v17, v18 offset0:17 offset1:18
.LBB36_217:
	s_or_b64 exec, exec, s[0:1]
	v_cmp_lt_i32_e32 vcc, 12, v253
	s_waitcnt lgkmcnt(0)
	s_barrier
	s_and_saveexec_b64 s[0:1], vcc
	s_cbranch_execz .LBB36_219
; %bb.218:
	s_waitcnt vmcnt(4)
	v_mul_f32_e32 v230, v58, v37
	ds_read2_b32 v[0:1], v252 offset0:13 offset1:14
	scratch_load_dwordx4 v[20:23], off, off ; 16-byte Folded Reload
	scratch_load_dwordx4 v[24:27], off, off offset:16 ; 16-byte Folded Reload
	scratch_load_dwordx4 v[28:31], off, off offset:32 ; 16-byte Folded Reload
	;; [unrolled: 1-line block ×7, first 2 shown]
	ds_read2_b32 v[4:5], v252 offset0:15 offset1:16
	ds_read2_b32 v[6:7], v252 offset0:17 offset1:18
	v_mov_b32_e32 v8, v226
	v_mov_b32_e32 v9, v227
	;; [unrolled: 1-line block ×19, first 2 shown]
	s_waitcnt vmcnt(3)
	v_mov_b32_e32 v13, v33
	v_mov_b32_e32 v14, v34
	;; [unrolled: 1-line block ×8, first 2 shown]
	s_waitcnt lgkmcnt(2)
	v_pk_fma_f32 v[38:39], v[230:231], v[0:1], v[2:3] op_sel_hi:[0,1,1] neg_lo:[1,0,0] neg_hi:[1,0,0]
	v_mov_b32_e32 v0, v15
	v_mov_b32_e32 v1, v16
	s_waitcnt vmcnt(2) lgkmcnt(1)
	v_pk_fma_f32 v[40:41], v[230:231], v[4:5], v[0:1] op_sel_hi:[0,1,1] neg_lo:[1,0,0] neg_hi:[1,0,0]
	v_mov_b32_e32 v0, v17
	v_mov_b32_e32 v1, v18
	s_waitcnt lgkmcnt(0)
	v_pk_fma_f32 v[254:255], v[230:231], v[6:7], v[0:1] op_sel_hi:[0,1,1] neg_lo:[1,0,0] neg_hi:[1,0,0]
	v_mov_b32_e32 v0, v218
	v_mov_b32_e32 v1, v219
	;; [unrolled: 1-line block ×10, first 2 shown]
	scratch_store_dwordx4 off, v[0:3], off offset:384 ; 16-byte Folded Spill
	s_nop 0
	scratch_store_dwordx4 off, v[4:7], off offset:400 ; 16-byte Folded Spill
	scratch_store_dwordx4 off, v[8:11], off offset:416 ; 16-byte Folded Spill
	;; [unrolled: 1-line block ×7, first 2 shown]
	v_mov_b32_e32 v13, v38
	v_mov_b32_e32 v15, v40
	;; [unrolled: 1-line block ×10, first 2 shown]
	v_mov_b64_e32 v[116:117], v[218:219]
	v_mov_b64_e32 v[84:85], v[218:219]
	v_mov_b64_e32 v[118:119], v[220:221]
	v_mov_b64_e32 v[120:121], v[222:223]
	v_mov_b64_e32 v[122:123], v[224:225]
	v_mov_b64_e32 v[124:125], v[226:227]
	v_mov_b64_e32 v[126:127], v[228:229]
	v_mov_b64_e32 v[128:129], v[230:231]
	v_mov_b64_e32 v[86:87], v[220:221]
	v_mov_b64_e32 v[88:89], v[222:223]
	v_mov_b64_e32 v[90:91], v[224:225]
	v_mov_b64_e32 v[92:93], v[226:227]
	v_mov_b64_e32 v[94:95], v[228:229]
	v_mov_b64_e32 v[96:97], v[230:231]
	v_mov_b64_e32 v[130:131], v[232:233]
	v_mov_b64_e32 v[132:133], v[234:235]
	v_mov_b64_e32 v[134:135], v[236:237]
	v_mov_b64_e32 v[136:137], v[238:239]
	v_mov_b64_e32 v[138:139], v[240:241]
	v_mov_b64_e32 v[140:141], v[242:243]
	v_mov_b64_e32 v[142:143], v[244:245]
	v_mov_b64_e32 v[144:145], v[246:247]
	v_mov_b64_e32 v[146:147], v[248:249]
	v_mov_b64_e32 v[98:99], v[232:233]
	v_mov_b64_e32 v[100:101], v[234:235]
	v_mov_b64_e32 v[102:103], v[236:237]
	v_mov_b64_e32 v[104:105], v[238:239]
	v_mov_b64_e32 v[106:107], v[240:241]
	v_mov_b64_e32 v[108:109], v[242:243]
	v_mov_b64_e32 v[110:111], v[244:245]
	v_mov_b64_e32 v[112:113], v[246:247]
	v_mov_b64_e32 v[114:115], v[248:249]
	scratch_store_dwordx4 off, v[0:3], off offset:256 ; 16-byte Folded Spill
	s_nop 0
	scratch_store_dwordx4 off, v[4:7], off offset:272 ; 16-byte Folded Spill
	scratch_store_dwordx4 off, v[8:11], off offset:288 ; 16-byte Folded Spill
	;; [unrolled: 1-line block ×7, first 2 shown]
	v_mov_b32_e32 v13, v38
	v_mov_b32_e32 v14, v39
	;; [unrolled: 1-line block ×5, first 2 shown]
	scratch_store_dwordx4 off, v[0:3], off  ; 16-byte Folded Spill
	s_nop 0
	scratch_store_dwordx4 off, v[4:7], off offset:16 ; 16-byte Folded Spill
	scratch_store_dwordx4 off, v[8:11], off offset:32 ; 16-byte Folded Spill
	;; [unrolled: 1-line block ×8, first 2 shown]
	s_nop 0
	scratch_store_dwordx4 off, v[26:29], off offset:144 ; 16-byte Folded Spill
	scratch_store_dwordx4 off, v[30:33], off offset:160 ; 16-byte Folded Spill
	;; [unrolled: 1-line block ×4, first 2 shown]
	s_waitcnt vmcnt(30)
	scratch_store_dwordx4 off, v[42:45], off offset:208 ; 16-byte Folded Spill
	s_waitcnt vmcnt(30)
	scratch_store_dwordx4 off, v[46:49], off offset:224 ; 16-byte Folded Spill
	scratch_store_dwordx4 off, v[50:53], off offset:240 ; 16-byte Folded Spill
	v_mov_b32_e32 v180, v41
.LBB36_219:
	s_or_b64 exec, exec, s[0:1]
	v_lshl_add_u32 v37, v253, 2, v252
	s_barrier
	ds_write_b32 v37, v59
	s_waitcnt lgkmcnt(0)
	s_barrier
	ds_read_b32 v37, v252 offset:52
	s_cmp_lt_i32 s22, 15
	v_mov_b32_e32 v38, 13
	s_cbranch_scc1 .LBB36_222
; %bb.220:
	v_add3_u32 v39, v214, 0, 56
	v_mov_b32_e32 v38, 13
	s_mov_b32 s0, 14
.LBB36_221:                             ; =>This Inner Loop Header: Depth=1
	ds_read_b32 v40, v39
	v_mov_b32_e32 v41, s0
	s_add_i32 s0, s0, 1
	v_add_u32_e32 v39, 4, v39
	s_cmp_lg_u32 s22, s0
	s_waitcnt lgkmcnt(0)
	v_cmp_lt_f32_e64 vcc, |v37|, |v40|
	s_nop 1
	v_cndmask_b32_e32 v37, v37, v40, vcc
	v_cndmask_b32_e32 v38, v38, v41, vcc
	s_cbranch_scc1 .LBB36_221
.LBB36_222:
	s_waitcnt lgkmcnt(0)
	v_cmp_eq_f32_e32 vcc, 0, v37
	s_and_saveexec_b64 s[0:1], vcc
	s_xor_b64 s[0:1], exec, s[0:1]
; %bb.223:
	v_cmp_ne_u32_e32 vcc, 0, v181
	s_nop 1
	v_cndmask_b32_e32 v181, 14, v181, vcc
; %bb.224:
	s_andn2_saveexec_b64 s[0:1], s[0:1]
	s_cbranch_execz .LBB36_226
; %bb.225:
	v_div_scale_f32 v39, s[2:3], v37, v37, 1.0
	v_rcp_f32_e32 v40, v39
	v_div_scale_f32 v41, vcc, 1.0, v37, 1.0
	v_fma_f32 v42, -v39, v40, 1.0
	v_fmac_f32_e32 v40, v42, v40
	v_mul_f32_e32 v42, v41, v40
	v_fma_f32 v43, -v39, v42, v41
	v_fmac_f32_e32 v42, v43, v40
	v_fma_f32 v39, -v39, v42, v41
	v_div_fmas_f32 v39, v39, v40, v42
	v_div_fixup_f32 v37, v39, v37, 1.0
.LBB36_226:
	s_or_b64 exec, exec, s[0:1]
	v_cmp_ne_u32_e32 vcc, v253, v38
	s_and_saveexec_b64 s[0:1], vcc
	s_xor_b64 s[0:1], exec, s[0:1]
	s_cbranch_execz .LBB36_232
; %bb.227:
	v_cmp_eq_u32_e32 vcc, 13, v253
	s_and_saveexec_b64 s[2:3], vcc
	s_cbranch_execz .LBB36_231
; %bb.228:
	v_cmp_ne_u32_e32 vcc, 13, v38
	s_xor_b64 s[18:19], s[16:17], -1
	s_and_b64 s[20:21], s[18:19], vcc
	s_and_saveexec_b64 s[18:19], s[20:21]
	s_cbranch_execz .LBB36_230
; %bb.229:
	scratch_load_dwordx2 v[44:45], off, off offset:1156 ; 8-byte Folded Reload
	v_ashrrev_i32_e32 v39, 31, v38
	s_waitcnt vmcnt(0)
	v_lshl_add_u64 v[40:41], v[38:39], 2, v[44:45]
	global_load_dword v39, v[40:41], off
	global_load_dword v42, v[44:45], off offset:52
	s_waitcnt vmcnt(1)
	global_store_dword v[44:45], v39, off offset:52
	s_waitcnt vmcnt(1)
	global_store_dword v[40:41], v42, off
.LBB36_230:
	s_or_b64 exec, exec, s[18:19]
	v_mov_b32_e32 v0, v38
	v_mov_b32_e32 v253, v38
	scratch_store_dword off, v0, off offset:512 ; 4-byte Folded Spill
.LBB36_231:
	s_or_b64 exec, exec, s[2:3]
.LBB36_232:
	s_andn2_saveexec_b64 s[0:1], s[0:1]
	s_cbranch_execz .LBB36_234
; %bb.233:
	scratch_load_dwordx4 v[0:3], off, off   ; 16-byte Folded Reload
	scratch_load_dwordx4 v[4:7], off, off offset:16 ; 16-byte Folded Reload
	scratch_load_dwordx4 v[8:11], off, off offset:32 ; 16-byte Folded Reload
	;; [unrolled: 1-line block ×7, first 2 shown]
	v_mov_b32_e32 v253, 13
	s_waitcnt vmcnt(4)
	ds_write2_b32 v252, v14, v15 offset0:14 offset1:15
	s_waitcnt vmcnt(3)
	ds_write2_b32 v252, v16, v17 offset0:16 offset1:17
	ds_write_b32 v252, v255 offset:72
.LBB36_234:
	s_or_b64 exec, exec, s[0:1]
	v_cmp_lt_i32_e32 vcc, 13, v253
	s_waitcnt lgkmcnt(0)
	s_barrier
	s_and_saveexec_b64 s[0:1], vcc
	s_cbranch_execz .LBB36_236
; %bb.235:
	ds_read2_b32 v[0:1], v252 offset0:14 offset1:15
	ds_read2_b32 v[2:3], v252 offset0:16 offset1:17
	ds_read_b32 v4, v252 offset:72
	v_mul_f32_e32 v38, v59, v37
	scratch_load_dwordx4 v[6:9], off, off   ; 16-byte Folded Reload
	scratch_load_dwordx4 v[10:13], off, off offset:16 ; 16-byte Folded Reload
	scratch_load_dwordx4 v[14:17], off, off offset:32 ; 16-byte Folded Reload
	;; [unrolled: 1-line block ×7, first 2 shown]
	v_mov_b32_e32 v52, v84
	v_mov_b32_e32 v53, v85
	;; [unrolled: 1-line block ×14, first 2 shown]
	s_waitcnt vmcnt(4) lgkmcnt(0)
	v_fma_f32 v18, -v38, v4, v255
	v_mov_b32_e32 v97, v38
	v_mov_b32_e32 v4, v88
	;; [unrolled: 1-line block ×11, first 2 shown]
	v_mov_b64_e32 v[146:147], v[114:115]
	v_mov_b32_e32 v148, v84
	v_mov_b32_e32 v149, v85
	;; [unrolled: 1-line block ×3, first 2 shown]
	s_waitcnt vmcnt(3)
	v_mov_b32_e32 v24, v88
	v_mov_b32_e32 v25, v89
	s_waitcnt vmcnt(2)
	v_mov_b32_e32 v26, v90
	v_mov_b32_e32 v27, v91
	;; [unrolled: 1-line block ×4, first 2 shown]
	s_waitcnt vmcnt(1)
	v_mov_b32_e32 v30, v94
	v_mov_b32_e32 v31, v95
	;; [unrolled: 1-line block ×4, first 2 shown]
	v_mov_b64_e32 v[144:145], v[112:113]
	v_mov_b64_e32 v[142:143], v[110:111]
	v_mov_b64_e32 v[140:141], v[108:109]
	v_mov_b64_e32 v[138:139], v[106:107]
	v_mov_b64_e32 v[136:137], v[104:105]
	v_mov_b64_e32 v[134:135], v[102:103]
	v_mov_b64_e32 v[132:133], v[100:101]
	v_mov_b64_e32 v[130:131], v[98:99]
	v_mov_b64_e32 v[128:129], v[96:97]
	v_mov_b64_e32 v[126:127], v[94:95]
	v_mov_b64_e32 v[124:125], v[92:93]
	v_mov_b64_e32 v[122:123], v[90:91]
	v_mov_b64_e32 v[120:121], v[88:89]
	v_mov_b64_e32 v[118:119], v[86:87]
	v_mov_b64_e32 v[116:117], v[84:85]
	v_mov_b32_e32 v151, v87
	v_mov_b32_e32 v152, v88
	;; [unrolled: 1-line block ×12, first 2 shown]
	v_mov_b64_e32 v[14:15], v[20:21]
	v_pk_fma_f32 v[66:67], v[38:39], v[0:1], v[14:15] op_sel_hi:[0,1,1] neg_lo:[1,0,0] neg_hi:[1,0,0]
	v_mov_b64_e32 v[16:17], v[22:23]
	v_mov_b32_e32 v162, v66
	v_mov_b32_e32 v163, v67
	s_waitcnt vmcnt(0)
	v_mov_b32_e32 v34, v66
	v_mov_b32_e32 v35, v67
	;; [unrolled: 1-line block ×5, first 2 shown]
	scratch_store_dwordx4 off, v[52:55], off offset:384 ; 16-byte Folded Spill
	s_nop 0
	scratch_store_dwordx4 off, v[56:59], off offset:400 ; 16-byte Folded Spill
	scratch_store_dwordx4 off, v[60:63], off offset:416 ; 16-byte Folded Spill
	;; [unrolled: 1-line block ×8, first 2 shown]
	s_nop 0
	scratch_store_dwordx4 off, v[56:59], off offset:144 ; 16-byte Folded Spill
	scratch_store_dwordx4 off, v[60:63], off offset:160 ; 16-byte Folded Spill
	;; [unrolled: 1-line block ×7, first 2 shown]
	v_pk_fma_f32 v[36:37], v[38:39], v[2:3], v[16:17] op_sel_hi:[0,1,1] neg_lo:[1,0,0] neg_hi:[1,0,0]
	v_mov_b32_e32 v20, v84
	v_mov_b32_e32 v21, v85
	;; [unrolled: 1-line block ×6, first 2 shown]
	v_mov_b64_e32 v[82:83], v[14:15]
	v_mov_b32_e32 v22, v86
	v_mov_b32_e32 v23, v87
	;; [unrolled: 1-line block ×4, first 2 shown]
	v_mov_b64_e32 v[80:81], v[12:13]
	v_mov_b64_e32 v[78:79], v[10:11]
	;; [unrolled: 1-line block ×7, first 2 shown]
	v_mov_b32_e32 v86, v18
	v_mov_b64_e32 v[0:1], v[20:21]
	v_mov_b32_e32 v254, v37
	v_mov_b32_e32 v85, v17
	;; [unrolled: 1-line block ×3, first 2 shown]
	v_mov_b64_e32 v[2:3], v[22:23]
	v_mov_b64_e32 v[4:5], v[24:25]
	;; [unrolled: 1-line block ×7, first 2 shown]
	v_mov_b32_e32 v16, v36
	v_mov_b32_e32 v180, v36
	scratch_store_dwordx4 off, v[68:71], off ; 16-byte Folded Spill
	s_nop 0
	scratch_store_dwordx4 off, v[72:75], off offset:16 ; 16-byte Folded Spill
	scratch_store_dwordx4 off, v[76:79], off offset:32 ; 16-byte Folded Spill
	;; [unrolled: 1-line block ×8, first 2 shown]
	s_nop 0
	scratch_store_dwordx4 off, v[4:7], off offset:272 ; 16-byte Folded Spill
	scratch_store_dwordx4 off, v[8:11], off offset:288 ; 16-byte Folded Spill
	;; [unrolled: 1-line block ×7, first 2 shown]
.LBB36_236:
	s_or_b64 exec, exec, s[0:1]
	v_lshl_add_u32 v37, v253, 2, v252
	s_barrier
	ds_write_b32 v37, v164
	s_waitcnt lgkmcnt(0)
	s_barrier
	ds_read_b32 v37, v252 offset:56
	s_cmp_lt_i32 s22, 16
	v_mov_b32_e32 v38, 14
	s_cbranch_scc1 .LBB36_239
; %bb.237:
	v_add3_u32 v39, v214, 0, 60
	v_mov_b32_e32 v38, 14
	s_mov_b32 s0, 15
.LBB36_238:                             ; =>This Inner Loop Header: Depth=1
	ds_read_b32 v40, v39
	v_mov_b32_e32 v41, s0
	s_add_i32 s0, s0, 1
	v_add_u32_e32 v39, 4, v39
	s_cmp_lg_u32 s22, s0
	s_waitcnt lgkmcnt(0)
	v_cmp_lt_f32_e64 vcc, |v37|, |v40|
	s_nop 1
	v_cndmask_b32_e32 v37, v37, v40, vcc
	v_cndmask_b32_e32 v38, v38, v41, vcc
	s_cbranch_scc1 .LBB36_238
.LBB36_239:
	s_waitcnt lgkmcnt(0)
	v_cmp_eq_f32_e32 vcc, 0, v37
	s_and_saveexec_b64 s[0:1], vcc
	s_xor_b64 s[0:1], exec, s[0:1]
; %bb.240:
	v_cmp_ne_u32_e32 vcc, 0, v181
	s_nop 1
	v_cndmask_b32_e32 v181, 15, v181, vcc
; %bb.241:
	s_andn2_saveexec_b64 s[0:1], s[0:1]
	s_cbranch_execz .LBB36_243
; %bb.242:
	v_div_scale_f32 v39, s[2:3], v37, v37, 1.0
	v_rcp_f32_e32 v40, v39
	v_div_scale_f32 v41, vcc, 1.0, v37, 1.0
	v_fma_f32 v42, -v39, v40, 1.0
	v_fmac_f32_e32 v40, v42, v40
	v_mul_f32_e32 v42, v41, v40
	v_fma_f32 v43, -v39, v42, v41
	v_fmac_f32_e32 v42, v43, v40
	v_fma_f32 v39, -v39, v42, v41
	v_div_fmas_f32 v39, v39, v40, v42
	v_div_fixup_f32 v37, v39, v37, 1.0
.LBB36_243:
	s_or_b64 exec, exec, s[0:1]
	v_cmp_ne_u32_e32 vcc, v253, v38
	s_and_saveexec_b64 s[0:1], vcc
	s_xor_b64 s[0:1], exec, s[0:1]
	s_cbranch_execz .LBB36_249
; %bb.244:
	v_cmp_eq_u32_e32 vcc, 14, v253
	s_and_saveexec_b64 s[2:3], vcc
	s_cbranch_execz .LBB36_248
; %bb.245:
	v_cmp_ne_u32_e32 vcc, 14, v38
	s_xor_b64 s[18:19], s[16:17], -1
	s_and_b64 s[20:21], s[18:19], vcc
	s_and_saveexec_b64 s[18:19], s[20:21]
	s_cbranch_execz .LBB36_247
; %bb.246:
	scratch_load_dwordx2 v[44:45], off, off offset:1156 ; 8-byte Folded Reload
	v_ashrrev_i32_e32 v39, 31, v38
	s_waitcnt vmcnt(0)
	v_lshl_add_u64 v[40:41], v[38:39], 2, v[44:45]
	global_load_dword v39, v[40:41], off
	global_load_dword v42, v[44:45], off offset:56
	s_waitcnt vmcnt(1)
	global_store_dword v[44:45], v39, off offset:56
	s_waitcnt vmcnt(1)
	global_store_dword v[40:41], v42, off
.LBB36_247:
	s_or_b64 exec, exec, s[18:19]
	v_mov_b32_e32 v0, v38
	v_mov_b32_e32 v253, v38
	scratch_store_dword off, v0, off offset:512 ; 4-byte Folded Spill
.LBB36_248:
	s_or_b64 exec, exec, s[2:3]
.LBB36_249:
	s_andn2_saveexec_b64 s[0:1], s[0:1]
	s_cbranch_execz .LBB36_251
; %bb.250:
	scratch_load_dwordx4 v[0:3], off, off   ; 16-byte Folded Reload
	scratch_load_dwordx4 v[4:7], off, off offset:16 ; 16-byte Folded Reload
	scratch_load_dwordx4 v[8:11], off, off offset:32 ; 16-byte Folded Reload
	scratch_load_dwordx4 v[12:15], off, off offset:48 ; 16-byte Folded Reload
	scratch_load_dwordx4 v[16:19], off, off offset:64 ; 16-byte Folded Reload
	scratch_load_dwordx4 v[20:23], off, off offset:80 ; 16-byte Folded Reload
	scratch_load_dwordx4 v[24:27], off, off offset:96 ; 16-byte Folded Reload
	scratch_load_dwordx4 v[28:31], off, off offset:112 ; 16-byte Folded Reload
	v_mov_b32_e32 v253, 14
	s_waitcnt vmcnt(3)
	ds_write2_b32 v252, v15, v16 offset0:15 offset1:16
	ds_write2_b32 v252, v17, v18 offset0:17 offset1:18
.LBB36_251:
	s_or_b64 exec, exec, s[0:1]
	v_cmp_lt_i32_e32 vcc, 14, v253
	s_waitcnt lgkmcnt(0)
	s_barrier
	s_and_saveexec_b64 s[0:1], vcc
	s_cbranch_execz .LBB36_253
; %bb.252:
	ds_read2_b32 v[0:1], v252 offset0:15 offset1:16
	v_mul_f32_e32 v130, v164, v37
	scratch_load_dwordx4 v[20:23], off, off ; 16-byte Folded Reload
	scratch_load_dwordx4 v[24:27], off, off offset:16 ; 16-byte Folded Reload
	scratch_load_dwordx4 v[28:31], off, off offset:32 ; 16-byte Folded Reload
	;; [unrolled: 1-line block ×7, first 2 shown]
	ds_read2_b32 v[4:5], v252 offset0:17 offset1:18
	v_mov_b32_e32 v6, v122
	v_mov_b32_e32 v7, v123
	;; [unrolled: 1-line block ×9, first 2 shown]
	s_waitcnt vmcnt(3)
	v_mov_b32_e32 v15, v35
	v_mov_b32_e32 v16, v36
	;; [unrolled: 1-line block ×6, first 2 shown]
	s_waitcnt lgkmcnt(1)
	v_pk_fma_f32 v[38:39], v[130:131], v[0:1], v[2:3] op_sel_hi:[0,1,1] neg_lo:[1,0,0] neg_hi:[1,0,0]
	v_mov_b32_e32 v0, v17
	v_mov_b32_e32 v1, v18
	s_waitcnt lgkmcnt(0)
	v_pk_fma_f32 v[254:255], v[130:131], v[4:5], v[0:1] op_sel_hi:[0,1,1] neg_lo:[1,0,0] neg_hi:[1,0,0]
	v_mov_b32_e32 v0, v116
	v_mov_b32_e32 v1, v117
	;; [unrolled: 1-line block ×8, first 2 shown]
	scratch_store_dwordx4 off, v[0:3], off offset:256 ; 16-byte Folded Spill
	s_nop 0
	scratch_store_dwordx4 off, v[4:7], off offset:272 ; 16-byte Folded Spill
	scratch_store_dwordx4 off, v[8:11], off offset:288 ; 16-byte Folded Spill
	;; [unrolled: 1-line block ×7, first 2 shown]
	v_mov_b32_e32 v15, v38
	v_mov_b32_e32 v17, v254
	;; [unrolled: 1-line block ×4, first 2 shown]
	v_mov_b64_e32 v[178:179], v[146:147]
	v_mov_b32_e32 v37, v38
	v_mov_b64_e32 v[176:177], v[144:145]
	v_mov_b64_e32 v[174:175], v[142:143]
	;; [unrolled: 1-line block ×15, first 2 shown]
	scratch_store_dwordx4 off, v[0:3], off  ; 16-byte Folded Spill
	s_nop 0
	scratch_store_dwordx4 off, v[4:7], off offset:16 ; 16-byte Folded Spill
	scratch_store_dwordx4 off, v[8:11], off offset:32 ; 16-byte Folded Spill
	;; [unrolled: 1-line block ×8, first 2 shown]
	s_nop 0
	scratch_store_dwordx4 off, v[120:123], off offset:400 ; 16-byte Folded Spill
	scratch_store_dwordx4 off, v[124:127], off offset:416 ; 16-byte Folded Spill
	;; [unrolled: 1-line block ×8, first 2 shown]
	s_nop 0
	scratch_store_dwordx4 off, v[26:29], off offset:144 ; 16-byte Folded Spill
	scratch_store_dwordx4 off, v[30:33], off offset:160 ; 16-byte Folded Spill
	;; [unrolled: 1-line block ×3, first 2 shown]
	s_waitcnt vmcnt(30)
	scratch_store_dwordx4 off, v[38:41], off offset:192 ; 16-byte Folded Spill
	s_waitcnt vmcnt(30)
	scratch_store_dwordx4 off, v[42:45], off offset:208 ; 16-byte Folded Spill
	;; [unrolled: 2-line block ×3, first 2 shown]
	scratch_store_dwordx4 off, v[50:53], off offset:240 ; 16-byte Folded Spill
	v_mov_b32_e32 v180, v39
.LBB36_253:
	s_or_b64 exec, exec, s[0:1]
	s_barrier
	scratch_load_dwordx4 v[68:71], off, off offset:128 ; 16-byte Folded Reload
	scratch_load_dwordx4 v[72:75], off, off offset:144 ; 16-byte Folded Reload
	;; [unrolled: 1-line block ×8, first 2 shown]
	v_lshl_add_u32 v37, v253, 2, v252
	s_cmp_lt_i32 s22, 17
	v_mov_b32_e32 v38, 15
	s_waitcnt vmcnt(4)
	ds_write_b32 v37, v83
	s_waitcnt lgkmcnt(0)
	s_barrier
	ds_read_b32 v37, v252 offset:60
	s_cbranch_scc1 .LBB36_324
; %bb.254:
	scratch_load_dwordx4 v[100:103], off, off offset:256 ; 16-byte Folded Reload
	scratch_load_dwordx4 v[104:107], off, off offset:272 ; 16-byte Folded Reload
	scratch_load_dwordx4 v[108:111], off, off offset:288 ; 16-byte Folded Reload
	scratch_load_dwordx4 v[112:115], off, off offset:304 ; 16-byte Folded Reload
	scratch_load_dwordx4 v[116:119], off, off offset:320 ; 16-byte Folded Reload
	scratch_load_dwordx4 v[120:123], off, off offset:336 ; 16-byte Folded Reload
	scratch_load_dwordx4 v[124:127], off, off offset:352 ; 16-byte Folded Reload
	scratch_load_dwordx4 v[128:131], off, off offset:368 ; 16-byte Folded Reload
	v_add3_u32 v19, v214, 0, 64
	v_mov_b32_e32 v38, 15
	s_mov_b32 s0, 16
.LBB36_255:                             ; =>This Inner Loop Header: Depth=1
	ds_read_b32 v39, v19
	v_mov_b32_e32 v40, s0
	s_add_i32 s0, s0, 1
	v_add_u32_e32 v19, 4, v19
	s_cmp_lg_u32 s22, s0
	s_waitcnt lgkmcnt(0)
	v_cmp_lt_f32_e64 vcc, |v37|, |v39|
	s_nop 1
	v_cndmask_b32_e32 v37, v37, v39, vcc
	v_cndmask_b32_e32 v38, v38, v40, vcc
	s_cbranch_scc1 .LBB36_255
; %bb.256:
	v_cmp_eq_f32_e32 vcc, 0, v37
	s_and_saveexec_b64 s[0:1], vcc
	s_xor_b64 s[0:1], exec, s[0:1]
.LBB36_257:
	v_cmp_ne_u32_e32 vcc, 0, v181
	s_nop 1
	v_cndmask_b32_e32 v181, 16, v181, vcc
.LBB36_258:
	s_andn2_saveexec_b64 s[0:1], s[0:1]
	s_cbranch_execz .LBB36_260
; %bb.259:
	v_div_scale_f32 v19, s[2:3], v37, v37, 1.0
	v_rcp_f32_e32 v39, v19
	v_div_scale_f32 v40, vcc, 1.0, v37, 1.0
	v_fma_f32 v41, -v19, v39, 1.0
	v_fmac_f32_e32 v39, v41, v39
	v_mul_f32_e32 v41, v40, v39
	v_fma_f32 v42, -v19, v41, v40
	v_fmac_f32_e32 v41, v42, v39
	v_fma_f32 v19, -v19, v41, v40
	v_div_fmas_f32 v19, v19, v39, v41
	v_div_fixup_f32 v37, v19, v37, 1.0
.LBB36_260:
	s_or_b64 exec, exec, s[0:1]
	v_cmp_ne_u32_e32 vcc, v253, v38
	s_and_saveexec_b64 s[0:1], vcc
	s_xor_b64 s[0:1], exec, s[0:1]
	s_cbranch_execz .LBB36_266
; %bb.261:
	v_cmp_eq_u32_e32 vcc, 15, v253
	s_and_saveexec_b64 s[2:3], vcc
	s_cbranch_execz .LBB36_265
; %bb.262:
	v_cmp_ne_u32_e32 vcc, 15, v38
	s_xor_b64 s[18:19], s[16:17], -1
	s_and_b64 s[20:21], s[18:19], vcc
	s_and_saveexec_b64 s[18:19], s[20:21]
	s_cbranch_execz .LBB36_264
; %bb.263:
	scratch_load_dwordx2 v[42:43], off, off offset:1156 ; 8-byte Folded Reload
	v_ashrrev_i32_e32 v39, 31, v38
	s_waitcnt vmcnt(0)
	v_lshl_add_u64 v[40:41], v[38:39], 2, v[42:43]
	global_load_dword v19, v[40:41], off
	global_load_dword v39, v[42:43], off offset:60
	s_waitcnt vmcnt(1)
	global_store_dword v[42:43], v19, off offset:60
	s_waitcnt vmcnt(1)
	global_store_dword v[40:41], v39, off
.LBB36_264:
	s_or_b64 exec, exec, s[18:19]
	v_mov_b32_e32 v0, v38
	v_mov_b32_e32 v253, v38
	scratch_store_dword off, v0, off offset:512 ; 4-byte Folded Spill
.LBB36_265:
	s_or_b64 exec, exec, s[2:3]
.LBB36_266:
	s_andn2_saveexec_b64 s[0:1], s[0:1]
	s_cbranch_execz .LBB36_268
; %bb.267:
	scratch_load_dwordx4 v[68:71], off, off ; 16-byte Folded Reload
	scratch_load_dwordx4 v[72:75], off, off offset:16 ; 16-byte Folded Reload
	scratch_load_dwordx4 v[76:79], off, off offset:32 ; 16-byte Folded Reload
	;; [unrolled: 1-line block ×7, first 2 shown]
	v_mov_b32_e32 v253, 15
	s_waitcnt vmcnt(3)
	ds_write2_b32 v252, v84, v85 offset0:16 offset1:17
	ds_write_b32 v252, v255 offset:72
.LBB36_268:
	s_or_b64 exec, exec, s[0:1]
	v_cmp_lt_i32_e32 vcc, 15, v253
	s_waitcnt lgkmcnt(0)
	s_barrier
	s_and_saveexec_b64 s[0:1], vcc
	s_cbranch_execz .LBB36_270
; %bb.269:
	ds_read2_b32 v[0:1], v252 offset0:16 offset1:17
	ds_read_b32 v2, v252 offset:72
	scratch_load_dwordx4 v[68:71], off, off offset:128 ; 16-byte Folded Reload
	scratch_load_dwordx4 v[72:75], off, off offset:144 ; 16-byte Folded Reload
	;; [unrolled: 1-line block ×16, first 2 shown]
	scratch_load_dwordx4 v[4:7], off, off   ; 16-byte Folded Reload
	scratch_load_dwordx4 v[8:11], off, off offset:16 ; 16-byte Folded Reload
	scratch_load_dwordx4 v[12:15], off, off offset:32 ; 16-byte Folded Reload
	;; [unrolled: 1-line block ×7, first 2 shown]
	s_waitcnt vmcnt(15)
	v_mov_b32_e32 v3, v151
	s_waitcnt vmcnt(7)
	v_mov_b32_e32 v4, v152
	v_mul_f32_e32 v38, v83, v37
	s_waitcnt vmcnt(4) lgkmcnt(0)
	v_fma_f32 v18, -v38, v2, v255
	v_mov_b32_e32 v14, v162
	s_waitcnt vmcnt(3)
	v_pk_fma_f32 v[116:117], v[38:39], v[0:1], v[20:21] op_sel_hi:[0,1,1] neg_lo:[1,0,0] neg_hi:[1,0,0]
	v_mov_b32_e32 v15, v38
	v_mov_b32_e32 v163, v38
	;; [unrolled: 1-line block ×17, first 2 shown]
	v_mov_b64_e32 v[52:53], v[14:15]
	v_mov_b32_e32 v56, v18
	v_mov_b32_e32 v100, v148
	;; [unrolled: 1-line block ×18, first 2 shown]
	v_mov_b64_e32 v[50:51], v[12:13]
	v_mov_b64_e32 v[48:49], v[10:11]
	;; [unrolled: 1-line block ×7, first 2 shown]
	v_mov_b32_e32 v55, v17
	v_mov_b32_e32 v54, v16
	;; [unrolled: 1-line block ×3, first 2 shown]
	scratch_store_dwordx4 off, v[38:41], off ; 16-byte Folded Spill
	s_nop 0
	scratch_store_dwordx4 off, v[42:45], off offset:16 ; 16-byte Folded Spill
	scratch_store_dwordx4 off, v[46:49], off offset:32 ; 16-byte Folded Spill
	;; [unrolled: 1-line block ×7, first 2 shown]
.LBB36_270:
	s_or_b64 exec, exec, s[0:1]
	v_lshl_add_u32 v19, v253, 2, v252
	s_barrier
	ds_write_b32 v19, v180
	s_waitcnt lgkmcnt(0)
	s_barrier
	ds_read_b32 v19, v252 offset:64
	s_cmp_lt_i32 s22, 18
	v_mov_b32_e32 v38, 16
	s_cbranch_scc1 .LBB36_273
; %bb.271:
	v_add_u32_e32 v37, 0x44, v252
	v_mov_b32_e32 v38, 16
	s_mov_b32 s0, 17
.LBB36_272:                             ; =>This Inner Loop Header: Depth=1
	ds_read_b32 v39, v37
	v_mov_b32_e32 v40, s0
	s_add_i32 s0, s0, 1
	v_add_u32_e32 v37, 4, v37
	s_cmp_lg_u32 s22, s0
	s_waitcnt lgkmcnt(0)
	v_cmp_lt_f32_e64 vcc, |v19|, |v39|
	s_nop 1
	v_cndmask_b32_e32 v19, v19, v39, vcc
	v_cndmask_b32_e32 v38, v38, v40, vcc
	s_cbranch_scc1 .LBB36_272
.LBB36_273:
	s_waitcnt lgkmcnt(0)
	v_cmp_eq_f32_e32 vcc, 0, v19
	s_and_saveexec_b64 s[0:1], vcc
	s_xor_b64 s[0:1], exec, s[0:1]
; %bb.274:
	v_cmp_ne_u32_e32 vcc, 0, v181
	s_nop 1
	v_cndmask_b32_e32 v181, 17, v181, vcc
; %bb.275:
	s_andn2_saveexec_b64 s[0:1], s[0:1]
	s_cbranch_execz .LBB36_277
; %bb.276:
	v_div_scale_f32 v37, s[2:3], v19, v19, 1.0
	v_rcp_f32_e32 v39, v37
	v_div_scale_f32 v40, vcc, 1.0, v19, 1.0
	v_fma_f32 v41, -v37, v39, 1.0
	v_fmac_f32_e32 v39, v41, v39
	v_mul_f32_e32 v41, v40, v39
	v_fma_f32 v42, -v37, v41, v40
	v_fmac_f32_e32 v41, v42, v39
	v_fma_f32 v37, -v37, v41, v40
	v_div_fmas_f32 v37, v37, v39, v41
	v_div_fixup_f32 v19, v37, v19, 1.0
.LBB36_277:
	s_or_b64 exec, exec, s[0:1]
	v_cmp_ne_u32_e32 vcc, v253, v38
	s_and_saveexec_b64 s[0:1], vcc
	s_xor_b64 s[0:1], exec, s[0:1]
	s_cbranch_execz .LBB36_283
; %bb.278:
	v_cmp_eq_u32_e32 vcc, 16, v253
	s_and_saveexec_b64 s[2:3], vcc
	s_cbranch_execz .LBB36_282
; %bb.279:
	v_cmp_ne_u32_e32 vcc, 16, v38
	s_xor_b64 s[18:19], s[16:17], -1
	s_and_b64 s[20:21], s[18:19], vcc
	s_and_saveexec_b64 s[18:19], s[20:21]
	s_cbranch_execz .LBB36_281
; %bb.280:
	scratch_load_dwordx2 v[42:43], off, off offset:1156 ; 8-byte Folded Reload
	v_ashrrev_i32_e32 v39, 31, v38
	s_waitcnt vmcnt(0)
	v_lshl_add_u64 v[40:41], v[38:39], 2, v[42:43]
	global_load_dword v37, v[40:41], off
	global_load_dword v39, v[42:43], off offset:64
	s_waitcnt vmcnt(1)
	global_store_dword v[42:43], v37, off offset:64
	s_waitcnt vmcnt(1)
	global_store_dword v[40:41], v39, off
.LBB36_281:
	s_or_b64 exec, exec, s[18:19]
	v_mov_b32_e32 v0, v38
	v_mov_b32_e32 v253, v38
	scratch_store_dword off, v0, off offset:512 ; 4-byte Folded Spill
.LBB36_282:
	s_or_b64 exec, exec, s[2:3]
.LBB36_283:
	s_andn2_saveexec_b64 s[0:1], s[0:1]
	s_cbranch_execz .LBB36_285
; %bb.284:
	scratch_load_dwordx4 v[38:41], off, off ; 16-byte Folded Reload
	scratch_load_dwordx4 v[42:45], off, off offset:16 ; 16-byte Folded Reload
	scratch_load_dwordx4 v[46:49], off, off offset:32 ; 16-byte Folded Reload
	;; [unrolled: 1-line block ×7, first 2 shown]
	v_mov_b32_e32 v253, 16
	s_waitcnt vmcnt(3)
	ds_write2_b32 v252, v55, v56 offset0:17 offset1:18
.LBB36_285:
	s_or_b64 exec, exec, s[0:1]
	v_cmp_lt_i32_e32 vcc, 16, v253
	s_waitcnt lgkmcnt(0)
	s_barrier
	s_and_saveexec_b64 s[0:1], vcc
	s_cbranch_execz .LBB36_287
; %bb.286:
	ds_read2_b32 v[0:1], v252 offset0:17 offset1:18
	v_mul_f32_e32 v164, v180, v19
	scratch_load_dwordx4 v[2:5], off, off   ; 16-byte Folded Reload
	scratch_load_dwordx4 v[6:9], off, off offset:16 ; 16-byte Folded Reload
	scratch_load_dwordx4 v[10:13], off, off offset:32 ; 16-byte Folded Reload
	scratch_load_dwordx4 v[14:17], off, off offset:48 ; 16-byte Folded Reload
	scratch_load_dwordx4 v[18:21], off, off offset:64 ; 16-byte Folded Reload
	scratch_load_dwordx4 v[22:25], off, off offset:80 ; 16-byte Folded Reload
	scratch_load_dwordx4 v[26:29], off, off offset:96 ; 16-byte Folded Reload
	scratch_load_dwordx4 v[30:33], off, off offset:112 ; 16-byte Folded Reload
	s_waitcnt vmcnt(3)
	v_mov_b32_e32 v17, v19
	v_mov_b32_e32 v18, v20
	v_mov_b32_e32 v2, v17
	v_mov_b32_e32 v3, v18
	s_waitcnt lgkmcnt(0)
	v_pk_fma_f32 v[254:255], v[164:165], v[0:1], v[2:3] op_sel_hi:[0,1,1] neg_lo:[1,0,0] neg_hi:[1,0,0]
	v_mov_b32_e32 v165, v254
	v_mov_b32_e32 v166, v255
	scratch_store_dwordx4 off, v[148:151], off ; 16-byte Folded Spill
	s_nop 0
	scratch_store_dwordx4 off, v[152:155], off offset:16 ; 16-byte Folded Spill
	scratch_store_dwordx4 off, v[156:159], off offset:32 ; 16-byte Folded Spill
	;; [unrolled: 1-line block ×7, first 2 shown]
	v_mov_b64_e32 v[100:101], v[148:149]
	v_mov_b64_e32 v[102:103], v[150:151]
	;; [unrolled: 1-line block ×16, first 2 shown]
.LBB36_287:
	s_or_b64 exec, exec, s[0:1]
	v_lshl_add_u32 v19, v253, 2, v252
	s_barrier
	ds_write_b32 v19, v254
	s_waitcnt lgkmcnt(0)
	s_barrier
	ds_read_b32 v19, v252 offset:68
	s_cmp_lt_i32 s22, 19
	v_mov_b32_e32 v38, 17
	s_cbranch_scc1 .LBB36_290
; %bb.288:
	v_add_u32_e32 v37, 0x48, v252
	v_mov_b32_e32 v38, 17
	s_mov_b32 s0, 18
.LBB36_289:                             ; =>This Inner Loop Header: Depth=1
	ds_read_b32 v39, v37
	v_mov_b32_e32 v40, s0
	s_add_i32 s0, s0, 1
	v_add_u32_e32 v37, 4, v37
	s_cmp_lg_u32 s22, s0
	s_waitcnt lgkmcnt(0)
	v_cmp_lt_f32_e64 vcc, |v19|, |v39|
	s_nop 1
	v_cndmask_b32_e32 v19, v19, v39, vcc
	v_cndmask_b32_e32 v38, v38, v40, vcc
	s_cbranch_scc1 .LBB36_289
.LBB36_290:
	s_waitcnt lgkmcnt(0)
	v_cmp_eq_f32_e32 vcc, 0, v19
	s_and_saveexec_b64 s[0:1], vcc
	s_xor_b64 s[0:1], exec, s[0:1]
; %bb.291:
	v_cmp_ne_u32_e32 vcc, 0, v181
	s_nop 1
	v_cndmask_b32_e32 v181, 18, v181, vcc
; %bb.292:
	s_andn2_saveexec_b64 s[0:1], s[0:1]
	s_cbranch_execz .LBB36_294
; %bb.293:
	v_div_scale_f32 v37, s[2:3], v19, v19, 1.0
	v_rcp_f32_e32 v39, v37
	v_div_scale_f32 v40, vcc, 1.0, v19, 1.0
	v_fma_f32 v41, -v37, v39, 1.0
	v_fmac_f32_e32 v39, v41, v39
	v_mul_f32_e32 v41, v40, v39
	v_fma_f32 v42, -v37, v41, v40
	v_fmac_f32_e32 v41, v42, v39
	v_fma_f32 v37, -v37, v41, v40
	v_div_fmas_f32 v37, v37, v39, v41
	v_div_fixup_f32 v19, v37, v19, 1.0
.LBB36_294:
	s_or_b64 exec, exec, s[0:1]
	v_cmp_ne_u32_e32 vcc, v253, v38
	s_and_saveexec_b64 s[0:1], vcc
	s_xor_b64 s[0:1], exec, s[0:1]
	s_cbranch_execz .LBB36_300
; %bb.295:
	v_cmp_eq_u32_e32 vcc, 17, v253
	s_and_saveexec_b64 s[2:3], vcc
	s_cbranch_execz .LBB36_299
; %bb.296:
	v_cmp_ne_u32_e32 vcc, 17, v38
	s_xor_b64 s[18:19], s[16:17], -1
	s_and_b64 s[20:21], s[18:19], vcc
	s_and_saveexec_b64 s[18:19], s[20:21]
	s_cbranch_execz .LBB36_298
; %bb.297:
	scratch_load_dwordx2 v[42:43], off, off offset:1156 ; 8-byte Folded Reload
	v_ashrrev_i32_e32 v39, 31, v38
	s_waitcnt vmcnt(0)
	v_lshl_add_u64 v[40:41], v[38:39], 2, v[42:43]
	global_load_dword v37, v[40:41], off
	global_load_dword v39, v[42:43], off offset:68
	s_waitcnt vmcnt(1)
	global_store_dword v[42:43], v37, off offset:68
	s_waitcnt vmcnt(1)
	global_store_dword v[40:41], v39, off
.LBB36_298:
	s_or_b64 exec, exec, s[18:19]
	v_mov_b32_e32 v0, v38
	v_mov_b32_e32 v253, v38
	scratch_store_dword off, v0, off offset:512 ; 4-byte Folded Spill
.LBB36_299:
	s_or_b64 exec, exec, s[2:3]
.LBB36_300:
	s_andn2_saveexec_b64 s[0:1], s[0:1]
; %bb.301:
	v_mov_b32_e32 v253, 17
	ds_write_b32 v252, v255 offset:72
; %bb.302:
	s_or_b64 exec, exec, s[0:1]
	v_cmp_lt_i32_e32 vcc, 17, v253
	s_waitcnt lgkmcnt(0)
	s_barrier
	s_and_saveexec_b64 s[0:1], vcc
	s_cbranch_execz .LBB36_304
; %bb.303:
	ds_read_b32 v0, v252 offset:72
	s_waitcnt vmcnt(3)
	v_mul_f32_e32 v117, v254, v19
	s_waitcnt lgkmcnt(0)
	v_fma_f32 v118, -v117, v0, v255
	scratch_store_dwordx4 off, v[100:103], off ; 16-byte Folded Spill
	s_nop 0
	scratch_store_dwordx4 off, v[104:107], off offset:16 ; 16-byte Folded Spill
	scratch_store_dwordx4 off, v[108:111], off offset:32 ; 16-byte Folded Spill
	;; [unrolled: 1-line block ×4, first 2 shown]
	s_waitcnt vmcnt(7)
	scratch_store_dwordx4 off, v[120:123], off offset:80 ; 16-byte Folded Spill
	s_waitcnt vmcnt(7)
	scratch_store_dwordx4 off, v[124:127], off offset:96 ; 16-byte Folded Spill
	;; [unrolled: 2-line block ×3, first 2 shown]
	v_mov_b32_e32 v255, v118
.LBB36_304:
	s_or_b64 exec, exec, s[0:1]
	v_lshl_add_u32 v19, v253, 2, v252
	s_barrier
	ds_write_b32 v19, v255
	s_waitcnt lgkmcnt(0)
	s_barrier
	ds_read_b32 v19, v252 offset:72
	s_cmp_lt_i32 s22, 20
	v_mov_b32_e32 v20, 18
	s_cbranch_scc1 .LBB36_307
; %bb.305:
	v_add_u32_e32 v21, 0x4c, v252
	v_mov_b32_e32 v20, 18
	s_mov_b32 s0, 19
.LBB36_306:                             ; =>This Inner Loop Header: Depth=1
	s_waitcnt vmcnt(10)
	ds_read_b32 v22, v21
	v_mov_b32_e32 v23, s0
	s_add_i32 s0, s0, 1
	v_add_u32_e32 v21, 4, v21
	s_cmp_lg_u32 s22, s0
	s_waitcnt lgkmcnt(0)
	v_cmp_lt_f32_e64 vcc, |v19|, |v22|
	s_nop 1
	v_cndmask_b32_e32 v19, v19, v22, vcc
	v_cndmask_b32_e32 v20, v20, v23, vcc
	s_cbranch_scc1 .LBB36_306
.LBB36_307:
	s_waitcnt lgkmcnt(0)
	v_cmp_eq_f32_e32 vcc, 0, v19
	s_and_saveexec_b64 s[0:1], vcc
	s_xor_b64 s[0:1], exec, s[0:1]
; %bb.308:
	v_cmp_ne_u32_e32 vcc, 0, v181
	s_nop 1
	v_cndmask_b32_e32 v181, 19, v181, vcc
; %bb.309:
	s_andn2_saveexec_b64 s[0:1], s[0:1]
	s_cbranch_execz .LBB36_311
; %bb.310:
	v_div_scale_f32 v21, s[2:3], v19, v19, 1.0
	s_waitcnt vmcnt(10)
	v_rcp_f32_e32 v22, v21
	v_div_scale_f32 v23, vcc, 1.0, v19, 1.0
	v_fma_f32 v24, -v21, v22, 1.0
	v_fmac_f32_e32 v22, v24, v22
	v_mul_f32_e32 v24, v23, v22
	v_fma_f32 v25, -v21, v24, v23
	v_fmac_f32_e32 v24, v25, v22
	v_fma_f32 v21, -v21, v24, v23
	v_div_fmas_f32 v21, v21, v22, v24
	v_div_fixup_f32 v19, v21, v19, 1.0
.LBB36_311:
	s_or_b64 exec, exec, s[0:1]
	v_cmp_ne_u32_e32 vcc, v253, v20
	s_waitcnt vmcnt(10)
	v_mov_b32_e32 v22, 18
	s_and_saveexec_b64 s[0:1], vcc
	s_cbranch_execz .LBB36_317
; %bb.312:
	v_cmp_eq_u32_e32 vcc, 18, v253
	s_and_saveexec_b64 s[2:3], vcc
	s_cbranch_execz .LBB36_316
; %bb.313:
	v_cmp_ne_u32_e32 vcc, 18, v20
	s_xor_b64 s[16:17], s[16:17], -1
	s_and_b64 s[18:19], s[16:17], vcc
	s_and_saveexec_b64 s[16:17], s[18:19]
	s_cbranch_execz .LBB36_315
; %bb.314:
	scratch_load_dwordx2 v[26:27], off, off offset:1156 ; 8-byte Folded Reload
	v_ashrrev_i32_e32 v21, 31, v20
	s_waitcnt vmcnt(0)
	v_lshl_add_u64 v[22:23], v[20:21], 2, v[26:27]
	global_load_dword v21, v[22:23], off
	global_load_dword v24, v[26:27], off offset:72
	s_waitcnt vmcnt(1)
	global_store_dword v[26:27], v21, off offset:72
	s_waitcnt vmcnt(1)
	global_store_dword v[22:23], v24, off
.LBB36_315:
	s_or_b64 exec, exec, s[16:17]
	v_mov_b32_e32 v0, v20
	v_mov_b32_e32 v253, v20
	scratch_store_dword off, v0, off offset:512 ; 4-byte Folded Spill
.LBB36_316:
	s_or_b64 exec, exec, s[2:3]
	v_mov_b32_e32 v22, v253
.LBB36_317:
	s_or_b64 exec, exec, s[0:1]
	v_cmp_gt_i32_e32 vcc, 19, v22
	v_ashrrev_i32_e32 v23, 31, v22
	s_barrier
	s_barrier
	s_and_saveexec_b64 s[0:1], vcc
	s_cbranch_execz .LBB36_319
; %bb.318:
	scratch_load_dwordx2 v[24:25], off, off offset:1804 ; 8-byte Folded Reload
	scratch_load_dword v0, off, off offset:512 ; 4-byte Folded Reload
	v_mov_b32_e32 v20, s6
	v_mov_b32_e32 v21, s7
	s_waitcnt vmcnt(1)
	v_mul_lo_u32 v26, s11, v24
	v_mul_lo_u32 v27, s10, v25
	v_mad_u64_u32 v[24:25], s[2:3], s10, v24, 0
	v_add3_u32 v25, v25, v27, v26
	v_lshl_add_u64 v[20:21], v[24:25], 2, v[20:21]
	v_lshl_add_u64 v[20:21], s[8:9], 2, v[20:21]
	v_lshl_add_u64 v[20:21], v[22:23], 2, v[20:21]
	s_waitcnt vmcnt(0)
	v_add3_u32 v24, v0, s15, 1
	global_store_dword v[20:21], v24, off
.LBB36_319:
	s_or_b64 exec, exec, s[0:1]
	v_cmp_eq_u32_e32 vcc, 0, v22
	s_and_saveexec_b64 s[2:3], vcc
	s_cbranch_execz .LBB36_322
; %bb.320:
	scratch_load_dwordx2 v[24:25], off, off offset:1804 ; 8-byte Folded Reload
	v_mov_b32_e32 v20, s4
	v_mov_b32_e32 v21, s5
	v_cmp_ne_u32_e64 s[0:1], 0, v181
	s_waitcnt vmcnt(0)
	v_lshl_add_u64 v[20:21], v[24:25], 2, v[20:21]
	global_load_dword v24, v[20:21], off
	s_waitcnt vmcnt(0)
	v_cmp_eq_u32_e32 vcc, 0, v24
	s_and_b64 s[0:1], vcc, s[0:1]
	s_and_b64 exec, exec, s[0:1]
	s_cbranch_execz .LBB36_322
; %bb.321:
	v_add_u32_e32 v24, s15, v181
	global_store_dword v[20:21], v24, off
.LBB36_322:
	s_or_b64 exec, exec, s[2:3]
	scratch_load_dwordx4 v[24:27], off, off ; 16-byte Folded Reload
	scratch_load_dwordx4 v[28:31], off, off offset:16 ; 16-byte Folded Reload
	scratch_load_dwordx4 v[32:35], off, off offset:32 ; 16-byte Folded Reload
	;; [unrolled: 1-line block ×7, first 2 shown]
	v_mul_f32_e32 v19, v255, v19
	v_cmp_lt_i32_e32 vcc, 18, v22
	s_waitcnt vmcnt(4)
	v_mov_b64_e32 v[0:1], v[24:25]
	s_waitcnt vmcnt(3)
	v_mov_b32_e32 v16, v40
	v_mov_b32_e32 v18, v42
	v_cndmask_b32_e32 v20, v18, v19, vcc
	v_lshl_add_u64 v[18:19], v[22:23], 2, v[250:251]
	global_store_dword v[18:19], v0, off
	v_lshl_add_u64 v[18:19], s[12:13], 2, v[18:19]
	v_add_u32_e32 v0, s14, v22
	global_store_dword v[18:19], v1, off
	v_ashrrev_i32_e32 v1, 31, v0
	v_lshl_add_u64 v[18:19], v[0:1], 2, v[250:251]
	v_add_u32_e32 v0, s12, v0
	v_mov_b64_e32 v[2:3], v[26:27]
	v_ashrrev_i32_e32 v1, 31, v0
	global_store_dword v[18:19], v2, off
	v_lshl_add_u64 v[18:19], v[0:1], 2, v[250:251]
	v_add_u32_e32 v0, s12, v0
	v_ashrrev_i32_e32 v1, 31, v0
	global_store_dword v[18:19], v3, off
	v_lshl_add_u64 v[2:3], v[0:1], 2, v[250:251]
	v_add_u32_e32 v0, s12, v0
	v_mov_b64_e32 v[4:5], v[28:29]
	v_ashrrev_i32_e32 v1, 31, v0
	global_store_dword v[2:3], v4, off
	v_lshl_add_u64 v[2:3], v[0:1], 2, v[250:251]
	v_add_u32_e32 v0, s12, v0
	v_ashrrev_i32_e32 v1, 31, v0
	global_store_dword v[2:3], v5, off
	;; [unrolled: 9-line block ×7, first 2 shown]
	v_lshl_add_u64 v[2:3], v[0:1], 2, v[250:251]
	v_add_u32_e32 v0, s12, v0
	v_ashrrev_i32_e32 v1, 31, v0
	global_store_dword v[2:3], v16, off
	v_lshl_add_u64 v[2:3], v[0:1], 2, v[250:251]
	v_add_u32_e32 v0, s12, v0
	v_ashrrev_i32_e32 v1, 31, v0
	v_mov_b32_e32 v17, v41
	v_lshl_add_u64 v[0:1], v[0:1], 2, v[250:251]
	global_store_dword v[2:3], v17, off
	global_store_dword v[0:1], v20, off
.LBB36_323:
	s_endpgm
.LBB36_324:
	scratch_load_dwordx4 v[100:103], off, off offset:256 ; 16-byte Folded Reload
	scratch_load_dwordx4 v[104:107], off, off offset:272 ; 16-byte Folded Reload
	;; [unrolled: 1-line block ×8, first 2 shown]
	s_waitcnt lgkmcnt(0)
	v_cmp_eq_f32_e32 vcc, 0, v37
	s_and_saveexec_b64 s[0:1], vcc
	s_xor_b64 s[0:1], exec, s[0:1]
	s_cbranch_execnz .LBB36_257
	s_branch .LBB36_258
	.section	.rodata,"a",@progbits
	.p2align	6, 0x0
	.amdhsa_kernel _ZN9rocsolver6v33100L18getf2_small_kernelILi19EfiiPfEEvT1_T3_lS3_lPS3_llPT2_S3_S3_S5_l
		.amdhsa_group_segment_fixed_size 0
		.amdhsa_private_segment_fixed_size 1816
		.amdhsa_kernarg_size 352
		.amdhsa_user_sgpr_count 2
		.amdhsa_user_sgpr_dispatch_ptr 0
		.amdhsa_user_sgpr_queue_ptr 0
		.amdhsa_user_sgpr_kernarg_segment_ptr 1
		.amdhsa_user_sgpr_dispatch_id 0
		.amdhsa_user_sgpr_kernarg_preload_length 0
		.amdhsa_user_sgpr_kernarg_preload_offset 0
		.amdhsa_user_sgpr_private_segment_size 0
		.amdhsa_uses_dynamic_stack 0
		.amdhsa_enable_private_segment 1
		.amdhsa_system_sgpr_workgroup_id_x 1
		.amdhsa_system_sgpr_workgroup_id_y 1
		.amdhsa_system_sgpr_workgroup_id_z 0
		.amdhsa_system_sgpr_workgroup_info 0
		.amdhsa_system_vgpr_workitem_id 1
		.amdhsa_next_free_vgpr 256
		.amdhsa_next_free_sgpr 28
		.amdhsa_accum_offset 256
		.amdhsa_reserve_vcc 1
		.amdhsa_float_round_mode_32 0
		.amdhsa_float_round_mode_16_64 0
		.amdhsa_float_denorm_mode_32 3
		.amdhsa_float_denorm_mode_16_64 3
		.amdhsa_dx10_clamp 1
		.amdhsa_ieee_mode 1
		.amdhsa_fp16_overflow 0
		.amdhsa_tg_split 0
		.amdhsa_exception_fp_ieee_invalid_op 0
		.amdhsa_exception_fp_denorm_src 0
		.amdhsa_exception_fp_ieee_div_zero 0
		.amdhsa_exception_fp_ieee_overflow 0
		.amdhsa_exception_fp_ieee_underflow 0
		.amdhsa_exception_fp_ieee_inexact 0
		.amdhsa_exception_int_div_zero 0
	.end_amdhsa_kernel
	.section	.text._ZN9rocsolver6v33100L18getf2_small_kernelILi19EfiiPfEEvT1_T3_lS3_lPS3_llPT2_S3_S3_S5_l,"axG",@progbits,_ZN9rocsolver6v33100L18getf2_small_kernelILi19EfiiPfEEvT1_T3_lS3_lPS3_llPT2_S3_S3_S5_l,comdat
.Lfunc_end36:
	.size	_ZN9rocsolver6v33100L18getf2_small_kernelILi19EfiiPfEEvT1_T3_lS3_lPS3_llPT2_S3_S3_S5_l, .Lfunc_end36-_ZN9rocsolver6v33100L18getf2_small_kernelILi19EfiiPfEEvT1_T3_lS3_lPS3_llPT2_S3_S3_S5_l
                                        ; -- End function
	.set _ZN9rocsolver6v33100L18getf2_small_kernelILi19EfiiPfEEvT1_T3_lS3_lPS3_llPT2_S3_S3_S5_l.num_vgpr, 256
	.set _ZN9rocsolver6v33100L18getf2_small_kernelILi19EfiiPfEEvT1_T3_lS3_lPS3_llPT2_S3_S3_S5_l.num_agpr, 0
	.set _ZN9rocsolver6v33100L18getf2_small_kernelILi19EfiiPfEEvT1_T3_lS3_lPS3_llPT2_S3_S3_S5_l.numbered_sgpr, 28
	.set _ZN9rocsolver6v33100L18getf2_small_kernelILi19EfiiPfEEvT1_T3_lS3_lPS3_llPT2_S3_S3_S5_l.num_named_barrier, 0
	.set _ZN9rocsolver6v33100L18getf2_small_kernelILi19EfiiPfEEvT1_T3_lS3_lPS3_llPT2_S3_S3_S5_l.private_seg_size, 1816
	.set _ZN9rocsolver6v33100L18getf2_small_kernelILi19EfiiPfEEvT1_T3_lS3_lPS3_llPT2_S3_S3_S5_l.uses_vcc, 1
	.set _ZN9rocsolver6v33100L18getf2_small_kernelILi19EfiiPfEEvT1_T3_lS3_lPS3_llPT2_S3_S3_S5_l.uses_flat_scratch, 0
	.set _ZN9rocsolver6v33100L18getf2_small_kernelILi19EfiiPfEEvT1_T3_lS3_lPS3_llPT2_S3_S3_S5_l.has_dyn_sized_stack, 0
	.set _ZN9rocsolver6v33100L18getf2_small_kernelILi19EfiiPfEEvT1_T3_lS3_lPS3_llPT2_S3_S3_S5_l.has_recursion, 0
	.set _ZN9rocsolver6v33100L18getf2_small_kernelILi19EfiiPfEEvT1_T3_lS3_lPS3_llPT2_S3_S3_S5_l.has_indirect_call, 0
	.section	.AMDGPU.csdata,"",@progbits
; Kernel info:
; codeLenInByte = 32512
; TotalNumSgprs: 34
; NumVgprs: 256
; NumAgprs: 0
; TotalNumVgprs: 256
; ScratchSize: 1816
; MemoryBound: 0
; FloatMode: 240
; IeeeMode: 1
; LDSByteSize: 0 bytes/workgroup (compile time only)
; SGPRBlocks: 4
; VGPRBlocks: 31
; NumSGPRsForWavesPerEU: 34
; NumVGPRsForWavesPerEU: 256
; AccumOffset: 256
; Occupancy: 2
; WaveLimiterHint : 0
; COMPUTE_PGM_RSRC2:SCRATCH_EN: 1
; COMPUTE_PGM_RSRC2:USER_SGPR: 2
; COMPUTE_PGM_RSRC2:TRAP_HANDLER: 0
; COMPUTE_PGM_RSRC2:TGID_X_EN: 1
; COMPUTE_PGM_RSRC2:TGID_Y_EN: 1
; COMPUTE_PGM_RSRC2:TGID_Z_EN: 0
; COMPUTE_PGM_RSRC2:TIDIG_COMP_CNT: 1
; COMPUTE_PGM_RSRC3_GFX90A:ACCUM_OFFSET: 63
; COMPUTE_PGM_RSRC3_GFX90A:TG_SPLIT: 0
	.section	.text._ZN9rocsolver6v33100L23getf2_npvt_small_kernelILi19EfiiPfEEvT1_T3_lS3_lPT2_S3_S3_,"axG",@progbits,_ZN9rocsolver6v33100L23getf2_npvt_small_kernelILi19EfiiPfEEvT1_T3_lS3_lPT2_S3_S3_,comdat
	.globl	_ZN9rocsolver6v33100L23getf2_npvt_small_kernelILi19EfiiPfEEvT1_T3_lS3_lPT2_S3_S3_ ; -- Begin function _ZN9rocsolver6v33100L23getf2_npvt_small_kernelILi19EfiiPfEEvT1_T3_lS3_lPT2_S3_S3_
	.p2align	8
	.type	_ZN9rocsolver6v33100L23getf2_npvt_small_kernelILi19EfiiPfEEvT1_T3_lS3_lPT2_S3_S3_,@function
_ZN9rocsolver6v33100L23getf2_npvt_small_kernelILi19EfiiPfEEvT1_T3_lS3_lPT2_S3_S3_: ; @_ZN9rocsolver6v33100L23getf2_npvt_small_kernelILi19EfiiPfEEvT1_T3_lS3_lPT2_S3_S3_
; %bb.0:
	s_load_dword s2, s[0:1], 0x44
	s_load_dwordx2 s[38:39], s[0:1], 0x30
	v_bfe_u32 v1, v0, 10, 10
	s_waitcnt lgkmcnt(0)
	s_lshr_b32 s8, s2, 16
	s_mul_i32 s3, s3, s8
	v_add_u32_e32 v4, s3, v1
	v_cmp_gt_i32_e32 vcc, s38, v4
	s_and_saveexec_b64 s[2:3], vcc
	s_cbranch_execz .LBB37_100
; %bb.1:
	s_load_dwordx4 s[12:15], s[0:1], 0x8
	s_load_dword s2, s[0:1], 0x18
	s_load_dwordx4 s[4:7], s[0:1], 0x20
	v_ashrrev_i32_e32 v5, 31, v4
	v_and_b32_e32 v52, 0x3ff, v0
	scratch_store_dwordx2 off, v[4:5], off offset:2088 ; 8-byte Folded Spill
	s_waitcnt lgkmcnt(0)
	v_mov_b32_e32 v2, s12
	v_mul_lo_u32 v0, s5, v4
	v_mul_lo_u32 v6, s4, v5
	v_mad_u64_u32 v[4:5], s[0:1], s4, v4, 0
	v_mov_b32_e32 v3, s13
	v_add3_u32 v5, v5, v6, v0
	v_lshl_add_u64 v[2:3], v[4:5], 2, v[2:3]
	v_lshl_add_u64 v[2:3], s[14:15], 2, v[2:3]
	v_lshlrev_b32_e32 v4, 2, v52
	v_mov_b32_e32 v5, 0
	s_add_i32 s0, s2, s2
	v_lshl_add_u64 v[40:41], v[2:3], 0, v[4:5]
	v_add_u32_e32 v4, s0, v52
	v_ashrrev_i32_e32 v5, 31, v4
	v_lshl_add_u64 v[16:17], v[4:5], 2, v[2:3]
	v_add_u32_e32 v4, s2, v4
	v_ashrrev_i32_e32 v5, 31, v4
	;; [unrolled: 3-line block ×16, first 2 shown]
	v_lshl_add_u64 v[38:39], v[4:5], 2, v[2:3]
	v_add_u32_e32 v4, s2, v4
	s_ashr_i32 s3, s2, 31
	v_ashrrev_i32_e32 v5, 31, v4
	v_lshl_add_u64 v[14:15], s[2:3], 2, v[40:41]
	v_lshl_add_u64 v[2:3], v[4:5], 2, v[2:3]
	global_load_dword v5, v[36:37], off
	global_load_dword v254, v[38:39], off
	global_load_dword v255, v[2:3], off
	global_load_dword v4, v[34:35], off
	global_load_dword v0, v[40:41], off
	s_mulk_i32 s8, 0x4c
	scratch_store_dwordx2 off, v[6:7], off offset:1484 ; 8-byte Folded Spill
	global_load_dword v6, v[6:7], off
	s_movk_i32 s0, 0x4c
	scratch_store_dwordx2 off, v[8:9], off offset:1492 ; 8-byte Folded Spill
	scratch_store_dwordx2 off, v[10:11], off offset:1500 ; 8-byte Folded Spill
	;; [unrolled: 1-line block ×3, first 2 shown]
	global_load_dword v13, v[12:13], off
	s_add_i32 s1, s8, 0
	global_load_dword v7, v[8:9], off
	global_load_dword v12, v[26:27], off
	v_cmp_ne_u32_e64 s[2:3], 0, v52
	scratch_store_dwordx2 off, v[14:15], off offset:1420 ; 8-byte Folded Spill
	global_load_dword v14, v[14:15], off
	s_nop 0
	global_load_dword v8, v[10:11], off
	global_load_dword v9, v[28:29], off
	;; [unrolled: 1-line block ×3, first 2 shown]
	s_nop 0
	global_load_dword v10, v[30:31], off
	global_load_dword v11, v[32:33], off
	s_nop 0
	scratch_store_dwordx2 off, v[16:17], off offset:1428 ; 8-byte Folded Spill
	scratch_store_dwordx2 off, v[18:19], off offset:1436 ; 8-byte Folded Spill
	global_load_dword v16, v[18:19], off
	s_nop 0
	global_load_dword v17, v[20:21], off
	global_load_dword v18, v[22:23], off
	;; [unrolled: 1-line block ×3, first 2 shown]
	s_nop 0
	scratch_store_dwordx2 off, v[36:37], off offset:1540 ; 8-byte Folded Spill
	scratch_store_dwordx2 off, v[2:3], off offset:1556 ; 8-byte Folded Spill
	v_mad_u32_u24 v2, v1, s0, 0
	v_lshl_add_u32 v37, v1, 2, s1
	v_cmp_eq_u32_e64 s[0:1], 0, v52
	scratch_store_dwordx2 off, v[38:39], off offset:1548 ; 8-byte Folded Spill
	scratch_store_dwordx2 off, v[28:29], off offset:1508 ; 8-byte Folded Spill
	;; [unrolled: 1-line block ×10, first 2 shown]
	scratch_store_dword off, v2, off        ; 4-byte Folded Spill
	s_and_saveexec_b64 s[4:5], s[0:1]
	s_cbranch_execz .LBB37_4
; %bb.2:
	scratch_load_dword v1, off, off         ; 4-byte Folded Reload
	s_waitcnt vmcnt(35)
	ds_write_b32 v37, v0
	s_waitcnt vmcnt(0)
	ds_write2_b32 v1, v14, v15 offset0:1 offset1:2
	ds_write2_b32 v1, v16, v17 offset0:3 offset1:4
	;; [unrolled: 1-line block ×9, first 2 shown]
	ds_read_b32 v1, v37
	s_waitcnt lgkmcnt(0)
	v_cmp_neq_f32_e32 vcc, 0, v1
	s_and_b64 exec, exec, vcc
	s_cbranch_execz .LBB37_4
; %bb.3:
	v_div_scale_f32 v2, s[8:9], v1, v1, 1.0
	v_rcp_f32_e32 v3, v2
	v_div_scale_f32 v20, vcc, 1.0, v1, 1.0
	v_fma_f32 v21, -v2, v3, 1.0
	v_fmac_f32_e32 v3, v21, v3
	v_mul_f32_e32 v21, v20, v3
	v_fma_f32 v22, -v2, v21, v20
	v_fmac_f32_e32 v21, v22, v3
	v_fma_f32 v2, -v2, v21, v20
	v_div_fmas_f32 v2, v2, v3, v21
	v_div_fixup_f32 v1, v2, v1, 1.0
	ds_write_b32 v37, v1
.LBB37_4:
	s_or_b64 exec, exec, s[4:5]
	s_waitcnt lgkmcnt(0)
	s_barrier
	ds_read_b32 v1, v37
                                        ; implicit-def: $vgpr36
                                        ; implicit-def: $vgpr99
                                        ; implicit-def: $vgpr20
                                        ; implicit-def: $vgpr130
                                        ; implicit-def: $vgpr51
                                        ; implicit-def: $vgpr144
                                        ; implicit-def: $vgpr203
                                        ; implicit-def: $vgpr190
                                        ; implicit-def: $vgpr233
                                        ; implicit-def: $vgpr28
                                        ; implicit-def: $vgpr69
                                        ; implicit-def: $vgpr60
                                        ; implicit-def: $vgpr75
                                        ; implicit-def: $vgpr34
                                        ; implicit-def: $vgpr79
	s_waitcnt lgkmcnt(0)
	scratch_store_dword off, v1, off offset:1564 ; 4-byte Folded Spill
	s_and_saveexec_b64 s[4:5], s[2:3]
	s_xor_b64 s[2:3], exec, s[4:5]
	s_cbranch_execz .LBB37_6
; %bb.5:
	scratch_load_dword v28, off, off        ; 4-byte Folded Reload
	s_waitcnt vmcnt(0)
	ds_read2_b32 v[2:3], v28 offset0:1 offset1:2
	ds_read2_b32 v[22:23], v28 offset0:3 offset1:4
	;; [unrolled: 1-line block ×4, first 2 shown]
	scratch_load_dword v1, off, off offset:1564 ; 4-byte Folded Reload
	s_waitcnt vmcnt(0)
	v_mul_f32_e32 v0, v0, v1
	s_waitcnt lgkmcnt(3)
	v_pk_fma_f32 v[20:21], v[0:1], v[2:3], v[14:15] op_sel_hi:[0,1,1] neg_lo:[1,0,0] neg_hi:[1,0,0]
	s_waitcnt lgkmcnt(2)
	v_pk_fma_f32 v[22:23], v[0:1], v[22:23], v[16:17] op_sel_hi:[0,1,1] neg_lo:[1,0,0] neg_hi:[1,0,0]
	;; [unrolled: 2-line block ×4, first 2 shown]
	ds_read2_b32 v[2:3], v28 offset0:9 offset1:10
	ds_read2_b32 v[12:13], v28 offset0:11 offset1:12
	;; [unrolled: 1-line block ×5, first 2 shown]
	s_waitcnt lgkmcnt(4)
	v_pk_fma_f32 v[28:29], v[0:1], v[2:3], v[6:7] op_sel_hi:[0,1,1] neg_lo:[1,0,0] neg_hi:[1,0,0]
	s_waitcnt lgkmcnt(3)
	v_pk_fma_f32 v[30:31], v[0:1], v[12:13], v[8:9] op_sel_hi:[0,1,1] neg_lo:[1,0,0] neg_hi:[1,0,0]
	;; [unrolled: 2-line block ×5, first 2 shown]
	v_mov_b32_e32 v2, v21
                                        ; implicit-def: $vgpr14
                                        ; implicit-def: $vgpr16
                                        ; implicit-def: $vgpr18
                                        ; implicit-def: $vgpr12
                                        ; implicit-def: $vgpr6
                                        ; implicit-def: $vgpr8
                                        ; implicit-def: $vgpr10
                                        ; implicit-def: $vgpr4
	v_mov_b32_e32 v36, v35
	v_mov_b32_e32 v99, v34
	;; [unrolled: 1-line block ×14, first 2 shown]
.LBB37_6:
	s_or_saveexec_b64 s[2:3], s[2:3]
	v_mov_b32_e32 v1, v20
	s_xor_b64 exec, exec, s[2:3]
	s_cbranch_execz .LBB37_8
; %bb.7:
	s_waitcnt vmcnt(25)
	v_mov_b32_e32 v1, v14
	s_waitcnt vmcnt(22)
	v_mov_b32_e32 v2, v15
	s_waitcnt vmcnt(17)
	v_mov_b32_e32 v79, v16
	s_waitcnt vmcnt(16)
	v_mov_b32_e32 v34, v17
	s_waitcnt vmcnt(15)
	v_mov_b32_e32 v75, v18
	s_waitcnt vmcnt(14)
	v_mov_b32_e32 v60, v19
	v_mov_b32_e32 v69, v12
	v_mov_b32_e32 v28, v13
	;; [unrolled: 1-line block ×10, first 2 shown]
.LBB37_8:
	s_or_b64 exec, exec, s[2:3]
	s_waitcnt vmcnt(14)
	v_mov_b64_e32 v[18:19], v[254:255]
	v_mov_b32_e32 v3, v79
	v_mov_b32_e32 v4, v34
	;; [unrolled: 1-line block ×16, first 2 shown]
	v_cmp_eq_u32_e32 vcc, 1, v52
	s_barrier
	s_and_saveexec_b64 s[2:3], vcc
	s_cbranch_execz .LBB37_11
; %bb.9:
	scratch_load_dword v19, off, off        ; 4-byte Folded Reload
	v_mov_b64_e32 v[20:21], v[254:255]
	ds_write_b32 v37, v1
	s_waitcnt vmcnt(0)
	ds_write2_b32 v19, v2, v79 offset0:2 offset1:3
	ds_write2_b32 v19, v34, v75 offset0:4 offset1:5
	;; [unrolled: 1-line block ×8, first 2 shown]
	ds_write_b32 v19, v21 offset:72
	ds_read_b32 v19, v37
	s_waitcnt lgkmcnt(0)
	v_cmp_neq_f32_e32 vcc, 0, v19
	s_and_b64 exec, exec, vcc
	s_cbranch_execz .LBB37_11
; %bb.10:
	v_div_scale_f32 v20, s[4:5], v19, v19, 1.0
	v_rcp_f32_e32 v21, v20
	v_div_scale_f32 v22, vcc, 1.0, v19, 1.0
	v_fma_f32 v23, -v20, v21, 1.0
	v_fmac_f32_e32 v21, v23, v21
	v_mul_f32_e32 v23, v22, v21
	v_fma_f32 v24, -v20, v23, v22
	v_fmac_f32_e32 v23, v24, v21
	v_fma_f32 v20, -v20, v23, v22
	v_div_fmas_f32 v20, v20, v21, v23
	v_div_fixup_f32 v19, v20, v19, 1.0
	ds_write_b32 v37, v19
.LBB37_11:
	s_or_b64 exec, exec, s[2:3]
	v_mov_b32_e32 v68, v60
	v_mov_b32_e32 v76, v0
	;; [unrolled: 1-line block ×17, first 2 shown]
	v_mov_b64_e32 v[90:91], v[68:69]
	v_mov_b32_e32 v98, v60
	v_mov_b32_e32 v78, v2
	;; [unrolled: 1-line block ×5, first 2 shown]
	v_mov_b64_e32 v[88:89], v[66:67]
	v_mov_b64_e32 v[86:87], v[64:65]
	;; [unrolled: 1-line block ×4, first 2 shown]
	v_mov_b32_e32 v97, v59
	v_mov_b32_e32 v96, v58
	;; [unrolled: 1-line block ×6, first 2 shown]
	v_mov_b64_e32 v[54:55], v[70:71]
	v_mov_b32_e32 v30, v0
	v_mov_b32_e32 v31, v1
	v_mov_b32_e32 v32, v2
	v_mov_b32_e32 v33, v79
	v_mov_b32_e32 v23, v79
	v_mov_b32_e32 v27, v69
	v_mov_b32_e32 v227, v79
	v_mov_b32_e32 v231, v69
	v_mov_b64_e32 v[64:65], v[78:79]
	v_mov_b32_e32 v82, v34
	v_mov_b64_e32 v[106:107], v[90:91]
	v_mov_b64_e32 v[56:57], v[72:73]
	;; [unrolled: 1-line block ×3, first 2 shown]
	v_mov_b32_e32 v66, v92
	v_mov_b32_e32 v81, v33
	;; [unrolled: 1-line block ×5, first 2 shown]
	v_mov_b64_e32 v[104:105], v[88:89]
	v_mov_b64_e32 v[102:103], v[86:87]
	;; [unrolled: 1-line block ×3, first 2 shown]
	v_mov_b32_e32 v84, v0
	v_mov_b32_e32 v85, v1
	;; [unrolled: 1-line block ×55, first 2 shown]
	scratch_store_dwordx4 off, v[66:69], off offset:1704 ; 16-byte Folded Spill
	s_nop 0
	scratch_store_dwordx4 off, v[70:73], off offset:1720 ; 16-byte Folded Spill
	scratch_store_dwordx4 off, v[74:77], off offset:1736 ; 16-byte Folded Spill
	;; [unrolled: 1-line block ×7, first 2 shown]
	v_mov_b32_e32 v228, v34
	v_mov_b32_e32 v232, v28
	;; [unrolled: 1-line block ×7, first 2 shown]
	scratch_store_dwordx4 off, v[100:103], off offset:1832 ; 16-byte Folded Spill
	s_nop 0
	scratch_store_dwordx4 off, v[104:107], off offset:1848 ; 16-byte Folded Spill
	scratch_store_dwordx4 off, v[108:111], off offset:1864 ; 16-byte Folded Spill
	;; [unrolled: 1-line block ×7, first 2 shown]
	v_mov_b32_e32 v92, v28
	scratch_store_dwordx4 off, v[20:23], off offset:1960 ; 16-byte Folded Spill
	s_nop 0
	scratch_store_dwordx4 off, v[24:27], off offset:1976 ; 16-byte Folded Spill
	scratch_store_dwordx4 off, v[28:31], off offset:1992 ; 16-byte Folded Spill
	;; [unrolled: 1-line block ×7, first 2 shown]
	v_mov_b32_e32 v224, v0
	v_mov_b32_e32 v225, v1
	;; [unrolled: 1-line block ×30, first 2 shown]
	s_waitcnt lgkmcnt(0)
	s_barrier
	scratch_store_dword off, v52, off offset:1284 ; 4-byte Folded Spill
	v_cmp_lt_u32_e32 vcc, 1, v52
	v_mov_b32_e32 v69, v203
	v_mov_b32_e32 v71, v233
	;; [unrolled: 1-line block ×15, first 2 shown]
	v_mov_b64_e32 v[158:159], v[48:49]
	v_mov_b32_e32 v33, v51
	v_mov_b64_e32 v[156:157], v[46:47]
	v_mov_b64_e32 v[154:155], v[44:45]
	;; [unrolled: 1-line block ×5, first 2 shown]
	v_mov_b32_e32 v38, v36
	v_mov_b32_e32 v97, v51
	v_mov_b32_e32 v98, v130
	scratch_store_dword off, v37, off offset:1288 ; 4-byte Folded Spill
	ds_read_b32 v19, v37
	v_mov_b64_e32 v[160:161], v[50:51]
	scratch_store_dwordx4 off, v[22:25], off offset:4 ; 16-byte Folded Spill
	s_nop 0
	scratch_store_dwordx4 off, v[26:29], off offset:20 ; 16-byte Folded Spill
	scratch_store_dwordx4 off, v[30:33], off offset:36 ; 16-byte Folded Spill
	;; [unrolled: 1-line block ×8, first 2 shown]
	s_nop 0
	scratch_store_dwordx4 off, v[24:27], off offset:148 ; 16-byte Folded Spill
	scratch_store_dwordx4 off, v[28:31], off offset:164 ; 16-byte Folded Spill
	;; [unrolled: 1-line block ×7, first 2 shown]
	v_mov_b32_e32 v70, v130
	scratch_store_dwordx4 off, v[116:119], off offset:260 ; 16-byte Folded Spill
	s_nop 0
	scratch_store_dwordx4 off, v[120:123], off offset:276 ; 16-byte Folded Spill
	scratch_store_dwordx4 off, v[124:127], off offset:292 ; 16-byte Folded Spill
	scratch_store_dwordx4 off, v[128:131], off offset:308 ; 16-byte Folded Spill
	scratch_store_dwordx4 off, v[132:135], off offset:324 ; 16-byte Folded Spill
	scratch_store_dwordx4 off, v[136:139], off offset:340 ; 16-byte Folded Spill
	scratch_store_dwordx4 off, v[140:143], off offset:356 ; 16-byte Folded Spill
	scratch_store_dwordx4 off, v[144:147], off offset:372 ; 16-byte Folded Spill
	scratch_store_dwordx4 off, v[192:195], off offset:388 ; 16-byte Folded Spill
	s_nop 0
	scratch_store_dwordx4 off, v[196:199], off offset:404 ; 16-byte Folded Spill
	scratch_store_dwordx4 off, v[200:203], off offset:420 ; 16-byte Folded Spill
	scratch_store_dwordx4 off, v[204:207], off offset:436 ; 16-byte Folded Spill
	scratch_store_dwordx4 off, v[208:211], off offset:452 ; 16-byte Folded Spill
	scratch_store_dwordx4 off, v[212:215], off offset:468 ; 16-byte Folded Spill
	scratch_store_dwordx4 off, v[216:219], off offset:484 ; 16-byte Folded Spill
	scratch_store_dwordx4 off, v[220:223], off offset:500 ; 16-byte Folded Spill
	;; [unrolled: 9-line block ×3, first 2 shown]
	scratch_load_dwordx4 v[222:225], off, off offset:1960 ; 16-byte Folded Reload
	s_nop 0
	scratch_load_dwordx4 v[226:229], off, off offset:1976 ; 16-byte Folded Reload
	scratch_load_dwordx4 v[230:233], off, off offset:1992 ; 16-byte Folded Reload
	;; [unrolled: 1-line block ×15, first 2 shown]
	v_mov_b32_e32 v200, v190
	v_mov_b32_e32 v199, v189
	;; [unrolled: 1-line block ×13, first 2 shown]
	v_mov_b64_e32 v[116:117], v[132:133]
	v_mov_b64_e32 v[118:119], v[134:135]
	;; [unrolled: 1-line block ×4, first 2 shown]
	s_waitcnt vmcnt(6)
	v_mov_b32_e32 v181, v27
	scratch_store_dwordx4 off, v[20:23], off offset:644 ; 16-byte Folded Spill
	s_nop 0
	scratch_store_dwordx4 off, v[24:27], off offset:660 ; 16-byte Folded Spill
	s_waitcnt vmcnt(7)
	scratch_store_dwordx4 off, v[28:31], off offset:676 ; 16-byte Folded Spill
	s_waitcnt vmcnt(7)
	;; [unrolled: 2-line block ×6, first 2 shown]
	scratch_store_dwordx4 off, v[48:51], off offset:756 ; 16-byte Folded Spill
	scratch_load_dwordx4 v[20:23], off, off offset:1704 ; 16-byte Folded Reload
	s_nop 0
	scratch_load_dwordx4 v[24:27], off, off offset:1720 ; 16-byte Folded Reload
	scratch_load_dwordx4 v[28:31], off, off offset:1736 ; 16-byte Folded Reload
	;; [unrolled: 1-line block ×7, first 2 shown]
	v_mov_b64_e32 v[124:125], v[140:141]
	v_mov_b64_e32 v[126:127], v[142:143]
	;; [unrolled: 1-line block ×3, first 2 shown]
	v_mov_b32_e32 v76, v230
	v_mov_b64_e32 v[130:131], v[146:147]
	v_mov_b64_e32 v[132:133], v[148:149]
	v_mov_b64_e32 v[134:135], v[150:151]
	v_mov_b64_e32 v[136:137], v[152:153]
	v_mov_b64_e32 v[138:139], v[154:155]
	v_mov_b64_e32 v[140:141], v[156:157]
	v_mov_b64_e32 v[142:143], v[158:159]
	v_mov_b64_e32 v[144:145], v[160:161]
	v_mov_b64_e32 v[146:147], v[162:163]
	s_waitcnt vmcnt(6)
	v_mov_b32_e32 v180, v26
	scratch_store_dwordx4 off, v[20:23], off offset:772 ; 16-byte Folded Spill
	s_nop 0
	scratch_store_dwordx4 off, v[24:27], off offset:788 ; 16-byte Folded Spill
	s_waitcnt vmcnt(7)
	scratch_store_dwordx4 off, v[28:31], off offset:804 ; 16-byte Folded Spill
	s_waitcnt vmcnt(7)
	;; [unrolled: 2-line block ×6, first 2 shown]
	scratch_store_dwordx4 off, v[48:51], off offset:884 ; 16-byte Folded Spill
	v_mov_b64_e32 v[20:21], v[54:55]
	v_mov_b64_e32 v[22:23], v[56:57]
	v_mov_b64_e32 v[24:25], v[58:59]
	v_mov_b32_e32 v183, v25
	scratch_store_dwordx4 off, v[20:23], off offset:900 ; 16-byte Folded Spill
	s_nop 0
	scratch_store_dwordx4 off, v[24:27], off offset:916 ; 16-byte Folded Spill
	scratch_store_dwordx4 off, v[28:31], off offset:932 ; 16-byte Folded Spill
	;; [unrolled: 1-line block ×7, first 2 shown]
	v_mov_b32_e32 v20, v78
	v_mov_b32_e32 v21, v79
	;; [unrolled: 1-line block ×6, first 2 shown]
	scratch_store_dwordx4 off, v[20:23], off offset:1028 ; 16-byte Folded Spill
	s_nop 0
	scratch_store_dwordx4 off, v[24:27], off offset:1044 ; 16-byte Folded Spill
	scratch_store_dwordx4 off, v[28:31], off offset:1060 ; 16-byte Folded Spill
	;; [unrolled: 1-line block ×8, first 2 shown]
	s_nop 0
	scratch_store_dwordx4 off, v[66:69], off offset:1172 ; 16-byte Folded Spill
	scratch_store_dwordx4 off, v[70:73], off offset:1188 ; 16-byte Folded Spill
	;; [unrolled: 1-line block ×8, first 2 shown]
	s_nop 0
	scratch_store_dwordx4 off, v[4:7], off offset:1308 ; 16-byte Folded Spill
	scratch_store_dwordx4 off, v[8:11], off offset:1324 ; 16-byte Folded Spill
	;; [unrolled: 1-line block ×3, first 2 shown]
	s_waitcnt lgkmcnt(0)
	scratch_store_dwordx4 off, v[16:19], off offset:1356 ; 16-byte Folded Spill
	scratch_store_dwordx4 off, v[20:23], off offset:1372 ; 16-byte Folded Spill
	scratch_store_dwordx4 off, v[24:27], off offset:1388 ; 16-byte Folded Spill
	scratch_store_dwordx4 off, v[28:31], off offset:1404 ; 16-byte Folded Spill
	scratch_store_dwordx4 off, v[0:3], off offset:1576 ; 16-byte Folded Spill
	s_nop 0
	scratch_store_dwordx4 off, v[4:7], off offset:1592 ; 16-byte Folded Spill
	scratch_store_dwordx4 off, v[8:11], off offset:1608 ; 16-byte Folded Spill
	;; [unrolled: 1-line block ×7, first 2 shown]
	s_and_saveexec_b64 s[2:3], vcc
	s_cbranch_execz .LBB37_13
; %bb.12:
	scratch_load_dword v12, off, off        ; 4-byte Folded Reload
	v_mov_b32_e32 v3, v75
	v_mov_b32_e32 v184, v76
	;; [unrolled: 1-line block ×3, first 2 shown]
	v_mul_f32_e32 v18, v1, v19
	v_mov_b32_e32 v186, v74
	v_mov_b32_e32 v187, v69
	;; [unrolled: 1-line block ×5, first 2 shown]
	s_waitcnt vmcnt(0)
	ds_read2_b32 v[4:5], v12 offset0:2 offset1:3
	ds_read2_b32 v[6:7], v12 offset0:4 offset1:5
	;; [unrolled: 1-line block ×4, first 2 shown]
	s_waitcnt lgkmcnt(3)
	v_pk_fma_f32 v[2:3], v[18:19], v[4:5], v[2:3] op_sel_hi:[0,1,1] neg_lo:[1,0,0] neg_hi:[1,0,0]
	s_waitcnt lgkmcnt(2)
	v_pk_fma_f32 v[182:183], v[18:19], v[6:7], v[182:183] op_sel_hi:[0,1,1] neg_lo:[1,0,0] neg_hi:[1,0,0]
	;; [unrolled: 2-line block ×4, first 2 shown]
	ds_read2_b32 v[4:5], v12 offset0:10 offset1:11
	ds_read2_b32 v[6:7], v12 offset0:12 offset1:13
	;; [unrolled: 1-line block ×4, first 2 shown]
	scratch_load_dwordx4 v[20:23], off, off offset:4 ; 16-byte Folded Reload
	scratch_load_dwordx4 v[24:27], off, off offset:20 ; 16-byte Folded Reload
	;; [unrolled: 1-line block ×8, first 2 shown]
	s_waitcnt vmcnt(3)
	v_mov_b32_e32 v37, v254
	s_waitcnt lgkmcnt(3)
	v_pk_fma_f32 v[186:187], v[18:19], v[4:5], v[186:187] op_sel_hi:[0,1,1] neg_lo:[1,0,0] neg_hi:[1,0,0]
	s_waitcnt lgkmcnt(2)
	v_pk_fma_f32 v[188:189], v[18:19], v[6:7], v[188:189] op_sel_hi:[0,1,1] neg_lo:[1,0,0] neg_hi:[1,0,0]
	s_waitcnt lgkmcnt(1)
	v_pk_fma_f32 v[72:73], v[18:19], v[8:9], v[72:73] op_sel_hi:[0,1,1] neg_lo:[1,0,0] neg_hi:[1,0,0]
	v_mov_b32_e32 v76, v184
	v_mov_b32_e32 v74, v186
	;; [unrolled: 1-line block ×3, first 2 shown]
	s_waitcnt lgkmcnt(0)
	v_pk_fma_f32 v[36:37], v[18:19], v[10:11], v[36:37] op_sel_hi:[0,1,1] neg_lo:[1,0,0] neg_hi:[1,0,0]
	scratch_store_dwordx4 off, v[20:23], off offset:4 ; 16-byte Folded Spill
	s_nop 0
	scratch_store_dwordx4 off, v[24:27], off offset:20 ; 16-byte Folded Spill
	scratch_store_dwordx4 off, v[28:31], off offset:36 ; 16-byte Folded Spill
	;; [unrolled: 1-line block ×4, first 2 shown]
	s_waitcnt vmcnt(7)
	scratch_store_dwordx4 off, v[40:43], off offset:84 ; 16-byte Folded Spill
	s_waitcnt vmcnt(7)
	scratch_store_dwordx4 off, v[44:47], off offset:100 ; 16-byte Folded Spill
	;; [unrolled: 2-line block ×3, first 2 shown]
	ds_read_b32 v1, v12 offset:72
	s_waitcnt lgkmcnt(0)
	v_fma_f32 v255, -v18, v1, v255
	v_mov_b32_e32 v1, v18
	scratch_store_dwordx4 off, v[0:3], off offset:1576 ; 16-byte Folded Spill
	s_nop 0
	scratch_store_dwordx4 off, v[4:7], off offset:1592 ; 16-byte Folded Spill
	scratch_store_dwordx4 off, v[8:11], off offset:1608 ; 16-byte Folded Spill
	scratch_store_dwordx4 off, v[12:15], off offset:1624 ; 16-byte Folded Spill
	scratch_store_dwordx4 off, v[16:19], off offset:1640 ; 16-byte Folded Spill
	scratch_store_dwordx4 off, v[20:23], off offset:1656 ; 16-byte Folded Spill
	scratch_store_dwordx4 off, v[24:27], off offset:1672 ; 16-byte Folded Spill
	scratch_store_dwordx4 off, v[28:31], off offset:1688 ; 16-byte Folded Spill
	scratch_store_dwordx4 off, v[0:3], off offset:1292 ; 16-byte Folded Spill
	s_nop 0
	scratch_store_dwordx4 off, v[4:7], off offset:1308 ; 16-byte Folded Spill
	scratch_store_dwordx4 off, v[8:11], off offset:1324 ; 16-byte Folded Spill
	scratch_store_dwordx4 off, v[12:15], off offset:1340 ; 16-byte Folded Spill
	scratch_store_dwordx4 off, v[16:19], off offset:1356 ; 16-byte Folded Spill
	scratch_store_dwordx4 off, v[20:23], off offset:1372 ; 16-byte Folded Spill
	scratch_store_dwordx4 off, v[24:27], off offset:1388 ; 16-byte Folded Spill
	scratch_store_dwordx4 off, v[28:31], off offset:1404 ; 16-byte Folded Spill
	;; [unrolled: 9-line block ×3, first 2 shown]
	v_mov_b32_e32 v4, v182
	scratch_store_dwordx4 off, v[0:3], off offset:1028 ; 16-byte Folded Spill
	s_nop 0
	scratch_store_dwordx4 off, v[4:7], off offset:1044 ; 16-byte Folded Spill
	scratch_store_dwordx4 off, v[8:11], off offset:1060 ; 16-byte Folded Spill
	scratch_store_dwordx4 off, v[12:15], off offset:1076 ; 16-byte Folded Spill
	scratch_store_dwordx4 off, v[16:19], off offset:1092 ; 16-byte Folded Spill
	scratch_store_dwordx4 off, v[20:23], off offset:1108 ; 16-byte Folded Spill
	scratch_store_dwordx4 off, v[24:27], off offset:1124 ; 16-byte Folded Spill
	scratch_store_dwordx4 off, v[28:31], off offset:1140 ; 16-byte Folded Spill
	v_mov_b32_e32 v5, v183
	scratch_store_dwordx4 off, v[0:3], off offset:900 ; 16-byte Folded Spill
	s_nop 0
	scratch_store_dwordx4 off, v[4:7], off offset:916 ; 16-byte Folded Spill
	scratch_store_dwordx4 off, v[8:11], off offset:932 ; 16-byte Folded Spill
	scratch_store_dwordx4 off, v[12:15], off offset:948 ; 16-byte Folded Spill
	scratch_store_dwordx4 off, v[16:19], off offset:964 ; 16-byte Folded Spill
	scratch_store_dwordx4 off, v[20:23], off offset:980 ; 16-byte Folded Spill
	scratch_store_dwordx4 off, v[24:27], off offset:996 ; 16-byte Folded Spill
	scratch_store_dwordx4 off, v[28:31], off offset:1012 ; 16-byte Folded Spill
	;; [unrolled: 10-line block ×4, first 2 shown]
	v_mov_b32_e32 v8, v184
	v_mov_b64_e32 v[252:253], v[30:31]
	v_mov_b64_e32 v[250:251], v[28:29]
	v_mov_b64_e32 v[248:249], v[26:27]
	v_mov_b64_e32 v[246:247], v[24:25]
	v_mov_b64_e32 v[244:245], v[22:23]
	v_mov_b64_e32 v[242:243], v[20:21]
	v_mov_b64_e32 v[240:241], v[18:19]
	v_mov_b64_e32 v[238:239], v[16:17]
	v_mov_b64_e32 v[236:237], v[14:15]
	v_mov_b64_e32 v[234:235], v[12:13]
	v_mov_b64_e32 v[232:233], v[10:11]
	v_mov_b64_e32 v[230:231], v[8:9]
	v_mov_b64_e32 v[228:229], v[6:7]
	v_mov_b64_e32 v[226:227], v[4:5]
	v_mov_b64_e32 v[224:225], v[2:3]
	v_mov_b64_e32 v[222:223], v[0:1]
	v_mov_b32_e32 v9, v185
	scratch_store_dwordx4 off, v[0:3], off offset:516 ; 16-byte Folded Spill
	s_nop 0
	scratch_store_dwordx4 off, v[4:7], off offset:532 ; 16-byte Folded Spill
	scratch_store_dwordx4 off, v[8:11], off offset:548 ; 16-byte Folded Spill
	scratch_store_dwordx4 off, v[12:15], off offset:564 ; 16-byte Folded Spill
	scratch_store_dwordx4 off, v[16:19], off offset:580 ; 16-byte Folded Spill
	scratch_store_dwordx4 off, v[20:23], off offset:596 ; 16-byte Folded Spill
	scratch_store_dwordx4 off, v[24:27], off offset:612 ; 16-byte Folded Spill
	scratch_store_dwordx4 off, v[28:31], off offset:628 ; 16-byte Folded Spill
	v_mov_b32_e32 v10, v186
	v_mov_b64_e32 v[220:221], v[30:31]
	v_mov_b64_e32 v[218:219], v[28:29]
	;; [unrolled: 1-line block ×16, first 2 shown]
	v_mov_b32_e32 v11, v187
	scratch_store_dwordx4 off, v[0:3], off offset:388 ; 16-byte Folded Spill
	s_nop 0
	scratch_store_dwordx4 off, v[4:7], off offset:404 ; 16-byte Folded Spill
	scratch_store_dwordx4 off, v[8:11], off offset:420 ; 16-byte Folded Spill
	;; [unrolled: 1-line block ×7, first 2 shown]
	v_mov_b32_e32 v12, v188
	v_mov_b64_e32 v[146:147], v[30:31]
	v_mov_b64_e32 v[144:145], v[28:29]
	;; [unrolled: 1-line block ×16, first 2 shown]
	v_mov_b32_e32 v13, v189
	v_mov_b64_e32 v[178:179], v[30:31]
	v_mov_b64_e32 v[176:177], v[28:29]
	;; [unrolled: 1-line block ×16, first 2 shown]
	v_mov_b32_e32 v14, v72
	scratch_store_dwordx4 off, v[0:3], off offset:260 ; 16-byte Folded Spill
	s_nop 0
	scratch_store_dwordx4 off, v[4:7], off offset:276 ; 16-byte Folded Spill
	scratch_store_dwordx4 off, v[8:11], off offset:292 ; 16-byte Folded Spill
	;; [unrolled: 1-line block ×7, first 2 shown]
	scratch_load_dwordx4 v[40:43], off, off offset:4 ; 16-byte Folded Reload
	scratch_load_dwordx4 v[44:47], off, off offset:20 ; 16-byte Folded Reload
	;; [unrolled: 1-line block ×8, first 2 shown]
	v_mov_b32_e32 v15, v73
	v_mov_b64_e32 v[20:21], v[72:73]
	s_waitcnt vmcnt(0)
	v_mov_b32_e32 v71, v185
	v_mov_b32_e32 v69, v187
	;; [unrolled: 1-line block ×3, first 2 shown]
	v_mov_b64_e32 v[114:115], v[30:31]
	v_mov_b64_e32 v[112:113], v[28:29]
	;; [unrolled: 1-line block ×16, first 2 shown]
	v_mov_b32_e32 v14, v20
	v_mov_b32_e32 v15, v21
	;; [unrolled: 1-line block ×3, first 2 shown]
	scratch_store_dwordx4 off, v[0:3], off offset:132 ; 16-byte Folded Spill
	s_nop 0
	scratch_store_dwordx4 off, v[4:7], off offset:148 ; 16-byte Folded Spill
	scratch_store_dwordx4 off, v[8:11], off offset:164 ; 16-byte Folded Spill
	;; [unrolled: 1-line block ×7, first 2 shown]
	scratch_load_dwordx4 v[24:27], off, off offset:4 ; 16-byte Folded Reload
	s_nop 0
	scratch_load_dwordx4 v[28:31], off, off offset:20 ; 16-byte Folded Reload
	scratch_load_dwordx4 v[32:35], off, off offset:36 ; 16-byte Folded Reload
	;; [unrolled: 1-line block ×7, first 2 shown]
	v_mov_b32_e32 v18, v255
	v_mov_b32_e32 v75, v3
	;; [unrolled: 1-line block ×4, first 2 shown]
	s_waitcnt vmcnt(3)
	v_mov_b32_e32 v16, v40
	v_mov_b32_e32 v17, v41
	;; [unrolled: 1-line block ×3, first 2 shown]
.LBB37_13:
	s_or_b64 exec, exec, s[2:3]
	scratch_store_dword off, v19, off offset:1704 ; 4-byte Folded Spill
	s_barrier
	scratch_load_dword v131, off, off offset:1284 ; 4-byte Folded Reload
	s_waitcnt vmcnt(0)
	v_cmp_eq_u32_e32 vcc, 2, v131
	s_mov_b64 s[2:3], exec
	scratch_load_dword v212, off, off offset:1288 ; 4-byte Folded Reload
	s_and_b64 s[4:5], s[2:3], vcc
	s_mov_b64 exec, s[4:5]
	s_cbranch_execz .LBB37_16
; %bb.14:
	scratch_load_dword v19, off, off        ; 4-byte Folded Reload
	s_waitcnt vmcnt(1)
	ds_write_b32 v212, v2
	s_waitcnt vmcnt(0)
	ds_write2_b32 v19, v3, v4 offset0:3 offset1:4
	ds_write2_b32 v19, v5, v6 offset0:5 offset1:6
	;; [unrolled: 1-line block ×8, first 2 shown]
	ds_read_b32 v19, v212
	s_waitcnt lgkmcnt(0)
	v_cmp_neq_f32_e32 vcc, 0, v19
	s_and_b64 exec, exec, vcc
	s_cbranch_execz .LBB37_16
; %bb.15:
	v_div_scale_f32 v35, s[4:5], v19, v19, 1.0
	v_rcp_f32_e32 v36, v35
	v_div_scale_f32 v37, vcc, 1.0, v19, 1.0
	v_fma_f32 v38, -v35, v36, 1.0
	v_fmac_f32_e32 v36, v38, v36
	v_mul_f32_e32 v38, v37, v36
	v_fma_f32 v39, -v35, v38, v37
	v_fmac_f32_e32 v38, v39, v36
	v_fma_f32 v35, -v35, v38, v37
	v_div_fmas_f32 v35, v35, v36, v38
	v_div_fixup_f32 v19, v35, v19, 1.0
	ds_write_b32 v212, v19
.LBB37_16:
	s_or_b64 exec, exec, s[2:3]
	s_waitcnt lgkmcnt(0)
	s_barrier
	s_waitcnt vmcnt(0)
	ds_read_b32 v50, v212
	v_cmp_lt_u32_e32 vcc, 2, v131
	s_and_saveexec_b64 s[2:3], vcc
	s_cbranch_execz .LBB37_18
; %bb.17:
	scratch_load_dwordx4 v[70:73], off, off offset:1576 ; 16-byte Folded Reload
	scratch_load_dwordx4 v[74:77], off, off offset:1592 ; 16-byte Folded Reload
	;; [unrolled: 1-line block ×8, first 2 shown]
	scratch_load_dword v19, off, off        ; 4-byte Folded Reload
	s_waitcnt vmcnt(8) lgkmcnt(0)
	v_mul_f32_e32 v72, v2, v50
	v_mov_b32_e32 v2, v3
	v_mov_b32_e32 v3, v4
	s_waitcnt vmcnt(4)
	v_mov_b32_e32 v86, v72
	v_mov_b32_e32 v224, v72
	;; [unrolled: 1-line block ×13, first 2 shown]
	s_waitcnt vmcnt(0)
	ds_read2_b32 v[0:1], v19 offset0:3 offset1:4
	ds_read2_b32 v[20:21], v19 offset0:5 offset1:6
	ds_read2_b32 v[22:23], v19 offset0:7 offset1:8
	ds_read2_b32 v[24:25], v19 offset0:9 offset1:10
	v_mov_b32_e32 v148, v70
	v_mov_b32_e32 v149, v71
	s_waitcnt lgkmcnt(3)
	v_pk_fma_f32 v[36:37], v[72:73], v[0:1], v[2:3] op_sel_hi:[0,1,1] neg_lo:[1,0,0] neg_hi:[1,0,0]
	v_mov_b32_e32 v0, v5
	v_mov_b32_e32 v1, v6
	s_waitcnt lgkmcnt(2)
	v_pk_fma_f32 v[38:39], v[72:73], v[20:21], v[0:1] op_sel_hi:[0,1,1] neg_lo:[1,0,0] neg_hi:[1,0,0]
	;; [unrolled: 4-line block ×4, first 2 shown]
	ds_read2_b32 v[0:1], v19 offset0:11 offset1:12
	ds_read2_b32 v[4:5], v19 offset0:13 offset1:14
	;; [unrolled: 1-line block ×4, first 2 shown]
	v_mov_b32_e32 v2, v11
	v_mov_b32_e32 v3, v12
	;; [unrolled: 1-line block ×3, first 2 shown]
	s_waitcnt lgkmcnt(3)
	v_pk_fma_f32 v[44:45], v[72:73], v[0:1], v[2:3] op_sel_hi:[0,1,1] neg_lo:[1,0,0] neg_hi:[1,0,0]
	v_mov_b32_e32 v0, v13
	v_mov_b32_e32 v1, v14
	s_waitcnt lgkmcnt(2)
	v_pk_fma_f32 v[46:47], v[72:73], v[4:5], v[0:1] op_sel_hi:[0,1,1] neg_lo:[1,0,0] neg_hi:[1,0,0]
	v_mov_b32_e32 v0, v15
	v_mov_b32_e32 v1, v16
	s_waitcnt lgkmcnt(1)
	v_pk_fma_f32 v[48:49], v[72:73], v[6:7], v[0:1] op_sel_hi:[0,1,1] neg_lo:[1,0,0] neg_hi:[1,0,0]
	v_mov_b32_e32 v0, v17
	v_mov_b32_e32 v1, v18
	s_waitcnt lgkmcnt(0)
	v_pk_fma_f32 v[18:19], v[72:73], v[8:9], v[0:1] op_sel_hi:[0,1,1] neg_lo:[1,0,0] neg_hi:[1,0,0]
	v_mov_b32_e32 v0, v70
	v_mov_b32_e32 v1, v71
	v_mov_b32_e32 v2, v72
	v_mov_b32_e32 v3, v36
	;; [unrolled: 1-line block ×3, first 2 shown]
	scratch_store_dwordx4 off, v[0:3], off offset:1028 ; 16-byte Folded Spill
	s_nop 0
	scratch_store_dwordx4 off, v[4:7], off offset:1044 ; 16-byte Folded Spill
	scratch_store_dwordx4 off, v[8:11], off offset:1060 ; 16-byte Folded Spill
	;; [unrolled: 1-line block ×7, first 2 shown]
	v_mov_b32_e32 v5, v38
	v_mov_b32_e32 v73, v36
	;; [unrolled: 1-line block ×53, first 2 shown]
	scratch_store_dwordx4 off, v[0:3], off offset:900 ; 16-byte Folded Spill
	s_nop 0
	scratch_store_dwordx4 off, v[4:7], off offset:916 ; 16-byte Folded Spill
	scratch_store_dwordx4 off, v[8:11], off offset:932 ; 16-byte Folded Spill
	;; [unrolled: 1-line block ×7, first 2 shown]
	v_mov_b32_e32 v6, v39
	v_mov_b32_e32 v69, v44
	scratch_store_dwordx4 off, v[0:3], off offset:772 ; 16-byte Folded Spill
	s_nop 0
	scratch_store_dwordx4 off, v[4:7], off offset:788 ; 16-byte Folded Spill
	scratch_store_dwordx4 off, v[8:11], off offset:804 ; 16-byte Folded Spill
	;; [unrolled: 1-line block ×7, first 2 shown]
	v_mov_b32_e32 v7, v40
	scratch_store_dwordx4 off, v[0:3], off offset:644 ; 16-byte Folded Spill
	s_nop 0
	scratch_store_dwordx4 off, v[4:7], off offset:660 ; 16-byte Folded Spill
	scratch_store_dwordx4 off, v[8:11], off offset:676 ; 16-byte Folded Spill
	scratch_store_dwordx4 off, v[12:15], off offset:692 ; 16-byte Folded Spill
	scratch_store_dwordx4 off, v[16:19], off offset:708 ; 16-byte Folded Spill
	scratch_store_dwordx4 off, v[20:23], off offset:724 ; 16-byte Folded Spill
	scratch_store_dwordx4 off, v[24:27], off offset:740 ; 16-byte Folded Spill
	scratch_store_dwordx4 off, v[28:31], off offset:756 ; 16-byte Folded Spill
	v_mov_b32_e32 v8, v41
	v_mov_b32_e32 v9, v42
	scratch_store_dwordx4 off, v[0:3], off offset:516 ; 16-byte Folded Spill
	s_nop 0
	scratch_store_dwordx4 off, v[4:7], off offset:532 ; 16-byte Folded Spill
	scratch_store_dwordx4 off, v[8:11], off offset:548 ; 16-byte Folded Spill
	scratch_store_dwordx4 off, v[12:15], off offset:564 ; 16-byte Folded Spill
	scratch_store_dwordx4 off, v[16:19], off offset:580 ; 16-byte Folded Spill
	scratch_store_dwordx4 off, v[20:23], off offset:596 ; 16-byte Folded Spill
	scratch_store_dwordx4 off, v[24:27], off offset:612 ; 16-byte Folded Spill
	scratch_store_dwordx4 off, v[28:31], off offset:628 ; 16-byte Folded Spill
	v_mov_b32_e32 v10, v43
	;; [unrolled: 11-line block ×3, first 2 shown]
	v_mov_b32_e32 v13, v46
	v_mov_b32_e32 v14, v47
	scratch_store_dwordx4 off, v[0:3], off offset:260 ; 16-byte Folded Spill
	s_nop 0
	scratch_store_dwordx4 off, v[4:7], off offset:276 ; 16-byte Folded Spill
	scratch_store_dwordx4 off, v[8:11], off offset:292 ; 16-byte Folded Spill
	;; [unrolled: 1-line block ×7, first 2 shown]
	v_mov_b32_e32 v15, v48
	v_mov_b32_e32 v16, v49
	scratch_store_dwordx4 off, v[0:3], off offset:132 ; 16-byte Folded Spill
	s_nop 0
	scratch_store_dwordx4 off, v[4:7], off offset:148 ; 16-byte Folded Spill
	scratch_store_dwordx4 off, v[8:11], off offset:164 ; 16-byte Folded Spill
	scratch_store_dwordx4 off, v[12:15], off offset:180 ; 16-byte Folded Spill
	scratch_store_dwordx4 off, v[16:19], off offset:196 ; 16-byte Folded Spill
	scratch_store_dwordx4 off, v[20:23], off offset:212 ; 16-byte Folded Spill
	scratch_store_dwordx4 off, v[24:27], off offset:228 ; 16-byte Folded Spill
	scratch_store_dwordx4 off, v[28:31], off offset:244 ; 16-byte Folded Spill
	scratch_store_dwordx4 off, v[70:73], off offset:1156 ; 16-byte Folded Spill
	s_nop 0
	scratch_store_dwordx4 off, v[74:77], off offset:1172 ; 16-byte Folded Spill
	scratch_store_dwordx4 off, v[78:81], off offset:1188 ; 16-byte Folded Spill
	scratch_store_dwordx4 off, v[82:85], off offset:1204 ; 16-byte Folded Spill
	scratch_store_dwordx4 off, v[86:89], off offset:1220 ; 16-byte Folded Spill
	scratch_store_dwordx4 off, v[90:93], off offset:1236 ; 16-byte Folded Spill
	scratch_store_dwordx4 off, v[94:97], off offset:1252 ; 16-byte Folded Spill
	scratch_store_dwordx4 off, v[98:101], off offset:1268 ; 16-byte Folded Spill
	;; [unrolled: 9-line block ×3, first 2 shown]
	v_mov_b32_e32 v75, v36
	v_mov_b32_e32 v76, v41
	;; [unrolled: 1-line block ×9, first 2 shown]
	scratch_store_dwordx4 off, v[20:23], off offset:4 ; 16-byte Folded Spill
	s_nop 0
	scratch_store_dwordx4 off, v[24:27], off offset:20 ; 16-byte Folded Spill
	scratch_store_dwordx4 off, v[28:31], off offset:36 ; 16-byte Folded Spill
	;; [unrolled: 1-line block ×7, first 2 shown]
	v_mov_b32_e32 v17, v18
	v_mov_b64_e32 v[254:255], v[18:19]
	v_mov_b32_e32 v18, v19
.LBB37_18:
	s_or_b64 exec, exec, s[2:3]
	v_cmp_eq_u32_e32 vcc, 3, v131
	s_waitcnt lgkmcnt(0)
	s_barrier
	s_and_saveexec_b64 s[2:3], vcc
	s_cbranch_execz .LBB37_21
; %bb.19:
	scratch_load_dword v19, off, off        ; 4-byte Folded Reload
	ds_write_b32 v212, v75
	s_waitcnt vmcnt(0)
	ds_write2_b32 v19, v4, v5 offset0:4 offset1:5
	ds_write2_b32 v19, v6, v7 offset0:6 offset1:7
	;; [unrolled: 1-line block ×7, first 2 shown]
	ds_write_b32 v19, v255 offset:72
	ds_read_b32 v19, v212
	s_waitcnt lgkmcnt(0)
	v_cmp_neq_f32_e32 vcc, 0, v19
	s_and_b64 exec, exec, vcc
	s_cbranch_execz .LBB37_21
; %bb.20:
	v_div_scale_f32 v35, s[4:5], v19, v19, 1.0
	v_rcp_f32_e32 v36, v35
	v_div_scale_f32 v37, vcc, 1.0, v19, 1.0
	v_fma_f32 v38, -v35, v36, 1.0
	v_fmac_f32_e32 v36, v38, v36
	v_mul_f32_e32 v38, v37, v36
	v_fma_f32 v39, -v35, v38, v37
	v_fmac_f32_e32 v38, v39, v36
	v_fma_f32 v35, -v35, v38, v37
	v_div_fmas_f32 v35, v35, v36, v38
	v_div_fixup_f32 v19, v35, v19, 1.0
	ds_write_b32 v212, v19
.LBB37_21:
	s_or_b64 exec, exec, s[2:3]
	s_waitcnt lgkmcnt(0)
	s_barrier
	ds_read_b32 v48, v212
	v_cmp_lt_u32_e32 vcc, 3, v131
	s_and_saveexec_b64 s[2:3], vcc
	s_cbranch_execz .LBB37_23
; %bb.22:
	scratch_load_dword v22, off, off        ; 4-byte Folded Reload
	s_waitcnt lgkmcnt(0)
	v_mul_f32_e32 v36, v75, v48
	v_mov_b32_e32 v73, v36
	v_mov_b32_e32 v41, v36
	s_waitcnt vmcnt(0)
	ds_read2_b32 v[0:1], v22 offset0:4 offset1:5
	ds_read2_b32 v[2:3], v22 offset0:6 offset1:7
	;; [unrolled: 1-line block ×4, first 2 shown]
	s_waitcnt lgkmcnt(3)
	v_pk_fma_f32 v[74:75], v[36:37], v[0:1], v[4:5] op_sel_hi:[0,1,1] neg_lo:[1,0,0] neg_hi:[1,0,0]
	s_waitcnt lgkmcnt(2)
	v_pk_fma_f32 v[44:45], v[36:37], v[2:3], v[6:7] op_sel_hi:[0,1,1] neg_lo:[1,0,0] neg_hi:[1,0,0]
	ds_read2_b32 v[0:1], v22 offset0:12 offset1:13
	ds_read2_b32 v[2:3], v22 offset0:14 offset1:15
	;; [unrolled: 1-line block ×3, first 2 shown]
	ds_read_b32 v6, v22 offset:72
	scratch_load_dwordx4 v[76:79], off, off offset:1292 ; 16-byte Folded Reload
	scratch_load_dwordx4 v[80:83], off, off offset:1308 ; 16-byte Folded Reload
	;; [unrolled: 1-line block ×8, first 2 shown]
	s_waitcnt lgkmcnt(3)
	v_pk_fma_f32 v[128:129], v[36:37], v[0:1], v[12:13] op_sel_hi:[0,1,1] neg_lo:[1,0,0] neg_hi:[1,0,0]
	s_waitcnt lgkmcnt(2)
	v_pk_fma_f32 v[34:35], v[36:37], v[2:3], v[14:15] op_sel_hi:[0,1,1] neg_lo:[1,0,0] neg_hi:[1,0,0]
	;; [unrolled: 2-line block ×3, first 2 shown]
	v_mov_b32_e32 v3, v36
	v_mov_b32_e32 v4, v74
	;; [unrolled: 1-line block ×3, first 2 shown]
	v_pk_fma_f32 v[230:231], v[36:37], v[18:19], v[8:9] op_sel_hi:[0,1,1] neg_lo:[1,0,0] neg_hi:[1,0,0]
	v_pk_fma_f32 v[200:201], v[36:37], v[20:21], v[10:11] op_sel_hi:[0,1,1] neg_lo:[1,0,0] neg_hi:[1,0,0]
	s_waitcnt vmcnt(7)
	v_mov_b32_e32 v79, v36
	s_waitcnt vmcnt(4)
	v_mov_b32_e32 v88, v74
	v_mov_b32_e32 v89, v75
	v_mov_b32_e32 v90, v44
	v_mov_b32_e32 v91, v45
	s_waitcnt vmcnt(3)
	v_mov_b32_e32 v92, v230
	v_mov_b32_e32 v93, v231
	v_mov_b32_e32 v94, v200
	;; [unrolled: 5-line block ×3, first 2 shown]
	v_mov_b32_e32 v43, v75
	v_mov_b32_e32 v56, v74
	;; [unrolled: 1-line block ×45, first 2 shown]
	scratch_store_dwordx4 off, v[0:3], off offset:900 ; 16-byte Folded Spill
	s_waitcnt lgkmcnt(0)
	scratch_store_dwordx4 off, v[4:7], off offset:916 ; 16-byte Folded Spill
	scratch_store_dwordx4 off, v[8:11], off offset:932 ; 16-byte Folded Spill
	;; [unrolled: 1-line block ×7, first 2 shown]
	v_mov_b32_e32 v38, v76
	v_mov_b32_e32 v39, v77
	;; [unrolled: 1-line block ×33, first 2 shown]
	scratch_store_dwordx4 off, v[8:11], off offset:644 ; 16-byte Folded Spill
	s_nop 0
	scratch_store_dwordx4 off, v[12:15], off offset:660 ; 16-byte Folded Spill
	scratch_store_dwordx4 off, v[16:19], off offset:676 ; 16-byte Folded Spill
	scratch_store_dwordx4 off, v[20:23], off offset:692 ; 16-byte Folded Spill
	scratch_store_dwordx4 off, v[24:27], off offset:708 ; 16-byte Folded Spill
	scratch_store_dwordx4 off, v[28:31], off offset:724 ; 16-byte Folded Spill
	scratch_store_dwordx4 off, v[32:35], off offset:740 ; 16-byte Folded Spill
	scratch_store_dwordx4 off, v[36:39], off offset:756 ; 16-byte Folded Spill
	v_mov_b32_e32 v16, v230
	v_mov_b32_e32 v17, v231
	v_mov_b32_e32 v225, v36
	scratch_store_dwordx4 off, v[8:11], off offset:516 ; 16-byte Folded Spill
	s_nop 0
	scratch_store_dwordx4 off, v[12:15], off offset:532 ; 16-byte Folded Spill
	scratch_store_dwordx4 off, v[16:19], off offset:548 ; 16-byte Folded Spill
	scratch_store_dwordx4 off, v[20:23], off offset:564 ; 16-byte Folded Spill
	scratch_store_dwordx4 off, v[24:27], off offset:580 ; 16-byte Folded Spill
	scratch_store_dwordx4 off, v[28:31], off offset:596 ; 16-byte Folded Spill
	scratch_store_dwordx4 off, v[32:35], off offset:612 ; 16-byte Folded Spill
	scratch_store_dwordx4 off, v[36:39], off offset:628 ; 16-byte Folded Spill
	v_mov_b32_e32 v18, v200
	v_mov_b32_e32 v19, v201
	v_mov_b32_e32 v193, v36
	;; [unrolled: 12-line block ×3, first 2 shown]
	v_mov_b32_e32 v24, v74
	v_mov_b32_e32 v25, v75
	;; [unrolled: 1-line block ×21, first 2 shown]
	scratch_store_dwordx4 off, v[76:79], off offset:1156 ; 16-byte Folded Spill
	s_nop 0
	scratch_store_dwordx4 off, v[80:83], off offset:1172 ; 16-byte Folded Spill
	scratch_store_dwordx4 off, v[84:87], off offset:1188 ; 16-byte Folded Spill
	;; [unrolled: 1-line block ×5, first 2 shown]
	s_waitcnt vmcnt(39)
	scratch_store_dwordx4 off, v[100:103], off offset:1252 ; 16-byte Folded Spill
	s_waitcnt vmcnt(39)
	scratch_store_dwordx4 off, v[104:107], off offset:1268 ; 16-byte Folded Spill
	v_mov_b32_e32 v55, v36
	v_mov_b32_e32 v66, v34
	;; [unrolled: 1-line block ×3, first 2 shown]
	v_fma_f32 v18, -v36, v6, v255
	v_mov_b32_e32 v6, v44
	v_mov_b32_e32 v23, v36
	;; [unrolled: 1-line block ×7, first 2 shown]
	scratch_store_dwordx4 off, v[70:73], off offset:1028 ; 16-byte Folded Spill
	s_nop 0
	scratch_store_dwordx4 off, v[74:77], off offset:1044 ; 16-byte Folded Spill
	scratch_store_dwordx4 off, v[78:81], off offset:1060 ; 16-byte Folded Spill
	;; [unrolled: 1-line block ×8, first 2 shown]
	s_nop 0
	scratch_store_dwordx4 off, v[42:45], off offset:788 ; 16-byte Folded Spill
	scratch_store_dwordx4 off, v[46:49], off offset:804 ; 16-byte Folded Spill
	;; [unrolled: 1-line block ×7, first 2 shown]
	v_mov_b32_e32 v70, v34
	v_mov_b32_e32 v76, v230
	;; [unrolled: 1-line block ×9, first 2 shown]
	scratch_store_dwordx4 off, v[20:23], off offset:260 ; 16-byte Folded Spill
	s_nop 0
	scratch_store_dwordx4 off, v[24:27], off offset:276 ; 16-byte Folded Spill
	scratch_store_dwordx4 off, v[28:31], off offset:292 ; 16-byte Folded Spill
	;; [unrolled: 1-line block ×7, first 2 shown]
	v_mov_b32_e32 v36, v68
	v_mov_b32_e32 v73, v35
	v_mov_b64_e32 v[20:21], v[52:53]
	v_mov_b64_e32 v[22:23], v[54:55]
	;; [unrolled: 1-line block ×8, first 2 shown]
	scratch_store_dwordx4 off, v[20:23], off offset:132 ; 16-byte Folded Spill
	s_nop 0
	scratch_store_dwordx4 off, v[24:27], off offset:148 ; 16-byte Folded Spill
	scratch_store_dwordx4 off, v[28:31], off offset:164 ; 16-byte Folded Spill
	;; [unrolled: 1-line block ×8, first 2 shown]
	s_nop 0
	scratch_store_dwordx4 off, v[24:27], off offset:20 ; 16-byte Folded Spill
	scratch_store_dwordx4 off, v[28:31], off offset:36 ; 16-byte Folded Spill
	;; [unrolled: 1-line block ×7, first 2 shown]
.LBB37_23:
	s_or_b64 exec, exec, s[2:3]
	v_cmp_eq_u32_e32 vcc, 4, v131
	s_waitcnt lgkmcnt(0)
	s_barrier
	s_and_saveexec_b64 s[2:3], vcc
	s_cbranch_execz .LBB37_26
; %bb.24:
	scratch_load_dword v19, off, off        ; 4-byte Folded Reload
	ds_write_b32 v212, v182
	s_waitcnt vmcnt(0)
	ds_write2_b32 v19, v5, v6 offset0:5 offset1:6
	ds_write2_b32 v19, v7, v8 offset0:7 offset1:8
	;; [unrolled: 1-line block ×7, first 2 shown]
	ds_read_b32 v19, v212
	s_waitcnt lgkmcnt(0)
	v_cmp_neq_f32_e32 vcc, 0, v19
	s_and_b64 exec, exec, vcc
	s_cbranch_execz .LBB37_26
; %bb.25:
	v_div_scale_f32 v35, s[4:5], v19, v19, 1.0
	v_rcp_f32_e32 v36, v35
	v_div_scale_f32 v37, vcc, 1.0, v19, 1.0
	v_fma_f32 v38, -v35, v36, 1.0
	v_fmac_f32_e32 v36, v38, v36
	v_mul_f32_e32 v38, v37, v36
	v_fma_f32 v39, -v35, v38, v37
	v_fmac_f32_e32 v38, v39, v36
	v_fma_f32 v35, -v35, v38, v37
	v_div_fmas_f32 v35, v35, v36, v38
	v_div_fixup_f32 v19, v35, v19, 1.0
	ds_write_b32 v212, v19
.LBB37_26:
	s_or_b64 exec, exec, s[2:3]
	s_waitcnt lgkmcnt(0)
	s_barrier
	ds_read_b32 v49, v212
	v_cmp_lt_u32_e32 vcc, 4, v131
	s_and_saveexec_b64 s[2:3], vcc
	s_cbranch_execz .LBB37_28
; %bb.27:
	scratch_load_dwordx4 v[70:73], off, off offset:1156 ; 16-byte Folded Reload
	scratch_load_dwordx4 v[74:77], off, off offset:1172 ; 16-byte Folded Reload
	scratch_load_dwordx4 v[78:81], off, off offset:1188 ; 16-byte Folded Reload
	scratch_load_dwordx4 v[82:85], off, off offset:1204 ; 16-byte Folded Reload
	scratch_load_dwordx4 v[86:89], off, off offset:1220 ; 16-byte Folded Reload
	scratch_load_dwordx4 v[90:93], off, off offset:1236 ; 16-byte Folded Reload
	scratch_load_dwordx4 v[94:97], off, off offset:1252 ; 16-byte Folded Reload
	scratch_load_dwordx4 v[98:101], off, off offset:1268 ; 16-byte Folded Reload
	scratch_load_dword v19, off, off        ; 4-byte Folded Reload
	v_mov_b32_e32 v2, v5
	s_waitcnt vmcnt(7) lgkmcnt(0)
	v_mul_f32_e32 v74, v182, v49
	v_mov_b32_e32 v3, v6
	s_waitcnt vmcnt(4)
	v_mov_b32_e32 v88, v74
	v_mov_b32_e32 v226, v74
	;; [unrolled: 1-line block ×13, first 2 shown]
	s_waitcnt vmcnt(0)
	ds_read2_b32 v[0:1], v19 offset0:5 offset1:6
	ds_read2_b32 v[4:5], v19 offset0:7 offset1:8
	;; [unrolled: 1-line block ×4, first 2 shown]
	v_mov_b32_e32 v190, v70
	v_mov_b32_e32 v191, v71
	;; [unrolled: 1-line block ×3, first 2 shown]
	s_waitcnt lgkmcnt(3)
	v_pk_fma_f32 v[36:37], v[74:75], v[0:1], v[2:3] op_sel_hi:[0,1,1] neg_lo:[1,0,0] neg_hi:[1,0,0]
	v_mov_b32_e32 v0, v7
	v_mov_b32_e32 v1, v8
	s_waitcnt lgkmcnt(2)
	v_pk_fma_f32 v[38:39], v[74:75], v[4:5], v[0:1] op_sel_hi:[0,1,1] neg_lo:[1,0,0] neg_hi:[1,0,0]
	v_mov_b32_e32 v0, v9
	v_mov_b32_e32 v1, v10
	;; [unrolled: 4-line block ×3, first 2 shown]
	s_waitcnt lgkmcnt(0)
	v_pk_fma_f32 v[42:43], v[74:75], v[22:23], v[0:1] op_sel_hi:[0,1,1] neg_lo:[1,0,0] neg_hi:[1,0,0]
	ds_read2_b32 v[0:1], v19 offset0:13 offset1:14
	ds_read2_b32 v[4:5], v19 offset0:15 offset1:16
	;; [unrolled: 1-line block ×3, first 2 shown]
	v_mov_b32_e32 v2, v13
	v_mov_b32_e32 v3, v14
	;; [unrolled: 1-line block ×3, first 2 shown]
	s_waitcnt lgkmcnt(2)
	v_pk_fma_f32 v[44:45], v[74:75], v[0:1], v[2:3] op_sel_hi:[0,1,1] neg_lo:[1,0,0] neg_hi:[1,0,0]
	v_mov_b32_e32 v0, v15
	v_mov_b32_e32 v1, v16
	s_waitcnt lgkmcnt(1)
	v_pk_fma_f32 v[46:47], v[74:75], v[4:5], v[0:1] op_sel_hi:[0,1,1] neg_lo:[1,0,0] neg_hi:[1,0,0]
	v_mov_b32_e32 v0, v17
	v_mov_b32_e32 v1, v18
	;; [unrolled: 4-line block ×3, first 2 shown]
	v_mov_b32_e32 v2, v72
	v_mov_b32_e32 v3, v73
	;; [unrolled: 1-line block ×5, first 2 shown]
	scratch_store_dwordx4 off, v[0:3], off offset:772 ; 16-byte Folded Spill
	s_nop 0
	scratch_store_dwordx4 off, v[4:7], off offset:788 ; 16-byte Folded Spill
	scratch_store_dwordx4 off, v[8:11], off offset:804 ; 16-byte Folded Spill
	;; [unrolled: 1-line block ×7, first 2 shown]
	v_mov_b32_e32 v7, v38
	v_mov_b32_e32 v75, v36
	;; [unrolled: 1-line block ×53, first 2 shown]
	scratch_store_dwordx4 off, v[0:3], off offset:644 ; 16-byte Folded Spill
	s_nop 0
	scratch_store_dwordx4 off, v[4:7], off offset:660 ; 16-byte Folded Spill
	scratch_store_dwordx4 off, v[8:11], off offset:676 ; 16-byte Folded Spill
	scratch_store_dwordx4 off, v[12:15], off offset:692 ; 16-byte Folded Spill
	scratch_store_dwordx4 off, v[16:19], off offset:708 ; 16-byte Folded Spill
	scratch_store_dwordx4 off, v[20:23], off offset:724 ; 16-byte Folded Spill
	scratch_store_dwordx4 off, v[24:27], off offset:740 ; 16-byte Folded Spill
	scratch_store_dwordx4 off, v[28:31], off offset:756 ; 16-byte Folded Spill
	v_mov_b32_e32 v8, v39
	v_mov_b32_e32 v9, v40
	scratch_store_dwordx4 off, v[0:3], off offset:516 ; 16-byte Folded Spill
	s_nop 0
	scratch_store_dwordx4 off, v[4:7], off offset:532 ; 16-byte Folded Spill
	scratch_store_dwordx4 off, v[8:11], off offset:548 ; 16-byte Folded Spill
	scratch_store_dwordx4 off, v[12:15], off offset:564 ; 16-byte Folded Spill
	scratch_store_dwordx4 off, v[16:19], off offset:580 ; 16-byte Folded Spill
	scratch_store_dwordx4 off, v[20:23], off offset:596 ; 16-byte Folded Spill
	scratch_store_dwordx4 off, v[24:27], off offset:612 ; 16-byte Folded Spill
	scratch_store_dwordx4 off, v[28:31], off offset:628 ; 16-byte Folded Spill
	v_mov_b32_e32 v10, v41
	v_mov_b32_e32 v11, v42
	;; [unrolled: 11-line block ×3, first 2 shown]
	v_mov_b32_e32 v14, v45
	scratch_store_dwordx4 off, v[0:3], off offset:260 ; 16-byte Folded Spill
	s_nop 0
	scratch_store_dwordx4 off, v[4:7], off offset:276 ; 16-byte Folded Spill
	scratch_store_dwordx4 off, v[8:11], off offset:292 ; 16-byte Folded Spill
	;; [unrolled: 1-line block ×7, first 2 shown]
	v_mov_b32_e32 v15, v46
	v_mov_b32_e32 v16, v47
	scratch_store_dwordx4 off, v[0:3], off offset:132 ; 16-byte Folded Spill
	s_nop 0
	scratch_store_dwordx4 off, v[4:7], off offset:148 ; 16-byte Folded Spill
	scratch_store_dwordx4 off, v[8:11], off offset:164 ; 16-byte Folded Spill
	scratch_store_dwordx4 off, v[12:15], off offset:180 ; 16-byte Folded Spill
	scratch_store_dwordx4 off, v[16:19], off offset:196 ; 16-byte Folded Spill
	scratch_store_dwordx4 off, v[20:23], off offset:212 ; 16-byte Folded Spill
	scratch_store_dwordx4 off, v[24:27], off offset:228 ; 16-byte Folded Spill
	scratch_store_dwordx4 off, v[28:31], off offset:244 ; 16-byte Folded Spill
	scratch_store_dwordx4 off, v[70:73], off offset:900 ; 16-byte Folded Spill
	s_nop 0
	scratch_store_dwordx4 off, v[74:77], off offset:916 ; 16-byte Folded Spill
	scratch_store_dwordx4 off, v[78:81], off offset:932 ; 16-byte Folded Spill
	scratch_store_dwordx4 off, v[82:85], off offset:948 ; 16-byte Folded Spill
	scratch_store_dwordx4 off, v[86:89], off offset:964 ; 16-byte Folded Spill
	scratch_store_dwordx4 off, v[90:93], off offset:980 ; 16-byte Folded Spill
	scratch_store_dwordx4 off, v[94:97], off offset:996 ; 16-byte Folded Spill
	scratch_store_dwordx4 off, v[98:101], off offset:1012 ; 16-byte Folded Spill
	;; [unrolled: 9-line block ×3, first 2 shown]
	v_mov_b32_e32 v76, v39
	v_mov_b32_e32 v71, v40
	;; [unrolled: 1-line block ×7, first 2 shown]
	scratch_store_dwordx4 off, v[20:23], off offset:4 ; 16-byte Folded Spill
	s_nop 0
	scratch_store_dwordx4 off, v[24:27], off offset:20 ; 16-byte Folded Spill
	scratch_store_dwordx4 off, v[28:31], off offset:36 ; 16-byte Folded Spill
	scratch_store_dwordx4 off, v[32:35], off offset:52 ; 16-byte Folded Spill
	scratch_store_dwordx4 off, v[36:39], off offset:68 ; 16-byte Folded Spill
	scratch_store_dwordx4 off, v[40:43], off offset:84 ; 16-byte Folded Spill
	scratch_store_dwordx4 off, v[44:47], off offset:100 ; 16-byte Folded Spill
	scratch_store_dwordx4 off, v[48:51], off offset:116 ; 16-byte Folded Spill
	v_mov_b32_e32 v17, v18
	v_mov_b64_e32 v[254:255], v[18:19]
	v_mov_b32_e32 v18, v19
.LBB37_28:
	s_or_b64 exec, exec, s[2:3]
	v_cmp_eq_u32_e32 vcc, 5, v131
	s_waitcnt lgkmcnt(0)
	s_barrier
	s_and_saveexec_b64 s[2:3], vcc
	s_cbranch_execz .LBB37_31
; %bb.29:
	scratch_load_dword v19, off, off        ; 4-byte Folded Reload
	ds_write_b32 v212, v183
	s_waitcnt vmcnt(0)
	ds_write2_b32 v19, v6, v7 offset0:6 offset1:7
	ds_write2_b32 v19, v8, v9 offset0:8 offset1:9
	;; [unrolled: 1-line block ×6, first 2 shown]
	ds_write_b32 v19, v255 offset:72
	ds_read_b32 v19, v212
	s_waitcnt lgkmcnt(0)
	v_cmp_neq_f32_e32 vcc, 0, v19
	s_and_b64 exec, exec, vcc
	s_cbranch_execz .LBB37_31
; %bb.30:
	v_div_scale_f32 v35, s[4:5], v19, v19, 1.0
	v_rcp_f32_e32 v36, v35
	v_div_scale_f32 v37, vcc, 1.0, v19, 1.0
	v_fma_f32 v38, -v35, v36, 1.0
	v_fmac_f32_e32 v36, v38, v36
	v_mul_f32_e32 v38, v37, v36
	v_fma_f32 v39, -v35, v38, v37
	v_fmac_f32_e32 v38, v39, v36
	v_fma_f32 v35, -v35, v38, v37
	v_div_fmas_f32 v35, v35, v36, v38
	v_div_fixup_f32 v19, v35, v19, 1.0
	ds_write_b32 v212, v19
.LBB37_31:
	s_or_b64 exec, exec, s[2:3]
	s_waitcnt lgkmcnt(0)
	s_barrier
	ds_read_b32 v46, v212
	v_cmp_lt_u32_e32 vcc, 5, v131
	s_and_saveexec_b64 s[2:3], vcc
	s_cbranch_execz .LBB37_33
; %bb.32:
	scratch_load_dword v5, off, off         ; 4-byte Folded Reload
	s_waitcnt lgkmcnt(0)
	v_mul_f32_e32 v4, v183, v46
	v_mov_b32_e32 v41, v4
	v_mov_b32_e32 v57, v4
	;; [unrolled: 1-line block ×6, first 2 shown]
	s_waitcnt vmcnt(0)
	ds_read2_b32 v[0:1], v5 offset0:6 offset1:7
	ds_read2_b32 v[2:3], v5 offset0:8 offset1:9
	;; [unrolled: 1-line block ×4, first 2 shown]
	s_waitcnt lgkmcnt(3)
	v_pk_fma_f32 v[42:43], v[4:5], v[0:1], v[6:7] op_sel_hi:[0,1,1] neg_lo:[1,0,0] neg_hi:[1,0,0]
	s_waitcnt lgkmcnt(2)
	v_pk_fma_f32 v[230:231], v[4:5], v[2:3], v[8:9] op_sel_hi:[0,1,1] neg_lo:[1,0,0] neg_hi:[1,0,0]
	ds_read2_b32 v[0:1], v5 offset0:14 offset1:15
	ds_read2_b32 v[2:3], v5 offset0:16 offset1:17
	s_waitcnt lgkmcnt(3)
	v_pk_fma_f32 v[200:201], v[4:5], v[18:19], v[10:11] op_sel_hi:[0,1,1] neg_lo:[1,0,0] neg_hi:[1,0,0]
	s_waitcnt lgkmcnt(2)
	v_pk_fma_f32 v[128:129], v[4:5], v[20:21], v[12:13] op_sel_hi:[0,1,1] neg_lo:[1,0,0] neg_hi:[1,0,0]
	ds_read_b32 v5, v5 offset:72
	scratch_load_dwordx4 v[70:73], off, off offset:1028 ; 16-byte Folded Reload
	scratch_load_dwordx4 v[74:77], off, off offset:1044 ; 16-byte Folded Reload
	;; [unrolled: 1-line block ×8, first 2 shown]
	v_mov_b32_e32 v11, v4
	v_mov_b32_e32 v12, v42
	;; [unrolled: 1-line block ×3, first 2 shown]
	s_waitcnt lgkmcnt(0)
	v_pk_fma_f32 v[34:35], v[4:5], v[0:1], v[14:15] op_sel_hi:[0,1,1] neg_lo:[1,0,0] neg_hi:[1,0,0]
	v_pk_fma_f32 v[68:69], v[4:5], v[2:3], v[16:17] op_sel_hi:[0,1,1] neg_lo:[1,0,0] neg_hi:[1,0,0]
	s_waitcnt vmcnt(6)
	v_mov_b32_e32 v75, v4
	s_waitcnt vmcnt(3)
	v_mov_b32_e32 v89, v4
	;; [unrolled: 2-line block ×3, first 2 shown]
	v_mov_b32_e32 v91, v43
	v_mov_b32_e32 v92, v230
	;; [unrolled: 1-line block ×3, first 2 shown]
	s_waitcnt vmcnt(1)
	v_mov_b32_e32 v94, v200
	v_mov_b32_e32 v95, v201
	;; [unrolled: 1-line block ×41, first 2 shown]
	scratch_store_dwordx4 off, v[6:9], off offset:644 ; 16-byte Folded Spill
	s_nop 0
	scratch_store_dwordx4 off, v[10:13], off offset:660 ; 16-byte Folded Spill
	scratch_store_dwordx4 off, v[14:17], off offset:676 ; 16-byte Folded Spill
	;; [unrolled: 1-line block ×7, first 2 shown]
	v_mov_b32_e32 v14, v230
	v_mov_b32_e32 v15, v231
	;; [unrolled: 1-line block ×39, first 2 shown]
	scratch_store_dwordx4 off, v[6:9], off offset:516 ; 16-byte Folded Spill
	s_nop 0
	scratch_store_dwordx4 off, v[10:13], off offset:532 ; 16-byte Folded Spill
	scratch_store_dwordx4 off, v[14:17], off offset:548 ; 16-byte Folded Spill
	scratch_store_dwordx4 off, v[18:21], off offset:564 ; 16-byte Folded Spill
	scratch_store_dwordx4 off, v[22:25], off offset:580 ; 16-byte Folded Spill
	scratch_store_dwordx4 off, v[26:29], off offset:596 ; 16-byte Folded Spill
	scratch_store_dwordx4 off, v[30:33], off offset:612 ; 16-byte Folded Spill
	scratch_store_dwordx4 off, v[34:37], off offset:628 ; 16-byte Folded Spill
	v_mov_b32_e32 v16, v200
	v_mov_b32_e32 v17, v201
	scratch_store_dwordx4 off, v[6:9], off offset:388 ; 16-byte Folded Spill
	s_nop 0
	scratch_store_dwordx4 off, v[10:13], off offset:404 ; 16-byte Folded Spill
	scratch_store_dwordx4 off, v[14:17], off offset:420 ; 16-byte Folded Spill
	;; [unrolled: 1-line block ×7, first 2 shown]
	v_mov_b32_e32 v20, v70
	v_mov_b32_e32 v21, v71
	;; [unrolled: 1-line block ×8, first 2 shown]
	v_fma_f32 v18, -v4, v5, v255
	v_mov_b32_e32 v5, v4
	v_mov_b32_e32 v4, v74
	;; [unrolled: 1-line block ×20, first 2 shown]
	s_waitcnt vmcnt(24)
	v_mov_b32_e32 v98, v34
	v_mov_b32_e32 v99, v35
	;; [unrolled: 1-line block ×4, first 2 shown]
	scratch_store_dwordx4 off, v[70:73], off offset:900 ; 16-byte Folded Spill
	s_nop 0
	scratch_store_dwordx4 off, v[74:77], off offset:916 ; 16-byte Folded Spill
	scratch_store_dwordx4 off, v[78:81], off offset:932 ; 16-byte Folded Spill
	;; [unrolled: 1-line block ×8, first 2 shown]
	s_nop 0
	scratch_store_dwordx4 off, v[40:43], off offset:788 ; 16-byte Folded Spill
	scratch_store_dwordx4 off, v[44:47], off offset:804 ; 16-byte Folded Spill
	;; [unrolled: 1-line block ×7, first 2 shown]
	v_mov_b32_e32 v14, v34
	v_mov_b32_e32 v15, v35
	;; [unrolled: 1-line block ×9, first 2 shown]
	scratch_store_dwordx4 off, v[20:23], off offset:260 ; 16-byte Folded Spill
	s_nop 0
	scratch_store_dwordx4 off, v[24:27], off offset:276 ; 16-byte Folded Spill
	scratch_store_dwordx4 off, v[28:31], off offset:292 ; 16-byte Folded Spill
	;; [unrolled: 1-line block ×7, first 2 shown]
	v_mov_b32_e32 v36, v68
	v_mov_b32_e32 v73, v35
	v_mov_b64_e32 v[20:21], v[52:53]
	v_mov_b64_e32 v[22:23], v[54:55]
	;; [unrolled: 1-line block ×8, first 2 shown]
	scratch_store_dwordx4 off, v[20:23], off offset:132 ; 16-byte Folded Spill
	s_nop 0
	scratch_store_dwordx4 off, v[24:27], off offset:148 ; 16-byte Folded Spill
	scratch_store_dwordx4 off, v[28:31], off offset:164 ; 16-byte Folded Spill
	;; [unrolled: 1-line block ×8, first 2 shown]
	s_nop 0
	scratch_store_dwordx4 off, v[24:27], off offset:20 ; 16-byte Folded Spill
	scratch_store_dwordx4 off, v[28:31], off offset:36 ; 16-byte Folded Spill
	;; [unrolled: 1-line block ×7, first 2 shown]
.LBB37_33:
	s_or_b64 exec, exec, s[2:3]
	v_cmp_eq_u32_e32 vcc, 6, v131
	s_waitcnt lgkmcnt(0)
	s_barrier
	s_and_saveexec_b64 s[2:3], vcc
	s_cbranch_execz .LBB37_36
; %bb.34:
	scratch_load_dword v19, off, off        ; 4-byte Folded Reload
	ds_write_b32 v212, v180
	s_waitcnt vmcnt(0)
	ds_write2_b32 v19, v7, v8 offset0:7 offset1:8
	ds_write2_b32 v19, v9, v10 offset0:9 offset1:10
	;; [unrolled: 1-line block ×6, first 2 shown]
	ds_read_b32 v19, v212
	s_waitcnt lgkmcnt(0)
	v_cmp_neq_f32_e32 vcc, 0, v19
	s_and_b64 exec, exec, vcc
	s_cbranch_execz .LBB37_36
; %bb.35:
	v_div_scale_f32 v35, s[4:5], v19, v19, 1.0
	v_rcp_f32_e32 v36, v35
	v_div_scale_f32 v37, vcc, 1.0, v19, 1.0
	v_fma_f32 v38, -v35, v36, 1.0
	v_fmac_f32_e32 v36, v38, v36
	v_mul_f32_e32 v38, v37, v36
	v_fma_f32 v39, -v35, v38, v37
	v_fmac_f32_e32 v38, v39, v36
	v_fma_f32 v35, -v35, v38, v37
	v_div_fmas_f32 v35, v35, v36, v38
	v_div_fixup_f32 v19, v35, v19, 1.0
	ds_write_b32 v212, v19
.LBB37_36:
	s_or_b64 exec, exec, s[2:3]
	s_waitcnt lgkmcnt(0)
	s_barrier
	ds_read_b32 v47, v212
	v_cmp_lt_u32_e32 vcc, 6, v131
	s_and_saveexec_b64 s[2:3], vcc
	s_cbranch_execz .LBB37_38
; %bb.37:
	scratch_load_dwordx4 v[70:73], off, off offset:900 ; 16-byte Folded Reload
	scratch_load_dwordx4 v[74:77], off, off offset:916 ; 16-byte Folded Reload
	;; [unrolled: 1-line block ×8, first 2 shown]
	scratch_load_dword v19, off, off        ; 4-byte Folded Reload
	v_mov_b32_e32 v2, v7
	s_waitcnt vmcnt(7) lgkmcnt(0)
	v_mul_f32_e32 v76, v180, v47
	v_mov_b32_e32 v3, v8
	s_waitcnt vmcnt(3)
	v_mov_b32_e32 v90, v76
	v_mov_b32_e32 v228, v76
	v_mov_b32_e32 v196, v76
	v_mov_b32_e32 v122, v76
	v_mov_b32_e32 v154, v76
	v_mov_b32_e32 v84, v70
	v_mov_b32_e32 v85, v71
	v_mov_b32_e32 v86, v72
	v_mov_b32_e32 v87, v73
	v_mov_b32_e32 v88, v74
	v_mov_b32_e32 v89, v75
	v_mov_b32_e32 v222, v70
	v_mov_b32_e32 v223, v71
	s_waitcnt vmcnt(0)
	ds_read2_b32 v[0:1], v19 offset0:7 offset1:8
	ds_read2_b32 v[4:5], v19 offset0:9 offset1:10
	;; [unrolled: 1-line block ×4, first 2 shown]
	v_mov_b32_e32 v224, v72
	v_mov_b32_e32 v225, v73
	v_mov_b32_e32 v226, v74
	s_waitcnt lgkmcnt(3)
	v_pk_fma_f32 v[36:37], v[76:77], v[0:1], v[2:3] op_sel_hi:[0,1,1] neg_lo:[1,0,0] neg_hi:[1,0,0]
	v_mov_b32_e32 v0, v9
	v_mov_b32_e32 v1, v10
	ds_read2_b32 v[2:3], v19 offset0:15 offset1:16
	s_waitcnt lgkmcnt(3)
	v_pk_fma_f32 v[38:39], v[76:77], v[4:5], v[0:1] op_sel_hi:[0,1,1] neg_lo:[1,0,0] neg_hi:[1,0,0]
	ds_read2_b32 v[4:5], v19 offset0:17 offset1:18
	v_mov_b32_e32 v0, v11
	v_mov_b32_e32 v1, v12
	s_waitcnt lgkmcnt(3)
	v_pk_fma_f32 v[40:41], v[76:77], v[6:7], v[0:1] op_sel_hi:[0,1,1] neg_lo:[1,0,0] neg_hi:[1,0,0]
	v_mov_b32_e32 v0, v13
	v_mov_b32_e32 v1, v14
	s_waitcnt lgkmcnt(2)
	v_pk_fma_f32 v[42:43], v[76:77], v[20:21], v[0:1] op_sel_hi:[0,1,1] neg_lo:[1,0,0] neg_hi:[1,0,0]
	;; [unrolled: 4-line block ×4, first 2 shown]
	v_mov_b32_e32 v0, v70
	v_mov_b32_e32 v1, v71
	;; [unrolled: 1-line block ×10, first 2 shown]
	scratch_store_dwordx4 off, v[0:3], off offset:516 ; 16-byte Folded Spill
	s_nop 0
	scratch_store_dwordx4 off, v[4:7], off offset:532 ; 16-byte Folded Spill
	scratch_store_dwordx4 off, v[8:11], off offset:548 ; 16-byte Folded Spill
	;; [unrolled: 1-line block ×7, first 2 shown]
	v_mov_b32_e32 v10, v39
	v_mov_b32_e32 v11, v40
	;; [unrolled: 1-line block ×50, first 2 shown]
	scratch_store_dwordx4 off, v[0:3], off offset:388 ; 16-byte Folded Spill
	s_nop 0
	scratch_store_dwordx4 off, v[4:7], off offset:404 ; 16-byte Folded Spill
	scratch_store_dwordx4 off, v[8:11], off offset:420 ; 16-byte Folded Spill
	;; [unrolled: 1-line block ×7, first 2 shown]
	v_mov_b32_e32 v12, v41
	v_mov_b32_e32 v13, v42
	;; [unrolled: 1-line block ×6, first 2 shown]
	scratch_store_dwordx4 off, v[0:3], off offset:260 ; 16-byte Folded Spill
	s_nop 0
	scratch_store_dwordx4 off, v[4:7], off offset:276 ; 16-byte Folded Spill
	scratch_store_dwordx4 off, v[8:11], off offset:292 ; 16-byte Folded Spill
	;; [unrolled: 1-line block ×7, first 2 shown]
	v_mov_b32_e32 v15, v44
	v_mov_b32_e32 v16, v45
	scratch_store_dwordx4 off, v[0:3], off offset:132 ; 16-byte Folded Spill
	s_nop 0
	scratch_store_dwordx4 off, v[4:7], off offset:148 ; 16-byte Folded Spill
	scratch_store_dwordx4 off, v[8:11], off offset:164 ; 16-byte Folded Spill
	scratch_store_dwordx4 off, v[12:15], off offset:180 ; 16-byte Folded Spill
	scratch_store_dwordx4 off, v[16:19], off offset:196 ; 16-byte Folded Spill
	scratch_store_dwordx4 off, v[20:23], off offset:212 ; 16-byte Folded Spill
	scratch_store_dwordx4 off, v[24:27], off offset:228 ; 16-byte Folded Spill
	scratch_store_dwordx4 off, v[28:31], off offset:244 ; 16-byte Folded Spill
	scratch_store_dwordx4 off, v[70:73], off offset:644 ; 16-byte Folded Spill
	s_nop 0
	scratch_store_dwordx4 off, v[74:77], off offset:660 ; 16-byte Folded Spill
	scratch_store_dwordx4 off, v[78:81], off offset:676 ; 16-byte Folded Spill
	scratch_store_dwordx4 off, v[82:85], off offset:692 ; 16-byte Folded Spill
	scratch_store_dwordx4 off, v[86:89], off offset:708 ; 16-byte Folded Spill
	scratch_store_dwordx4 off, v[90:93], off offset:724 ; 16-byte Folded Spill
	scratch_store_dwordx4 off, v[94:97], off offset:740 ; 16-byte Folded Spill
	scratch_store_dwordx4 off, v[98:101], off offset:756 ; 16-byte Folded Spill
	;; [unrolled: 9-line block ×3, first 2 shown]
	v_mov_b32_e32 v76, v37
	v_mov_b32_e32 v71, v38
	;; [unrolled: 1-line block ×7, first 2 shown]
	scratch_store_dwordx4 off, v[20:23], off offset:4 ; 16-byte Folded Spill
	s_nop 0
	scratch_store_dwordx4 off, v[24:27], off offset:20 ; 16-byte Folded Spill
	scratch_store_dwordx4 off, v[28:31], off offset:36 ; 16-byte Folded Spill
	;; [unrolled: 1-line block ×7, first 2 shown]
	v_mov_b32_e32 v17, v18
	v_mov_b64_e32 v[254:255], v[18:19]
	v_mov_b32_e32 v18, v19
.LBB37_38:
	s_or_b64 exec, exec, s[2:3]
	v_cmp_eq_u32_e32 vcc, 7, v131
	s_waitcnt lgkmcnt(0)
	s_barrier
	s_and_saveexec_b64 s[2:3], vcc
	s_cbranch_execz .LBB37_41
; %bb.39:
	scratch_load_dword v19, off, off        ; 4-byte Folded Reload
	ds_write_b32 v212, v181
	s_waitcnt vmcnt(0)
	ds_write2_b32 v19, v8, v9 offset0:8 offset1:9
	ds_write2_b32 v19, v10, v11 offset0:10 offset1:11
	;; [unrolled: 1-line block ×5, first 2 shown]
	ds_write_b32 v19, v255 offset:72
	ds_read_b32 v19, v212
	s_waitcnt lgkmcnt(0)
	v_cmp_neq_f32_e32 vcc, 0, v19
	s_and_b64 exec, exec, vcc
	s_cbranch_execz .LBB37_41
; %bb.40:
	v_div_scale_f32 v35, s[4:5], v19, v19, 1.0
	v_rcp_f32_e32 v36, v35
	v_div_scale_f32 v37, vcc, 1.0, v19, 1.0
	v_fma_f32 v38, -v35, v36, 1.0
	v_fmac_f32_e32 v36, v38, v36
	v_mul_f32_e32 v38, v37, v36
	v_fma_f32 v39, -v35, v38, v37
	v_fmac_f32_e32 v38, v39, v36
	v_fma_f32 v35, -v35, v38, v37
	v_div_fmas_f32 v35, v35, v36, v38
	v_div_fixup_f32 v19, v35, v19, 1.0
	ds_write_b32 v212, v19
.LBB37_41:
	s_or_b64 exec, exec, s[2:3]
	s_waitcnt lgkmcnt(0)
	s_barrier
	ds_read_b32 v44, v212
	v_cmp_lt_u32_e32 vcc, 7, v131
	s_and_saveexec_b64 s[2:3], vcc
	s_cbranch_execz .LBB37_43
; %bb.42:
	scratch_load_dword v3, off, off         ; 4-byte Folded Reload
	s_waitcnt lgkmcnt(0)
	v_mul_f32_e32 v2, v181, v44
	v_mov_b32_e32 v43, v2
	v_mov_b32_e32 v59, v2
	;; [unrolled: 1-line block ×6, first 2 shown]
	s_waitcnt vmcnt(0)
	ds_read2_b32 v[0:1], v3 offset0:8 offset1:9
	ds_read2_b32 v[4:5], v3 offset0:10 offset1:11
	;; [unrolled: 1-line block ×4, first 2 shown]
	s_waitcnt lgkmcnt(2)
	v_pk_fma_f32 v[200:201], v[2:3], v[4:5], v[10:11] op_sel_hi:[0,1,1] neg_lo:[1,0,0] neg_hi:[1,0,0]
	v_pk_fma_f32 v[230:231], v[2:3], v[0:1], v[8:9] op_sel_hi:[0,1,1] neg_lo:[1,0,0] neg_hi:[1,0,0]
	ds_read2_b32 v[0:1], v3 offset0:16 offset1:17
	s_waitcnt lgkmcnt(2)
	v_pk_fma_f32 v[128:129], v[2:3], v[6:7], v[12:13] op_sel_hi:[0,1,1] neg_lo:[1,0,0] neg_hi:[1,0,0]
	s_waitcnt lgkmcnt(1)
	v_pk_fma_f32 v[34:35], v[2:3], v[18:19], v[14:15] op_sel_hi:[0,1,1] neg_lo:[1,0,0] neg_hi:[1,0,0]
	ds_read_b32 v3, v3 offset:72
	scratch_load_dwordx4 v[70:73], off, off offset:772 ; 16-byte Folded Reload
	scratch_load_dwordx4 v[74:77], off, off offset:788 ; 16-byte Folded Reload
	;; [unrolled: 1-line block ×8, first 2 shown]
	v_mov_b32_e32 v11, v2
	v_mov_b32_e32 v12, v230
	;; [unrolled: 1-line block ×3, first 2 shown]
	s_waitcnt lgkmcnt(0)
	v_pk_fma_f32 v[68:69], v[2:3], v[0:1], v[16:17] op_sel_hi:[0,1,1] neg_lo:[1,0,0] neg_hi:[1,0,0]
	v_mov_b32_e32 v60, v230
	v_mov_b32_e32 v61, v231
	;; [unrolled: 1-line block ×6, first 2 shown]
	s_waitcnt vmcnt(2)
	v_mov_b32_e32 v91, v2
	v_mov_b32_e32 v198, v230
	;; [unrolled: 1-line block ×15, first 2 shown]
	s_waitcnt vmcnt(1)
	v_mov_b32_e32 v94, v200
	v_mov_b32_e32 v95, v201
	;; [unrolled: 1-line block ×20, first 2 shown]
	scratch_store_dwordx4 off, v[4:7], off offset:516 ; 16-byte Folded Spill
	s_nop 0
	scratch_store_dwordx4 off, v[8:11], off offset:532 ; 16-byte Folded Spill
	scratch_store_dwordx4 off, v[12:15], off offset:548 ; 16-byte Folded Spill
	scratch_store_dwordx4 off, v[16:19], off offset:564 ; 16-byte Folded Spill
	scratch_store_dwordx4 off, v[20:23], off offset:580 ; 16-byte Folded Spill
	scratch_store_dwordx4 off, v[24:27], off offset:596 ; 16-byte Folded Spill
	scratch_store_dwordx4 off, v[28:31], off offset:612 ; 16-byte Folded Spill
	scratch_store_dwordx4 off, v[32:35], off offset:628 ; 16-byte Folded Spill
	v_mov_b32_e32 v14, v200
	v_mov_b32_e32 v15, v201
	;; [unrolled: 1-line block ×50, first 2 shown]
	scratch_store_dwordx4 off, v[4:7], off offset:388 ; 16-byte Folded Spill
	s_nop 0
	scratch_store_dwordx4 off, v[8:11], off offset:404 ; 16-byte Folded Spill
	scratch_store_dwordx4 off, v[12:15], off offset:420 ; 16-byte Folded Spill
	;; [unrolled: 1-line block ×7, first 2 shown]
	v_mov_b32_e32 v20, v36
	v_mov_b32_e32 v21, v37
	;; [unrolled: 1-line block ×8, first 2 shown]
	v_fma_f32 v18, -v2, v3, v255
	v_mov_b32_e32 v7, v2
	v_mov_b32_e32 v2, v38
	;; [unrolled: 1-line block ×24, first 2 shown]
	scratch_store_dwordx4 off, v[36:39], off offset:644 ; 16-byte Folded Spill
	s_nop 0
	scratch_store_dwordx4 off, v[40:43], off offset:660 ; 16-byte Folded Spill
	scratch_store_dwordx4 off, v[44:47], off offset:676 ; 16-byte Folded Spill
	;; [unrolled: 1-line block ×7, first 2 shown]
	s_waitcnt vmcnt(24)
	v_mov_b32_e32 v98, v34
	v_mov_b32_e32 v99, v35
	;; [unrolled: 1-line block ×5, first 2 shown]
	scratch_store_dwordx4 off, v[20:23], off offset:260 ; 16-byte Folded Spill
	s_nop 0
	scratch_store_dwordx4 off, v[24:27], off offset:276 ; 16-byte Folded Spill
	scratch_store_dwordx4 off, v[28:31], off offset:292 ; 16-byte Folded Spill
	;; [unrolled: 1-line block ×7, first 2 shown]
	v_mov_b32_e32 v36, v68
	v_mov_b32_e32 v73, v35
	v_mov_b64_e32 v[20:21], v[52:53]
	v_mov_b64_e32 v[22:23], v[54:55]
	;; [unrolled: 1-line block ×8, first 2 shown]
	scratch_store_dwordx4 off, v[20:23], off offset:132 ; 16-byte Folded Spill
	s_nop 0
	scratch_store_dwordx4 off, v[24:27], off offset:148 ; 16-byte Folded Spill
	scratch_store_dwordx4 off, v[28:31], off offset:164 ; 16-byte Folded Spill
	;; [unrolled: 1-line block ×8, first 2 shown]
	s_nop 0
	scratch_store_dwordx4 off, v[24:27], off offset:20 ; 16-byte Folded Spill
	scratch_store_dwordx4 off, v[28:31], off offset:36 ; 16-byte Folded Spill
	;; [unrolled: 1-line block ×7, first 2 shown]
.LBB37_43:
	s_or_b64 exec, exec, s[2:3]
	v_cmp_eq_u32_e32 vcc, 8, v131
	s_waitcnt lgkmcnt(0)
	s_barrier
	s_and_saveexec_b64 s[2:3], vcc
	s_cbranch_execz .LBB37_46
; %bb.44:
	scratch_load_dword v19, off, off        ; 4-byte Folded Reload
	ds_write_b32 v212, v76
	s_waitcnt vmcnt(0)
	ds_write2_b32 v19, v9, v10 offset0:9 offset1:10
	ds_write2_b32 v19, v11, v12 offset0:11 offset1:12
	;; [unrolled: 1-line block ×5, first 2 shown]
	ds_read_b32 v19, v212
	s_waitcnt lgkmcnt(0)
	v_cmp_neq_f32_e32 vcc, 0, v19
	s_and_b64 exec, exec, vcc
	s_cbranch_execz .LBB37_46
; %bb.45:
	v_div_scale_f32 v35, s[4:5], v19, v19, 1.0
	v_rcp_f32_e32 v36, v35
	v_div_scale_f32 v37, vcc, 1.0, v19, 1.0
	v_fma_f32 v38, -v35, v36, 1.0
	v_fmac_f32_e32 v36, v38, v36
	v_mul_f32_e32 v38, v37, v36
	v_fma_f32 v39, -v35, v38, v37
	v_fmac_f32_e32 v38, v39, v36
	v_fma_f32 v35, -v35, v38, v37
	v_div_fmas_f32 v35, v35, v36, v38
	v_div_fixup_f32 v19, v35, v19, 1.0
	ds_write_b32 v212, v19
.LBB37_46:
	s_or_b64 exec, exec, s[2:3]
	s_waitcnt lgkmcnt(0)
	s_barrier
	ds_read_b32 v45, v212
	v_cmp_lt_u32_e32 vcc, 8, v131
	s_and_saveexec_b64 s[2:3], vcc
	s_cbranch_execz .LBB37_48
; %bb.47:
	scratch_load_dwordx4 v[222:225], off, off offset:644 ; 16-byte Folded Reload
	scratch_load_dwordx4 v[226:229], off, off offset:660 ; 16-byte Folded Reload
	scratch_load_dwordx4 v[230:233], off, off offset:676 ; 16-byte Folded Reload
	scratch_load_dwordx4 v[234:237], off, off offset:692 ; 16-byte Folded Reload
	scratch_load_dwordx4 v[238:241], off, off offset:708 ; 16-byte Folded Reload
	scratch_load_dwordx4 v[242:245], off, off offset:724 ; 16-byte Folded Reload
	scratch_load_dwordx4 v[246:249], off, off offset:740 ; 16-byte Folded Reload
	scratch_load_dwordx4 v[250:253], off, off offset:756 ; 16-byte Folded Reload
	scratch_load_dword v19, off, off        ; 4-byte Folded Reload
	s_waitcnt vmcnt(6) lgkmcnt(0)
	v_mul_f32_e32 v230, v76, v45
	v_mov_b32_e32 v2, v9
	v_mov_b32_e32 v3, v10
	;; [unrolled: 1-line block ×14, first 2 shown]
	s_waitcnt vmcnt(0)
	ds_read2_b32 v[0:1], v19 offset0:9 offset1:10
	ds_read2_b32 v[4:5], v19 offset0:11 offset1:12
	;; [unrolled: 1-line block ×4, first 2 shown]
	v_mov_b32_e32 v116, v222
	v_mov_b32_e32 v117, v223
	;; [unrolled: 1-line block ×3, first 2 shown]
	s_waitcnt lgkmcnt(3)
	v_pk_fma_f32 v[36:37], v[230:231], v[0:1], v[2:3] op_sel_hi:[0,1,1] neg_lo:[1,0,0] neg_hi:[1,0,0]
	ds_read2_b32 v[2:3], v19 offset0:17 offset1:18
	v_mov_b32_e32 v0, v11
	v_mov_b32_e32 v1, v12
	s_waitcnt lgkmcnt(3)
	v_pk_fma_f32 v[38:39], v[230:231], v[4:5], v[0:1] op_sel_hi:[0,1,1] neg_lo:[1,0,0] neg_hi:[1,0,0]
	v_mov_b32_e32 v0, v13
	v_mov_b32_e32 v1, v14
	s_waitcnt lgkmcnt(2)
	v_pk_fma_f32 v[40:41], v[230:231], v[6:7], v[0:1] op_sel_hi:[0,1,1] neg_lo:[1,0,0] neg_hi:[1,0,0]
	;; [unrolled: 4-line block ×4, first 2 shown]
	v_mov_b32_e32 v0, v222
	v_mov_b32_e32 v1, v223
	;; [unrolled: 1-line block ×12, first 2 shown]
	scratch_store_dwordx4 off, v[0:3], off offset:388 ; 16-byte Folded Spill
	s_nop 0
	scratch_store_dwordx4 off, v[4:7], off offset:404 ; 16-byte Folded Spill
	scratch_store_dwordx4 off, v[8:11], off offset:420 ; 16-byte Folded Spill
	;; [unrolled: 1-line block ×7, first 2 shown]
	v_mov_b32_e32 v12, v39
	v_mov_b32_e32 v13, v40
	;; [unrolled: 1-line block ×51, first 2 shown]
	scratch_store_dwordx4 off, v[0:3], off offset:260 ; 16-byte Folded Spill
	s_nop 0
	scratch_store_dwordx4 off, v[4:7], off offset:276 ; 16-byte Folded Spill
	scratch_store_dwordx4 off, v[8:11], off offset:292 ; 16-byte Folded Spill
	;; [unrolled: 1-line block ×7, first 2 shown]
	v_mov_b32_e32 v15, v42
	v_mov_b32_e32 v16, v43
	scratch_store_dwordx4 off, v[0:3], off offset:132 ; 16-byte Folded Spill
	s_nop 0
	scratch_store_dwordx4 off, v[4:7], off offset:148 ; 16-byte Folded Spill
	scratch_store_dwordx4 off, v[8:11], off offset:164 ; 16-byte Folded Spill
	scratch_store_dwordx4 off, v[12:15], off offset:180 ; 16-byte Folded Spill
	scratch_store_dwordx4 off, v[16:19], off offset:196 ; 16-byte Folded Spill
	scratch_store_dwordx4 off, v[20:23], off offset:212 ; 16-byte Folded Spill
	scratch_store_dwordx4 off, v[24:27], off offset:228 ; 16-byte Folded Spill
	scratch_store_dwordx4 off, v[28:31], off offset:244 ; 16-byte Folded Spill
	scratch_store_dwordx4 off, v[222:225], off offset:516 ; 16-byte Folded Spill
	s_nop 0
	scratch_store_dwordx4 off, v[226:229], off offset:532 ; 16-byte Folded Spill
	scratch_store_dwordx4 off, v[230:233], off offset:548 ; 16-byte Folded Spill
	scratch_store_dwordx4 off, v[234:237], off offset:564 ; 16-byte Folded Spill
	scratch_store_dwordx4 off, v[238:241], off offset:580 ; 16-byte Folded Spill
	scratch_store_dwordx4 off, v[242:245], off offset:596 ; 16-byte Folded Spill
	scratch_store_dwordx4 off, v[246:249], off offset:612 ; 16-byte Folded Spill
	scratch_store_dwordx4 off, v[250:253], off offset:628 ; 16-byte Folded Spill
	scratch_store_dwordx4 off, v[20:23], off offset:4 ; 16-byte Folded Spill
	s_nop 0
	scratch_store_dwordx4 off, v[24:27], off offset:20 ; 16-byte Folded Spill
	scratch_store_dwordx4 off, v[28:31], off offset:36 ; 16-byte Folded Spill
	scratch_store_dwordx4 off, v[32:35], off offset:52 ; 16-byte Folded Spill
	scratch_store_dwordx4 off, v[36:39], off offset:68 ; 16-byte Folded Spill
	scratch_store_dwordx4 off, v[40:43], off offset:84 ; 16-byte Folded Spill
	scratch_store_dwordx4 off, v[44:47], off offset:100 ; 16-byte Folded Spill
	scratch_store_dwordx4 off, v[48:51], off offset:116 ; 16-byte Folded Spill
	v_mov_b32_e32 v17, v18
	v_mov_b64_e32 v[254:255], v[18:19]
	v_mov_b32_e32 v18, v19
.LBB37_48:
	s_or_b64 exec, exec, s[2:3]
	v_cmp_eq_u32_e32 vcc, 9, v131
	s_waitcnt lgkmcnt(0)
	s_barrier
	s_and_saveexec_b64 s[2:3], vcc
	s_cbranch_execz .LBB37_51
; %bb.49:
	scratch_load_dword v19, off, off        ; 4-byte Folded Reload
	ds_write_b32 v212, v71
	s_waitcnt vmcnt(0)
	ds_write2_b32 v19, v10, v11 offset0:10 offset1:11
	ds_write2_b32 v19, v12, v13 offset0:12 offset1:13
	;; [unrolled: 1-line block ×4, first 2 shown]
	ds_write_b32 v19, v255 offset:72
	ds_read_b32 v19, v212
	s_waitcnt lgkmcnt(0)
	v_cmp_neq_f32_e32 vcc, 0, v19
	s_and_b64 exec, exec, vcc
	s_cbranch_execz .LBB37_51
; %bb.50:
	v_div_scale_f32 v35, s[4:5], v19, v19, 1.0
	v_rcp_f32_e32 v36, v35
	v_div_scale_f32 v37, vcc, 1.0, v19, 1.0
	v_fma_f32 v38, -v35, v36, 1.0
	v_fmac_f32_e32 v36, v38, v36
	v_mul_f32_e32 v38, v37, v36
	v_fma_f32 v39, -v35, v38, v37
	v_fmac_f32_e32 v38, v39, v36
	v_fma_f32 v35, -v35, v38, v37
	v_div_fmas_f32 v35, v35, v36, v38
	v_div_fixup_f32 v19, v35, v19, 1.0
	ds_write_b32 v212, v19
.LBB37_51:
	s_or_b64 exec, exec, s[2:3]
	s_waitcnt lgkmcnt(0)
	s_barrier
	ds_read_b32 v183, v212
	v_cmp_lt_u32_e32 vcc, 9, v131
	s_and_saveexec_b64 s[2:3], vcc
	s_cbranch_execz .LBB37_53
; %bb.52:
	scratch_load_dword v9, off, off         ; 4-byte Folded Reload
	s_waitcnt lgkmcnt(0)
	v_mul_f32_e32 v8, v71, v183
	v_mov_b32_e32 v18, v230
	v_mov_b32_e32 v19, v8
	v_mov_b32_e32 v231, v8
	v_mov_b32_e32 v190, v222
	v_mov_b32_e32 v191, v223
	v_mov_b32_e32 v192, v224
	v_mov_b32_e32 v193, v225
	v_mov_b32_e32 v194, v226
	v_mov_b32_e32 v195, v227
	v_mov_b32_e32 v196, v228
	v_mov_b32_e32 v197, v229
	v_mov_b32_e32 v198, v230
	v_mov_b32_e32 v199, v8
	v_mov_b32_e32 v116, v222
	v_mov_b32_e32 v117, v223
	v_mov_b32_e32 v118, v224
	v_mov_b32_e32 v119, v225
	v_mov_b32_e32 v120, v226
	v_mov_b32_e32 v121, v227
	v_mov_b32_e32 v122, v228
	v_mov_b32_e32 v123, v229
	v_mov_b32_e32 v124, v230
	v_mov_b32_e32 v125, v8
	v_mov_b32_e32 v148, v222
	v_mov_b32_e32 v149, v223
	v_mov_b32_e32 v150, v224
	v_mov_b32_e32 v151, v225
	v_mov_b32_e32 v152, v226
	v_mov_b32_e32 v153, v227
	v_mov_b32_e32 v154, v228
	v_mov_b32_e32 v155, v229
	v_mov_b32_e32 v156, v230
	v_mov_b32_e32 v157, v8
	v_mov_b32_e32 v61, v8
	v_mov_b32_e32 v93, v8
	v_mov_b32_e32 v84, v222
	v_mov_b32_e32 v85, v223
	v_mov_b32_e32 v86, v224
	v_mov_b32_e32 v87, v225
	v_mov_b32_e32 v88, v226
	v_mov_b32_e32 v89, v227
	v_mov_b32_e32 v90, v228
	v_mov_b32_e32 v91, v229
	v_mov_b32_e32 v92, v230
	v_mov_b32_e32 v52, v222
	v_mov_b32_e32 v53, v223
	v_mov_b32_e32 v54, v224
	v_mov_b32_e32 v55, v225
	v_mov_b32_e32 v56, v226
	v_mov_b32_e32 v57, v227
	v_mov_b32_e32 v58, v228
	v_mov_b32_e32 v59, v229
	v_mov_b32_e32 v60, v230
	s_waitcnt vmcnt(0)
	ds_read2_b32 v[0:1], v9 offset0:10 offset1:11
	ds_read2_b32 v[2:3], v9 offset0:12 offset1:13
	;; [unrolled: 1-line block ×4, first 2 shown]
	s_waitcnt lgkmcnt(3)
	v_pk_fma_f32 v[200:201], v[8:9], v[0:1], v[10:11] op_sel_hi:[0,1,1] neg_lo:[1,0,0] neg_hi:[1,0,0]
	s_waitcnt lgkmcnt(2)
	v_pk_fma_f32 v[128:129], v[8:9], v[2:3], v[12:13] op_sel_hi:[0,1,1] neg_lo:[1,0,0] neg_hi:[1,0,0]
	s_waitcnt lgkmcnt(1)
	v_pk_fma_f32 v[34:35], v[8:9], v[4:5], v[14:15] op_sel_hi:[0,1,1] neg_lo:[1,0,0] neg_hi:[1,0,0]
	s_waitcnt lgkmcnt(0)
	v_pk_fma_f32 v[68:69], v[8:9], v[6:7], v[16:17] op_sel_hi:[0,1,1] neg_lo:[1,0,0] neg_hi:[1,0,0]
	v_mov_b32_e32 v10, v222
	v_mov_b32_e32 v11, v223
	v_mov_b32_e32 v12, v224
	v_mov_b32_e32 v13, v225
	v_mov_b32_e32 v14, v226
	v_mov_b32_e32 v15, v227
	v_mov_b32_e32 v16, v228
	v_mov_b32_e32 v17, v229
	v_mov_b32_e32 v20, v200
	v_mov_b32_e32 v21, v201
	ds_read_b32 v0, v9 offset:72
	scratch_store_dwordx4 off, v[10:13], off offset:388 ; 16-byte Folded Spill
	s_nop 0
	scratch_store_dwordx4 off, v[14:17], off offset:404 ; 16-byte Folded Spill
	scratch_store_dwordx4 off, v[18:21], off offset:420 ; 16-byte Folded Spill
	;; [unrolled: 1-line block ×7, first 2 shown]
	v_mov_b32_e32 v20, v222
	v_mov_b32_e32 v21, v223
	;; [unrolled: 1-line block ×14, first 2 shown]
	s_waitcnt lgkmcnt(0)
	v_fma_f32 v18, -v8, v0, v255
	v_mov_b32_e32 v9, v8
	v_mov_b32_e32 v0, v222
	;; [unrolled: 1-line block ×10, first 2 shown]
	scratch_store_dwordx4 off, v[222:225], off offset:516 ; 16-byte Folded Spill
	s_nop 0
	scratch_store_dwordx4 off, v[226:229], off offset:532 ; 16-byte Folded Spill
	scratch_store_dwordx4 off, v[230:233], off offset:548 ; 16-byte Folded Spill
	;; [unrolled: 1-line block ×7, first 2 shown]
	v_mov_b32_e32 v62, v200
	v_mov_b32_e32 v63, v201
	;; [unrolled: 1-line block ×33, first 2 shown]
	scratch_store_dwordx4 off, v[20:23], off offset:260 ; 16-byte Folded Spill
	s_nop 0
	scratch_store_dwordx4 off, v[24:27], off offset:276 ; 16-byte Folded Spill
	scratch_store_dwordx4 off, v[28:31], off offset:292 ; 16-byte Folded Spill
	;; [unrolled: 1-line block ×7, first 2 shown]
	v_mov_b32_e32 v36, v68
	v_mov_b32_e32 v73, v35
	v_mov_b64_e32 v[20:21], v[52:53]
	v_mov_b64_e32 v[22:23], v[54:55]
	;; [unrolled: 1-line block ×8, first 2 shown]
	scratch_store_dwordx4 off, v[20:23], off offset:132 ; 16-byte Folded Spill
	s_nop 0
	scratch_store_dwordx4 off, v[24:27], off offset:148 ; 16-byte Folded Spill
	scratch_store_dwordx4 off, v[28:31], off offset:164 ; 16-byte Folded Spill
	scratch_store_dwordx4 off, v[32:35], off offset:180 ; 16-byte Folded Spill
	scratch_store_dwordx4 off, v[36:39], off offset:196 ; 16-byte Folded Spill
	scratch_store_dwordx4 off, v[40:43], off offset:212 ; 16-byte Folded Spill
	scratch_store_dwordx4 off, v[44:47], off offset:228 ; 16-byte Folded Spill
	scratch_store_dwordx4 off, v[48:51], off offset:244 ; 16-byte Folded Spill
	scratch_store_dwordx4 off, v[20:23], off offset:4 ; 16-byte Folded Spill
	s_nop 0
	scratch_store_dwordx4 off, v[24:27], off offset:20 ; 16-byte Folded Spill
	scratch_store_dwordx4 off, v[28:31], off offset:36 ; 16-byte Folded Spill
	;; [unrolled: 1-line block ×7, first 2 shown]
.LBB37_53:
	s_or_b64 exec, exec, s[2:3]
	v_cmp_eq_u32_e32 vcc, 10, v131
	s_waitcnt lgkmcnt(0)
	s_barrier
	s_and_saveexec_b64 s[2:3], vcc
	s_cbranch_execz .LBB37_56
; %bb.54:
	scratch_load_dword v19, off, off        ; 4-byte Folded Reload
	ds_write_b32 v212, v74
	s_waitcnt vmcnt(0)
	ds_write2_b32 v19, v11, v12 offset0:11 offset1:12
	ds_write2_b32 v19, v13, v14 offset0:13 offset1:14
	;; [unrolled: 1-line block ×4, first 2 shown]
	ds_read_b32 v19, v212
	s_waitcnt lgkmcnt(0)
	v_cmp_neq_f32_e32 vcc, 0, v19
	s_and_b64 exec, exec, vcc
	s_cbranch_execz .LBB37_56
; %bb.55:
	v_div_scale_f32 v35, s[4:5], v19, v19, 1.0
	v_rcp_f32_e32 v36, v35
	v_div_scale_f32 v37, vcc, 1.0, v19, 1.0
	v_fma_f32 v38, -v35, v36, 1.0
	v_fmac_f32_e32 v36, v38, v36
	v_mul_f32_e32 v38, v37, v36
	v_fma_f32 v39, -v35, v38, v37
	v_fmac_f32_e32 v38, v39, v36
	v_fma_f32 v35, -v35, v38, v37
	v_div_fmas_f32 v35, v35, v36, v38
	v_div_fixup_f32 v19, v35, v19, 1.0
	ds_write_b32 v212, v19
.LBB37_56:
	s_or_b64 exec, exec, s[2:3]
	s_waitcnt lgkmcnt(0)
	s_barrier
	ds_read_b32 v180, v212
	v_cmp_lt_u32_e32 vcc, 10, v131
	s_and_saveexec_b64 s[2:3], vcc
	s_cbranch_execz .LBB37_58
; %bb.57:
	scratch_load_dwordx4 v[212:215], off, off offset:516 ; 16-byte Folded Reload
	scratch_load_dwordx4 v[216:219], off, off offset:532 ; 16-byte Folded Reload
	;; [unrolled: 1-line block ×8, first 2 shown]
	scratch_load_dword v8, off, off         ; 4-byte Folded Reload
	s_waitcnt lgkmcnt(0)
	v_mul_f32_e32 v200, v74, v180
	v_mov_b32_e32 v2, v11
	v_mov_b32_e32 v3, v12
	v_mov_b32_e32 v10, v200
	v_mov_b32_e32 v126, v200
	v_mov_b32_e32 v158, v200
	v_mov_b32_e32 v94, v200
	s_waitcnt vmcnt(6)
	v_mov_b64_e32 v[190:191], v[212:213]
	v_mov_b64_e32 v[192:193], v[214:215]
	;; [unrolled: 1-line block ×5, first 2 shown]
	v_mov_b32_e32 v116, v190
	s_waitcnt vmcnt(0)
	ds_read2_b32 v[0:1], v8 offset0:11 offset1:12
	ds_read2_b32 v[4:5], v8 offset0:13 offset1:14
	;; [unrolled: 1-line block ×4, first 2 shown]
	v_mov_b32_e32 v117, v191
	v_mov_b32_e32 v118, v192
	;; [unrolled: 1-line block ×3, first 2 shown]
	s_waitcnt lgkmcnt(3)
	v_pk_fma_f32 v[36:37], v[200:201], v[0:1], v[2:3] op_sel_hi:[0,1,1] neg_lo:[1,0,0] neg_hi:[1,0,0]
	v_mov_b32_e32 v0, v13
	v_mov_b32_e32 v1, v14
	s_waitcnt lgkmcnt(2)
	v_pk_fma_f32 v[38:39], v[200:201], v[4:5], v[0:1] op_sel_hi:[0,1,1] neg_lo:[1,0,0] neg_hi:[1,0,0]
	v_mov_b32_e32 v0, v15
	v_mov_b32_e32 v1, v16
	;; [unrolled: 4-line block ×4, first 2 shown]
	v_mov_b32_e32 v2, v192
	v_mov_b32_e32 v3, v193
	;; [unrolled: 1-line block ×12, first 2 shown]
	scratch_store_dwordx4 off, v[0:3], off offset:260 ; 16-byte Folded Spill
	s_nop 0
	scratch_store_dwordx4 off, v[4:7], off offset:276 ; 16-byte Folded Spill
	scratch_store_dwordx4 off, v[8:11], off offset:292 ; 16-byte Folded Spill
	;; [unrolled: 1-line block ×7, first 2 shown]
	v_mov_b32_e32 v201, v36
	v_mov_b32_e32 v15, v40
	;; [unrolled: 1-line block ×45, first 2 shown]
	scratch_store_dwordx4 off, v[0:3], off offset:132 ; 16-byte Folded Spill
	s_nop 0
	scratch_store_dwordx4 off, v[4:7], off offset:148 ; 16-byte Folded Spill
	scratch_store_dwordx4 off, v[8:11], off offset:164 ; 16-byte Folded Spill
	;; [unrolled: 1-line block ×8, first 2 shown]
	s_nop 0
	scratch_store_dwordx4 off, v[194:197], off offset:404 ; 16-byte Folded Spill
	scratch_store_dwordx4 off, v[198:201], off offset:420 ; 16-byte Folded Spill
	scratch_store_dwordx4 off, v[202:205], off offset:436 ; 16-byte Folded Spill
	scratch_store_dwordx4 off, v[206:209], off offset:452 ; 16-byte Folded Spill
	scratch_store_dwordx4 off, v[210:213], off offset:468 ; 16-byte Folded Spill
	scratch_store_dwordx4 off, v[214:217], off offset:484 ; 16-byte Folded Spill
	scratch_store_dwordx4 off, v[218:221], off offset:500 ; 16-byte Folded Spill
	scratch_load_dword v212, off, off offset:1288 ; 4-byte Folded Reload
	s_nop 0
	scratch_store_dwordx4 off, v[20:23], off offset:4 ; 16-byte Folded Spill
	s_nop 0
	scratch_store_dwordx4 off, v[24:27], off offset:20 ; 16-byte Folded Spill
	scratch_store_dwordx4 off, v[28:31], off offset:36 ; 16-byte Folded Spill
	;; [unrolled: 1-line block ×7, first 2 shown]
	v_mov_b32_e32 v17, v18
	v_mov_b64_e32 v[254:255], v[18:19]
	v_mov_b32_e32 v18, v19
.LBB37_58:
	s_or_b64 exec, exec, s[2:3]
	v_cmp_eq_u32_e32 vcc, 11, v131
	s_waitcnt lgkmcnt(0)
	s_barrier
	s_and_saveexec_b64 s[2:3], vcc
	s_cbranch_execz .LBB37_61
; %bb.59:
	scratch_load_dword v19, off, off        ; 4-byte Folded Reload
	s_waitcnt vmcnt(9)
	ds_write_b32 v212, v69
	s_waitcnt vmcnt(0)
	ds_write2_b32 v19, v12, v13 offset0:12 offset1:13
	ds_write2_b32 v19, v14, v15 offset0:14 offset1:15
	;; [unrolled: 1-line block ×3, first 2 shown]
	ds_write_b32 v19, v255 offset:72
	ds_read_b32 v19, v212
	s_waitcnt lgkmcnt(0)
	v_cmp_neq_f32_e32 vcc, 0, v19
	s_and_b64 exec, exec, vcc
	s_cbranch_execz .LBB37_61
; %bb.60:
	v_div_scale_f32 v35, s[4:5], v19, v19, 1.0
	v_rcp_f32_e32 v36, v35
	v_div_scale_f32 v37, vcc, 1.0, v19, 1.0
	v_fma_f32 v38, -v35, v36, 1.0
	v_fmac_f32_e32 v36, v38, v36
	v_mul_f32_e32 v38, v37, v36
	v_fma_f32 v39, -v35, v38, v37
	v_fmac_f32_e32 v38, v39, v36
	v_fma_f32 v35, -v35, v38, v37
	v_div_fmas_f32 v35, v35, v36, v38
	v_div_fixup_f32 v19, v35, v19, 1.0
	ds_write_b32 v212, v19
.LBB37_61:
	s_or_b64 exec, exec, s[2:3]
	s_waitcnt lgkmcnt(0)
	s_barrier
	s_waitcnt vmcnt(8)
	ds_read_b32 v181, v212
	v_cmp_lt_u32_e32 vcc, 11, v131
	s_and_saveexec_b64 s[2:3], vcc
	s_cbranch_execz .LBB37_63
; %bb.62:
	scratch_load_dword v6, off, off         ; 4-byte Folded Reload
	s_waitcnt lgkmcnt(0)
	v_mul_f32_e32 v36, v69, v181
	v_mov_b32_e32 v201, v36
	v_mov_b32_e32 v20, v190
	;; [unrolled: 1-line block ×66, first 2 shown]
	s_waitcnt vmcnt(0)
	ds_read2_b32 v[0:1], v6 offset0:12 offset1:13
	ds_read2_b32 v[2:3], v6 offset0:14 offset1:15
	;; [unrolled: 1-line block ×3, first 2 shown]
	ds_read_b32 v6, v6 offset:72
	s_waitcnt lgkmcnt(3)
	v_pk_fma_f32 v[128:129], v[36:37], v[0:1], v[12:13] op_sel_hi:[0,1,1] neg_lo:[1,0,0] neg_hi:[1,0,0]
	s_waitcnt lgkmcnt(2)
	v_pk_fma_f32 v[34:35], v[36:37], v[2:3], v[14:15] op_sel_hi:[0,1,1] neg_lo:[1,0,0] neg_hi:[1,0,0]
	v_mov_b32_e32 v32, v128
	v_mov_b32_e32 v33, v129
	s_waitcnt lgkmcnt(1)
	v_pk_fma_f32 v[68:69], v[36:37], v[4:5], v[16:17] op_sel_hi:[0,1,1] neg_lo:[1,0,0] neg_hi:[1,0,0]
	s_waitcnt lgkmcnt(0)
	v_fma_f32 v18, -v36, v6, v255
	v_mov_b32_e32 v98, v34
	v_mov_b32_e32 v99, v35
	;; [unrolled: 1-line block ×13, first 2 shown]
	scratch_store_dwordx4 off, v[190:193], off offset:388 ; 16-byte Folded Spill
	s_nop 0
	scratch_store_dwordx4 off, v[194:197], off offset:404 ; 16-byte Folded Spill
	scratch_store_dwordx4 off, v[198:201], off offset:420 ; 16-byte Folded Spill
	scratch_store_dwordx4 off, v[202:205], off offset:436 ; 16-byte Folded Spill
	scratch_store_dwordx4 off, v[206:209], off offset:452 ; 16-byte Folded Spill
	scratch_store_dwordx4 off, v[210:213], off offset:468 ; 16-byte Folded Spill
	scratch_store_dwordx4 off, v[214:217], off offset:484 ; 16-byte Folded Spill
	scratch_store_dwordx4 off, v[218:221], off offset:500 ; 16-byte Folded Spill
	v_mov_b32_e32 v70, v34
	scratch_store_dwordx4 off, v[20:23], off offset:260 ; 16-byte Folded Spill
	s_nop 0
	scratch_store_dwordx4 off, v[24:27], off offset:276 ; 16-byte Folded Spill
	scratch_store_dwordx4 off, v[28:31], off offset:292 ; 16-byte Folded Spill
	;; [unrolled: 1-line block ×7, first 2 shown]
	v_mov_b32_e32 v64, v128
	v_mov_b32_e32 v65, v129
	;; [unrolled: 1-line block ×16, first 2 shown]
	v_mov_b64_e32 v[20:21], v[52:53]
	v_mov_b64_e32 v[22:23], v[54:55]
	;; [unrolled: 1-line block ×8, first 2 shown]
	scratch_store_dwordx4 off, v[20:23], off offset:132 ; 16-byte Folded Spill
	s_nop 0
	scratch_store_dwordx4 off, v[24:27], off offset:148 ; 16-byte Folded Spill
	scratch_store_dwordx4 off, v[28:31], off offset:164 ; 16-byte Folded Spill
	;; [unrolled: 1-line block ×8, first 2 shown]
	s_nop 0
	scratch_store_dwordx4 off, v[24:27], off offset:20 ; 16-byte Folded Spill
	scratch_store_dwordx4 off, v[28:31], off offset:36 ; 16-byte Folded Spill
	;; [unrolled: 1-line block ×7, first 2 shown]
.LBB37_63:
	s_or_b64 exec, exec, s[2:3]
	v_cmp_eq_u32_e32 vcc, 12, v131
	s_waitcnt lgkmcnt(0)
	s_barrier
	s_and_saveexec_b64 s[2:3], vcc
	s_cbranch_execz .LBB37_66
; %bb.64:
	scratch_load_dword v19, off, off        ; 4-byte Folded Reload
	ds_write_b32 v212, v72
	s_waitcnt vmcnt(0)
	ds_write2_b32 v19, v13, v14 offset0:13 offset1:14
	ds_write2_b32 v19, v15, v16 offset0:15 offset1:16
	;; [unrolled: 1-line block ×3, first 2 shown]
	ds_read_b32 v19, v212
	s_waitcnt lgkmcnt(0)
	v_cmp_neq_f32_e32 vcc, 0, v19
	s_and_b64 exec, exec, vcc
	s_cbranch_execz .LBB37_66
; %bb.65:
	v_div_scale_f32 v35, s[4:5], v19, v19, 1.0
	v_rcp_f32_e32 v36, v35
	v_div_scale_f32 v37, vcc, 1.0, v19, 1.0
	v_fma_f32 v38, -v35, v36, 1.0
	v_fmac_f32_e32 v36, v38, v36
	v_mul_f32_e32 v38, v37, v36
	v_fma_f32 v39, -v35, v38, v37
	v_fmac_f32_e32 v38, v39, v36
	v_fma_f32 v35, -v35, v38, v37
	v_div_fmas_f32 v35, v35, v36, v38
	v_div_fixup_f32 v19, v35, v19, 1.0
	ds_write_b32 v212, v19
.LBB37_66:
	s_or_b64 exec, exec, s[2:3]
	s_waitcnt lgkmcnt(0)
	s_barrier
	ds_read_b32 v182, v212
	v_cmp_lt_u32_e32 vcc, 12, v131
	s_and_saveexec_b64 s[2:3], vcc
	s_cbranch_execz .LBB37_68
; %bb.67:
	scratch_load_dwordx4 v[116:119], off, off offset:388 ; 16-byte Folded Reload
	scratch_load_dwordx4 v[120:123], off, off offset:404 ; 16-byte Folded Reload
	;; [unrolled: 1-line block ×8, first 2 shown]
	scratch_load_dword v6, off, off         ; 4-byte Folded Reload
	s_waitcnt vmcnt(5) lgkmcnt(0)
	v_mul_f32_e32 v128, v72, v182
	v_mov_b32_e32 v2, v13
	v_mov_b32_e32 v3, v14
	;; [unrolled: 1-line block ×12, first 2 shown]
	s_waitcnt vmcnt(0)
	ds_read2_b32 v[0:1], v6 offset0:13 offset1:14
	ds_read2_b32 v[4:5], v6 offset0:15 offset1:16
	;; [unrolled: 1-line block ×3, first 2 shown]
	v_mov_b32_e32 v88, v120
	v_mov_b32_e32 v89, v121
	;; [unrolled: 1-line block ×3, first 2 shown]
	s_waitcnt lgkmcnt(2)
	v_pk_fma_f32 v[36:37], v[128:129], v[0:1], v[2:3] op_sel_hi:[0,1,1] neg_lo:[1,0,0] neg_hi:[1,0,0]
	v_mov_b32_e32 v0, v15
	v_mov_b32_e32 v1, v16
	s_waitcnt lgkmcnt(1)
	v_pk_fma_f32 v[38:39], v[128:129], v[4:5], v[0:1] op_sel_hi:[0,1,1] neg_lo:[1,0,0] neg_hi:[1,0,0]
	v_mov_b32_e32 v0, v17
	v_mov_b32_e32 v1, v18
	;; [unrolled: 4-line block ×3, first 2 shown]
	v_mov_b32_e32 v2, v118
	v_mov_b32_e32 v3, v119
	;; [unrolled: 1-line block ×8, first 2 shown]
	scratch_store_dwordx4 off, v[0:3], off offset:260 ; 16-byte Folded Spill
	s_nop 0
	scratch_store_dwordx4 off, v[4:7], off offset:276 ; 16-byte Folded Spill
	scratch_store_dwordx4 off, v[8:11], off offset:292 ; 16-byte Folded Spill
	scratch_store_dwordx4 off, v[12:15], off offset:308 ; 16-byte Folded Spill
	scratch_store_dwordx4 off, v[16:19], off offset:324 ; 16-byte Folded Spill
	scratch_store_dwordx4 off, v[20:23], off offset:340 ; 16-byte Folded Spill
	scratch_store_dwordx4 off, v[24:27], off offset:356 ; 16-byte Folded Spill
	scratch_store_dwordx4 off, v[28:31], off offset:372 ; 16-byte Folded Spill
	v_mov_b32_e32 v15, v38
	v_mov_b32_e32 v16, v39
	;; [unrolled: 1-line block ×3, first 2 shown]
	v_mov_b64_e32 v[178:179], v[146:147]
	v_mov_b64_e32 v[176:177], v[144:145]
	;; [unrolled: 1-line block ×16, first 2 shown]
	v_mov_b32_e32 v91, v123
	v_mov_b32_e32 v92, v124
	;; [unrolled: 1-line block ×12, first 2 shown]
	scratch_store_dwordx4 off, v[0:3], off offset:132 ; 16-byte Folded Spill
	s_nop 0
	scratch_store_dwordx4 off, v[4:7], off offset:148 ; 16-byte Folded Spill
	scratch_store_dwordx4 off, v[8:11], off offset:164 ; 16-byte Folded Spill
	;; [unrolled: 1-line block ×7, first 2 shown]
	scratch_load_dword v131, off, off offset:1284 ; 4-byte Folded Reload
	s_nop 0
	scratch_store_dwordx4 off, v[20:23], off offset:4 ; 16-byte Folded Spill
	s_nop 0
	scratch_store_dwordx4 off, v[24:27], off offset:20 ; 16-byte Folded Spill
	scratch_store_dwordx4 off, v[28:31], off offset:36 ; 16-byte Folded Spill
	;; [unrolled: 1-line block ×7, first 2 shown]
	v_mov_b32_e32 v17, v18
	v_mov_b64_e32 v[254:255], v[18:19]
	v_mov_b32_e32 v18, v19
.LBB37_68:
	s_or_b64 exec, exec, s[2:3]
	s_waitcnt vmcnt(8)
	v_cmp_eq_u32_e32 vcc, 13, v131
	s_waitcnt lgkmcnt(0)
	s_barrier
	s_and_saveexec_b64 s[2:3], vcc
	s_cbranch_execz .LBB37_71
; %bb.69:
	scratch_load_dword v19, off, off        ; 4-byte Folded Reload
	ds_write_b32 v212, v77
	s_waitcnt vmcnt(0)
	ds_write2_b32 v19, v14, v15 offset0:14 offset1:15
	ds_write2_b32 v19, v16, v17 offset0:16 offset1:17
	ds_write_b32 v19, v255 offset:72
	ds_read_b32 v19, v212
	s_waitcnt lgkmcnt(0)
	v_cmp_neq_f32_e32 vcc, 0, v19
	s_and_b64 exec, exec, vcc
	s_cbranch_execz .LBB37_71
; %bb.70:
	v_div_scale_f32 v35, s[4:5], v19, v19, 1.0
	v_rcp_f32_e32 v36, v35
	v_div_scale_f32 v37, vcc, 1.0, v19, 1.0
	v_fma_f32 v38, -v35, v36, 1.0
	v_fmac_f32_e32 v36, v38, v36
	v_mul_f32_e32 v38, v37, v36
	v_fma_f32 v39, -v35, v38, v37
	v_fmac_f32_e32 v38, v39, v36
	v_fma_f32 v35, -v35, v38, v37
	v_div_fmas_f32 v35, v35, v36, v38
	v_div_fixup_f32 v19, v35, v19, 1.0
	ds_write_b32 v212, v19
.LBB37_71:
	s_or_b64 exec, exec, s[2:3]
	s_waitcnt lgkmcnt(0)
	s_barrier
	ds_read_b32 v130, v212
	v_cmp_lt_u32_e32 vcc, 13, v131
	s_and_saveexec_b64 s[2:3], vcc
	s_cbranch_execz .LBB37_73
; %bb.72:
	scratch_load_dword v4, off, off         ; 4-byte Folded Reload
	s_waitcnt lgkmcnt(0)
	v_mul_f32_e32 v36, v77, v130
	v_mov_b32_e32 v20, v116
	v_mov_b32_e32 v21, v117
	;; [unrolled: 1-line block ×31, first 2 shown]
	v_mov_b64_e32 v[178:179], v[146:147]
	v_mov_b32_e32 v84, v116
	v_mov_b32_e32 v85, v117
	;; [unrolled: 1-line block ×21, first 2 shown]
	v_mov_b64_e32 v[160:161], v[128:129]
	v_mov_b64_e32 v[158:159], v[126:127]
	;; [unrolled: 1-line block ×15, first 2 shown]
	s_waitcnt vmcnt(0)
	ds_read2_b32 v[0:1], v4 offset0:14 offset1:15
	ds_read2_b32 v[2:3], v4 offset0:16 offset1:17
	ds_read_b32 v4, v4 offset:72
	s_waitcnt lgkmcnt(2)
	v_pk_fma_f32 v[34:35], v[36:37], v[0:1], v[14:15] op_sel_hi:[0,1,1] neg_lo:[1,0,0] neg_hi:[1,0,0]
	s_waitcnt lgkmcnt(1)
	v_pk_fma_f32 v[68:69], v[36:37], v[2:3], v[16:17] op_sel_hi:[0,1,1] neg_lo:[1,0,0] neg_hi:[1,0,0]
	s_waitcnt lgkmcnt(0)
	v_fma_f32 v18, -v36, v4, v255
	v_mov_b32_e32 v98, v34
	v_mov_b32_e32 v99, v35
	;; [unrolled: 1-line block ×7, first 2 shown]
	scratch_store_dwordx4 off, v[20:23], off offset:260 ; 16-byte Folded Spill
	s_nop 0
	scratch_store_dwordx4 off, v[24:27], off offset:276 ; 16-byte Folded Spill
	scratch_store_dwordx4 off, v[28:31], off offset:292 ; 16-byte Folded Spill
	;; [unrolled: 1-line block ×7, first 2 shown]
	v_mov_b32_e32 v0, v116
	v_mov_b32_e32 v1, v117
	;; [unrolled: 1-line block ×11, first 2 shown]
	v_mov_b64_e32 v[20:21], v[52:53]
	v_mov_b64_e32 v[22:23], v[54:55]
	;; [unrolled: 1-line block ×8, first 2 shown]
	scratch_store_dwordx4 off, v[20:23], off offset:132 ; 16-byte Folded Spill
	s_nop 0
	scratch_store_dwordx4 off, v[24:27], off offset:148 ; 16-byte Folded Spill
	scratch_store_dwordx4 off, v[28:31], off offset:164 ; 16-byte Folded Spill
	;; [unrolled: 1-line block ×8, first 2 shown]
	s_nop 0
	scratch_store_dwordx4 off, v[24:27], off offset:20 ; 16-byte Folded Spill
	scratch_store_dwordx4 off, v[28:31], off offset:36 ; 16-byte Folded Spill
	;; [unrolled: 1-line block ×7, first 2 shown]
.LBB37_73:
	s_or_b64 exec, exec, s[2:3]
	v_cmp_eq_u32_e32 vcc, 14, v131
	s_waitcnt lgkmcnt(0)
	s_barrier
	s_and_saveexec_b64 s[2:3], vcc
	s_cbranch_execz .LBB37_76
; %bb.74:
	scratch_load_dword v19, off, off        ; 4-byte Folded Reload
	ds_write_b32 v212, v70
	s_waitcnt vmcnt(0)
	ds_write2_b32 v19, v15, v16 offset0:15 offset1:16
	ds_write2_b32 v19, v17, v18 offset0:17 offset1:18
	ds_read_b32 v19, v212
	s_waitcnt lgkmcnt(0)
	v_cmp_neq_f32_e32 vcc, 0, v19
	s_and_b64 exec, exec, vcc
	s_cbranch_execz .LBB37_76
; %bb.75:
	v_div_scale_f32 v35, s[4:5], v19, v19, 1.0
	v_rcp_f32_e32 v36, v35
	v_div_scale_f32 v37, vcc, 1.0, v19, 1.0
	v_fma_f32 v38, -v35, v36, 1.0
	v_fmac_f32_e32 v36, v38, v36
	v_mul_f32_e32 v38, v37, v36
	v_fma_f32 v39, -v35, v38, v37
	v_fmac_f32_e32 v38, v39, v36
	v_fma_f32 v35, -v35, v38, v37
	v_div_fmas_f32 v35, v35, v36, v38
	v_div_fixup_f32 v19, v35, v19, 1.0
	ds_write_b32 v212, v19
.LBB37_76:
	s_or_b64 exec, exec, s[2:3]
	s_waitcnt lgkmcnt(0)
	s_barrier
	ds_read_b32 v116, v212
	v_cmp_lt_u32_e32 vcc, 14, v131
	s_and_saveexec_b64 s[2:3], vcc
	s_cbranch_execz .LBB37_78
; %bb.77:
	scratch_load_dword v3, off, off         ; 4-byte Folded Reload
	s_waitcnt lgkmcnt(0)
	v_mul_f32_e32 v162, v70, v116
	v_mov_b32_e32 v2, v15
	v_mov_b32_e32 v6, v154
	;; [unrolled: 1-line block ×10, first 2 shown]
	s_waitcnt vmcnt(0)
	ds_read2_b32 v[0:1], v3 offset0:15 offset1:16
	ds_read2_b32 v[4:5], v3 offset0:17 offset1:18
	v_mov_b32_e32 v3, v16
	s_waitcnt lgkmcnt(1)
	v_pk_fma_f32 v[70:71], v[162:163], v[0:1], v[2:3] op_sel_hi:[0,1,1] neg_lo:[1,0,0] neg_hi:[1,0,0]
	v_mov_b32_e32 v0, v17
	v_mov_b32_e32 v1, v18
	s_waitcnt lgkmcnt(0)
	v_pk_fma_f32 v[18:19], v[162:163], v[4:5], v[0:1] op_sel_hi:[0,1,1] neg_lo:[1,0,0] neg_hi:[1,0,0]
	v_mov_b32_e32 v0, v148
	v_mov_b32_e32 v1, v149
	;; [unrolled: 1-line block ×8, first 2 shown]
	scratch_store_dwordx4 off, v[0:3], off offset:132 ; 16-byte Folded Spill
	s_nop 0
	scratch_store_dwordx4 off, v[4:7], off offset:148 ; 16-byte Folded Spill
	scratch_store_dwordx4 off, v[8:11], off offset:164 ; 16-byte Folded Spill
	;; [unrolled: 1-line block ×7, first 2 shown]
	v_mov_b32_e32 v163, v70
	v_mov_b64_e32 v[84:85], v[148:149]
	v_mov_b64_e32 v[86:87], v[150:151]
	;; [unrolled: 1-line block ×8, first 2 shown]
	v_mov_b32_e32 v73, v70
	v_mov_b32_e32 v36, v71
	v_mov_b64_e32 v[100:101], v[164:165]
	v_mov_b64_e32 v[102:103], v[166:167]
	;; [unrolled: 1-line block ×8, first 2 shown]
	scratch_store_dwordx4 off, v[148:151], off offset:260 ; 16-byte Folded Spill
	s_nop 0
	scratch_store_dwordx4 off, v[152:155], off offset:276 ; 16-byte Folded Spill
	scratch_store_dwordx4 off, v[156:159], off offset:292 ; 16-byte Folded Spill
	;; [unrolled: 1-line block ×8, first 2 shown]
	s_nop 0
	scratch_store_dwordx4 off, v[24:27], off offset:20 ; 16-byte Folded Spill
	scratch_store_dwordx4 off, v[28:31], off offset:36 ; 16-byte Folded Spill
	scratch_store_dwordx4 off, v[32:35], off offset:52 ; 16-byte Folded Spill
	scratch_store_dwordx4 off, v[36:39], off offset:68 ; 16-byte Folded Spill
	scratch_store_dwordx4 off, v[40:43], off offset:84 ; 16-byte Folded Spill
	scratch_store_dwordx4 off, v[44:47], off offset:100 ; 16-byte Folded Spill
	scratch_store_dwordx4 off, v[48:51], off offset:116 ; 16-byte Folded Spill
	v_mov_b32_e32 v17, v18
	v_mov_b64_e32 v[254:255], v[18:19]
	v_mov_b32_e32 v18, v19
.LBB37_78:
	s_or_b64 exec, exec, s[2:3]
	v_cmp_eq_u32_e32 vcc, 15, v131
	s_waitcnt lgkmcnt(0)
	s_barrier
	s_and_saveexec_b64 s[2:3], vcc
	s_cbranch_execz .LBB37_81
; %bb.79:
	scratch_load_dword v19, off, off        ; 4-byte Folded Reload
	ds_write_b32 v212, v73
	s_waitcnt vmcnt(0)
	ds_write2_b32 v19, v16, v17 offset0:16 offset1:17
	ds_write_b32 v19, v255 offset:72
	ds_read_b32 v19, v212
	s_waitcnt lgkmcnt(0)
	v_cmp_neq_f32_e32 vcc, 0, v19
	s_and_b64 exec, exec, vcc
	s_cbranch_execz .LBB37_81
; %bb.80:
	v_div_scale_f32 v35, s[4:5], v19, v19, 1.0
	v_rcp_f32_e32 v36, v35
	v_div_scale_f32 v37, vcc, 1.0, v19, 1.0
	v_fma_f32 v38, -v35, v36, 1.0
	v_fmac_f32_e32 v36, v38, v36
	v_mul_f32_e32 v38, v37, v36
	v_fma_f32 v39, -v35, v38, v37
	v_fmac_f32_e32 v38, v39, v36
	v_fma_f32 v35, -v35, v38, v37
	v_div_fmas_f32 v35, v35, v36, v38
	v_div_fixup_f32 v19, v35, v19, 1.0
	ds_write_b32 v212, v19
.LBB37_81:
	s_or_b64 exec, exec, s[2:3]
	s_waitcnt lgkmcnt(0)
	s_barrier
	ds_read_b32 v36, v212
	v_cmp_lt_u32_e32 vcc, 15, v131
	s_and_saveexec_b64 s[2:3], vcc
	s_cbranch_execz .LBB37_83
; %bb.82:
	scratch_load_dword v2, off, off         ; 4-byte Folded Reload
	s_waitcnt lgkmcnt(0)
	v_mul_f32_e32 v38, v73, v36
	v_mov_b32_e32 v67, v38
	v_mov_b32_e32 v15, v38
	s_waitcnt vmcnt(0)
	ds_read2_b32 v[0:1], v2 offset0:16 offset1:17
	ds_read_b32 v2, v2 offset:72
	scratch_load_dwordx4 v[84:87], off, off offset:260 ; 16-byte Folded Reload
	scratch_load_dwordx4 v[88:91], off, off offset:276 ; 16-byte Folded Reload
	;; [unrolled: 1-line block ×8, first 2 shown]
	s_waitcnt vmcnt(4)
	v_mov_b32_e32 v99, v38
	s_waitcnt lgkmcnt(1)
	v_pk_fma_f32 v[68:69], v[38:39], v[0:1], v[16:17] op_sel_hi:[0,1,1] neg_lo:[1,0,0] neg_hi:[1,0,0]
	s_waitcnt lgkmcnt(0)
	v_fma_f32 v18, -v38, v2, v255
	v_mov_b32_e32 v16, v68
	v_mov_b32_e32 v17, v69
	;; [unrolled: 1-line block ×29, first 2 shown]
	scratch_store_dwordx4 off, v[4:7], off offset:4 ; 16-byte Folded Spill
	s_nop 0
	scratch_store_dwordx4 off, v[8:11], off offset:20 ; 16-byte Folded Spill
	scratch_store_dwordx4 off, v[12:15], off offset:36 ; 16-byte Folded Spill
	scratch_store_dwordx4 off, v[16:19], off offset:52 ; 16-byte Folded Spill
	scratch_store_dwordx4 off, v[20:23], off offset:68 ; 16-byte Folded Spill
	scratch_store_dwordx4 off, v[24:27], off offset:84 ; 16-byte Folded Spill
	scratch_store_dwordx4 off, v[28:31], off offset:100 ; 16-byte Folded Spill
	scratch_store_dwordx4 off, v[32:35], off offset:116 ; 16-byte Folded Spill
	scratch_store_dwordx4 off, v[52:55], off offset:132 ; 16-byte Folded Spill
	s_nop 0
	scratch_store_dwordx4 off, v[56:59], off offset:148 ; 16-byte Folded Spill
	scratch_store_dwordx4 off, v[60:63], off offset:164 ; 16-byte Folded Spill
	;; [unrolled: 1-line block ×7, first 2 shown]
	v_mov_b32_e32 v0, v84
	v_mov_b32_e32 v1, v85
	;; [unrolled: 1-line block ×6, first 2 shown]
.LBB37_83:
	s_or_b64 exec, exec, s[2:3]
	v_cmp_eq_u32_e32 vcc, 16, v131
	s_waitcnt lgkmcnt(0)
	s_barrier
	s_and_saveexec_b64 s[2:3], vcc
	s_cbranch_execz .LBB37_86
; %bb.84:
	scratch_load_dwordx4 v[132:135], off, off offset:4 ; 16-byte Folded Reload
	scratch_load_dwordx4 v[136:139], off, off offset:20 ; 16-byte Folded Reload
	;; [unrolled: 1-line block ×8, first 2 shown]
	scratch_load_dword v19, off, off        ; 4-byte Folded Reload
	s_waitcnt vmcnt(4)
	ds_write_b32 v212, v148
	s_waitcnt vmcnt(0)
	ds_write2_b32 v19, v17, v18 offset0:17 offset1:18
	ds_read_b32 v19, v212
	s_waitcnt lgkmcnt(0)
	v_cmp_neq_f32_e32 vcc, 0, v19
	s_and_b64 exec, exec, vcc
	s_cbranch_execz .LBB37_86
; %bb.85:
	v_div_scale_f32 v20, s[4:5], v19, v19, 1.0
	v_rcp_f32_e32 v21, v20
	v_div_scale_f32 v22, vcc, 1.0, v19, 1.0
	v_fma_f32 v23, -v20, v21, 1.0
	v_fmac_f32_e32 v21, v23, v21
	v_mul_f32_e32 v23, v22, v21
	v_fma_f32 v24, -v20, v23, v22
	v_fmac_f32_e32 v23, v24, v21
	v_fma_f32 v20, -v20, v23, v22
	v_div_fmas_f32 v20, v20, v21, v23
	v_div_fixup_f32 v19, v20, v19, 1.0
	ds_write_b32 v212, v19
.LBB37_86:
	s_or_b64 exec, exec, s[2:3]
	s_waitcnt lgkmcnt(0)
	s_barrier
	ds_read_b32 v32, v212
	v_cmp_lt_u32_e32 vcc, 16, v131
	s_and_saveexec_b64 s[2:3], vcc
	s_cbranch_execz .LBB37_88
; %bb.87:
	scratch_load_dword v0, off, off         ; 4-byte Folded Reload
	v_mov_b32_e32 v2, v17
	v_mov_b32_e32 v3, v18
	s_waitcnt vmcnt(0)
	ds_read2_b32 v[0:1], v0 offset0:17 offset1:18
	scratch_load_dwordx4 v[52:55], off, off offset:4 ; 16-byte Folded Reload
	scratch_load_dwordx4 v[56:59], off, off offset:20 ; 16-byte Folded Reload
	;; [unrolled: 1-line block ×8, first 2 shown]
	s_waitcnt vmcnt(3) lgkmcnt(1)
	v_mul_f32_e32 v100, v68, v32
	s_waitcnt lgkmcnt(0)
	v_pk_fma_f32 v[0:1], v[100:101], v[0:1], v[2:3] op_sel_hi:[0,1,1] neg_lo:[1,0,0] neg_hi:[1,0,0]
	v_mov_b32_e32 v101, v0
	v_mov_b64_e32 v[254:255], v[0:1]
	v_mov_b32_e32 v102, v1
	v_mov_b64_e32 v[0:1], v[84:85]
	v_mov_b64_e32 v[2:3], v[86:87]
	v_mov_b64_e32 v[4:5], v[88:89]
	v_mov_b64_e32 v[6:7], v[90:91]
	v_mov_b64_e32 v[8:9], v[92:93]
	v_mov_b64_e32 v[10:11], v[94:95]
	v_mov_b64_e32 v[12:13], v[96:97]
	v_mov_b64_e32 v[14:15], v[98:99]
	v_mov_b64_e32 v[16:17], v[100:101]
	v_mov_b64_e32 v[18:19], v[102:103]
	v_mov_b64_e32 v[20:21], v[104:105]
	v_mov_b64_e32 v[22:23], v[106:107]
	v_mov_b64_e32 v[24:25], v[108:109]
	v_mov_b64_e32 v[26:27], v[110:111]
	v_mov_b64_e32 v[28:29], v[112:113]
	v_mov_b64_e32 v[30:31], v[114:115]
	scratch_store_dwordx4 off, v[84:87], off offset:132 ; 16-byte Folded Spill
	s_nop 0
	scratch_store_dwordx4 off, v[88:91], off offset:148 ; 16-byte Folded Spill
	scratch_store_dwordx4 off, v[92:95], off offset:164 ; 16-byte Folded Spill
	;; [unrolled: 1-line block ×7, first 2 shown]
.LBB37_88:
	s_or_b64 exec, exec, s[2:3]
	v_cmp_eq_u32_e32 vcc, 17, v131
	s_waitcnt lgkmcnt(0)
	s_barrier
	s_and_saveexec_b64 s[2:3], vcc
	s_cbranch_execz .LBB37_91
; %bb.89:
	scratch_load_dword v19, off, off        ; 4-byte Folded Reload
	v_mov_b64_e32 v[20:21], v[254:255]
	ds_write_b32 v212, v20
	s_waitcnt vmcnt(0)
	ds_write_b32 v19, v21 offset:72
	ds_read_b32 v19, v212
	s_waitcnt lgkmcnt(0)
	v_cmp_neq_f32_e32 vcc, 0, v19
	s_and_b64 exec, exec, vcc
	s_cbranch_execz .LBB37_91
; %bb.90:
	v_div_scale_f32 v20, s[4:5], v19, v19, 1.0
	v_rcp_f32_e32 v21, v20
	v_div_scale_f32 v22, vcc, 1.0, v19, 1.0
	v_fma_f32 v23, -v20, v21, 1.0
	v_fmac_f32_e32 v21, v23, v21
	v_mul_f32_e32 v23, v22, v21
	v_fma_f32 v24, -v20, v23, v22
	v_fmac_f32_e32 v23, v24, v21
	v_fma_f32 v20, -v20, v23, v22
	v_div_fmas_f32 v20, v20, v21, v23
	v_div_fixup_f32 v19, v20, v19, 1.0
	ds_write_b32 v212, v19
.LBB37_91:
	s_or_b64 exec, exec, s[2:3]
	s_waitcnt lgkmcnt(0)
	s_barrier
	ds_read_b32 v33, v212
	v_cmp_lt_u32_e32 vcc, 17, v131
	s_and_saveexec_b64 s[2:3], vcc
	s_cbranch_execz .LBB37_93
; %bb.92:
	scratch_load_dword v0, off, off         ; 4-byte Folded Reload
	s_waitcnt vmcnt(0)
	ds_read_b32 v0, v0 offset:72
	scratch_load_dwordx4 v[52:55], off, off offset:132 ; 16-byte Folded Reload
	scratch_load_dwordx4 v[56:59], off, off offset:148 ; 16-byte Folded Reload
	;; [unrolled: 1-line block ×8, first 2 shown]
	s_waitcnt vmcnt(3) lgkmcnt(1)
	v_mul_f32_e32 v69, v254, v33
	s_waitcnt lgkmcnt(0)
	v_fma_f32 v70, -v69, v0, v255
	v_mov_b32_e32 v255, v70
	s_waitcnt vmcnt(0)
	v_mov_b64_e32 v[0:1], v[52:53]
	v_mov_b64_e32 v[2:3], v[54:55]
	;; [unrolled: 1-line block ×16, first 2 shown]
.LBB37_93:
	s_or_b64 exec, exec, s[2:3]
	v_cmp_eq_u32_e32 vcc, 18, v131
	s_waitcnt lgkmcnt(0)
	s_barrier
	s_and_saveexec_b64 s[2:3], vcc
	s_cbranch_execz .LBB37_96
; %bb.94:
	v_mov_b32_e32 v19, v255
	v_cmp_neq_f32_e32 vcc, 0, v19
	ds_write_b32 v212, v255
	s_and_b64 exec, exec, vcc
	s_cbranch_execz .LBB37_96
; %bb.95:
	v_mov_b32_e32 v25, v255
	v_div_scale_f32 v19, s[4:5], v25, v25, 1.0
	v_rcp_f32_e32 v20, v19
	v_div_scale_f32 v21, vcc, 1.0, v25, 1.0
	v_fma_f32 v22, -v19, v20, 1.0
	v_fmac_f32_e32 v20, v22, v20
	v_mul_f32_e32 v22, v21, v20
	v_fma_f32 v23, -v19, v22, v21
	v_fmac_f32_e32 v22, v23, v20
	v_fma_f32 v19, -v19, v22, v21
	v_div_fmas_f32 v19, v19, v20, v22
	v_div_fixup_f32 v19, v19, v25, 1.0
	ds_write_b32 v212, v19
.LBB37_96:
	s_or_b64 exec, exec, s[2:3]
	s_waitcnt lgkmcnt(0)
	s_barrier
	ds_read_b32 v19, v212
	s_waitcnt lgkmcnt(0)
	s_barrier
	s_and_saveexec_b64 s[40:41], s[0:1]
	s_cbranch_execz .LBB37_99
; %bb.97:
	scratch_load_dwordx2 v[22:23], off, off offset:2088 ; 8-byte Folded Reload
	v_mov_b32_e32 v20, s6
	v_mov_b32_e32 v21, s7
	v_cmp_eq_f32_e64 s[2:3], 0, v50
	v_cmp_eq_f32_e64 s[4:5], 0, v48
	;; [unrolled: 1-line block ×17, first 2 shown]
	s_waitcnt vmcnt(0)
	v_lshl_add_u64 v[20:21], v[22:23], 2, v[20:21]
	global_load_dword v23, v[20:21], off
	scratch_load_dword v22, off, off offset:1564 ; 4-byte Folded Reload
	scratch_load_dword v24, off, off offset:1704 ; 4-byte Folded Reload
	s_waitcnt vmcnt(1)
	v_cmp_eq_f32_e32 vcc, 0, v22
	s_waitcnt vmcnt(0)
	v_cmp_neq_f32_e64 s[0:1], 0, v24
	v_cndmask_b32_e64 v22, 0, 1, vcc
	s_or_b64 vcc, s[0:1], vcc
	v_cndmask_b32_e32 v22, 2, v22, vcc
	v_cmp_eq_u32_e32 vcc, 0, v22
	s_and_b64 s[0:1], s[2:3], vcc
	v_cndmask_b32_e64 v22, v22, 3, s[0:1]
	v_cmp_eq_u32_e32 vcc, 0, v22
	s_and_b64 s[0:1], s[4:5], vcc
	v_cndmask_b32_e64 v22, v22, 4, s[0:1]
	;; [unrolled: 3-line block ×17, first 2 shown]
	v_cmp_eq_u32_e32 vcc, 0, v23
	v_cmp_ne_u32_e64 s[0:1], 0, v22
	s_and_b64 s[0:1], vcc, s[0:1]
	s_and_b64 exec, exec, s[0:1]
	s_cbranch_execz .LBB37_99
; %bb.98:
	v_add_u32_e32 v22, s39, v22
	global_store_dword v[20:21], v22, off
.LBB37_99:
	s_or_b64 exec, exec, s[40:41]
	scratch_load_dwordx2 v[20:21], off, off offset:1568 ; 8-byte Folded Reload
	v_mul_f32_e32 v19, v255, v19
	v_cmp_lt_u32_e32 vcc, 18, v131
	s_waitcnt vmcnt(0)
	global_store_dword v[20:21], v0, off
	scratch_load_dwordx2 v[20:21], off, off offset:1420 ; 8-byte Folded Reload
	v_cndmask_b32_e32 v18, v18, v19, vcc
	s_waitcnt vmcnt(0)
	global_store_dword v[20:21], v1, off
	scratch_load_dwordx2 v[0:1], off, off offset:1428 ; 8-byte Folded Reload
	s_waitcnt vmcnt(0)
	global_store_dword v[0:1], v2, off
	scratch_load_dwordx2 v[0:1], off, off offset:1436 ; 8-byte Folded Reload
	s_waitcnt vmcnt(0)
	global_store_dword v[0:1], v3, off
	scratch_load_dwordx2 v[0:1], off, off offset:1444 ; 8-byte Folded Reload
	s_waitcnt vmcnt(0)
	global_store_dword v[0:1], v4, off
	scratch_load_dwordx2 v[0:1], off, off offset:1452 ; 8-byte Folded Reload
	s_waitcnt vmcnt(0)
	global_store_dword v[0:1], v5, off
	scratch_load_dwordx2 v[0:1], off, off offset:1460 ; 8-byte Folded Reload
	s_waitcnt vmcnt(0)
	global_store_dword v[0:1], v6, off
	scratch_load_dwordx2 v[0:1], off, off offset:1468 ; 8-byte Folded Reload
	s_waitcnt vmcnt(0)
	global_store_dword v[0:1], v7, off
	scratch_load_dwordx2 v[0:1], off, off offset:1476 ; 8-byte Folded Reload
	s_waitcnt vmcnt(0)
	global_store_dword v[0:1], v8, off
	scratch_load_dwordx2 v[0:1], off, off offset:1484 ; 8-byte Folded Reload
	s_waitcnt vmcnt(0)
	global_store_dword v[0:1], v9, off
	scratch_load_dwordx2 v[0:1], off, off offset:1492 ; 8-byte Folded Reload
	s_waitcnt vmcnt(0)
	global_store_dword v[0:1], v10, off
	scratch_load_dwordx2 v[0:1], off, off offset:1500 ; 8-byte Folded Reload
	s_waitcnt vmcnt(0)
	global_store_dword v[0:1], v11, off
	scratch_load_dwordx2 v[0:1], off, off offset:1508 ; 8-byte Folded Reload
	s_waitcnt vmcnt(0)
	global_store_dword v[0:1], v12, off
	scratch_load_dwordx2 v[0:1], off, off offset:1516 ; 8-byte Folded Reload
	s_waitcnt vmcnt(0)
	global_store_dword v[0:1], v13, off
	scratch_load_dwordx2 v[0:1], off, off offset:1524 ; 8-byte Folded Reload
	s_waitcnt vmcnt(0)
	global_store_dword v[0:1], v14, off
	scratch_load_dwordx2 v[0:1], off, off offset:1532 ; 8-byte Folded Reload
	s_waitcnt vmcnt(0)
	global_store_dword v[0:1], v15, off
	scratch_load_dwordx2 v[0:1], off, off offset:1540 ; 8-byte Folded Reload
	s_waitcnt vmcnt(0)
	global_store_dword v[0:1], v16, off
	scratch_load_dwordx2 v[0:1], off, off offset:1548 ; 8-byte Folded Reload
	s_waitcnt vmcnt(0)
	global_store_dword v[0:1], v17, off
	scratch_load_dwordx2 v[0:1], off, off offset:1556 ; 8-byte Folded Reload
	s_waitcnt vmcnt(0)
	global_store_dword v[0:1], v18, off
.LBB37_100:
	s_endpgm
	.section	.rodata,"a",@progbits
	.p2align	6, 0x0
	.amdhsa_kernel _ZN9rocsolver6v33100L23getf2_npvt_small_kernelILi19EfiiPfEEvT1_T3_lS3_lPT2_S3_S3_
		.amdhsa_group_segment_fixed_size 0
		.amdhsa_private_segment_fixed_size 2100
		.amdhsa_kernarg_size 312
		.amdhsa_user_sgpr_count 2
		.amdhsa_user_sgpr_dispatch_ptr 0
		.amdhsa_user_sgpr_queue_ptr 0
		.amdhsa_user_sgpr_kernarg_segment_ptr 1
		.amdhsa_user_sgpr_dispatch_id 0
		.amdhsa_user_sgpr_kernarg_preload_length 0
		.amdhsa_user_sgpr_kernarg_preload_offset 0
		.amdhsa_user_sgpr_private_segment_size 0
		.amdhsa_uses_dynamic_stack 0
		.amdhsa_enable_private_segment 1
		.amdhsa_system_sgpr_workgroup_id_x 1
		.amdhsa_system_sgpr_workgroup_id_y 1
		.amdhsa_system_sgpr_workgroup_id_z 0
		.amdhsa_system_sgpr_workgroup_info 0
		.amdhsa_system_vgpr_workitem_id 1
		.amdhsa_next_free_vgpr 256
		.amdhsa_next_free_sgpr 42
		.amdhsa_accum_offset 256
		.amdhsa_reserve_vcc 1
		.amdhsa_float_round_mode_32 0
		.amdhsa_float_round_mode_16_64 0
		.amdhsa_float_denorm_mode_32 3
		.amdhsa_float_denorm_mode_16_64 3
		.amdhsa_dx10_clamp 1
		.amdhsa_ieee_mode 1
		.amdhsa_fp16_overflow 0
		.amdhsa_tg_split 0
		.amdhsa_exception_fp_ieee_invalid_op 0
		.amdhsa_exception_fp_denorm_src 0
		.amdhsa_exception_fp_ieee_div_zero 0
		.amdhsa_exception_fp_ieee_overflow 0
		.amdhsa_exception_fp_ieee_underflow 0
		.amdhsa_exception_fp_ieee_inexact 0
		.amdhsa_exception_int_div_zero 0
	.end_amdhsa_kernel
	.section	.text._ZN9rocsolver6v33100L23getf2_npvt_small_kernelILi19EfiiPfEEvT1_T3_lS3_lPT2_S3_S3_,"axG",@progbits,_ZN9rocsolver6v33100L23getf2_npvt_small_kernelILi19EfiiPfEEvT1_T3_lS3_lPT2_S3_S3_,comdat
.Lfunc_end37:
	.size	_ZN9rocsolver6v33100L23getf2_npvt_small_kernelILi19EfiiPfEEvT1_T3_lS3_lPT2_S3_S3_, .Lfunc_end37-_ZN9rocsolver6v33100L23getf2_npvt_small_kernelILi19EfiiPfEEvT1_T3_lS3_lPT2_S3_S3_
                                        ; -- End function
	.set _ZN9rocsolver6v33100L23getf2_npvt_small_kernelILi19EfiiPfEEvT1_T3_lS3_lPT2_S3_S3_.num_vgpr, 256
	.set _ZN9rocsolver6v33100L23getf2_npvt_small_kernelILi19EfiiPfEEvT1_T3_lS3_lPT2_S3_S3_.num_agpr, 0
	.set _ZN9rocsolver6v33100L23getf2_npvt_small_kernelILi19EfiiPfEEvT1_T3_lS3_lPT2_S3_S3_.numbered_sgpr, 42
	.set _ZN9rocsolver6v33100L23getf2_npvt_small_kernelILi19EfiiPfEEvT1_T3_lS3_lPT2_S3_S3_.num_named_barrier, 0
	.set _ZN9rocsolver6v33100L23getf2_npvt_small_kernelILi19EfiiPfEEvT1_T3_lS3_lPT2_S3_S3_.private_seg_size, 2100
	.set _ZN9rocsolver6v33100L23getf2_npvt_small_kernelILi19EfiiPfEEvT1_T3_lS3_lPT2_S3_S3_.uses_vcc, 1
	.set _ZN9rocsolver6v33100L23getf2_npvt_small_kernelILi19EfiiPfEEvT1_T3_lS3_lPT2_S3_S3_.uses_flat_scratch, 0
	.set _ZN9rocsolver6v33100L23getf2_npvt_small_kernelILi19EfiiPfEEvT1_T3_lS3_lPT2_S3_S3_.has_dyn_sized_stack, 0
	.set _ZN9rocsolver6v33100L23getf2_npvt_small_kernelILi19EfiiPfEEvT1_T3_lS3_lPT2_S3_S3_.has_recursion, 0
	.set _ZN9rocsolver6v33100L23getf2_npvt_small_kernelILi19EfiiPfEEvT1_T3_lS3_lPT2_S3_S3_.has_indirect_call, 0
	.section	.AMDGPU.csdata,"",@progbits
; Kernel info:
; codeLenInByte = 24316
; TotalNumSgprs: 48
; NumVgprs: 256
; NumAgprs: 0
; TotalNumVgprs: 256
; ScratchSize: 2100
; MemoryBound: 0
; FloatMode: 240
; IeeeMode: 1
; LDSByteSize: 0 bytes/workgroup (compile time only)
; SGPRBlocks: 5
; VGPRBlocks: 31
; NumSGPRsForWavesPerEU: 48
; NumVGPRsForWavesPerEU: 256
; AccumOffset: 256
; Occupancy: 2
; WaveLimiterHint : 0
; COMPUTE_PGM_RSRC2:SCRATCH_EN: 1
; COMPUTE_PGM_RSRC2:USER_SGPR: 2
; COMPUTE_PGM_RSRC2:TRAP_HANDLER: 0
; COMPUTE_PGM_RSRC2:TGID_X_EN: 1
; COMPUTE_PGM_RSRC2:TGID_Y_EN: 1
; COMPUTE_PGM_RSRC2:TGID_Z_EN: 0
; COMPUTE_PGM_RSRC2:TIDIG_COMP_CNT: 1
; COMPUTE_PGM_RSRC3_GFX90A:ACCUM_OFFSET: 63
; COMPUTE_PGM_RSRC3_GFX90A:TG_SPLIT: 0
	.section	.text._ZN9rocsolver6v33100L18getf2_small_kernelILi20EfiiPfEEvT1_T3_lS3_lPS3_llPT2_S3_S3_S5_l,"axG",@progbits,_ZN9rocsolver6v33100L18getf2_small_kernelILi20EfiiPfEEvT1_T3_lS3_lPS3_llPT2_S3_S3_S5_l,comdat
	.globl	_ZN9rocsolver6v33100L18getf2_small_kernelILi20EfiiPfEEvT1_T3_lS3_lPS3_llPT2_S3_S3_S5_l ; -- Begin function _ZN9rocsolver6v33100L18getf2_small_kernelILi20EfiiPfEEvT1_T3_lS3_lPS3_llPT2_S3_S3_S5_l
	.p2align	8
	.type	_ZN9rocsolver6v33100L18getf2_small_kernelILi20EfiiPfEEvT1_T3_lS3_lPS3_llPT2_S3_S3_S5_l,@function
_ZN9rocsolver6v33100L18getf2_small_kernelILi20EfiiPfEEvT1_T3_lS3_lPS3_llPT2_S3_S3_S5_l: ; @_ZN9rocsolver6v33100L18getf2_small_kernelILi20EfiiPfEEvT1_T3_lS3_lPS3_llPT2_S3_S3_S5_l
; %bb.0:
	s_load_dword s2, s[0:1], 0x6c
	s_load_dwordx2 s[14:15], s[0:1], 0x48
	v_bfe_u32 v4, v0, 10, 10
	s_waitcnt lgkmcnt(0)
	s_lshr_b32 s2, s2, 16
	s_mul_i32 s3, s3, s2
	v_add_u32_e32 v246, s3, v4
	v_cmp_gt_i32_e32 vcc, s14, v246
	s_and_saveexec_b64 s[2:3], vcc
	s_cbranch_execz .LBB38_340
; %bb.1:
	s_load_dwordx4 s[4:7], s[0:1], 0x50
	v_ashrrev_i32_e32 v247, 31, v246
	v_mov_b64_e32 v[2:3], 0
	scratch_store_dwordx2 off, v[2:3], off offset:1024 ; 8-byte Folded Spill
	s_waitcnt lgkmcnt(0)
	s_cmp_eq_u64 s[4:5], 0
	s_cselect_b64 s[16:17], -1, 0
	s_and_b64 vcc, exec, s[16:17]
	s_cbranch_vccnz .LBB38_3
; %bb.2:
	v_mul_lo_u32 v1, s7, v246
	v_mul_lo_u32 v5, s6, v247
	v_mad_u64_u32 v[2:3], s[2:3], s6, v246, 0
	v_add3_u32 v3, v3, v5, v1
	v_lshl_add_u64 v[2:3], v[2:3], 2, s[4:5]
	scratch_store_dwordx2 off, v[2:3], off offset:1024 ; 8-byte Folded Spill
.LBB38_3:
	s_load_dwordx4 s[24:27], s[0:1], 0x8
	s_load_dwordx8 s[4:11], s[0:1], 0x20
	s_load_dword s12, s[0:1], 0x18
	s_load_dword s22, s[0:1], 0x0
	s_waitcnt lgkmcnt(0)
	v_mov_b32_e32 v2, s24
	v_mul_lo_u32 v1, s5, v246
	v_mul_lo_u32 v5, s4, v247
	v_mad_u64_u32 v[6:7], s[2:3], s4, v246, 0
	v_mov_b32_e32 v3, s25
	v_add3_u32 v7, v7, v5, v1
	v_lshl_add_u64 v[2:3], v[6:7], 2, v[2:3]
	v_and_b32_e32 v1, 0x3ff, v0
	v_lshl_add_u64 v[244:245], s[26:27], 2, v[2:3]
	v_lshlrev_b32_e32 v2, 2, v1
	v_mov_b32_e32 v3, 0
	v_lshl_add_u64 v[6:7], v[244:245], 0, v[2:3]
	global_load_dword v0, v[6:7], off
	s_max_i32 s2, s22, 20
	s_add_i32 s14, s12, s12
	v_mul_lo_u32 v28, s2, v4
	v_add_u32_e32 v4, s14, v1
	v_add_u32_e32 v8, s12, v4
	;; [unrolled: 1-line block ×5, first 2 shown]
	s_ashr_i32 s13, s12, 31
	v_ashrrev_i32_e32 v5, 31, v4
	v_add_u32_e32 v16, s12, v14
	v_ashrrev_i32_e32 v9, 31, v8
	v_lshl_add_u64 v[4:5], v[4:5], 2, v[244:245]
	v_ashrrev_i32_e32 v11, 31, v10
	v_lshl_add_u64 v[6:7], s[12:13], 2, v[6:7]
	v_ashrrev_i32_e32 v13, 31, v12
	v_ashrrev_i32_e32 v15, 31, v14
	;; [unrolled: 1-line block ×3, first 2 shown]
	v_lshl_add_u64 v[8:9], v[8:9], 2, v[244:245]
	v_lshl_add_u64 v[10:11], v[10:11], 2, v[244:245]
	;; [unrolled: 1-line block ×5, first 2 shown]
	global_load_dword v197, v[6:7], off
	global_load_dword v114, v[4:5], off
	;; [unrolled: 1-line block ×7, first 2 shown]
	v_add_u32_e32 v4, s12, v16
	v_add_u32_e32 v6, s12, v4
	;; [unrolled: 1-line block ×10, first 2 shown]
	v_lshl_add_u32 v254, v28, 2, 0
	v_add_u32_e32 v24, s12, v22
	v_add_u32_e32 v2, v254, v2
	v_ashrrev_i32_e32 v25, 31, v24
	v_add_u32_e32 v26, s12, v24
	v_ashrrev_i32_e32 v5, 31, v4
	v_ashrrev_i32_e32 v7, 31, v6
	v_ashrrev_i32_e32 v9, 31, v8
	v_ashrrev_i32_e32 v11, 31, v10
	v_ashrrev_i32_e32 v13, 31, v12
	v_ashrrev_i32_e32 v15, 31, v14
	v_ashrrev_i32_e32 v17, 31, v16
	v_ashrrev_i32_e32 v19, 31, v18
	v_ashrrev_i32_e32 v21, 31, v20
	v_ashrrev_i32_e32 v23, 31, v22
	v_lshl_add_u64 v[24:25], v[24:25], 2, v[244:245]
	v_ashrrev_i32_e32 v27, 31, v26
	v_lshl_add_u64 v[4:5], v[4:5], 2, v[244:245]
	v_lshl_add_u64 v[6:7], v[6:7], 2, v[244:245]
	;; [unrolled: 1-line block ×11, first 2 shown]
	s_load_dwordx2 s[4:5], s[0:1], 0x40
	s_cmp_lt_i32 s22, 2
	v_lshlrev_b32_e32 v248, 2, v28
	s_waitcnt vmcnt(7)
	ds_write_b32 v2, v0
	global_load_dword v253, v[24:25], off
	global_load_dword v251, v[26:27], off
	global_load_dword v36, v[20:21], off
	global_load_dword v29, v[22:23], off
	global_load_dword v218, v[4:5], off
	global_load_dword v229, v[6:7], off
	global_load_dword v194, v[8:9], off
	global_load_dword v209, v[10:11], off
	global_load_dword v80, v[12:13], off
	global_load_dword v111, v[14:15], off
	global_load_dword v96, v[16:17], off
	global_load_dword v131, v[18:19], off
	s_waitcnt lgkmcnt(0)
	s_barrier
	ds_read_b32 v2, v254
	s_cbranch_scc1 .LBB38_6
; %bb.4:
	v_add3_u32 v4, v248, 0, 4
	v_mov_b32_e32 v3, 0
	s_mov_b32 s0, 1
.LBB38_5:                               ; =>This Inner Loop Header: Depth=1
	ds_read_b32 v5, v4
	v_mov_b32_e32 v6, s0
	s_add_i32 s0, s0, 1
	v_add_u32_e32 v4, 4, v4
	s_cmp_eq_u32 s22, s0
	s_waitcnt lgkmcnt(0)
	v_cmp_lt_f32_e64 vcc, |v2|, |v5|
	s_nop 1
	v_cndmask_b32_e32 v2, v2, v5, vcc
	v_cndmask_b32_e32 v3, v3, v6, vcc
	s_cbranch_scc0 .LBB38_5
.LBB38_6:
	s_waitcnt vmcnt(8)
	v_mov_b32_e32 v17, v29
	v_cmp_ne_u32_e32 vcc, v1, v3
                                        ; implicit-def: $vgpr255
	s_and_saveexec_b64 s[0:1], vcc
	s_xor_b64 s[0:1], exec, s[0:1]
	s_cbranch_execz .LBB38_12
; %bb.7:
	v_cmp_eq_u32_e32 vcc, 0, v1
	s_and_saveexec_b64 s[2:3], vcc
	s_cbranch_execz .LBB38_11
; %bb.8:
	v_cmp_ne_u32_e32 vcc, 0, v3
	s_xor_b64 s[18:19], s[16:17], -1
	s_and_b64 s[20:21], s[18:19], vcc
	s_and_saveexec_b64 s[18:19], s[20:21]
	s_cbranch_execz .LBB38_10
; %bb.9:
	scratch_load_dwordx2 v[8:9], off, off offset:1024 ; 8-byte Folded Reload
	v_ashrrev_i32_e32 v5, 31, v3
	v_mov_b32_e32 v4, v3
	v_mov_b32_e32 v17, v29
	s_waitcnt vmcnt(0)
	v_lshl_add_u64 v[4:5], v[4:5], 2, v[8:9]
	global_load_dword v1, v[4:5], off
	global_load_dword v6, v[8:9], off
	s_waitcnt vmcnt(1)
	global_store_dword v[8:9], v1, off
	s_waitcnt vmcnt(1)
	global_store_dword v[4:5], v6, off
.LBB38_10:
	s_or_b64 exec, exec, s[18:19]
	v_mov_b32_e32 v1, v3
.LBB38_11:
	s_or_b64 exec, exec, s[2:3]
	v_mov_b32_e32 v255, v1
                                        ; implicit-def: $vgpr1
.LBB38_12:
	s_or_saveexec_b64 s[0:1], s[0:1]
	v_mov_b32_e32 v249, v255
	s_xor_b64 exec, exec, s[0:1]
	s_cbranch_execz .LBB38_14
; %bb.13:
	v_mov_b32_e32 v249, v1
	v_mov_b32_e32 v255, 0
	ds_write2_b32 v254, v197, v114 offset0:1 offset1:2
	ds_write2_b32 v254, v31, v30 offset0:3 offset1:4
	;; [unrolled: 1-line block ×3, first 2 shown]
	s_waitcnt vmcnt(7)
	ds_write2_b32 v254, v59, v218 offset0:7 offset1:8
	s_waitcnt vmcnt(5)
	ds_write2_b32 v254, v229, v194 offset0:9 offset1:10
	;; [unrolled: 2-line block ×5, first 2 shown]
	ds_write2_b32 v254, v17, v253 offset0:17 offset1:18
	ds_write_b32 v254, v251 offset:76
.LBB38_14:
	s_or_b64 exec, exec, s[0:1]
	s_waitcnt lgkmcnt(0)
	v_cmp_eq_f32_e64 s[0:1], 0, v2
	v_cmp_gt_i32_e32 vcc, 1, v255
	s_barrier
	s_and_saveexec_b64 s[2:3], vcc
	s_xor_b64 s[2:3], exec, s[2:3]
; %bb.15:
                                        ; implicit-def: $vgpr2
; %bb.16:
	s_andn2_saveexec_b64 s[2:3], s[2:3]
	s_cbranch_execz .LBB38_18
; %bb.17:
	v_div_scale_f32 v1, s[18:19], v2, v2, 1.0
	v_rcp_f32_e32 v3, v1
	v_mov_b32_e32 v21, v17
	v_mov_b32_e32 v252, v21
	;; [unrolled: 1-line block ×3, first 2 shown]
	v_fma_f32 v20, -v1, v3, 1.0
	v_fmac_f32_e32 v3, v20, v3
	v_div_scale_f32 v20, vcc, 1.0, v2, 1.0
	v_mul_f32_e32 v21, v20, v3
	v_fma_f32 v22, -v1, v21, v20
	v_fmac_f32_e32 v21, v22, v3
	v_fma_f32 v1, -v1, v21, v20
	v_div_fmas_f32 v1, v1, v3, v21
	v_div_fixup_f32 v1, v1, v2, 1.0
	v_cndmask_b32_e64 v1, v1, v2, s[0:1]
	ds_read2_b32 v[2:3], v254 offset0:1 offset1:2
	ds_read2_b32 v[20:21], v254 offset0:3 offset1:4
	;; [unrolled: 1-line block ×3, first 2 shown]
	v_mov_b32_e32 v5, v114
	v_mov_b32_e32 v6, v31
	;; [unrolled: 1-line block ×5, first 2 shown]
	v_mul_f32_e32 v0, v0, v1
	ds_read2_b32 v[24:25], v254 offset0:7 offset1:8
	s_waitcnt lgkmcnt(3)
	v_pk_fma_f32 v[2:3], v[0:1], v[2:3], v[4:5] op_sel_hi:[0,1,1] neg_lo:[1,0,0] neg_hi:[1,0,0]
	s_waitcnt lgkmcnt(2)
	v_pk_fma_f32 v[4:5], v[0:1], v[20:21], v[6:7] op_sel_hi:[0,1,1] neg_lo:[1,0,0] neg_hi:[1,0,0]
	;; [unrolled: 2-line block ×3, first 2 shown]
	ds_read2_b32 v[8:9], v254 offset0:9 offset1:10
	v_mov_b32_e32 v10, v59
	s_waitcnt vmcnt(7)
	v_mov_b32_e32 v11, v218
	s_waitcnt vmcnt(6)
	;; [unrolled: 2-line block ×3, first 2 shown]
	v_mov_b32_e32 v13, v194
	s_waitcnt lgkmcnt(1)
	v_pk_fma_f32 v[10:11], v[0:1], v[24:25], v[10:11] op_sel_hi:[0,1,1] neg_lo:[1,0,0] neg_hi:[1,0,0]
	ds_read2_b32 v[20:21], v254 offset0:11 offset1:12
	ds_read2_b32 v[22:23], v254 offset0:13 offset1:14
	;; [unrolled: 1-line block ×3, first 2 shown]
	s_waitcnt lgkmcnt(3)
	v_pk_fma_f32 v[8:9], v[0:1], v[8:9], v[12:13] op_sel_hi:[0,1,1] neg_lo:[1,0,0] neg_hi:[1,0,0]
	ds_read2_b32 v[12:13], v254 offset0:17 offset1:18
	ds_read_b32 v1, v254 offset:76
	s_waitcnt vmcnt(4)
	v_mov_b32_e32 v14, v209
	s_waitcnt vmcnt(3)
	v_mov_b32_e32 v15, v80
	;; [unrolled: 2-line block ×5, first 2 shown]
	v_mov_b32_e32 v19, v36
	s_waitcnt lgkmcnt(0)
	v_pk_fma_f32 v[14:15], v[0:1], v[20:21], v[14:15] op_sel_hi:[0,1,1] neg_lo:[1,0,0] neg_hi:[1,0,0]
	v_pk_fma_f32 v[16:17], v[0:1], v[22:23], v[16:17] op_sel_hi:[0,1,1] neg_lo:[1,0,0] neg_hi:[1,0,0]
	;; [unrolled: 1-line block ×4, first 2 shown]
	v_fma_f32 v251, -v0, v1, v251
	v_mov_b32_e32 v197, v2
	v_mov_b32_e32 v114, v3
	;; [unrolled: 1-line block ×17, first 2 shown]
.LBB38_18:
	s_or_b64 exec, exec, s[2:3]
	v_lshl_add_u32 v1, v255, 2, v254
	s_barrier
	ds_write_b32 v1, v197
	s_waitcnt lgkmcnt(0)
	s_barrier
	ds_read_b32 v182, v254 offset:4
	s_mov_b32 s2, 2
	s_cmp_lt_i32 s22, 3
	v_mov_b32_e32 v2, 1
	s_cbranch_scc1 .LBB38_21
; %bb.19:
	v_add3_u32 v1, v248, 0, 8
	v_mov_b32_e32 v2, 1
.LBB38_20:                              ; =>This Inner Loop Header: Depth=1
	ds_read_b32 v3, v1
	v_mov_b32_e32 v4, s2
	s_add_i32 s2, s2, 1
	v_add_u32_e32 v1, 4, v1
	s_cmp_lg_u32 s22, s2
	s_waitcnt lgkmcnt(0)
	v_cmp_lt_f32_e64 vcc, |v182|, |v3|
	s_nop 1
	v_cndmask_b32_e32 v182, v182, v3, vcc
	v_cndmask_b32_e32 v2, v2, v4, vcc
	s_cbranch_scc1 .LBB38_20
.LBB38_21:
	v_cmp_ne_u32_e32 vcc, v255, v2
	s_and_saveexec_b64 s[2:3], vcc
	s_xor_b64 s[2:3], exec, s[2:3]
	s_cbranch_execz .LBB38_27
; %bb.22:
	v_cmp_eq_u32_e32 vcc, 1, v255
	s_and_saveexec_b64 s[18:19], vcc
	s_cbranch_execz .LBB38_26
; %bb.23:
	v_cmp_ne_u32_e32 vcc, 1, v2
	s_xor_b64 s[20:21], s[16:17], -1
	s_and_b64 s[24:25], s[20:21], vcc
	s_and_saveexec_b64 s[20:21], s[24:25]
	s_cbranch_execz .LBB38_25
; %bb.24:
	scratch_load_dwordx2 v[6:7], off, off offset:1024 ; 8-byte Folded Reload
	v_ashrrev_i32_e32 v3, 31, v2
	s_waitcnt vmcnt(0)
	v_lshl_add_u64 v[4:5], v[2:3], 2, v[6:7]
	global_load_dword v1, v[4:5], off
	global_load_dword v3, v[6:7], off offset:4
	s_waitcnt vmcnt(1)
	global_store_dword v[6:7], v1, off offset:4
	s_waitcnt vmcnt(1)
	global_store_dword v[4:5], v3, off
.LBB38_25:
	s_or_b64 exec, exec, s[20:21]
	v_mov_b32_e32 v249, v2
	v_mov_b32_e32 v255, v2
.LBB38_26:
	s_or_b64 exec, exec, s[18:19]
.LBB38_27:
	s_or_saveexec_b64 s[2:3], s[2:3]
	v_mov_b32_e32 v1, v197
	v_mov_b32_e32 v2, v114
	;; [unrolled: 1-line block ×10, first 2 shown]
	s_waitcnt vmcnt(7)
	v_mov_b32_e32 v8, v218
	s_waitcnt vmcnt(6)
	v_mov_b32_e32 v9, v229
	;; [unrolled: 2-line block ×8, first 2 shown]
	v_mov_b32_e32 v16, v36
	v_mov_b32_e32 v165, v17
	;; [unrolled: 1-line block ×4, first 2 shown]
	s_xor_b64 exec, exec, s[2:3]
	s_cbranch_execz .LBB38_29
; %bb.28:
	v_mov_b32_e32 v255, 1
	ds_write2_b32 v254, v114, v41 offset0:2 offset1:3
	ds_write2_b32 v254, v46, v67 offset0:4 offset1:5
	;; [unrolled: 1-line block ×9, first 2 shown]
.LBB38_29:
	s_or_b64 exec, exec, s[2:3]
	v_mov_b32_e32 v40, v114
	v_mov_b32_e32 v38, v0
	;; [unrolled: 1-line block ×3, first 2 shown]
	v_mov_b64_e32 v[150:151], v[40:41]
	v_mov_b32_e32 v42, v0
	v_mov_b32_e32 v43, v197
	;; [unrolled: 1-line block ×28, first 2 shown]
	v_mov_b64_e32 v[148:149], v[38:39]
	v_mov_b32_e32 v214, v46
	v_mov_b32_e32 v215, v67
	v_mov_b32_e32 v216, v138
	v_mov_b32_e32 v217, v59
	v_mov_b32_e32 v224, v46
	v_mov_b32_e32 v225, v67
	v_mov_b32_e32 v226, v138
	v_mov_b32_e32 v227, v59
	v_mov_b32_e32 v188, v46
	v_mov_b32_e32 v189, v67
	v_mov_b32_e32 v190, v138
	v_mov_b32_e32 v191, v59
	v_mov_b32_e32 v202, v46
	v_mov_b32_e32 v203, v67
	v_mov_b32_e32 v204, v138
	v_mov_b32_e32 v205, v59
	v_mov_b32_e32 v74, v138
	v_mov_b32_e32 v75, v59
	v_mov_b32_e32 v102, v46
	v_mov_b32_e32 v103, v67
	v_mov_b32_e32 v104, v138
	v_mov_b32_e32 v105, v59
	v_mov_b32_e32 v86, v46
	v_mov_b32_e32 v87, v67
	v_mov_b32_e32 v88, v138
	v_mov_b32_e32 v89, v59
	v_mov_b32_e32 v120, v46
	v_mov_b32_e32 v121, v67
	v_mov_b32_e32 v122, v138
	v_mov_b32_e32 v123, v59
	v_mov_b32_e32 v24, v46
	v_mov_b32_e32 v25, v67
	v_mov_b32_e32 v26, v138
	v_mov_b32_e32 v27, v59
	scratch_store_dwordx4 off, v[148:151], off offset:1928 ; 16-byte Folded Spill
	s_nop 0
	scratch_store_dwordx4 off, v[152:155], off offset:1944 ; 16-byte Folded Spill
	scratch_store_dwordx4 off, v[156:159], off offset:1960 ; 16-byte Folded Spill
	scratch_store_dwordx4 off, v[160:163], off offset:1976 ; 16-byte Folded Spill
	scratch_store_dwordx4 off, v[164:167], off offset:1992 ; 16-byte Folded Spill
	scratch_store_dwordx4 off, v[168:171], off offset:2008 ; 16-byte Folded Spill
	scratch_store_dwordx4 off, v[172:175], off offset:2024 ; 16-byte Folded Spill
	scratch_store_dwordx4 off, v[176:179], off offset:2040 ; 16-byte Folded Spill
	scratch_store_dwordx4 off, v[42:45], off offset:2056 ; 16-byte Folded Spill
	s_nop 0
	scratch_store_dwordx4 off, v[46:49], off offset:2072 ; 16-byte Folded Spill
	scratch_store_dwordx4 off, v[50:53], off offset:2088 ; 16-byte Folded Spill
	scratch_store_dwordx4 off, v[54:57], off offset:2104 ; 16-byte Folded Spill
	scratch_store_dwordx4 off, v[58:61], off offset:2120 ; 16-byte Folded Spill
	scratch_store_dwordx4 off, v[62:65], off offset:2136 ; 16-byte Folded Spill
	scratch_store_dwordx4 off, v[66:69], off offset:2152 ; 16-byte Folded Spill
	scratch_store_dwordx4 off, v[70:73], off offset:2168 ; 16-byte Folded Spill
	;; [unrolled: 9-line block ×3, first 2 shown]
	v_mov_b32_e32 v20, v0
	v_mov_b32_e32 v21, v197
	;; [unrolled: 1-line block ×20, first 2 shown]
	s_waitcnt lgkmcnt(0)
	s_barrier
	v_mov_b32_e32 v116, v0
	v_mov_b32_e32 v117, v197
	;; [unrolled: 1-line block ×42, first 2 shown]
	scratch_store_dwordx4 off, v[20:23], off ; 16-byte Folded Spill
	s_nop 0
	scratch_store_dwordx4 off, v[24:27], off offset:16 ; 16-byte Folded Spill
	scratch_store_dwordx4 off, v[28:31], off offset:32 ; 16-byte Folded Spill
	;; [unrolled: 1-line block ×7, first 2 shown]
	v_mov_b32_e32 v211, v197
	v_mov_b32_e32 v220, v0
	v_mov_b32_e32 v221, v197
	v_mov_b32_e32 v228, v218
	v_mov_b32_e32 v198, v0
	v_mov_b32_e32 v199, v197
	v_mov_b32_e32 v154, v138
	v_mov_b32_e32 v206, v218
	v_mov_b32_e32 v207, v229
	v_mov_b32_e32 v208, v194
	v_mov_b32_e32 v76, v218
	v_mov_b32_e32 v77, v229
	v_mov_b32_e32 v160, v80
	v_mov_b32_e32 v162, v96
	v_mov_b32_e32 v60, v96
	v_mov_b32_e32 v192, v218
	v_mov_b32_e32 v193, v229
	v_mov_b32_e32 v156, v218
	v_mov_b32_e32 v157, v229
	v_mov_b32_e32 v159, v209
	v_mov_b32_e32 v196, v0
	v_mov_b32_e32 v184, v0
	v_mov_b32_e32 v185, v197
	v_mov_b32_e32 v149, v197
	v_mov_b32_e32 v158, v194
	v_mov_b32_e32 v153, v67
	v_mov_b32_e32 v155, v59
	v_mov_b32_e32 v148, v0
	v_cmp_neq_f32_e64 s[2:3], 0, v182
	v_cmp_lt_i32_e32 vcc, 1, v255
	v_mov_b32_e32 v38, v36
	scratch_store_dwordx4 off, v[22:25], off offset:128 ; 16-byte Folded Spill
	s_nop 0
	scratch_store_dwordx4 off, v[26:29], off offset:144 ; 16-byte Folded Spill
	scratch_store_dwordx4 off, v[30:33], off offset:160 ; 16-byte Folded Spill
	;; [unrolled: 1-line block ×7, first 2 shown]
	v_mov_b32_e32 v37, v131
	scratch_store_dwordx4 off, v[22:25], off offset:256 ; 16-byte Folded Spill
	s_nop 0
	scratch_store_dwordx4 off, v[26:29], off offset:272 ; 16-byte Folded Spill
	scratch_store_dwordx4 off, v[30:33], off offset:288 ; 16-byte Folded Spill
	;; [unrolled: 1-line block ×8, first 2 shown]
	s_nop 0
	scratch_store_dwordx4 off, v[120:123], off offset:400 ; 16-byte Folded Spill
	scratch_store_dwordx4 off, v[124:127], off offset:416 ; 16-byte Folded Spill
	;; [unrolled: 1-line block ×7, first 2 shown]
	s_nop 1
	v_mov_b64_e32 v[146:147], v[112:113]
	v_mov_b64_e32 v[128:129], v[94:95]
	;; [unrolled: 1-line block ×16, first 2 shown]
	scratch_store_dwordx4 off, v[98:101], off offset:1288 ; 16-byte Folded Spill
	s_nop 0
	scratch_store_dwordx4 off, v[102:105], off offset:1304 ; 16-byte Folded Spill
	scratch_store_dwordx4 off, v[106:109], off offset:1320 ; 16-byte Folded Spill
	;; [unrolled: 1-line block ×7, first 2 shown]
	v_mov_b64_e32 v[108:109], v[98:99]
	v_mov_b64_e32 v[106:107], v[96:97]
	;; [unrolled: 1-line block ×16, first 2 shown]
	v_mov_b32_e32 v69, v209
	scratch_store_dwordx4 off, v[198:201], off offset:1416 ; 16-byte Folded Spill
	s_nop 0
	scratch_store_dwordx4 off, v[202:205], off offset:1432 ; 16-byte Folded Spill
	scratch_store_dwordx4 off, v[206:209], off offset:1448 ; 16-byte Folded Spill
	scratch_store_dwordx4 off, v[210:213], off offset:1464 ; 16-byte Folded Spill
	scratch_store_dwordx4 off, v[214:217], off offset:1480 ; 16-byte Folded Spill
	scratch_store_dwordx4 off, v[218:221], off offset:1496 ; 16-byte Folded Spill
	scratch_store_dwordx4 off, v[222:225], off offset:1512 ; 16-byte Folded Spill
	scratch_store_dwordx4 off, v[226:229], off offset:1528 ; 16-byte Folded Spill
	v_mov_b32_e32 v68, v194
	scratch_store_dwordx4 off, v[184:187], off offset:1544 ; 16-byte Folded Spill
	s_nop 0
	scratch_store_dwordx4 off, v[188:191], off offset:1560 ; 16-byte Folded Spill
	scratch_store_dwordx4 off, v[192:195], off offset:1576 ; 16-byte Folded Spill
	scratch_store_dwordx4 off, v[196:199], off offset:1592 ; 16-byte Folded Spill
	scratch_store_dwordx4 off, v[200:203], off offset:1608 ; 16-byte Folded Spill
	scratch_store_dwordx4 off, v[204:207], off offset:1624 ; 16-byte Folded Spill
	scratch_store_dwordx4 off, v[208:211], off offset:1640 ; 16-byte Folded Spill
	scratch_store_dwordx4 off, v[212:215], off offset:1656 ; 16-byte Folded Spill
	;; [unrolled: 10-line block ×4, first 2 shown]
	scratch_store_dwordx4 off, v[52:55], off offset:768 ; 16-byte Folded Spill
	s_nop 0
	scratch_store_dwordx4 off, v[56:59], off offset:784 ; 16-byte Folded Spill
	scratch_store_dwordx4 off, v[60:63], off offset:800 ; 16-byte Folded Spill
	;; [unrolled: 1-line block ×7, first 2 shown]
	scratch_load_dwordx4 v[198:201], off, off offset:2184 ; 16-byte Folded Reload
	scratch_load_dwordx4 v[202:205], off, off offset:2200 ; 16-byte Folded Reload
	;; [unrolled: 1-line block ×8, first 2 shown]
	s_waitcnt vmcnt(6)
	v_mov_b32_e32 v38, v198
	v_mov_b32_e32 v44, v204
	;; [unrolled: 1-line block ×8, first 2 shown]
	scratch_store_dwordx4 off, v[38:41], off offset:896 ; 16-byte Folded Spill
	s_nop 0
	scratch_store_dwordx4 off, v[42:45], off offset:912 ; 16-byte Folded Spill
	scratch_store_dwordx4 off, v[46:49], off offset:928 ; 16-byte Folded Spill
	;; [unrolled: 1-line block ×7, first 2 shown]
	v_mov_b32_e32 v53, v67
	scratch_store_dwordx4 off, v[62:65], off offset:1032 ; 16-byte Folded Spill
	s_nop 0
	scratch_store_dwordx4 off, v[66:69], off offset:1048 ; 16-byte Folded Spill
	scratch_store_dwordx4 off, v[70:73], off offset:1064 ; 16-byte Folded Spill
	;; [unrolled: 1-line block ×7, first 2 shown]
	scratch_load_dwordx4 v[198:201], off, off offset:2056 ; 16-byte Folded Reload
	scratch_load_dwordx4 v[202:205], off, off offset:2072 ; 16-byte Folded Reload
	;; [unrolled: 1-line block ×8, first 2 shown]
	s_waitcnt vmcnt(6)
	v_mov_b32_e32 v38, v198
	v_mov_b32_e32 v42, v202
	;; [unrolled: 1-line block ×6, first 2 shown]
	scratch_store_dwordx4 off, v[38:41], off offset:1160 ; 16-byte Folded Spill
	s_nop 0
	scratch_store_dwordx4 off, v[42:45], off offset:1176 ; 16-byte Folded Spill
	scratch_store_dwordx4 off, v[46:49], off offset:1192 ; 16-byte Folded Spill
	;; [unrolled: 1-line block ×7, first 2 shown]
	scratch_load_dwordx4 v[198:201], off, off offset:1928 ; 16-byte Folded Reload
	scratch_load_dwordx4 v[202:205], off, off offset:1944 ; 16-byte Folded Reload
	;; [unrolled: 1-line block ×8, first 2 shown]
	s_waitcnt vmcnt(7)
	v_mov_b64_e32 v[38:39], v[198:199]
	v_mov_b64_e32 v[40:41], v[200:201]
	v_mov_b32_e32 v115, v41
	scratch_store_dwordx4 off, v[38:41], off offset:1672 ; 16-byte Folded Spill
	s_nop 0
	scratch_store_dwordx4 off, v[42:45], off offset:1688 ; 16-byte Folded Spill
	scratch_store_dwordx4 off, v[46:49], off offset:1704 ; 16-byte Folded Spill
	;; [unrolled: 1-line block ×8, first 2 shown]
	s_nop 0
	scratch_store_dwordx4 off, v[116:119], off offset:1816 ; 16-byte Folded Spill
	scratch_store_dwordx4 off, v[120:123], off offset:1832 ; 16-byte Folded Spill
	;; [unrolled: 1-line block ×7, first 2 shown]
	s_and_saveexec_b64 s[18:19], vcc
	s_cbranch_execz .LBB38_31
; %bb.30:
	scratch_load_dwordx4 v[2:5], off, off offset:256 ; 16-byte Folded Reload
	scratch_load_dwordx4 v[6:9], off, off offset:272 ; 16-byte Folded Reload
	;; [unrolled: 1-line block ×8, first 2 shown]
	v_div_scale_f32 v1, s[20:21], v182, v182, 1.0
	v_mov_b32_e32 v52, v56
	v_mov_b32_e32 v184, v54
	;; [unrolled: 1-line block ×10, first 2 shown]
	s_waitcnt vmcnt(4)
	v_mov_b32_e32 v59, v17
	scratch_load_dwordx4 v[2:5], off, off offset:128 ; 16-byte Folded Reload
	scratch_load_dwordx4 v[6:9], off, off offset:144 ; 16-byte Folded Reload
	;; [unrolled: 1-line block ×8, first 2 shown]
	s_waitcnt vmcnt(3)
	v_mov_b32_e32 v62, v18
	scratch_load_dwordx4 v[2:5], off, off   ; 16-byte Folded Reload
	scratch_load_dwordx4 v[6:9], off, off offset:16 ; 16-byte Folded Reload
	scratch_load_dwordx4 v[10:13], off, off offset:32 ; 16-byte Folded Reload
	;; [unrolled: 1-line block ×7, first 2 shown]
	s_waitcnt vmcnt(7)
	v_rcp_f32_e32 v2, v1
	s_waitcnt vmcnt(3)
	v_mov_b32_e32 v63, v19
	v_fma_f32 v3, -v1, v2, 1.0
	v_fmac_f32_e32 v2, v3, v2
	v_div_scale_f32 v3, vcc, 1.0, v182, 1.0
	v_mul_f32_e32 v4, v3, v2
	v_fma_f32 v5, -v1, v4, v3
	v_fmac_f32_e32 v4, v5, v2
	v_fma_f32 v1, -v1, v4, v3
	v_div_fmas_f32 v1, v1, v2, v4
	ds_read2_b32 v[2:3], v254 offset0:2 offset1:3
	ds_read2_b32 v[4:5], v254 offset0:4 offset1:5
	;; [unrolled: 1-line block ×4, first 2 shown]
	v_div_fixup_f32 v1, v1, v182, 1.0
	v_cndmask_b32_e64 v1, v182, v1, s[2:3]
	v_mul_f32_e32 v18, v197, v1
	s_waitcnt lgkmcnt(3)
	v_pk_fma_f32 v[114:115], v[18:19], v[2:3], v[114:115] op_sel_hi:[0,1,1] neg_lo:[1,0,0] neg_hi:[1,0,0]
	s_waitcnt lgkmcnt(2)
	v_pk_fma_f32 v[52:53], v[18:19], v[4:5], v[52:53] op_sel_hi:[0,1,1] neg_lo:[1,0,0] neg_hi:[1,0,0]
	;; [unrolled: 2-line block ×4, first 2 shown]
	ds_read2_b32 v[2:3], v254 offset0:10 offset1:11
	ds_read2_b32 v[4:5], v254 offset0:12 offset1:13
	ds_read2_b32 v[6:7], v254 offset0:14 offset1:15
	ds_read2_b32 v[8:9], v254 offset0:16 offset1:17
	v_mov_b32_e32 v1, v18
	s_waitcnt lgkmcnt(3)
	v_pk_fma_f32 v[194:195], v[18:19], v[2:3], v[194:195] op_sel_hi:[0,1,1] neg_lo:[1,0,0] neg_hi:[1,0,0]
	ds_read2_b32 v[2:3], v254 offset0:18 offset1:19
	s_waitcnt lgkmcnt(3)
	v_pk_fma_f32 v[110:111], v[18:19], v[4:5], v[110:111] op_sel_hi:[0,1,1] neg_lo:[1,0,0] neg_hi:[1,0,0]
	s_waitcnt vmcnt(0) lgkmcnt(0)
	v_mov_b64_e32 v[226:227], v[30:31]
	v_mov_b64_e32 v[224:225], v[28:29]
	;; [unrolled: 1-line block ×3, first 2 shown]
	v_pk_fma_f32 v[250:251], v[18:19], v[2:3], v[250:251] op_sel_hi:[0,1,1] neg_lo:[1,0,0] neg_hi:[1,0,0]
	v_mov_b64_e32 v[220:221], v[24:25]
	v_mov_b64_e32 v[218:219], v[22:23]
	;; [unrolled: 1-line block ×13, first 2 shown]
	v_mov_b32_e32 v2, v114
	v_pk_fma_f32 v[58:59], v[18:19], v[6:7], v[58:59] op_sel_hi:[0,1,1] neg_lo:[1,0,0] neg_hi:[1,0,0]
	v_pk_fma_f32 v[62:63], v[18:19], v[8:9], v[62:63] op_sel_hi:[0,1,1] neg_lo:[1,0,0] neg_hi:[1,0,0]
	scratch_store_dwordx4 off, v[0:3], off offset:1800 ; 16-byte Folded Spill
	s_nop 0
	scratch_store_dwordx4 off, v[4:7], off offset:1816 ; 16-byte Folded Spill
	scratch_store_dwordx4 off, v[8:11], off offset:1832 ; 16-byte Folded Spill
	;; [unrolled: 1-line block ×7, first 2 shown]
	v_mov_b32_e32 v3, v115
	v_mov_b32_e32 v56, v52
	;; [unrolled: 1-line block ×10, first 2 shown]
	scratch_store_dwordx4 off, v[0:3], off offset:1672 ; 16-byte Folded Spill
	s_nop 0
	scratch_store_dwordx4 off, v[4:7], off offset:1688 ; 16-byte Folded Spill
	scratch_store_dwordx4 off, v[8:11], off offset:1704 ; 16-byte Folded Spill
	scratch_store_dwordx4 off, v[12:15], off offset:1720 ; 16-byte Folded Spill
	scratch_store_dwordx4 off, v[16:19], off offset:1736 ; 16-byte Folded Spill
	scratch_store_dwordx4 off, v[20:23], off offset:1752 ; 16-byte Folded Spill
	scratch_store_dwordx4 off, v[24:27], off offset:1768 ; 16-byte Folded Spill
	scratch_store_dwordx4 off, v[28:31], off offset:1784 ; 16-byte Folded Spill
	v_mov_b32_e32 v4, v52
	scratch_store_dwordx4 off, v[0:3], off offset:1160 ; 16-byte Folded Spill
	s_nop 0
	scratch_store_dwordx4 off, v[4:7], off offset:1176 ; 16-byte Folded Spill
	scratch_store_dwordx4 off, v[8:11], off offset:1192 ; 16-byte Folded Spill
	scratch_store_dwordx4 off, v[12:15], off offset:1208 ; 16-byte Folded Spill
	scratch_store_dwordx4 off, v[16:19], off offset:1224 ; 16-byte Folded Spill
	scratch_store_dwordx4 off, v[20:23], off offset:1240 ; 16-byte Folded Spill
	scratch_store_dwordx4 off, v[24:27], off offset:1256 ; 16-byte Folded Spill
	scratch_store_dwordx4 off, v[28:31], off offset:1272 ; 16-byte Folded Spill
	v_mov_b32_e32 v5, v53
	;; [unrolled: 10-line block ×9, first 2 shown]
	v_mov_b64_e32 v[108:109], v[30:31]
	v_mov_b64_e32 v[106:107], v[28:29]
	;; [unrolled: 1-line block ×16, first 2 shown]
	v_mov_b32_e32 v13, v111
	scratch_store_dwordx4 off, v[0:3], off offset:1288 ; 16-byte Folded Spill
	s_nop 0
	scratch_store_dwordx4 off, v[4:7], off offset:1304 ; 16-byte Folded Spill
	scratch_store_dwordx4 off, v[8:11], off offset:1320 ; 16-byte Folded Spill
	;; [unrolled: 1-line block ×7, first 2 shown]
	v_mov_b32_e32 v14, v58
	v_mov_b32_e32 v100, v180
	v_mov_b64_e32 v[146:147], v[30:31]
	v_mov_b64_e32 v[144:145], v[28:29]
	;; [unrolled: 1-line block ×16, first 2 shown]
	v_mov_b32_e32 v15, v59
	scratch_store_dwordx4 off, v[0:3], off offset:384 ; 16-byte Folded Spill
	s_nop 0
	scratch_store_dwordx4 off, v[4:7], off offset:400 ; 16-byte Folded Spill
	scratch_store_dwordx4 off, v[8:11], off offset:416 ; 16-byte Folded Spill
	;; [unrolled: 1-line block ×7, first 2 shown]
	v_mov_b32_e32 v16, v62
	v_mov_b64_e32 v[50:51], v[30:31]
	v_mov_b64_e32 v[48:49], v[28:29]
	;; [unrolled: 1-line block ×16, first 2 shown]
	v_mov_b32_e32 v17, v63
	v_mov_b64_e32 v[178:179], v[30:31]
	v_mov_b32_e32 v37, v59
	v_mov_b64_e32 v[176:177], v[28:29]
	v_mov_b64_e32 v[174:175], v[26:27]
	;; [unrolled: 1-line block ×15, first 2 shown]
	scratch_store_dwordx4 off, v[22:25], off offset:256 ; 16-byte Folded Spill
	s_nop 0
	scratch_store_dwordx4 off, v[26:29], off offset:272 ; 16-byte Folded Spill
	scratch_store_dwordx4 off, v[30:33], off offset:288 ; 16-byte Folded Spill
	scratch_store_dwordx4 off, v[34:37], off offset:304 ; 16-byte Folded Spill
	scratch_store_dwordx4 off, v[38:41], off offset:320 ; 16-byte Folded Spill
	scratch_store_dwordx4 off, v[42:45], off offset:336 ; 16-byte Folded Spill
	scratch_store_dwordx4 off, v[46:49], off offset:352 ; 16-byte Folded Spill
	scratch_store_dwordx4 off, v[50:53], off offset:368 ; 16-byte Folded Spill
	v_mov_b32_e32 v38, v62
	scratch_store_dwordx4 off, v[22:25], off offset:128 ; 16-byte Folded Spill
	s_nop 0
	scratch_store_dwordx4 off, v[26:29], off offset:144 ; 16-byte Folded Spill
	scratch_store_dwordx4 off, v[30:33], off offset:160 ; 16-byte Folded Spill
	;; [unrolled: 1-line block ×7, first 2 shown]
	v_mov_b32_e32 v18, v250
	v_mov_b32_e32 v19, v251
	;; [unrolled: 1-line block ×3, first 2 shown]
	scratch_store_dwordx4 off, v[20:23], off ; 16-byte Folded Spill
	s_nop 0
	scratch_store_dwordx4 off, v[24:27], off offset:16 ; 16-byte Folded Spill
	scratch_store_dwordx4 off, v[28:31], off offset:32 ; 16-byte Folded Spill
	;; [unrolled: 1-line block ×7, first 2 shown]
.LBB38_31:
	s_or_b64 exec, exec, s[18:19]
	v_lshl_add_u32 v37, v255, 2, v254
	s_waitcnt vmcnt(63) expcnt(7) lgkmcnt(15)
	s_barrier
	ds_write_b32 v37, v114
	s_waitcnt lgkmcnt(0)
	s_barrier
	ds_read_b32 v37, v254 offset:8
	s_cmp_lt_i32 s22, 4
	v_mov_b32_e32 v38, 2
	s_cbranch_scc1 .LBB38_34
; %bb.32:
	v_mov_b32_e32 v38, 2
	v_add3_u32 v39, v248, 0, 12
	s_mov_b32 s18, 3
.LBB38_33:                              ; =>This Inner Loop Header: Depth=1
	ds_read_b32 v40, v39
	v_mov_b32_e32 v41, s18
	s_add_i32 s18, s18, 1
	v_add_u32_e32 v39, 4, v39
	s_cmp_lg_u32 s22, s18
	s_waitcnt lgkmcnt(0)
	v_cmp_lt_f32_e64 vcc, |v37|, |v40|
	s_nop 1
	v_cndmask_b32_e32 v37, v37, v40, vcc
	v_cndmask_b32_e32 v38, v38, v41, vcc
	s_cbranch_scc1 .LBB38_33
.LBB38_34:
	v_cndmask_b32_e64 v39, 2, 1, s[0:1]
	v_cndmask_b32_e64 v40, 0, 1, s[0:1]
	;; [unrolled: 1-line block ×3, first 2 shown]
	s_waitcnt lgkmcnt(0)
	v_cmp_eq_f32_e32 vcc, 0, v37
	s_and_saveexec_b64 s[0:1], vcc
	s_xor_b64 s[0:1], exec, s[0:1]
; %bb.35:
	v_cmp_ne_u32_e32 vcc, 0, v250
	s_nop 1
	v_cndmask_b32_e32 v250, 3, v250, vcc
; %bb.36:
	s_andn2_saveexec_b64 s[0:1], s[0:1]
	s_cbranch_execz .LBB38_38
; %bb.37:
	v_div_scale_f32 v39, s[2:3], v37, v37, 1.0
	v_rcp_f32_e32 v40, v39
	v_div_scale_f32 v41, vcc, 1.0, v37, 1.0
	v_fma_f32 v42, -v39, v40, 1.0
	v_fmac_f32_e32 v40, v42, v40
	v_mul_f32_e32 v42, v41, v40
	v_fma_f32 v43, -v39, v42, v41
	v_fmac_f32_e32 v42, v43, v40
	v_fma_f32 v39, -v39, v42, v41
	v_div_fmas_f32 v39, v39, v40, v42
	v_div_fixup_f32 v37, v39, v37, 1.0
.LBB38_38:
	s_or_b64 exec, exec, s[0:1]
	v_cmp_ne_u32_e32 vcc, v255, v38
	s_and_saveexec_b64 s[0:1], vcc
	s_xor_b64 s[0:1], exec, s[0:1]
	s_cbranch_execz .LBB38_44
; %bb.39:
	v_cmp_eq_u32_e32 vcc, 2, v255
	s_and_saveexec_b64 s[2:3], vcc
	s_cbranch_execz .LBB38_43
; %bb.40:
	v_cmp_ne_u32_e32 vcc, 2, v38
	s_xor_b64 s[18:19], s[16:17], -1
	s_and_b64 s[20:21], s[18:19], vcc
	s_and_saveexec_b64 s[18:19], s[20:21]
	s_cbranch_execz .LBB38_42
; %bb.41:
	scratch_load_dwordx2 v[44:45], off, off offset:1024 ; 8-byte Folded Reload
	v_ashrrev_i32_e32 v39, 31, v38
	s_waitcnt vmcnt(0)
	v_lshl_add_u64 v[40:41], v[38:39], 2, v[44:45]
	global_load_dword v39, v[40:41], off
	global_load_dword v42, v[44:45], off offset:8
	s_waitcnt vmcnt(1)
	global_store_dword v[44:45], v39, off offset:8
	s_waitcnt vmcnt(1)
	global_store_dword v[40:41], v42, off
.LBB38_42:
	s_or_b64 exec, exec, s[18:19]
	v_mov_b32_e32 v249, v38
	v_mov_b32_e32 v255, v38
.LBB38_43:
	s_or_b64 exec, exec, s[2:3]
.LBB38_44:
	s_andn2_saveexec_b64 s[0:1], s[0:1]
	s_cbranch_execz .LBB38_46
; %bb.45:
	v_mov_b32_e32 v255, 2
	ds_write2_b32 v254, v3, v4 offset0:3 offset1:4
	ds_write2_b32 v254, v5, v6 offset0:5 offset1:6
	;; [unrolled: 1-line block ×8, first 2 shown]
	ds_write_b32 v254, v251 offset:76
.LBB38_46:
	s_or_b64 exec, exec, s[0:1]
	v_cmp_lt_i32_e32 vcc, 2, v255
	s_waitcnt lgkmcnt(0)
	s_barrier
	s_and_saveexec_b64 s[0:1], vcc
	s_cbranch_execz .LBB38_48
; %bb.47:
	ds_read2_b32 v[0:1], v254 offset0:3 offset1:4
	ds_read2_b32 v[20:21], v254 offset0:5 offset1:6
	;; [unrolled: 1-line block ×4, first 2 shown]
	v_mul_f32_e32 v198, v114, v37
	v_mov_b32_e32 v2, v3
	v_mov_b32_e32 v3, v4
	s_waitcnt lgkmcnt(3)
	v_pk_fma_f32 v[38:39], v[198:199], v[0:1], v[2:3] op_sel_hi:[0,1,1] neg_lo:[1,0,0] neg_hi:[1,0,0]
	v_mov_b32_e32 v0, v5
	v_mov_b32_e32 v1, v6
	s_waitcnt lgkmcnt(2)
	v_pk_fma_f32 v[40:41], v[198:199], v[20:21], v[0:1] op_sel_hi:[0,1,1] neg_lo:[1,0,0] neg_hi:[1,0,0]
	;; [unrolled: 4-line block ×4, first 2 shown]
	ds_read2_b32 v[0:1], v254 offset0:11 offset1:12
	ds_read2_b32 v[4:5], v254 offset0:13 offset1:14
	;; [unrolled: 1-line block ×4, first 2 shown]
	v_mov_b32_e32 v2, v11
	v_mov_b32_e32 v3, v12
	;; [unrolled: 1-line block ×3, first 2 shown]
	s_waitcnt lgkmcnt(3)
	v_pk_fma_f32 v[46:47], v[198:199], v[0:1], v[2:3] op_sel_hi:[0,1,1] neg_lo:[1,0,0] neg_hi:[1,0,0]
	v_mov_b32_e32 v0, v13
	v_mov_b32_e32 v1, v14
	s_waitcnt lgkmcnt(2)
	v_pk_fma_f32 v[48:49], v[198:199], v[4:5], v[0:1] op_sel_hi:[0,1,1] neg_lo:[1,0,0] neg_hi:[1,0,0]
	v_mov_b32_e32 v0, v15
	v_mov_b32_e32 v1, v16
	;; [unrolled: 4-line block ×4, first 2 shown]
	v_mov_b32_e32 v2, v198
	v_mov_b32_e32 v3, v38
	;; [unrolled: 1-line block ×3, first 2 shown]
	scratch_store_dwordx4 off, v[0:3], off offset:1160 ; 16-byte Folded Spill
	s_nop 0
	scratch_store_dwordx4 off, v[4:7], off offset:1176 ; 16-byte Folded Spill
	scratch_store_dwordx4 off, v[8:11], off offset:1192 ; 16-byte Folded Spill
	;; [unrolled: 1-line block ×7, first 2 shown]
	v_mov_b32_e32 v5, v40
	v_mov_b32_e32 v199, v38
	;; [unrolled: 1-line block ×54, first 2 shown]
	scratch_store_dwordx4 off, v[0:3], off offset:1032 ; 16-byte Folded Spill
	s_nop 0
	scratch_store_dwordx4 off, v[4:7], off offset:1048 ; 16-byte Folded Spill
	scratch_store_dwordx4 off, v[8:11], off offset:1064 ; 16-byte Folded Spill
	;; [unrolled: 1-line block ×7, first 2 shown]
	v_mov_b32_e32 v6, v41
	v_mov_b32_e32 v56, v39
	;; [unrolled: 1-line block ×12, first 2 shown]
	scratch_store_dwordx4 off, v[0:3], off offset:896 ; 16-byte Folded Spill
	s_nop 0
	scratch_store_dwordx4 off, v[4:7], off offset:912 ; 16-byte Folded Spill
	scratch_store_dwordx4 off, v[8:11], off offset:928 ; 16-byte Folded Spill
	scratch_store_dwordx4 off, v[12:15], off offset:944 ; 16-byte Folded Spill
	scratch_store_dwordx4 off, v[16:19], off offset:960 ; 16-byte Folded Spill
	scratch_store_dwordx4 off, v[20:23], off offset:976 ; 16-byte Folded Spill
	scratch_store_dwordx4 off, v[24:27], off offset:992 ; 16-byte Folded Spill
	scratch_store_dwordx4 off, v[28:31], off offset:1008 ; 16-byte Folded Spill
	v_mov_b32_e32 v7, v42
	scratch_store_dwordx4 off, v[0:3], off offset:768 ; 16-byte Folded Spill
	s_nop 0
	scratch_store_dwordx4 off, v[4:7], off offset:784 ; 16-byte Folded Spill
	scratch_store_dwordx4 off, v[8:11], off offset:800 ; 16-byte Folded Spill
	scratch_store_dwordx4 off, v[12:15], off offset:816 ; 16-byte Folded Spill
	scratch_store_dwordx4 off, v[16:19], off offset:832 ; 16-byte Folded Spill
	scratch_store_dwordx4 off, v[20:23], off offset:848 ; 16-byte Folded Spill
	scratch_store_dwordx4 off, v[24:27], off offset:864 ; 16-byte Folded Spill
	scratch_store_dwordx4 off, v[28:31], off offset:880 ; 16-byte Folded Spill
	v_mov_b32_e32 v8, v43
	;; [unrolled: 10-line block ×6, first 2 shown]
	v_mov_b32_e32 v13, v48
	scratch_store_dwordx4 off, v[0:3], off offset:1288 ; 16-byte Folded Spill
	s_nop 0
	scratch_store_dwordx4 off, v[4:7], off offset:1304 ; 16-byte Folded Spill
	scratch_store_dwordx4 off, v[8:11], off offset:1320 ; 16-byte Folded Spill
	;; [unrolled: 1-line block ×7, first 2 shown]
	v_mov_b32_e32 v14, v49
	v_mov_b32_e32 v15, v50
	scratch_store_dwordx4 off, v[0:3], off offset:384 ; 16-byte Folded Spill
	s_nop 0
	scratch_store_dwordx4 off, v[4:7], off offset:400 ; 16-byte Folded Spill
	scratch_store_dwordx4 off, v[8:11], off offset:416 ; 16-byte Folded Spill
	;; [unrolled: 1-line block ×7, first 2 shown]
	ds_read_b32 v0, v254 offset:76
	v_mov_b32_e32 v22, v198
	v_mov_b32_e32 v23, v38
	;; [unrolled: 1-line block ×12, first 2 shown]
	s_waitcnt lgkmcnt(0)
	v_fma_f32 v19, -v198, v0, v251
	v_mov_b32_e32 v0, v196
	v_mov_b32_e32 v16, v51
	scratch_store_dwordx4 off, v[196:199], off offset:1672 ; 16-byte Folded Spill
	s_waitcnt vmcnt(62)
	scratch_store_dwordx4 off, v[200:203], off offset:1688 ; 16-byte Folded Spill
	scratch_store_dwordx4 off, v[204:207], off offset:1704 ; 16-byte Folded Spill
	;; [unrolled: 1-line block ×8, first 2 shown]
	s_nop 0
	scratch_store_dwordx4 off, v[200:203], off offset:1816 ; 16-byte Folded Spill
	scratch_store_dwordx4 off, v[204:207], off offset:1832 ; 16-byte Folded Spill
	;; [unrolled: 1-line block ×8, first 2 shown]
	s_nop 0
	scratch_store_dwordx4 off, v[26:29], off offset:272 ; 16-byte Folded Spill
	scratch_store_dwordx4 off, v[30:33], off offset:288 ; 16-byte Folded Spill
	;; [unrolled: 1-line block ×7, first 2 shown]
	v_mov_b32_e32 v17, v252
	v_mov_b32_e32 v18, v253
	;; [unrolled: 1-line block ×4, first 2 shown]
	scratch_store_dwordx4 off, v[22:25], off offset:128 ; 16-byte Folded Spill
	s_nop 0
	scratch_store_dwordx4 off, v[26:29], off offset:144 ; 16-byte Folded Spill
	scratch_store_dwordx4 off, v[30:33], off offset:160 ; 16-byte Folded Spill
	;; [unrolled: 1-line block ×7, first 2 shown]
	v_mov_b32_e32 v37, v252
	scratch_store_dwordx4 off, v[20:23], off ; 16-byte Folded Spill
	s_nop 0
	scratch_store_dwordx4 off, v[24:27], off offset:16 ; 16-byte Folded Spill
	scratch_store_dwordx4 off, v[28:31], off offset:32 ; 16-byte Folded Spill
	;; [unrolled: 1-line block ×7, first 2 shown]
.LBB38_48:
	s_or_b64 exec, exec, s[0:1]
	v_lshl_add_u32 v37, v255, 2, v254
	s_waitcnt vmcnt(63) expcnt(7) lgkmcnt(15)
	s_barrier
	ds_write_b32 v37, v115
	s_waitcnt lgkmcnt(0)
	s_barrier
	ds_read_b32 v37, v254 offset:12
	s_cmp_lt_i32 s22, 5
	v_mov_b32_e32 v38, 3
	s_cbranch_scc1 .LBB38_51
; %bb.49:
	scratch_load_dwordx4 v[166:169], off, off offset:1288 ; 16-byte Folded Reload
	scratch_load_dwordx4 v[170:173], off, off offset:1304 ; 16-byte Folded Reload
	;; [unrolled: 1-line block ×8, first 2 shown]
	v_add3_u32 v39, v248, 0, 16
	v_mov_b32_e32 v38, 3
	s_mov_b32 s0, 4
.LBB38_50:                              ; =>This Inner Loop Header: Depth=1
	ds_read_b32 v40, v39
	v_mov_b32_e32 v41, s0
	s_add_i32 s0, s0, 1
	v_add_u32_e32 v39, 4, v39
	s_cmp_lg_u32 s22, s0
	s_waitcnt lgkmcnt(0)
	v_cmp_lt_f32_e64 vcc, |v37|, |v40|
	s_nop 1
	v_cndmask_b32_e32 v37, v37, v40, vcc
	v_cndmask_b32_e32 v38, v38, v41, vcc
	s_cbranch_scc1 .LBB38_50
	s_branch .LBB38_52
.LBB38_51:
	scratch_load_dwordx4 v[166:169], off, off offset:1288 ; 16-byte Folded Reload
	scratch_load_dwordx4 v[170:173], off, off offset:1304 ; 16-byte Folded Reload
	;; [unrolled: 1-line block ×8, first 2 shown]
.LBB38_52:
	scratch_load_dwordx4 v[180:183], off, off offset:1416 ; 16-byte Folded Reload
	scratch_load_dwordx4 v[184:187], off, off offset:1432 ; 16-byte Folded Reload
	;; [unrolled: 1-line block ×16, first 2 shown]
	s_waitcnt lgkmcnt(0)
	v_cmp_eq_f32_e32 vcc, 0, v37
	s_and_saveexec_b64 s[0:1], vcc
	s_xor_b64 s[0:1], exec, s[0:1]
; %bb.53:
	v_cmp_ne_u32_e32 vcc, 0, v250
	s_nop 1
	v_cndmask_b32_e32 v250, 4, v250, vcc
; %bb.54:
	s_andn2_saveexec_b64 s[0:1], s[0:1]
	s_cbranch_execz .LBB38_56
; %bb.55:
	v_div_scale_f32 v39, s[2:3], v37, v37, 1.0
	v_rcp_f32_e32 v40, v39
	v_div_scale_f32 v41, vcc, 1.0, v37, 1.0
	v_fma_f32 v42, -v39, v40, 1.0
	v_fmac_f32_e32 v40, v42, v40
	v_mul_f32_e32 v42, v41, v40
	v_fma_f32 v43, -v39, v42, v41
	v_fmac_f32_e32 v42, v43, v40
	v_fma_f32 v39, -v39, v42, v41
	v_div_fmas_f32 v39, v39, v40, v42
	v_div_fixup_f32 v37, v39, v37, 1.0
.LBB38_56:
	s_or_b64 exec, exec, s[0:1]
	v_cmp_ne_u32_e32 vcc, v255, v38
	s_and_saveexec_b64 s[0:1], vcc
	s_xor_b64 s[0:1], exec, s[0:1]
	s_cbranch_execz .LBB38_62
; %bb.57:
	v_cmp_eq_u32_e32 vcc, 3, v255
	s_and_saveexec_b64 s[2:3], vcc
	s_cbranch_execz .LBB38_61
; %bb.58:
	v_cmp_ne_u32_e32 vcc, 3, v38
	s_xor_b64 s[18:19], s[16:17], -1
	s_and_b64 s[20:21], s[18:19], vcc
	s_and_saveexec_b64 s[18:19], s[20:21]
	s_cbranch_execz .LBB38_60
; %bb.59:
	scratch_load_dwordx2 v[44:45], off, off offset:1024 ; 8-byte Folded Reload
	v_ashrrev_i32_e32 v39, 31, v38
	s_waitcnt vmcnt(0)
	v_lshl_add_u64 v[40:41], v[38:39], 2, v[44:45]
	global_load_dword v39, v[40:41], off
	global_load_dword v42, v[44:45], off offset:12
	s_waitcnt vmcnt(1)
	global_store_dword v[44:45], v39, off offset:12
	s_waitcnt vmcnt(1)
	global_store_dword v[40:41], v42, off
.LBB38_60:
	s_or_b64 exec, exec, s[18:19]
	v_mov_b32_e32 v249, v38
	v_mov_b32_e32 v255, v38
.LBB38_61:
	s_or_b64 exec, exec, s[2:3]
.LBB38_62:
	s_andn2_saveexec_b64 s[0:1], s[0:1]
	s_cbranch_execz .LBB38_64
; %bb.63:
	v_mov_b32_e32 v255, 3
	ds_write2_b32 v254, v4, v5 offset0:4 offset1:5
	ds_write2_b32 v254, v6, v7 offset0:6 offset1:7
	;; [unrolled: 1-line block ×8, first 2 shown]
.LBB38_64:
	s_or_b64 exec, exec, s[0:1]
	v_cmp_lt_i32_e32 vcc, 3, v255
	s_waitcnt lgkmcnt(0)
	s_barrier
	s_and_saveexec_b64 s[0:1], vcc
	s_cbranch_execz .LBB38_66
; %bb.65:
	v_mul_f32_e32 v0, v115, v37
	ds_read2_b32 v[2:3], v254 offset0:4 offset1:5
	ds_read2_b32 v[20:21], v254 offset0:6 offset1:7
	;; [unrolled: 1-line block ×5, first 2 shown]
	s_waitcnt lgkmcnt(4)
	v_pk_fma_f32 v[52:53], v[0:1], v[2:3], v[4:5] op_sel_hi:[0,1,1] neg_lo:[1,0,0] neg_hi:[1,0,0]
	ds_read2_b32 v[2:3], v254 offset0:16 offset1:17
	scratch_load_dwordx4 v[76:79], off, off offset:1800 ; 16-byte Folded Reload
	scratch_load_dwordx4 v[80:83], off, off offset:1816 ; 16-byte Folded Reload
	;; [unrolled: 1-line block ×8, first 2 shown]
	s_waitcnt lgkmcnt(4)
	v_pk_fma_f32 v[74:75], v[0:1], v[20:21], v[6:7] op_sel_hi:[0,1,1] neg_lo:[1,0,0] neg_hi:[1,0,0]
	s_waitcnt lgkmcnt(3)
	v_pk_fma_f32 v[46:47], v[0:1], v[22:23], v[8:9] op_sel_hi:[0,1,1] neg_lo:[1,0,0] neg_hi:[1,0,0]
	;; [unrolled: 2-line block ×3, first 2 shown]
	v_mov_b32_e32 v7, v0
	v_mov_b32_e32 v8, v52
	v_mov_b32_e32 v9, v53
	v_mov_b32_e32 v57, v0
	v_mov_b32_e32 v51, v0
	v_mov_b32_e32 v72, v52
	v_mov_b32_e32 v73, v53
	v_mov_b32_e32 v71, v0
	s_waitcnt vmcnt(6)
	v_mov_b32_e32 v81, v0
	s_waitcnt vmcnt(5)
	v_mov_b32_e32 v84, v74
	v_mov_b32_e32 v85, v75
	;; [unrolled: 1-line block ×23, first 2 shown]
	scratch_store_dwordx4 off, v[4:7], off offset:1032 ; 16-byte Folded Spill
	s_nop 0
	scratch_store_dwordx4 off, v[8:11], off offset:1048 ; 16-byte Folded Spill
	scratch_store_dwordx4 off, v[12:15], off offset:1064 ; 16-byte Folded Spill
	;; [unrolled: 1-line block ×4, first 2 shown]
	s_waitcnt lgkmcnt(1)
	scratch_store_dwordx4 off, v[24:27], off offset:1112 ; 16-byte Folded Spill
	scratch_store_dwordx4 off, v[28:31], off offset:1128 ; 16-byte Folded Spill
	;; [unrolled: 1-line block ×3, first 2 shown]
	v_mov_b32_e32 v48, v54
	v_mov_b32_e32 v49, v55
	;; [unrolled: 1-line block ×14, first 2 shown]
	scratch_store_dwordx4 off, v[28:31], off offset:768 ; 16-byte Folded Spill
	s_nop 0
	scratch_store_dwordx4 off, v[32:35], off offset:784 ; 16-byte Folded Spill
	scratch_store_dwordx4 off, v[36:39], off offset:800 ; 16-byte Folded Spill
	;; [unrolled: 1-line block ×7, first 2 shown]
	v_mov_b32_e32 v41, v0
	v_mov_b32_e32 v44, v74
	;; [unrolled: 1-line block ×4, first 2 shown]
	v_pk_fma_f32 v[222:223], v[0:1], v[26:27], v[10:11] op_sel_hi:[0,1,1] neg_lo:[1,0,0] neg_hi:[1,0,0]
	v_mov_b32_e32 v26, v74
	v_mov_b32_e32 v27, v75
	s_waitcnt vmcnt(20)
	v_mov_b32_e32 v88, v222
	v_mov_b32_e32 v89, v223
	;; [unrolled: 1-line block ×19, first 2 shown]
	scratch_store_dwordx4 off, v[28:31], off offset:512 ; 16-byte Folded Spill
	s_nop 0
	scratch_store_dwordx4 off, v[32:35], off offset:528 ; 16-byte Folded Spill
	scratch_store_dwordx4 off, v[36:39], off offset:544 ; 16-byte Folded Spill
	;; [unrolled: 1-line block ×7, first 2 shown]
	ds_read2_b32 v[4:5], v254 offset0:12 offset1:13
	ds_read2_b32 v[6:7], v254 offset0:14 offset1:15
	v_mov_b32_e32 v30, v222
	v_mov_b32_e32 v31, v223
	;; [unrolled: 1-line block ×3, first 2 shown]
	s_waitcnt lgkmcnt(1)
	v_pk_fma_f32 v[90:91], v[0:1], v[4:5], v[12:13] op_sel_hi:[0,1,1] neg_lo:[1,0,0] neg_hi:[1,0,0]
	s_waitcnt lgkmcnt(0)
	v_pk_fma_f32 v[130:131], v[0:1], v[6:7], v[14:15] op_sel_hi:[0,1,1] neg_lo:[1,0,0] neg_hi:[1,0,0]
	v_mov_b32_e32 v32, v90
	v_mov_b32_e32 v33, v91
	;; [unrolled: 1-line block ×41, first 2 shown]
	scratch_store_dwordx4 off, v[20:23], off offset:384 ; 16-byte Folded Spill
	s_nop 0
	scratch_store_dwordx4 off, v[24:27], off offset:400 ; 16-byte Folded Spill
	scratch_store_dwordx4 off, v[28:31], off offset:416 ; 16-byte Folded Spill
	;; [unrolled: 1-line block ×7, first 2 shown]
	v_mov_b32_e32 v212, v54
	v_mov_b32_e32 v213, v55
	;; [unrolled: 1-line block ×12, first 2 shown]
	v_pk_fma_f32 v[36:37], v[0:1], v[2:3], v[16:17] op_sel_hi:[0,1,1] neg_lo:[1,0,0] neg_hi:[1,0,0]
	v_mov_b32_e32 v3, v0
	v_mov_b32_e32 v148, v54
	;; [unrolled: 1-line block ×7, first 2 shown]
	scratch_store_dwordx4 off, v[54:57], off offset:1672 ; 16-byte Folded Spill
	s_nop 0
	scratch_store_dwordx4 off, v[58:61], off offset:1688 ; 16-byte Folded Spill
	scratch_store_dwordx4 off, v[62:65], off offset:1704 ; 16-byte Folded Spill
	;; [unrolled: 1-line block ×7, first 2 shown]
	v_mov_b32_e32 v56, v52
	v_mov_b32_e32 v216, v52
	;; [unrolled: 1-line block ×13, first 2 shown]
	scratch_store_dwordx4 off, v[48:51], off offset:1160 ; 16-byte Folded Spill
	s_nop 0
	scratch_store_dwordx4 off, v[52:55], off offset:1176 ; 16-byte Folded Spill
	scratch_store_dwordx4 off, v[56:59], off offset:1192 ; 16-byte Folded Spill
	;; [unrolled: 1-line block ×7, first 2 shown]
	v_mov_b32_e32 v156, v46
	v_mov_b32_e32 v157, v47
	;; [unrolled: 1-line block ×4, first 2 shown]
	s_waitcnt vmcnt(49)
	v_mov_b32_e32 v100, v46
	v_mov_b32_e32 v164, v36
	;; [unrolled: 1-line block ×6, first 2 shown]
	scratch_store_dwordx4 off, v[68:71], off offset:896 ; 16-byte Folded Spill
	s_nop 0
	scratch_store_dwordx4 off, v[72:75], off offset:912 ; 16-byte Folded Spill
	scratch_store_dwordx4 off, v[76:79], off offset:928 ; 16-byte Folded Spill
	;; [unrolled: 1-line block ×8, first 2 shown]
	s_nop 0
	scratch_store_dwordx4 off, v[42:45], off offset:656 ; 16-byte Folded Spill
	scratch_store_dwordx4 off, v[46:49], off offset:672 ; 16-byte Folded Spill
	;; [unrolled: 1-line block ×7, first 2 shown]
	s_nop 1
	v_mov_b32_e32 v68, v222
	v_mov_b32_e32 v69, v223
	;; [unrolled: 1-line block ×6, first 2 shown]
	scratch_store_dwordx4 off, v[116:119], off offset:256 ; 16-byte Folded Spill
	s_nop 0
	scratch_store_dwordx4 off, v[120:123], off offset:272 ; 16-byte Folded Spill
	scratch_store_dwordx4 off, v[124:127], off offset:288 ; 16-byte Folded Spill
	;; [unrolled: 1-line block ×7, first 2 shown]
	v_mov_b32_e32 v71, v47
	scratch_store_dwordx4 off, v[22:25], off offset:128 ; 16-byte Folded Spill
	s_nop 0
	scratch_store_dwordx4 off, v[26:29], off offset:144 ; 16-byte Folded Spill
	scratch_store_dwordx4 off, v[30:33], off offset:160 ; 16-byte Folded Spill
	;; [unrolled: 1-line block ×7, first 2 shown]
	scratch_store_dwordx4 off, v[20:23], off ; 16-byte Folded Spill
	s_nop 0
	scratch_store_dwordx4 off, v[24:27], off offset:16 ; 16-byte Folded Spill
	scratch_store_dwordx4 off, v[28:31], off offset:32 ; 16-byte Folded Spill
	;; [unrolled: 1-line block ×7, first 2 shown]
.LBB38_66:
	s_or_b64 exec, exec, s[0:1]
	v_lshl_add_u32 v37, v255, 2, v254
	s_waitcnt vmcnt(63) expcnt(7) lgkmcnt(15)
	s_barrier
	ds_write_b32 v37, v56
	s_waitcnt lgkmcnt(0)
	s_barrier
	ds_read_b32 v37, v254 offset:16
	s_cmp_lt_i32 s22, 6
	v_mov_b32_e32 v38, 4
	s_cbranch_scc1 .LBB38_69
; %bb.67:
	v_add3_u32 v39, v248, 0, 20
	v_mov_b32_e32 v38, 4
	s_mov_b32 s0, 5
.LBB38_68:                              ; =>This Inner Loop Header: Depth=1
	ds_read_b32 v40, v39
	v_mov_b32_e32 v41, s0
	s_add_i32 s0, s0, 1
	v_add_u32_e32 v39, 4, v39
	s_cmp_lg_u32 s22, s0
	s_waitcnt lgkmcnt(0)
	v_cmp_lt_f32_e64 vcc, |v37|, |v40|
	s_nop 1
	v_cndmask_b32_e32 v37, v37, v40, vcc
	v_cndmask_b32_e32 v38, v38, v41, vcc
	s_cbranch_scc1 .LBB38_68
.LBB38_69:
	s_waitcnt lgkmcnt(0)
	v_cmp_eq_f32_e32 vcc, 0, v37
	s_and_saveexec_b64 s[0:1], vcc
	s_xor_b64 s[0:1], exec, s[0:1]
; %bb.70:
	v_cmp_ne_u32_e32 vcc, 0, v250
	s_nop 1
	v_cndmask_b32_e32 v250, 5, v250, vcc
; %bb.71:
	s_andn2_saveexec_b64 s[0:1], s[0:1]
	s_cbranch_execz .LBB38_73
; %bb.72:
	v_div_scale_f32 v39, s[2:3], v37, v37, 1.0
	v_rcp_f32_e32 v40, v39
	v_div_scale_f32 v41, vcc, 1.0, v37, 1.0
	v_fma_f32 v42, -v39, v40, 1.0
	v_fmac_f32_e32 v40, v42, v40
	v_mul_f32_e32 v42, v41, v40
	v_fma_f32 v43, -v39, v42, v41
	v_fmac_f32_e32 v42, v43, v40
	v_fma_f32 v39, -v39, v42, v41
	v_div_fmas_f32 v39, v39, v40, v42
	v_div_fixup_f32 v37, v39, v37, 1.0
.LBB38_73:
	s_or_b64 exec, exec, s[0:1]
	v_cmp_ne_u32_e32 vcc, v255, v38
	s_and_saveexec_b64 s[0:1], vcc
	s_xor_b64 s[0:1], exec, s[0:1]
	s_cbranch_execz .LBB38_79
; %bb.74:
	v_cmp_eq_u32_e32 vcc, 4, v255
	s_and_saveexec_b64 s[2:3], vcc
	s_cbranch_execz .LBB38_78
; %bb.75:
	v_cmp_ne_u32_e32 vcc, 4, v38
	s_xor_b64 s[18:19], s[16:17], -1
	s_and_b64 s[20:21], s[18:19], vcc
	s_and_saveexec_b64 s[18:19], s[20:21]
	s_cbranch_execz .LBB38_77
; %bb.76:
	scratch_load_dwordx2 v[44:45], off, off offset:1024 ; 8-byte Folded Reload
	v_ashrrev_i32_e32 v39, 31, v38
	s_waitcnt vmcnt(0)
	v_lshl_add_u64 v[40:41], v[38:39], 2, v[44:45]
	global_load_dword v39, v[40:41], off
	global_load_dword v42, v[44:45], off offset:16
	s_waitcnt vmcnt(1)
	global_store_dword v[44:45], v39, off offset:16
	s_waitcnt vmcnt(1)
	global_store_dword v[40:41], v42, off
.LBB38_77:
	s_or_b64 exec, exec, s[18:19]
	v_mov_b32_e32 v249, v38
	v_mov_b32_e32 v255, v38
.LBB38_78:
	s_or_b64 exec, exec, s[2:3]
.LBB38_79:
	s_andn2_saveexec_b64 s[0:1], s[0:1]
	s_cbranch_execz .LBB38_81
; %bb.80:
	v_mov_b32_e32 v255, 4
	ds_write2_b32 v254, v5, v6 offset0:5 offset1:6
	ds_write2_b32 v254, v7, v8 offset0:7 offset1:8
	;; [unrolled: 1-line block ×7, first 2 shown]
	ds_write_b32 v254, v251 offset:76
.LBB38_81:
	s_or_b64 exec, exec, s[0:1]
	v_cmp_lt_i32_e32 vcc, 4, v255
	s_waitcnt lgkmcnt(0)
	s_barrier
	s_and_saveexec_b64 s[0:1], vcc
	s_cbranch_execz .LBB38_83
; %bb.82:
	scratch_load_dwordx4 v[58:61], off, off offset:1672 ; 16-byte Folded Reload
	scratch_load_dwordx4 v[62:65], off, off offset:1688 ; 16-byte Folded Reload
	scratch_load_dwordx4 v[66:69], off, off offset:1704 ; 16-byte Folded Reload
	scratch_load_dwordx4 v[70:73], off, off offset:1720 ; 16-byte Folded Reload
	scratch_load_dwordx4 v[74:77], off, off offset:1736 ; 16-byte Folded Reload
	scratch_load_dwordx4 v[78:81], off, off offset:1752 ; 16-byte Folded Reload
	scratch_load_dwordx4 v[82:85], off, off offset:1768 ; 16-byte Folded Reload
	scratch_load_dwordx4 v[86:89], off, off offset:1784 ; 16-byte Folded Reload
	ds_read2_b32 v[0:1], v254 offset0:5 offset1:6
	v_mov_b32_e32 v2, v5
	ds_read2_b32 v[4:5], v254 offset0:7 offset1:8
	ds_read2_b32 v[20:21], v254 offset0:9 offset1:10
	;; [unrolled: 1-line block ×3, first 2 shown]
	v_mul_f32_e32 v54, v56, v37
	v_mov_b32_e32 v3, v6
	s_waitcnt lgkmcnt(3)
	v_pk_fma_f32 v[38:39], v[54:55], v[0:1], v[2:3] op_sel_hi:[0,1,1] neg_lo:[1,0,0] neg_hi:[1,0,0]
	v_mov_b32_e32 v0, v7
	v_mov_b32_e32 v1, v8
	s_waitcnt lgkmcnt(2)
	v_pk_fma_f32 v[40:41], v[54:55], v[4:5], v[0:1] op_sel_hi:[0,1,1] neg_lo:[1,0,0] neg_hi:[1,0,0]
	v_mov_b32_e32 v0, v9
	;; [unrolled: 4-line block ×3, first 2 shown]
	v_mov_b32_e32 v1, v12
	s_waitcnt lgkmcnt(0)
	v_pk_fma_f32 v[44:45], v[54:55], v[22:23], v[0:1] op_sel_hi:[0,1,1] neg_lo:[1,0,0] neg_hi:[1,0,0]
	ds_read2_b32 v[0:1], v254 offset0:13 offset1:14
	ds_read2_b32 v[4:5], v254 offset0:15 offset1:16
	;; [unrolled: 1-line block ×3, first 2 shown]
	ds_read_b32 v8, v254 offset:76
	v_mov_b32_e32 v2, v13
	v_mov_b32_e32 v3, v14
	s_waitcnt vmcnt(14)
	v_mov_b32_e32 v216, v54
	s_waitcnt lgkmcnt(3)
	v_pk_fma_f32 v[46:47], v[54:55], v[0:1], v[2:3] op_sel_hi:[0,1,1] neg_lo:[1,0,0] neg_hi:[1,0,0]
	v_mov_b32_e32 v0, v15
	v_mov_b32_e32 v1, v16
	s_waitcnt lgkmcnt(2)
	v_pk_fma_f32 v[48:49], v[54:55], v[4:5], v[0:1] op_sel_hi:[0,1,1] neg_lo:[1,0,0] neg_hi:[1,0,0]
	v_mov_b32_e32 v0, v17
	;; [unrolled: 4-line block ×3, first 2 shown]
	v_mov_b32_e32 v5, v38
	v_mov_b32_e32 v6, v39
	;; [unrolled: 1-line block ×4, first 2 shown]
	s_waitcnt vmcnt(1)
	v_mov_b32_e32 v82, v54
	v_mov_b32_e32 v170, v54
	;; [unrolled: 1-line block ×9, first 2 shown]
	s_waitcnt vmcnt(0)
	v_mov_b32_e32 v87, v42
	v_mov_b32_e32 v88, v43
	;; [unrolled: 1-line block ×25, first 2 shown]
	v_mov_b64_e32 v[50:51], v[58:59]
	v_mov_b64_e32 v[52:53], v[60:61]
	v_mov_b32_e32 v0, v50
	v_mov_b32_e32 v1, v51
	;; [unrolled: 1-line block ×4, first 2 shown]
	scratch_store_dwordx4 off, v[0:3], off offset:896 ; 16-byte Folded Spill
	s_nop 0
	scratch_store_dwordx4 off, v[4:7], off offset:912 ; 16-byte Folded Spill
	s_waitcnt lgkmcnt(0)
	scratch_store_dwordx4 off, v[8:11], off offset:928 ; 16-byte Folded Spill
	scratch_store_dwordx4 off, v[12:15], off offset:944 ; 16-byte Folded Spill
	;; [unrolled: 1-line block ×6, first 2 shown]
	v_mov_b32_e32 v7, v40
	v_mov_b32_e32 v78, v50
	v_mov_b32_e32 v79, v51
	v_mov_b32_e32 v80, v52
	v_mov_b32_e32 v81, v53
	v_mov_b32_e32 v212, v50
	v_mov_b32_e32 v213, v51
	v_mov_b32_e32 v214, v52
	v_mov_b32_e32 v215, v53
	v_mov_b32_e32 v180, v50
	v_mov_b32_e32 v181, v51
	v_mov_b32_e32 v182, v52
	v_mov_b32_e32 v183, v53
	v_mov_b32_e32 v166, v50
	v_mov_b32_e32 v167, v51
	v_mov_b32_e32 v168, v52
	v_mov_b32_e32 v169, v53
	v_mov_b32_e32 v116, v50
	v_mov_b32_e32 v117, v51
	v_mov_b32_e32 v118, v52
	v_mov_b32_e32 v119, v53
	v_mov_b32_e32 v148, v50
	v_mov_b32_e32 v149, v51
	v_mov_b32_e32 v150, v52
	v_mov_b32_e32 v151, v53
	scratch_store_dwordx4 off, v[0:3], off offset:768 ; 16-byte Folded Spill
	s_nop 0
	scratch_store_dwordx4 off, v[4:7], off offset:784 ; 16-byte Folded Spill
	scratch_store_dwordx4 off, v[8:11], off offset:800 ; 16-byte Folded Spill
	;; [unrolled: 1-line block ×7, first 2 shown]
	v_mov_b32_e32 v10, v50
	v_mov_b32_e32 v11, v51
	;; [unrolled: 1-line block ×10, first 2 shown]
	scratch_store_dwordx4 off, v[10:13], off offset:640 ; 16-byte Folded Spill
	s_nop 0
	scratch_store_dwordx4 off, v[14:17], off offset:656 ; 16-byte Folded Spill
	scratch_store_dwordx4 off, v[18:21], off offset:672 ; 16-byte Folded Spill
	;; [unrolled: 1-line block ×7, first 2 shown]
	v_mov_b32_e32 v19, v42
	scratch_store_dwordx4 off, v[10:13], off offset:512 ; 16-byte Folded Spill
	s_nop 0
	scratch_store_dwordx4 off, v[14:17], off offset:528 ; 16-byte Folded Spill
	scratch_store_dwordx4 off, v[18:21], off offset:544 ; 16-byte Folded Spill
	;; [unrolled: 1-line block ×7, first 2 shown]
	v_mov_b32_e32 v20, v43
	v_mov_b32_e32 v21, v44
	;; [unrolled: 1-line block ×26, first 2 shown]
	scratch_store_dwordx4 off, v[10:13], off offset:384 ; 16-byte Folded Spill
	s_nop 0
	scratch_store_dwordx4 off, v[14:17], off offset:400 ; 16-byte Folded Spill
	scratch_store_dwordx4 off, v[18:21], off offset:416 ; 16-byte Folded Spill
	;; [unrolled: 1-line block ×7, first 2 shown]
	v_mov_b32_e32 v20, v50
	v_mov_b32_e32 v21, v51
	;; [unrolled: 1-line block ×5, first 2 shown]
	v_fma_f32 v19, -v54, v8, v251
	scratch_store_dwordx4 off, v[50:53], off offset:1032 ; 16-byte Folded Spill
	s_nop 0
	scratch_store_dwordx4 off, v[54:57], off offset:1048 ; 16-byte Folded Spill
	scratch_store_dwordx4 off, v[58:61], off offset:1064 ; 16-byte Folded Spill
	;; [unrolled: 1-line block ×8, first 2 shown]
	s_nop 0
	scratch_store_dwordx4 off, v[54:57], off offset:1176 ; 16-byte Folded Spill
	scratch_store_dwordx4 off, v[58:61], off offset:1192 ; 16-byte Folded Spill
	;; [unrolled: 1-line block ×7, first 2 shown]
	v_mov_b32_e32 v29, v42
	v_mov_b32_e32 v30, v43
	;; [unrolled: 1-line block ×37, first 2 shown]
	scratch_store_dwordx4 off, v[22:25], off offset:256 ; 16-byte Folded Spill
	s_nop 0
	scratch_store_dwordx4 off, v[26:29], off offset:272 ; 16-byte Folded Spill
	scratch_store_dwordx4 off, v[30:33], off offset:288 ; 16-byte Folded Spill
	;; [unrolled: 1-line block ×7, first 2 shown]
	v_mov_b32_e32 v38, v49
	scratch_store_dwordx4 off, v[22:25], off offset:128 ; 16-byte Folded Spill
	s_nop 0
	scratch_store_dwordx4 off, v[26:29], off offset:144 ; 16-byte Folded Spill
	scratch_store_dwordx4 off, v[30:33], off offset:160 ; 16-byte Folded Spill
	;; [unrolled: 1-line block ×7, first 2 shown]
	v_mov_b32_e32 v37, v252
	scratch_store_dwordx4 off, v[20:23], off ; 16-byte Folded Spill
	s_nop 0
	scratch_store_dwordx4 off, v[24:27], off offset:16 ; 16-byte Folded Spill
	scratch_store_dwordx4 off, v[28:31], off offset:32 ; 16-byte Folded Spill
	;; [unrolled: 1-line block ×7, first 2 shown]
.LBB38_83:
	s_or_b64 exec, exec, s[0:1]
	v_lshl_add_u32 v37, v255, 2, v254
	s_waitcnt vmcnt(63) expcnt(7) lgkmcnt(15)
	s_barrier
	ds_write_b32 v37, v53
	s_waitcnt lgkmcnt(0)
	s_barrier
	ds_read_b32 v37, v254 offset:20
	s_cmp_lt_i32 s22, 7
	v_mov_b32_e32 v38, 5
	s_cbranch_scc1 .LBB38_86
; %bb.84:
	v_add3_u32 v39, v248, 0, 24
	v_mov_b32_e32 v38, 5
	s_mov_b32 s0, 6
.LBB38_85:                              ; =>This Inner Loop Header: Depth=1
	ds_read_b32 v40, v39
	v_mov_b32_e32 v41, s0
	s_add_i32 s0, s0, 1
	v_add_u32_e32 v39, 4, v39
	s_cmp_lg_u32 s22, s0
	s_waitcnt lgkmcnt(0)
	v_cmp_lt_f32_e64 vcc, |v37|, |v40|
	s_nop 1
	v_cndmask_b32_e32 v37, v37, v40, vcc
	v_cndmask_b32_e32 v38, v38, v41, vcc
	s_cbranch_scc1 .LBB38_85
.LBB38_86:
	s_waitcnt lgkmcnt(0)
	v_cmp_eq_f32_e32 vcc, 0, v37
	s_and_saveexec_b64 s[0:1], vcc
	s_xor_b64 s[0:1], exec, s[0:1]
; %bb.87:
	v_cmp_ne_u32_e32 vcc, 0, v250
	s_nop 1
	v_cndmask_b32_e32 v250, 6, v250, vcc
; %bb.88:
	s_andn2_saveexec_b64 s[0:1], s[0:1]
	s_cbranch_execz .LBB38_90
; %bb.89:
	v_div_scale_f32 v39, s[2:3], v37, v37, 1.0
	v_rcp_f32_e32 v40, v39
	v_div_scale_f32 v41, vcc, 1.0, v37, 1.0
	v_fma_f32 v42, -v39, v40, 1.0
	v_fmac_f32_e32 v40, v42, v40
	v_mul_f32_e32 v42, v41, v40
	v_fma_f32 v43, -v39, v42, v41
	v_fmac_f32_e32 v42, v43, v40
	v_fma_f32 v39, -v39, v42, v41
	v_div_fmas_f32 v39, v39, v40, v42
	v_div_fixup_f32 v37, v39, v37, 1.0
.LBB38_90:
	s_or_b64 exec, exec, s[0:1]
	v_cmp_ne_u32_e32 vcc, v255, v38
	s_and_saveexec_b64 s[0:1], vcc
	s_xor_b64 s[0:1], exec, s[0:1]
	s_cbranch_execz .LBB38_96
; %bb.91:
	v_cmp_eq_u32_e32 vcc, 5, v255
	s_and_saveexec_b64 s[2:3], vcc
	s_cbranch_execz .LBB38_95
; %bb.92:
	v_cmp_ne_u32_e32 vcc, 5, v38
	s_xor_b64 s[18:19], s[16:17], -1
	s_and_b64 s[20:21], s[18:19], vcc
	s_and_saveexec_b64 s[18:19], s[20:21]
	s_cbranch_execz .LBB38_94
; %bb.93:
	scratch_load_dwordx2 v[44:45], off, off offset:1024 ; 8-byte Folded Reload
	v_ashrrev_i32_e32 v39, 31, v38
	s_waitcnt vmcnt(0)
	v_lshl_add_u64 v[40:41], v[38:39], 2, v[44:45]
	global_load_dword v39, v[40:41], off
	global_load_dword v42, v[44:45], off offset:20
	s_waitcnt vmcnt(1)
	global_store_dword v[44:45], v39, off offset:20
	s_waitcnt vmcnt(1)
	global_store_dword v[40:41], v42, off
.LBB38_94:
	s_or_b64 exec, exec, s[18:19]
	v_mov_b32_e32 v249, v38
	v_mov_b32_e32 v255, v38
.LBB38_95:
	s_or_b64 exec, exec, s[2:3]
.LBB38_96:
	s_andn2_saveexec_b64 s[0:1], s[0:1]
	s_cbranch_execz .LBB38_98
; %bb.97:
	v_mov_b32_e32 v255, 5
	ds_write2_b32 v254, v6, v7 offset0:6 offset1:7
	ds_write2_b32 v254, v8, v9 offset0:8 offset1:9
	;; [unrolled: 1-line block ×7, first 2 shown]
.LBB38_98:
	s_or_b64 exec, exec, s[0:1]
	v_cmp_lt_i32_e32 vcc, 5, v255
	s_waitcnt lgkmcnt(0)
	s_barrier
	s_and_saveexec_b64 s[0:1], vcc
	s_cbranch_execz .LBB38_100
; %bb.99:
	v_mul_f32_e32 v0, v53, v37
	ds_read2_b32 v[2:3], v254 offset0:6 offset1:7
	ds_read2_b32 v[4:5], v254 offset0:8 offset1:9
	;; [unrolled: 1-line block ×5, first 2 shown]
	s_waitcnt lgkmcnt(4)
	v_pk_fma_f32 v[74:75], v[0:1], v[2:3], v[6:7] op_sel_hi:[0,1,1] neg_lo:[1,0,0] neg_hi:[1,0,0]
	ds_read2_b32 v[2:3], v254 offset0:16 offset1:17
	scratch_load_dwordx4 v[76:79], off, off offset:1160 ; 16-byte Folded Reload
	scratch_load_dwordx4 v[80:83], off, off offset:1176 ; 16-byte Folded Reload
	;; [unrolled: 1-line block ×8, first 2 shown]
	s_waitcnt lgkmcnt(4)
	v_pk_fma_f32 v[46:47], v[0:1], v[4:5], v[8:9] op_sel_hi:[0,1,1] neg_lo:[1,0,0] neg_hi:[1,0,0]
	s_waitcnt vmcnt(13) lgkmcnt(3)
	v_pk_fma_f32 v[222:223], v[0:1], v[20:21], v[10:11] op_sel_hi:[0,1,1] neg_lo:[1,0,0] neg_hi:[1,0,0]
	s_waitcnt lgkmcnt(2)
	v_pk_fma_f32 v[18:19], v[0:1], v[22:23], v[18:19] op_sel_hi:[0,1,1] neg_lo:[1,0,0] neg_hi:[1,0,0]
	v_mov_b32_e32 v9, v0
	v_mov_b32_e32 v10, v74
	;; [unrolled: 1-line block ×14, first 2 shown]
	s_waitcnt vmcnt(6)
	v_mov_b32_e32 v83, v0
	s_waitcnt vmcnt(5)
	v_mov_b32_e32 v84, v74
	v_mov_b32_e32 v85, v75
	;; [unrolled: 1-line block ×11, first 2 shown]
	s_waitcnt vmcnt(4)
	v_mov_b32_e32 v88, v222
	v_mov_b32_e32 v89, v223
	;; [unrolled: 1-line block ×20, first 2 shown]
	scratch_store_dwordx4 off, v[4:7], off offset:768 ; 16-byte Folded Spill
	s_nop 0
	scratch_store_dwordx4 off, v[8:11], off offset:784 ; 16-byte Folded Spill
	scratch_store_dwordx4 off, v[12:15], off offset:800 ; 16-byte Folded Spill
	;; [unrolled: 1-line block ×4, first 2 shown]
	s_waitcnt lgkmcnt(1)
	scratch_store_dwordx4 off, v[24:27], off offset:848 ; 16-byte Folded Spill
	scratch_store_dwordx4 off, v[28:31], off offset:864 ; 16-byte Folded Spill
	;; [unrolled: 1-line block ×3, first 2 shown]
	v_mov_b32_e32 v38, v48
	v_mov_b32_e32 v39, v49
	v_mov_b32_e32 v40, v50
	v_mov_b32_e32 v41, v51
	v_mov_b32_e32 v42, v52
	v_mov_b32_e32 v26, v48
	v_mov_b32_e32 v27, v49
	v_mov_b32_e32 v28, v50
	v_mov_b32_e32 v29, v51
	v_mov_b32_e32 v30, v52
	v_mov_b32_e32 v31, v0
	v_mov_b32_e32 v32, v74
	v_mov_b32_e32 v33, v75
	v_mov_b32_e32 v34, v46
	v_mov_b32_e32 v35, v47
	v_mov_b32_e32 v68, v48
	v_mov_b32_e32 v69, v49
	v_mov_b32_e32 v70, v50
	v_mov_b32_e32 v71, v51
	v_mov_b32_e32 v72, v52
	scratch_store_dwordx4 off, v[26:29], off offset:512 ; 16-byte Folded Spill
	s_nop 0
	scratch_store_dwordx4 off, v[30:33], off offset:528 ; 16-byte Folded Spill
	scratch_store_dwordx4 off, v[34:37], off offset:544 ; 16-byte Folded Spill
	;; [unrolled: 1-line block ×7, first 2 shown]
	ds_read2_b32 v[4:5], v254 offset0:14 offset1:15
	v_mov_b32_e32 v26, v74
	v_mov_b32_e32 v27, v75
	;; [unrolled: 1-line block ×8, first 2 shown]
	v_pk_fma_f32 v[90:91], v[0:1], v[24:25], v[12:13] op_sel_hi:[0,1,1] neg_lo:[1,0,0] neg_hi:[1,0,0]
	s_waitcnt lgkmcnt(0)
	v_pk_fma_f32 v[130:131], v[0:1], v[4:5], v[14:15] op_sel_hi:[0,1,1] neg_lo:[1,0,0] neg_hi:[1,0,0]
	v_mov_b32_e32 v25, v0
	v_mov_b32_e32 v32, v90
	;; [unrolled: 1-line block ×56, first 2 shown]
	scratch_store_dwordx4 off, v[20:23], off offset:384 ; 16-byte Folded Spill
	s_nop 0
	scratch_store_dwordx4 off, v[24:27], off offset:400 ; 16-byte Folded Spill
	scratch_store_dwordx4 off, v[28:31], off offset:416 ; 16-byte Folded Spill
	;; [unrolled: 1-line block ×7, first 2 shown]
	v_mov_b32_e32 v216, v52
	v_mov_b32_e32 v184, v52
	;; [unrolled: 1-line block ×5, first 2 shown]
	v_pk_fma_f32 v[36:37], v[0:1], v[2:3], v[16:17] op_sel_hi:[0,1,1] neg_lo:[1,0,0] neg_hi:[1,0,0]
	v_mov_b32_e32 v152, v52
	v_mov_b32_e32 v4, v52
	;; [unrolled: 1-line block ×15, first 2 shown]
	scratch_store_dwordx4 off, v[48:51], off offset:1032 ; 16-byte Folded Spill
	s_nop 0
	scratch_store_dwordx4 off, v[52:55], off offset:1048 ; 16-byte Folded Spill
	scratch_store_dwordx4 off, v[56:59], off offset:1064 ; 16-byte Folded Spill
	;; [unrolled: 1-line block ×7, first 2 shown]
	v_mov_b32_e32 v156, v46
	v_mov_b32_e32 v157, v47
	;; [unrolled: 1-line block ×4, first 2 shown]
	s_waitcnt vmcnt(33)
	v_mov_b32_e32 v100, v46
	v_mov_b32_e32 v54, v74
	scratch_store_dwordx4 off, v[68:71], off offset:896 ; 16-byte Folded Spill
	s_nop 0
	scratch_store_dwordx4 off, v[72:75], off offset:912 ; 16-byte Folded Spill
	scratch_store_dwordx4 off, v[76:79], off offset:928 ; 16-byte Folded Spill
	;; [unrolled: 1-line block ×8, first 2 shown]
	s_nop 0
	scratch_store_dwordx4 off, v[42:45], off offset:656 ; 16-byte Folded Spill
	scratch_store_dwordx4 off, v[46:49], off offset:672 ; 16-byte Folded Spill
	;; [unrolled: 1-line block ×7, first 2 shown]
	s_nop 1
	v_mov_b32_e32 v68, v222
	v_mov_b32_e32 v69, v223
	;; [unrolled: 1-line block ×6, first 2 shown]
	scratch_store_dwordx4 off, v[116:119], off offset:256 ; 16-byte Folded Spill
	s_nop 0
	scratch_store_dwordx4 off, v[120:123], off offset:272 ; 16-byte Folded Spill
	scratch_store_dwordx4 off, v[124:127], off offset:288 ; 16-byte Folded Spill
	;; [unrolled: 1-line block ×7, first 2 shown]
	v_mov_b32_e32 v71, v47
	scratch_store_dwordx4 off, v[22:25], off offset:128 ; 16-byte Folded Spill
	s_nop 0
	scratch_store_dwordx4 off, v[26:29], off offset:144 ; 16-byte Folded Spill
	scratch_store_dwordx4 off, v[30:33], off offset:160 ; 16-byte Folded Spill
	;; [unrolled: 1-line block ×7, first 2 shown]
	scratch_store_dwordx4 off, v[20:23], off ; 16-byte Folded Spill
	s_nop 0
	scratch_store_dwordx4 off, v[24:27], off offset:16 ; 16-byte Folded Spill
	scratch_store_dwordx4 off, v[28:31], off offset:32 ; 16-byte Folded Spill
	;; [unrolled: 1-line block ×7, first 2 shown]
.LBB38_100:
	s_or_b64 exec, exec, s[0:1]
	v_lshl_add_u32 v37, v255, 2, v254
	s_waitcnt vmcnt(63) expcnt(7) lgkmcnt(15)
	s_barrier
	ds_write_b32 v37, v54
	s_waitcnt lgkmcnt(0)
	s_barrier
	ds_read_b32 v37, v254 offset:24
	s_cmp_lt_i32 s22, 8
	v_mov_b32_e32 v38, 6
	s_cbranch_scc1 .LBB38_103
; %bb.101:
	v_add3_u32 v39, v248, 0, 28
	v_mov_b32_e32 v38, 6
	s_mov_b32 s0, 7
.LBB38_102:                             ; =>This Inner Loop Header: Depth=1
	ds_read_b32 v40, v39
	v_mov_b32_e32 v41, s0
	s_add_i32 s0, s0, 1
	v_add_u32_e32 v39, 4, v39
	s_cmp_lg_u32 s22, s0
	s_waitcnt lgkmcnt(0)
	v_cmp_lt_f32_e64 vcc, |v37|, |v40|
	s_nop 1
	v_cndmask_b32_e32 v37, v37, v40, vcc
	v_cndmask_b32_e32 v38, v38, v41, vcc
	s_cbranch_scc1 .LBB38_102
.LBB38_103:
	s_waitcnt lgkmcnt(0)
	v_cmp_eq_f32_e32 vcc, 0, v37
	s_and_saveexec_b64 s[0:1], vcc
	s_xor_b64 s[0:1], exec, s[0:1]
; %bb.104:
	v_cmp_ne_u32_e32 vcc, 0, v250
	s_nop 1
	v_cndmask_b32_e32 v250, 7, v250, vcc
; %bb.105:
	s_andn2_saveexec_b64 s[0:1], s[0:1]
	s_cbranch_execz .LBB38_107
; %bb.106:
	v_div_scale_f32 v39, s[2:3], v37, v37, 1.0
	v_rcp_f32_e32 v40, v39
	v_div_scale_f32 v41, vcc, 1.0, v37, 1.0
	v_fma_f32 v42, -v39, v40, 1.0
	v_fmac_f32_e32 v40, v42, v40
	v_mul_f32_e32 v42, v41, v40
	v_fma_f32 v43, -v39, v42, v41
	v_fmac_f32_e32 v42, v43, v40
	v_fma_f32 v39, -v39, v42, v41
	v_div_fmas_f32 v39, v39, v40, v42
	v_div_fixup_f32 v37, v39, v37, 1.0
.LBB38_107:
	s_or_b64 exec, exec, s[0:1]
	v_cmp_ne_u32_e32 vcc, v255, v38
	s_and_saveexec_b64 s[0:1], vcc
	s_xor_b64 s[0:1], exec, s[0:1]
	s_cbranch_execz .LBB38_113
; %bb.108:
	v_cmp_eq_u32_e32 vcc, 6, v255
	s_and_saveexec_b64 s[2:3], vcc
	s_cbranch_execz .LBB38_112
; %bb.109:
	v_cmp_ne_u32_e32 vcc, 6, v38
	s_xor_b64 s[18:19], s[16:17], -1
	s_and_b64 s[20:21], s[18:19], vcc
	s_and_saveexec_b64 s[18:19], s[20:21]
	s_cbranch_execz .LBB38_111
; %bb.110:
	scratch_load_dwordx2 v[44:45], off, off offset:1024 ; 8-byte Folded Reload
	v_ashrrev_i32_e32 v39, 31, v38
	s_waitcnt vmcnt(0)
	v_lshl_add_u64 v[40:41], v[38:39], 2, v[44:45]
	global_load_dword v39, v[40:41], off
	global_load_dword v42, v[44:45], off offset:24
	s_waitcnt vmcnt(1)
	global_store_dword v[44:45], v39, off offset:24
	s_waitcnt vmcnt(1)
	global_store_dword v[40:41], v42, off
.LBB38_111:
	s_or_b64 exec, exec, s[18:19]
	v_mov_b32_e32 v249, v38
	v_mov_b32_e32 v255, v38
.LBB38_112:
	s_or_b64 exec, exec, s[2:3]
.LBB38_113:
	s_andn2_saveexec_b64 s[0:1], s[0:1]
	s_cbranch_execz .LBB38_115
; %bb.114:
	v_mov_b32_e32 v255, 6
	ds_write2_b32 v254, v7, v8 offset0:7 offset1:8
	ds_write2_b32 v254, v9, v10 offset0:9 offset1:10
	;; [unrolled: 1-line block ×6, first 2 shown]
	ds_write_b32 v254, v251 offset:76
.LBB38_115:
	s_or_b64 exec, exec, s[0:1]
	v_cmp_lt_i32_e32 vcc, 6, v255
	s_waitcnt lgkmcnt(0)
	s_barrier
	s_and_saveexec_b64 s[0:1], vcc
	s_cbranch_execz .LBB38_117
; %bb.116:
	scratch_load_dwordx4 v[68:71], off, off offset:1032 ; 16-byte Folded Reload
	scratch_load_dwordx4 v[72:75], off, off offset:1048 ; 16-byte Folded Reload
	;; [unrolled: 1-line block ×8, first 2 shown]
	ds_read2_b32 v[0:1], v254 offset0:7 offset1:8
	v_mov_b32_e32 v2, v7
	ds_read2_b32 v[4:5], v254 offset0:9 offset1:10
	ds_read2_b32 v[6:7], v254 offset0:11 offset1:12
	;; [unrolled: 1-line block ×3, first 2 shown]
	v_mul_f32_e32 v54, v54, v37
	v_mov_b32_e32 v3, v8
	s_waitcnt lgkmcnt(3)
	v_pk_fma_f32 v[38:39], v[54:55], v[0:1], v[2:3] op_sel_hi:[0,1,1] neg_lo:[1,0,0] neg_hi:[1,0,0]
	v_mov_b32_e32 v0, v9
	v_mov_b32_e32 v1, v10
	s_waitcnt lgkmcnt(2)
	v_pk_fma_f32 v[40:41], v[54:55], v[4:5], v[0:1] op_sel_hi:[0,1,1] neg_lo:[1,0,0] neg_hi:[1,0,0]
	v_mov_b32_e32 v0, v11
	;; [unrolled: 4-line block ×3, first 2 shown]
	v_mov_b32_e32 v1, v14
	s_waitcnt lgkmcnt(0)
	v_pk_fma_f32 v[44:45], v[54:55], v[20:21], v[0:1] op_sel_hi:[0,1,1] neg_lo:[1,0,0] neg_hi:[1,0,0]
	ds_read2_b32 v[0:1], v254 offset0:15 offset1:16
	ds_read2_b32 v[4:5], v254 offset0:17 offset1:18
	ds_read_b32 v6, v254 offset:76
	v_mov_b32_e32 v2, v15
	v_mov_b32_e32 v3, v16
	;; [unrolled: 1-line block ×3, first 2 shown]
	s_waitcnt lgkmcnt(2)
	v_pk_fma_f32 v[46:47], v[54:55], v[0:1], v[2:3] op_sel_hi:[0,1,1] neg_lo:[1,0,0] neg_hi:[1,0,0]
	v_mov_b32_e32 v0, v17
	v_mov_b32_e32 v1, v18
	;; [unrolled: 1-line block ×4, first 2 shown]
	s_waitcnt lgkmcnt(1)
	v_pk_fma_f32 v[252:253], v[54:55], v[4:5], v[0:1] op_sel_hi:[0,1,1] neg_lo:[1,0,0] neg_hi:[1,0,0]
	v_mov_b32_e32 v55, v38
	s_waitcnt vmcnt(14)
	v_mov_b32_e32 v218, v54
	v_mov_b32_e32 v186, v54
	s_waitcnt vmcnt(3)
	v_mov_b32_e32 v84, v54
	v_mov_b32_e32 v172, v54
	v_mov_b32_e32 v122, v54
	v_mov_b32_e32 v154, v54
	v_mov_b32_e32 v221, v40
	v_mov_b32_e32 v222, v41
	v_mov_b32_e32 v189, v40
	v_mov_b32_e32 v190, v41
	v_mov_b32_e32 v191, v42
	v_mov_b32_e32 v87, v40
	s_waitcnt vmcnt(2)
	v_mov_b32_e32 v88, v41
	v_mov_b32_e32 v89, v42
	;; [unrolled: 1-line block ×24, first 2 shown]
	v_mov_b64_e32 v[48:49], v[68:69]
	v_mov_b64_e32 v[50:51], v[70:71]
	;; [unrolled: 1-line block ×3, first 2 shown]
	v_mov_b32_e32 v8, v48
	v_mov_b32_e32 v9, v49
	;; [unrolled: 1-line block ×6, first 2 shown]
	scratch_store_dwordx4 off, v[8:11], off offset:640 ; 16-byte Folded Spill
	s_nop 0
	scratch_store_dwordx4 off, v[12:15], off offset:656 ; 16-byte Folded Spill
	scratch_store_dwordx4 off, v[16:19], off offset:672 ; 16-byte Folded Spill
	;; [unrolled: 1-line block ×7, first 2 shown]
	v_mov_b32_e32 v17, v40
	v_mov_b32_e32 v78, v48
	;; [unrolled: 1-line block ×43, first 2 shown]
	scratch_store_dwordx4 off, v[8:11], off offset:512 ; 16-byte Folded Spill
	s_nop 0
	scratch_store_dwordx4 off, v[12:15], off offset:528 ; 16-byte Folded Spill
	scratch_store_dwordx4 off, v[16:19], off offset:544 ; 16-byte Folded Spill
	;; [unrolled: 1-line block ×7, first 2 shown]
	v_mov_b32_e32 v18, v41
	v_mov_b32_e32 v19, v42
	;; [unrolled: 1-line block ×16, first 2 shown]
	scratch_store_dwordx4 off, v[8:11], off offset:384 ; 16-byte Folded Spill
	s_nop 0
	scratch_store_dwordx4 off, v[12:15], off offset:400 ; 16-byte Folded Spill
	scratch_store_dwordx4 off, v[16:19], off offset:416 ; 16-byte Folded Spill
	;; [unrolled: 1-line block ×7, first 2 shown]
	v_mov_b32_e32 v20, v48
	v_mov_b32_e32 v21, v49
	;; [unrolled: 1-line block ×7, first 2 shown]
	s_waitcnt lgkmcnt(0)
	v_fma_f32 v19, -v54, v6, v251
	v_mov_b32_e32 v6, v54
	scratch_store_dwordx4 off, v[48:51], off offset:768 ; 16-byte Folded Spill
	s_nop 0
	scratch_store_dwordx4 off, v[52:55], off offset:784 ; 16-byte Folded Spill
	scratch_store_dwordx4 off, v[56:59], off offset:800 ; 16-byte Folded Spill
	;; [unrolled: 1-line block ×8, first 2 shown]
	s_nop 0
	scratch_store_dwordx4 off, v[52:55], off offset:912 ; 16-byte Folded Spill
	scratch_store_dwordx4 off, v[56:59], off offset:928 ; 16-byte Folded Spill
	;; [unrolled: 1-line block ×7, first 2 shown]
	v_mov_b32_e32 v29, v40
	v_mov_b32_e32 v30, v41
	;; [unrolled: 1-line block ×33, first 2 shown]
	scratch_store_dwordx4 off, v[22:25], off offset:256 ; 16-byte Folded Spill
	s_nop 0
	scratch_store_dwordx4 off, v[26:29], off offset:272 ; 16-byte Folded Spill
	scratch_store_dwordx4 off, v[30:33], off offset:288 ; 16-byte Folded Spill
	;; [unrolled: 1-line block ×7, first 2 shown]
	v_mov_b32_e32 v38, v47
	scratch_store_dwordx4 off, v[22:25], off offset:128 ; 16-byte Folded Spill
	s_nop 0
	scratch_store_dwordx4 off, v[26:29], off offset:144 ; 16-byte Folded Spill
	scratch_store_dwordx4 off, v[30:33], off offset:160 ; 16-byte Folded Spill
	;; [unrolled: 1-line block ×7, first 2 shown]
	v_mov_b32_e32 v37, v252
	scratch_store_dwordx4 off, v[20:23], off ; 16-byte Folded Spill
	s_nop 0
	scratch_store_dwordx4 off, v[24:27], off offset:16 ; 16-byte Folded Spill
	scratch_store_dwordx4 off, v[28:31], off offset:32 ; 16-byte Folded Spill
	scratch_store_dwordx4 off, v[32:35], off offset:48 ; 16-byte Folded Spill
	scratch_store_dwordx4 off, v[36:39], off offset:64 ; 16-byte Folded Spill
	scratch_store_dwordx4 off, v[40:43], off offset:80 ; 16-byte Folded Spill
	scratch_store_dwordx4 off, v[44:47], off offset:96 ; 16-byte Folded Spill
	scratch_store_dwordx4 off, v[48:51], off offset:112 ; 16-byte Folded Spill
.LBB38_117:
	s_or_b64 exec, exec, s[0:1]
	v_lshl_add_u32 v37, v255, 2, v254
	s_waitcnt vmcnt(63) expcnt(7) lgkmcnt(15)
	s_barrier
	ds_write_b32 v37, v75
	s_waitcnt lgkmcnt(0)
	s_barrier
	ds_read_b32 v37, v254 offset:28
	s_cmp_lt_i32 s22, 9
	v_mov_b32_e32 v38, 7
	s_cbranch_scc1 .LBB38_120
; %bb.118:
	v_add3_u32 v39, v248, 0, 32
	v_mov_b32_e32 v38, 7
	s_mov_b32 s0, 8
.LBB38_119:                             ; =>This Inner Loop Header: Depth=1
	ds_read_b32 v40, v39
	v_mov_b32_e32 v41, s0
	s_add_i32 s0, s0, 1
	v_add_u32_e32 v39, 4, v39
	s_cmp_lg_u32 s22, s0
	s_waitcnt lgkmcnt(0)
	v_cmp_lt_f32_e64 vcc, |v37|, |v40|
	s_nop 1
	v_cndmask_b32_e32 v37, v37, v40, vcc
	v_cndmask_b32_e32 v38, v38, v41, vcc
	s_cbranch_scc1 .LBB38_119
.LBB38_120:
	s_waitcnt lgkmcnt(0)
	v_cmp_eq_f32_e32 vcc, 0, v37
	s_and_saveexec_b64 s[0:1], vcc
	s_xor_b64 s[0:1], exec, s[0:1]
; %bb.121:
	v_cmp_ne_u32_e32 vcc, 0, v250
	s_nop 1
	v_cndmask_b32_e32 v250, 8, v250, vcc
; %bb.122:
	s_andn2_saveexec_b64 s[0:1], s[0:1]
	s_cbranch_execz .LBB38_124
; %bb.123:
	v_div_scale_f32 v39, s[2:3], v37, v37, 1.0
	v_rcp_f32_e32 v40, v39
	v_div_scale_f32 v41, vcc, 1.0, v37, 1.0
	v_fma_f32 v42, -v39, v40, 1.0
	v_fmac_f32_e32 v40, v42, v40
	v_mul_f32_e32 v42, v41, v40
	v_fma_f32 v43, -v39, v42, v41
	v_fmac_f32_e32 v42, v43, v40
	v_fma_f32 v39, -v39, v42, v41
	v_div_fmas_f32 v39, v39, v40, v42
	v_div_fixup_f32 v37, v39, v37, 1.0
.LBB38_124:
	s_or_b64 exec, exec, s[0:1]
	v_cmp_ne_u32_e32 vcc, v255, v38
	s_and_saveexec_b64 s[0:1], vcc
	s_xor_b64 s[0:1], exec, s[0:1]
	s_cbranch_execz .LBB38_130
; %bb.125:
	v_cmp_eq_u32_e32 vcc, 7, v255
	s_and_saveexec_b64 s[2:3], vcc
	s_cbranch_execz .LBB38_129
; %bb.126:
	v_cmp_ne_u32_e32 vcc, 7, v38
	s_xor_b64 s[18:19], s[16:17], -1
	s_and_b64 s[20:21], s[18:19], vcc
	s_and_saveexec_b64 s[18:19], s[20:21]
	s_cbranch_execz .LBB38_128
; %bb.127:
	scratch_load_dwordx2 v[44:45], off, off offset:1024 ; 8-byte Folded Reload
	v_ashrrev_i32_e32 v39, 31, v38
	s_waitcnt vmcnt(0)
	v_lshl_add_u64 v[40:41], v[38:39], 2, v[44:45]
	global_load_dword v39, v[40:41], off
	global_load_dword v42, v[44:45], off offset:28
	s_waitcnt vmcnt(1)
	global_store_dword v[44:45], v39, off offset:28
	s_waitcnt vmcnt(1)
	global_store_dword v[40:41], v42, off
.LBB38_128:
	s_or_b64 exec, exec, s[18:19]
	v_mov_b32_e32 v249, v38
	v_mov_b32_e32 v255, v38
.LBB38_129:
	s_or_b64 exec, exec, s[2:3]
.LBB38_130:
	s_andn2_saveexec_b64 s[0:1], s[0:1]
	s_cbranch_execz .LBB38_132
; %bb.131:
	v_mov_b32_e32 v255, 7
	ds_write2_b32 v254, v8, v9 offset0:8 offset1:9
	ds_write2_b32 v254, v10, v11 offset0:10 offset1:11
	;; [unrolled: 1-line block ×6, first 2 shown]
.LBB38_132:
	s_or_b64 exec, exec, s[0:1]
	v_cmp_lt_i32_e32 vcc, 7, v255
	s_waitcnt lgkmcnt(0)
	s_barrier
	s_and_saveexec_b64 s[0:1], vcc
	s_cbranch_execz .LBB38_134
; %bb.133:
	v_mul_f32_e32 v0, v75, v37
	ds_read2_b32 v[2:3], v254 offset0:8 offset1:9
	ds_read2_b32 v[4:5], v254 offset0:10 offset1:11
	;; [unrolled: 1-line block ×5, first 2 shown]
	s_waitcnt lgkmcnt(4)
	v_pk_fma_f32 v[46:47], v[0:1], v[2:3], v[8:9] op_sel_hi:[0,1,1] neg_lo:[1,0,0] neg_hi:[1,0,0]
	ds_read2_b32 v[2:3], v254 offset0:16 offset1:17
	scratch_load_dwordx4 v[48:51], off, off offset:896 ; 16-byte Folded Reload
	scratch_load_dwordx4 v[52:55], off, off offset:912 ; 16-byte Folded Reload
	;; [unrolled: 1-line block ×8, first 2 shown]
	s_waitcnt vmcnt(13) lgkmcnt(4)
	v_pk_fma_f32 v[222:223], v[0:1], v[4:5], v[10:11] op_sel_hi:[0,1,1] neg_lo:[1,0,0] neg_hi:[1,0,0]
	s_waitcnt lgkmcnt(3)
	v_pk_fma_f32 v[90:91], v[0:1], v[6:7], v[12:13] op_sel_hi:[0,1,1] neg_lo:[1,0,0] neg_hi:[1,0,0]
	s_waitcnt lgkmcnt(2)
	v_pk_fma_f32 v[18:19], v[0:1], v[20:21], v[18:19] op_sel_hi:[0,1,1] neg_lo:[1,0,0] neg_hi:[1,0,0]
	v_mov_b32_e32 v11, v0
	v_mov_b32_e32 v12, v46
	;; [unrolled: 1-line block ×4, first 2 shown]
	s_waitcnt vmcnt(1)
	v_mov_b32_e32 v75, v0
	v_mov_b32_e32 v220, v46
	;; [unrolled: 1-line block ×47, first 2 shown]
	scratch_store_dwordx4 off, v[4:7], off offset:512 ; 16-byte Folded Spill
	s_nop 0
	scratch_store_dwordx4 off, v[8:11], off offset:528 ; 16-byte Folded Spill
	scratch_store_dwordx4 off, v[12:15], off offset:544 ; 16-byte Folded Spill
	;; [unrolled: 1-line block ×3, first 2 shown]
	s_waitcnt lgkmcnt(1)
	scratch_store_dwordx4 off, v[20:23], off offset:576 ; 16-byte Folded Spill
	scratch_store_dwordx4 off, v[24:27], off offset:592 ; 16-byte Folded Spill
	;; [unrolled: 1-line block ×4, first 2 shown]
	v_mov_b32_e32 v38, v68
	v_mov_b32_e32 v39, v69
	;; [unrolled: 1-line block ×19, first 2 shown]
	s_waitcnt vmcnt(8)
	v_mov_b32_e32 v78, v68
	v_mov_b32_e32 v79, v69
	;; [unrolled: 1-line block ×50, first 2 shown]
	v_pk_fma_f32 v[130:131], v[0:1], v[22:23], v[14:15] op_sel_hi:[0,1,1] neg_lo:[1,0,0] neg_hi:[1,0,0]
	v_mov_b32_e32 v22, v70
	v_mov_b32_e32 v23, v71
	;; [unrolled: 1-line block ×4, first 2 shown]
	scratch_store_dwordx4 off, v[20:23], off offset:384 ; 16-byte Folded Spill
	s_nop 0
	scratch_store_dwordx4 off, v[24:27], off offset:400 ; 16-byte Folded Spill
	scratch_store_dwordx4 off, v[28:31], off offset:416 ; 16-byte Folded Spill
	scratch_store_dwordx4 off, v[32:35], off offset:432 ; 16-byte Folded Spill
	scratch_store_dwordx4 off, v[36:39], off offset:448 ; 16-byte Folded Spill
	scratch_store_dwordx4 off, v[40:43], off offset:464 ; 16-byte Folded Spill
	scratch_store_dwordx4 off, v[44:47], off offset:480 ; 16-byte Folded Spill
	scratch_store_dwordx4 off, v[48:51], off offset:496 ; 16-byte Folded Spill
	s_waitcnt lgkmcnt(0)
	v_pk_fma_f32 v[36:37], v[0:1], v[2:3], v[16:17] op_sel_hi:[0,1,1] neg_lo:[1,0,0] neg_hi:[1,0,0]
	v_mov_b32_e32 v0, v68
	v_mov_b32_e32 v1, v69
	;; [unrolled: 1-line block ×4, first 2 shown]
	scratch_store_dwordx4 off, v[68:71], off offset:768 ; 16-byte Folded Spill
	s_nop 0
	scratch_store_dwordx4 off, v[72:75], off offset:784 ; 16-byte Folded Spill
	scratch_store_dwordx4 off, v[76:79], off offset:800 ; 16-byte Folded Spill
	;; [unrolled: 1-line block ×7, first 2 shown]
	v_mov_b32_e32 v162, v130
	v_mov_b32_e32 v163, v131
	;; [unrolled: 1-line block ×15, first 2 shown]
	scratch_store_dwordx4 off, v[38:41], off offset:640 ; 16-byte Folded Spill
	s_nop 0
	scratch_store_dwordx4 off, v[42:45], off offset:656 ; 16-byte Folded Spill
	scratch_store_dwordx4 off, v[46:49], off offset:672 ; 16-byte Folded Spill
	;; [unrolled: 1-line block ×7, first 2 shown]
	v_mov_b32_e32 v110, v90
	s_nop 0
	v_mov_b32_e32 v68, v222
	v_mov_b32_e32 v69, v223
	;; [unrolled: 1-line block ×5, first 2 shown]
	scratch_store_dwordx4 off, v[116:119], off offset:256 ; 16-byte Folded Spill
	s_nop 0
	scratch_store_dwordx4 off, v[120:123], off offset:272 ; 16-byte Folded Spill
	scratch_store_dwordx4 off, v[124:127], off offset:288 ; 16-byte Folded Spill
	;; [unrolled: 1-line block ×7, first 2 shown]
	v_mov_b32_e32 v71, v47
	scratch_store_dwordx4 off, v[22:25], off offset:128 ; 16-byte Folded Spill
	s_nop 0
	scratch_store_dwordx4 off, v[26:29], off offset:144 ; 16-byte Folded Spill
	scratch_store_dwordx4 off, v[30:33], off offset:160 ; 16-byte Folded Spill
	;; [unrolled: 1-line block ×7, first 2 shown]
	scratch_store_dwordx4 off, v[20:23], off ; 16-byte Folded Spill
	s_nop 0
	scratch_store_dwordx4 off, v[24:27], off offset:16 ; 16-byte Folded Spill
	scratch_store_dwordx4 off, v[28:31], off offset:32 ; 16-byte Folded Spill
	;; [unrolled: 1-line block ×7, first 2 shown]
.LBB38_134:
	s_or_b64 exec, exec, s[0:1]
	v_lshl_add_u32 v37, v255, 2, v254
	s_barrier
	ds_write_b32 v37, v100
	s_waitcnt lgkmcnt(0)
	s_barrier
	ds_read_b32 v37, v254 offset:32
	s_cmp_lt_i32 s22, 10
	v_mov_b32_e32 v38, 8
	s_cbranch_scc1 .LBB38_137
; %bb.135:
	v_add3_u32 v39, v248, 0, 36
	v_mov_b32_e32 v38, 8
	s_mov_b32 s0, 9
.LBB38_136:                             ; =>This Inner Loop Header: Depth=1
	ds_read_b32 v40, v39
	v_mov_b32_e32 v41, s0
	s_add_i32 s0, s0, 1
	v_add_u32_e32 v39, 4, v39
	s_cmp_lg_u32 s22, s0
	s_waitcnt lgkmcnt(0)
	v_cmp_lt_f32_e64 vcc, |v37|, |v40|
	s_nop 1
	v_cndmask_b32_e32 v37, v37, v40, vcc
	v_cndmask_b32_e32 v38, v38, v41, vcc
	s_cbranch_scc1 .LBB38_136
.LBB38_137:
	s_waitcnt lgkmcnt(0)
	v_cmp_eq_f32_e32 vcc, 0, v37
	s_and_saveexec_b64 s[0:1], vcc
	s_xor_b64 s[0:1], exec, s[0:1]
; %bb.138:
	v_cmp_ne_u32_e32 vcc, 0, v250
	s_nop 1
	v_cndmask_b32_e32 v250, 9, v250, vcc
; %bb.139:
	s_andn2_saveexec_b64 s[0:1], s[0:1]
	s_cbranch_execz .LBB38_141
; %bb.140:
	v_div_scale_f32 v39, s[2:3], v37, v37, 1.0
	v_rcp_f32_e32 v40, v39
	v_div_scale_f32 v41, vcc, 1.0, v37, 1.0
	v_fma_f32 v42, -v39, v40, 1.0
	v_fmac_f32_e32 v40, v42, v40
	v_mul_f32_e32 v42, v41, v40
	v_fma_f32 v43, -v39, v42, v41
	v_fmac_f32_e32 v42, v43, v40
	v_fma_f32 v39, -v39, v42, v41
	v_div_fmas_f32 v39, v39, v40, v42
	v_div_fixup_f32 v37, v39, v37, 1.0
.LBB38_141:
	s_or_b64 exec, exec, s[0:1]
	v_cmp_ne_u32_e32 vcc, v255, v38
	s_and_saveexec_b64 s[0:1], vcc
	s_xor_b64 s[0:1], exec, s[0:1]
	s_cbranch_execz .LBB38_147
; %bb.142:
	v_cmp_eq_u32_e32 vcc, 8, v255
	s_and_saveexec_b64 s[2:3], vcc
	s_cbranch_execz .LBB38_146
; %bb.143:
	v_cmp_ne_u32_e32 vcc, 8, v38
	s_xor_b64 s[18:19], s[16:17], -1
	s_and_b64 s[20:21], s[18:19], vcc
	s_and_saveexec_b64 s[18:19], s[20:21]
	s_cbranch_execz .LBB38_145
; %bb.144:
	scratch_load_dwordx2 v[44:45], off, off offset:1024 ; 8-byte Folded Reload
	v_ashrrev_i32_e32 v39, 31, v38
	s_waitcnt vmcnt(0)
	v_lshl_add_u64 v[40:41], v[38:39], 2, v[44:45]
	global_load_dword v39, v[40:41], off
	global_load_dword v42, v[44:45], off offset:32
	s_waitcnt vmcnt(1)
	global_store_dword v[44:45], v39, off offset:32
	s_waitcnt vmcnt(1)
	global_store_dword v[40:41], v42, off
.LBB38_145:
	s_or_b64 exec, exec, s[18:19]
	v_mov_b32_e32 v249, v38
	v_mov_b32_e32 v255, v38
.LBB38_146:
	s_or_b64 exec, exec, s[2:3]
.LBB38_147:
	s_andn2_saveexec_b64 s[0:1], s[0:1]
	s_cbranch_execz .LBB38_149
; %bb.148:
	v_mov_b32_e32 v255, 8
	ds_write2_b32 v254, v9, v10 offset0:9 offset1:10
	ds_write2_b32 v254, v11, v12 offset0:11 offset1:12
	ds_write2_b32 v254, v13, v14 offset0:13 offset1:14
	ds_write2_b32 v254, v15, v16 offset0:15 offset1:16
	ds_write2_b32 v254, v17, v18 offset0:17 offset1:18
	ds_write_b32 v254, v251 offset:76
.LBB38_149:
	s_or_b64 exec, exec, s[0:1]
	v_cmp_lt_i32_e32 vcc, 8, v255
	s_waitcnt lgkmcnt(0)
	s_barrier
	s_and_saveexec_b64 s[0:1], vcc
	s_cbranch_execz .LBB38_151
; %bb.150:
	scratch_load_dwordx4 v[68:71], off, off offset:768 ; 16-byte Folded Reload
	scratch_load_dwordx4 v[72:75], off, off offset:784 ; 16-byte Folded Reload
	scratch_load_dwordx4 v[76:79], off, off offset:800 ; 16-byte Folded Reload
	scratch_load_dwordx4 v[80:83], off, off offset:816 ; 16-byte Folded Reload
	scratch_load_dwordx4 v[84:87], off, off offset:832 ; 16-byte Folded Reload
	scratch_load_dwordx4 v[88:91], off, off offset:848 ; 16-byte Folded Reload
	scratch_load_dwordx4 v[92:95], off, off offset:864 ; 16-byte Folded Reload
	scratch_load_dwordx4 v[96:99], off, off offset:880 ; 16-byte Folded Reload
	ds_read2_b32 v[0:1], v254 offset0:9 offset1:10
	v_mov_b32_e32 v2, v9
	ds_read2_b32 v[4:5], v254 offset0:11 offset1:12
	ds_read2_b32 v[6:7], v254 offset0:13 offset1:14
	;; [unrolled: 1-line block ×3, first 2 shown]
	s_waitcnt vmcnt(5)
	v_mul_f32_e32 v76, v100, v37
	v_mov_b32_e32 v3, v10
	s_waitcnt vmcnt(3)
	v_mov_b32_e32 v86, v76
	v_mov_b32_e32 v220, v76
	;; [unrolled: 1-line block ×8, first 2 shown]
	s_waitcnt lgkmcnt(3)
	v_pk_fma_f32 v[38:39], v[76:77], v[0:1], v[2:3] op_sel_hi:[0,1,1] neg_lo:[1,0,0] neg_hi:[1,0,0]
	v_mov_b32_e32 v0, v11
	v_mov_b32_e32 v1, v12
	ds_read2_b32 v[2:3], v254 offset0:17 offset1:18
	s_waitcnt lgkmcnt(3)
	v_pk_fma_f32 v[40:41], v[76:77], v[4:5], v[0:1] op_sel_hi:[0,1,1] neg_lo:[1,0,0] neg_hi:[1,0,0]
	v_mov_b32_e32 v0, v13
	v_mov_b32_e32 v1, v14
	ds_read_b32 v4, v254 offset:76
	s_waitcnt lgkmcnt(3)
	v_pk_fma_f32 v[42:43], v[76:77], v[6:7], v[0:1] op_sel_hi:[0,1,1] neg_lo:[1,0,0] neg_hi:[1,0,0]
	v_mov_b32_e32 v0, v15
	v_mov_b32_e32 v1, v16
	s_waitcnt lgkmcnt(2)
	v_pk_fma_f32 v[44:45], v[76:77], v[8:9], v[0:1] op_sel_hi:[0,1,1] neg_lo:[1,0,0] neg_hi:[1,0,0]
	v_mov_b32_e32 v0, v17
	v_mov_b32_e32 v1, v18
	;; [unrolled: 1-line block ×17, first 2 shown]
	s_waitcnt lgkmcnt(1)
	v_pk_fma_f32 v[252:253], v[76:77], v[2:3], v[0:1] op_sel_hi:[0,1,1] neg_lo:[1,0,0] neg_hi:[1,0,0]
	v_mov_b32_e32 v77, v38
	v_mov_b32_e32 v79, v69
	v_mov_b32_e32 v80, v70
	v_mov_b32_e32 v81, v71
	v_mov_b32_e32 v82, v72
	v_mov_b32_e32 v83, v73
	v_mov_b32_e32 v84, v74
	v_mov_b32_e32 v85, v75
	v_mov_b32_e32 v87, v38
	s_waitcnt vmcnt(2)
	v_mov_b32_e32 v88, v39
	v_mov_b32_e32 v89, v40
	;; [unrolled: 1-line block ×3, first 2 shown]
	scratch_store_dwordx4 off, v[6:9], off offset:384 ; 16-byte Folded Spill
	s_nop 0
	scratch_store_dwordx4 off, v[10:13], off offset:400 ; 16-byte Folded Spill
	scratch_store_dwordx4 off, v[14:17], off offset:416 ; 16-byte Folded Spill
	;; [unrolled: 1-line block ×7, first 2 shown]
	v_mov_b32_e32 v212, v68
	v_mov_b32_e32 v213, v69
	;; [unrolled: 1-line block ×57, first 2 shown]
	s_waitcnt lgkmcnt(0)
	v_fma_f32 v19, -v76, v4, v251
	v_mov_b32_e32 v0, v68
	v_mov_b32_e32 v1, v69
	;; [unrolled: 1-line block ×9, first 2 shown]
	scratch_store_dwordx4 off, v[68:71], off offset:512 ; 16-byte Folded Spill
	s_nop 0
	scratch_store_dwordx4 off, v[72:75], off offset:528 ; 16-byte Folded Spill
	scratch_store_dwordx4 off, v[76:79], off offset:544 ; 16-byte Folded Spill
	;; [unrolled: 1-line block ×5, first 2 shown]
	s_waitcnt vmcnt(15)
	scratch_store_dwordx4 off, v[92:95], off offset:608 ; 16-byte Folded Spill
	s_waitcnt vmcnt(15)
	scratch_store_dwordx4 off, v[96:99], off offset:624 ; 16-byte Folded Spill
	scratch_store_dwordx4 off, v[68:71], off offset:640 ; 16-byte Folded Spill
	s_nop 0
	scratch_store_dwordx4 off, v[72:75], off offset:656 ; 16-byte Folded Spill
	scratch_store_dwordx4 off, v[76:79], off offset:672 ; 16-byte Folded Spill
	;; [unrolled: 1-line block ×7, first 2 shown]
	v_mov_b32_e32 v37, v44
	v_mov_b32_e32 v221, v38
	;; [unrolled: 1-line block ×39, first 2 shown]
	scratch_store_dwordx4 off, v[22:25], off offset:256 ; 16-byte Folded Spill
	s_nop 0
	scratch_store_dwordx4 off, v[26:29], off offset:272 ; 16-byte Folded Spill
	scratch_store_dwordx4 off, v[30:33], off offset:288 ; 16-byte Folded Spill
	;; [unrolled: 1-line block ×7, first 2 shown]
	v_mov_b32_e32 v165, v252
	v_mov_b32_e32 v17, v252
	;; [unrolled: 1-line block ×5, first 2 shown]
	scratch_store_dwordx4 off, v[22:25], off offset:128 ; 16-byte Folded Spill
	s_nop 0
	scratch_store_dwordx4 off, v[26:29], off offset:144 ; 16-byte Folded Spill
	scratch_store_dwordx4 off, v[30:33], off offset:160 ; 16-byte Folded Spill
	scratch_store_dwordx4 off, v[34:37], off offset:176 ; 16-byte Folded Spill
	scratch_store_dwordx4 off, v[38:41], off offset:192 ; 16-byte Folded Spill
	scratch_store_dwordx4 off, v[42:45], off offset:208 ; 16-byte Folded Spill
	scratch_store_dwordx4 off, v[46:49], off offset:224 ; 16-byte Folded Spill
	scratch_store_dwordx4 off, v[50:53], off offset:240 ; 16-byte Folded Spill
	v_mov_b32_e32 v37, v252
	scratch_store_dwordx4 off, v[20:23], off ; 16-byte Folded Spill
	s_nop 0
	scratch_store_dwordx4 off, v[24:27], off offset:16 ; 16-byte Folded Spill
	scratch_store_dwordx4 off, v[28:31], off offset:32 ; 16-byte Folded Spill
	;; [unrolled: 1-line block ×7, first 2 shown]
.LBB38_151:
	s_or_b64 exec, exec, s[0:1]
	v_lshl_add_u32 v37, v255, 2, v254
	s_barrier
	ds_write_b32 v37, v71
	s_waitcnt lgkmcnt(0)
	s_barrier
	ds_read_b32 v37, v254 offset:36
	s_cmp_lt_i32 s22, 11
	v_mov_b32_e32 v38, 9
	s_cbranch_scc1 .LBB38_154
; %bb.152:
	v_add3_u32 v39, v248, 0, 40
	v_mov_b32_e32 v38, 9
	s_mov_b32 s0, 10
.LBB38_153:                             ; =>This Inner Loop Header: Depth=1
	ds_read_b32 v40, v39
	v_mov_b32_e32 v41, s0
	s_add_i32 s0, s0, 1
	v_add_u32_e32 v39, 4, v39
	s_cmp_lg_u32 s22, s0
	s_waitcnt lgkmcnt(0)
	v_cmp_lt_f32_e64 vcc, |v37|, |v40|
	s_nop 1
	v_cndmask_b32_e32 v37, v37, v40, vcc
	v_cndmask_b32_e32 v38, v38, v41, vcc
	s_cbranch_scc1 .LBB38_153
.LBB38_154:
	s_waitcnt lgkmcnt(0)
	v_cmp_eq_f32_e32 vcc, 0, v37
	s_and_saveexec_b64 s[0:1], vcc
	s_xor_b64 s[0:1], exec, s[0:1]
; %bb.155:
	v_cmp_ne_u32_e32 vcc, 0, v250
	s_nop 1
	v_cndmask_b32_e32 v250, 10, v250, vcc
; %bb.156:
	s_andn2_saveexec_b64 s[0:1], s[0:1]
	s_cbranch_execz .LBB38_158
; %bb.157:
	v_div_scale_f32 v39, s[2:3], v37, v37, 1.0
	v_rcp_f32_e32 v40, v39
	v_div_scale_f32 v41, vcc, 1.0, v37, 1.0
	v_fma_f32 v42, -v39, v40, 1.0
	v_fmac_f32_e32 v40, v42, v40
	v_mul_f32_e32 v42, v41, v40
	v_fma_f32 v43, -v39, v42, v41
	v_fmac_f32_e32 v42, v43, v40
	v_fma_f32 v39, -v39, v42, v41
	v_div_fmas_f32 v39, v39, v40, v42
	v_div_fixup_f32 v37, v39, v37, 1.0
.LBB38_158:
	s_or_b64 exec, exec, s[0:1]
	v_cmp_ne_u32_e32 vcc, v255, v38
	s_and_saveexec_b64 s[0:1], vcc
	s_xor_b64 s[0:1], exec, s[0:1]
	s_cbranch_execz .LBB38_164
; %bb.159:
	v_cmp_eq_u32_e32 vcc, 9, v255
	s_and_saveexec_b64 s[2:3], vcc
	s_cbranch_execz .LBB38_163
; %bb.160:
	v_cmp_ne_u32_e32 vcc, 9, v38
	s_xor_b64 s[18:19], s[16:17], -1
	s_and_b64 s[20:21], s[18:19], vcc
	s_and_saveexec_b64 s[18:19], s[20:21]
	s_cbranch_execz .LBB38_162
; %bb.161:
	scratch_load_dwordx2 v[44:45], off, off offset:1024 ; 8-byte Folded Reload
	v_ashrrev_i32_e32 v39, 31, v38
	s_waitcnt vmcnt(0)
	v_lshl_add_u64 v[40:41], v[38:39], 2, v[44:45]
	global_load_dword v39, v[40:41], off
	global_load_dword v42, v[44:45], off offset:36
	s_waitcnt vmcnt(1)
	global_store_dword v[44:45], v39, off offset:36
	s_waitcnt vmcnt(1)
	global_store_dword v[40:41], v42, off
.LBB38_162:
	s_or_b64 exec, exec, s[18:19]
	v_mov_b32_e32 v249, v38
	v_mov_b32_e32 v255, v38
.LBB38_163:
	s_or_b64 exec, exec, s[2:3]
.LBB38_164:
	s_andn2_saveexec_b64 s[0:1], s[0:1]
	s_cbranch_execz .LBB38_166
; %bb.165:
	v_mov_b32_e32 v255, 9
	ds_write2_b32 v254, v10, v11 offset0:10 offset1:11
	ds_write2_b32 v254, v12, v13 offset0:12 offset1:13
	;; [unrolled: 1-line block ×5, first 2 shown]
.LBB38_166:
	s_or_b64 exec, exec, s[0:1]
	v_cmp_lt_i32_e32 vcc, 9, v255
	s_waitcnt lgkmcnt(0)
	s_barrier
	s_and_saveexec_b64 s[0:1], vcc
	s_cbranch_execz .LBB38_168
; %bb.167:
	v_mul_f32_e32 v0, v71, v37
	ds_read2_b32 v[2:3], v254 offset0:10 offset1:11
	ds_read2_b32 v[4:5], v254 offset0:12 offset1:13
	;; [unrolled: 1-line block ×5, first 2 shown]
	scratch_load_dwordx4 v[22:25], off, off offset:640 ; 16-byte Folded Reload
	scratch_load_dwordx4 v[26:29], off, off offset:656 ; 16-byte Folded Reload
	;; [unrolled: 1-line block ×8, first 2 shown]
	s_waitcnt vmcnt(13) lgkmcnt(4)
	v_pk_fma_f32 v[222:223], v[0:1], v[2:3], v[10:11] op_sel_hi:[0,1,1] neg_lo:[1,0,0] neg_hi:[1,0,0]
	s_waitcnt lgkmcnt(3)
	v_pk_fma_f32 v[90:91], v[0:1], v[4:5], v[12:13] op_sel_hi:[0,1,1] neg_lo:[1,0,0] neg_hi:[1,0,0]
	s_waitcnt lgkmcnt(2)
	v_pk_fma_f32 v[130:131], v[0:1], v[6:7], v[14:15] op_sel_hi:[0,1,1] neg_lo:[1,0,0] neg_hi:[1,0,0]
	s_waitcnt vmcnt(1)
	v_mov_b32_e32 v47, v0
	v_mov_b32_e32 v31, v0
	;; [unrolled: 1-line block ×8, first 2 shown]
	s_waitcnt lgkmcnt(1)
	v_pk_fma_f32 v[18:19], v[0:1], v[8:9], v[18:19] op_sel_hi:[0,1,1] neg_lo:[1,0,0] neg_hi:[1,0,0]
	v_mov_b32_e32 v221, v0
	v_mov_b32_e32 v189, v0
	;; [unrolled: 1-line block ×88, first 2 shown]
	scratch_store_dwordx4 off, v[22:25], off offset:384 ; 16-byte Folded Spill
	s_nop 0
	scratch_store_dwordx4 off, v[26:29], off offset:400 ; 16-byte Folded Spill
	scratch_store_dwordx4 off, v[30:33], off offset:416 ; 16-byte Folded Spill
	;; [unrolled: 1-line block ×6, first 2 shown]
	s_waitcnt vmcnt(7)
	scratch_store_dwordx4 off, v[50:53], off offset:496 ; 16-byte Folded Spill
	s_waitcnt lgkmcnt(0)
	v_pk_fma_f32 v[36:37], v[0:1], v[20:21], v[16:17] op_sel_hi:[0,1,1] neg_lo:[1,0,0] neg_hi:[1,0,0]
	v_mov_b32_e32 v29, v0
	v_mov_b32_e32 v30, v222
	;; [unrolled: 1-line block ×38, first 2 shown]
	scratch_store_dwordx4 off, v[38:41], off offset:512 ; 16-byte Folded Spill
	s_nop 0
	scratch_store_dwordx4 off, v[42:45], off offset:528 ; 16-byte Folded Spill
	scratch_store_dwordx4 off, v[46:49], off offset:544 ; 16-byte Folded Spill
	;; [unrolled: 1-line block ×7, first 2 shown]
	v_mov_b32_e32 v61, v91
	v_mov_b32_e32 v60, v130
	;; [unrolled: 1-line block ×5, first 2 shown]
	scratch_store_dwordx4 off, v[116:119], off offset:256 ; 16-byte Folded Spill
	s_nop 0
	scratch_store_dwordx4 off, v[120:123], off offset:272 ; 16-byte Folded Spill
	scratch_store_dwordx4 off, v[124:127], off offset:288 ; 16-byte Folded Spill
	;; [unrolled: 1-line block ×8, first 2 shown]
	s_nop 0
	scratch_store_dwordx4 off, v[26:29], off offset:144 ; 16-byte Folded Spill
	scratch_store_dwordx4 off, v[30:33], off offset:160 ; 16-byte Folded Spill
	scratch_store_dwordx4 off, v[34:37], off offset:176 ; 16-byte Folded Spill
	scratch_store_dwordx4 off, v[38:41], off offset:192 ; 16-byte Folded Spill
	scratch_store_dwordx4 off, v[42:45], off offset:208 ; 16-byte Folded Spill
	scratch_store_dwordx4 off, v[46:49], off offset:224 ; 16-byte Folded Spill
	scratch_store_dwordx4 off, v[50:53], off offset:240 ; 16-byte Folded Spill
	scratch_store_dwordx4 off, v[20:23], off ; 16-byte Folded Spill
	s_nop 0
	scratch_store_dwordx4 off, v[24:27], off offset:16 ; 16-byte Folded Spill
	scratch_store_dwordx4 off, v[28:31], off offset:32 ; 16-byte Folded Spill
	;; [unrolled: 1-line block ×7, first 2 shown]
.LBB38_168:
	s_or_b64 exec, exec, s[0:1]
	v_lshl_add_u32 v37, v255, 2, v254
	s_barrier
	ds_write_b32 v37, v68
	s_waitcnt lgkmcnt(0)
	s_barrier
	ds_read_b32 v37, v254 offset:40
	s_cmp_lt_i32 s22, 12
	v_mov_b32_e32 v38, 10
	s_cbranch_scc1 .LBB38_171
; %bb.169:
	v_add3_u32 v39, v248, 0, 44
	v_mov_b32_e32 v38, 10
	s_mov_b32 s0, 11
.LBB38_170:                             ; =>This Inner Loop Header: Depth=1
	ds_read_b32 v40, v39
	v_mov_b32_e32 v41, s0
	s_add_i32 s0, s0, 1
	v_add_u32_e32 v39, 4, v39
	s_cmp_lg_u32 s22, s0
	s_waitcnt lgkmcnt(0)
	v_cmp_lt_f32_e64 vcc, |v37|, |v40|
	s_nop 1
	v_cndmask_b32_e32 v37, v37, v40, vcc
	v_cndmask_b32_e32 v38, v38, v41, vcc
	s_cbranch_scc1 .LBB38_170
.LBB38_171:
	s_waitcnt lgkmcnt(0)
	v_cmp_eq_f32_e32 vcc, 0, v37
	s_and_saveexec_b64 s[0:1], vcc
	s_xor_b64 s[0:1], exec, s[0:1]
; %bb.172:
	v_cmp_ne_u32_e32 vcc, 0, v250
	s_nop 1
	v_cndmask_b32_e32 v250, 11, v250, vcc
; %bb.173:
	s_andn2_saveexec_b64 s[0:1], s[0:1]
	s_cbranch_execz .LBB38_175
; %bb.174:
	v_div_scale_f32 v39, s[2:3], v37, v37, 1.0
	v_rcp_f32_e32 v40, v39
	v_div_scale_f32 v41, vcc, 1.0, v37, 1.0
	v_fma_f32 v42, -v39, v40, 1.0
	v_fmac_f32_e32 v40, v42, v40
	v_mul_f32_e32 v42, v41, v40
	v_fma_f32 v43, -v39, v42, v41
	v_fmac_f32_e32 v42, v43, v40
	v_fma_f32 v39, -v39, v42, v41
	v_div_fmas_f32 v39, v39, v40, v42
	v_div_fixup_f32 v37, v39, v37, 1.0
.LBB38_175:
	s_or_b64 exec, exec, s[0:1]
	v_cmp_ne_u32_e32 vcc, v255, v38
	s_and_saveexec_b64 s[0:1], vcc
	s_xor_b64 s[0:1], exec, s[0:1]
	s_cbranch_execz .LBB38_181
; %bb.176:
	v_cmp_eq_u32_e32 vcc, 10, v255
	s_and_saveexec_b64 s[2:3], vcc
	s_cbranch_execz .LBB38_180
; %bb.177:
	v_cmp_ne_u32_e32 vcc, 10, v38
	s_xor_b64 s[18:19], s[16:17], -1
	s_and_b64 s[20:21], s[18:19], vcc
	s_and_saveexec_b64 s[18:19], s[20:21]
	s_cbranch_execz .LBB38_179
; %bb.178:
	scratch_load_dwordx2 v[44:45], off, off offset:1024 ; 8-byte Folded Reload
	v_ashrrev_i32_e32 v39, 31, v38
	s_waitcnt vmcnt(0)
	v_lshl_add_u64 v[40:41], v[38:39], 2, v[44:45]
	global_load_dword v39, v[40:41], off
	global_load_dword v42, v[44:45], off offset:40
	s_waitcnt vmcnt(1)
	global_store_dword v[44:45], v39, off offset:40
	s_waitcnt vmcnt(1)
	global_store_dword v[40:41], v42, off
.LBB38_179:
	s_or_b64 exec, exec, s[18:19]
	v_mov_b32_e32 v249, v38
	v_mov_b32_e32 v255, v38
.LBB38_180:
	s_or_b64 exec, exec, s[2:3]
.LBB38_181:
	s_andn2_saveexec_b64 s[0:1], s[0:1]
	s_cbranch_execz .LBB38_183
; %bb.182:
	v_mov_b32_e32 v255, 10
	ds_write2_b32 v254, v11, v12 offset0:11 offset1:12
	ds_write2_b32 v254, v13, v14 offset0:13 offset1:14
	;; [unrolled: 1-line block ×4, first 2 shown]
	ds_write_b32 v254, v251 offset:76
.LBB38_183:
	s_or_b64 exec, exec, s[0:1]
	v_cmp_lt_i32_e32 vcc, 10, v255
	s_waitcnt lgkmcnt(0)
	s_barrier
	s_and_saveexec_b64 s[0:1], vcc
	s_cbranch_execz .LBB38_185
; %bb.184:
	scratch_load_dwordx4 v[212:215], off, off offset:512 ; 16-byte Folded Reload
	scratch_load_dwordx4 v[216:219], off, off offset:528 ; 16-byte Folded Reload
	;; [unrolled: 1-line block ×8, first 2 shown]
	ds_read2_b32 v[0:1], v254 offset0:11 offset1:12
	ds_read2_b32 v[4:5], v254 offset0:13 offset1:14
	ds_read2_b32 v[6:7], v254 offset0:15 offset1:16
	ds_read2_b32 v[8:9], v254 offset0:17 offset1:18
	s_waitcnt vmcnt(5)
	v_mul_f32_e32 v222, v68, v37
	v_mov_b32_e32 v2, v11
	v_mov_b32_e32 v3, v12
	;; [unrolled: 1-line block ×9, first 2 shown]
	s_waitcnt lgkmcnt(3)
	v_pk_fma_f32 v[38:39], v[222:223], v[0:1], v[2:3] op_sel_hi:[0,1,1] neg_lo:[1,0,0] neg_hi:[1,0,0]
	v_mov_b32_e32 v0, v13
	v_mov_b32_e32 v1, v14
	s_waitcnt lgkmcnt(2)
	v_pk_fma_f32 v[40:41], v[222:223], v[4:5], v[0:1] op_sel_hi:[0,1,1] neg_lo:[1,0,0] neg_hi:[1,0,0]
	v_mov_b32_e32 v0, v15
	v_mov_b32_e32 v1, v16
	;; [unrolled: 4-line block ×4, first 2 shown]
	v_mov_b32_e32 v4, v214
	v_mov_b32_e32 v5, v215
	;; [unrolled: 1-line block ×13, first 2 shown]
	ds_read_b32 v0, v254 offset:76
	scratch_store_dwordx4 off, v[2:5], off offset:384 ; 16-byte Folded Spill
	s_nop 0
	scratch_store_dwordx4 off, v[6:9], off offset:400 ; 16-byte Folded Spill
	scratch_store_dwordx4 off, v[10:13], off offset:416 ; 16-byte Folded Spill
	;; [unrolled: 1-line block ×7, first 2 shown]
	v_mov_b32_e32 v22, v214
	v_mov_b32_e32 v23, v215
	;; [unrolled: 1-line block ×42, first 2 shown]
	scratch_store_dwordx4 off, v[22:25], off offset:256 ; 16-byte Folded Spill
	s_nop 0
	scratch_store_dwordx4 off, v[26:29], off offset:272 ; 16-byte Folded Spill
	scratch_store_dwordx4 off, v[30:33], off offset:288 ; 16-byte Folded Spill
	;; [unrolled: 1-line block ×7, first 2 shown]
	s_waitcnt lgkmcnt(0)
	v_fma_f32 v19, -v222, v0, v251
	s_waitcnt vmcnt(16)
	v_mov_b64_e32 v[180:181], v[212:213]
	v_mov_b32_e32 v80, v214
	v_mov_b32_e32 v81, v215
	;; [unrolled: 1-line block ×54, first 2 shown]
	v_mov_b64_e32 v[182:183], v[214:215]
	v_mov_b64_e32 v[184:185], v[216:217]
	;; [unrolled: 1-line block ×6, first 2 shown]
	v_mov_b32_e32 v251, v19
	v_mov_b64_e32 v[194:195], v[226:227]
	v_mov_b64_e32 v[196:197], v[228:229]
	;; [unrolled: 1-line block ×9, first 2 shown]
	v_mov_b32_e32 v38, v43
	scratch_store_dwordx4 off, v[22:25], off offset:128 ; 16-byte Folded Spill
	s_nop 0
	scratch_store_dwordx4 off, v[26:29], off offset:144 ; 16-byte Folded Spill
	scratch_store_dwordx4 off, v[30:33], off offset:160 ; 16-byte Folded Spill
	;; [unrolled: 1-line block ×7, first 2 shown]
	v_mov_b32_e32 v37, v252
	scratch_store_dwordx4 off, v[20:23], off ; 16-byte Folded Spill
	s_nop 0
	scratch_store_dwordx4 off, v[24:27], off offset:16 ; 16-byte Folded Spill
	scratch_store_dwordx4 off, v[28:31], off offset:32 ; 16-byte Folded Spill
	scratch_store_dwordx4 off, v[32:35], off offset:48 ; 16-byte Folded Spill
	scratch_store_dwordx4 off, v[36:39], off offset:64 ; 16-byte Folded Spill
	scratch_store_dwordx4 off, v[40:43], off offset:80 ; 16-byte Folded Spill
	scratch_store_dwordx4 off, v[44:47], off offset:96 ; 16-byte Folded Spill
	scratch_store_dwordx4 off, v[48:51], off offset:112 ; 16-byte Folded Spill
.LBB38_185:
	s_or_b64 exec, exec, s[0:1]
	v_lshl_add_u32 v37, v255, 2, v254
	s_barrier
	ds_write_b32 v37, v69
	s_waitcnt lgkmcnt(0)
	s_barrier
	ds_read_b32 v37, v254 offset:44
	s_cmp_lt_i32 s22, 13
	v_mov_b32_e32 v38, 11
	s_cbranch_scc1 .LBB38_188
; %bb.186:
	v_add3_u32 v39, v248, 0, 48
	v_mov_b32_e32 v38, 11
	s_mov_b32 s0, 12
.LBB38_187:                             ; =>This Inner Loop Header: Depth=1
	ds_read_b32 v40, v39
	v_mov_b32_e32 v41, s0
	s_add_i32 s0, s0, 1
	v_add_u32_e32 v39, 4, v39
	s_cmp_lg_u32 s22, s0
	s_waitcnt lgkmcnt(0)
	v_cmp_lt_f32_e64 vcc, |v37|, |v40|
	s_nop 1
	v_cndmask_b32_e32 v37, v37, v40, vcc
	v_cndmask_b32_e32 v38, v38, v41, vcc
	s_cbranch_scc1 .LBB38_187
.LBB38_188:
	s_waitcnt lgkmcnt(0)
	v_cmp_eq_f32_e32 vcc, 0, v37
	s_and_saveexec_b64 s[0:1], vcc
	s_xor_b64 s[0:1], exec, s[0:1]
; %bb.189:
	v_cmp_ne_u32_e32 vcc, 0, v250
	s_nop 1
	v_cndmask_b32_e32 v250, 12, v250, vcc
; %bb.190:
	s_andn2_saveexec_b64 s[0:1], s[0:1]
	s_cbranch_execz .LBB38_192
; %bb.191:
	v_div_scale_f32 v39, s[2:3], v37, v37, 1.0
	v_rcp_f32_e32 v40, v39
	v_div_scale_f32 v41, vcc, 1.0, v37, 1.0
	v_fma_f32 v42, -v39, v40, 1.0
	v_fmac_f32_e32 v40, v42, v40
	v_mul_f32_e32 v42, v41, v40
	v_fma_f32 v43, -v39, v42, v41
	v_fmac_f32_e32 v42, v43, v40
	v_fma_f32 v39, -v39, v42, v41
	v_div_fmas_f32 v39, v39, v40, v42
	v_div_fixup_f32 v37, v39, v37, 1.0
.LBB38_192:
	s_or_b64 exec, exec, s[0:1]
	v_cmp_ne_u32_e32 vcc, v255, v38
	s_and_saveexec_b64 s[0:1], vcc
	s_xor_b64 s[0:1], exec, s[0:1]
	s_cbranch_execz .LBB38_198
; %bb.193:
	v_cmp_eq_u32_e32 vcc, 11, v255
	s_and_saveexec_b64 s[2:3], vcc
	s_cbranch_execz .LBB38_197
; %bb.194:
	v_cmp_ne_u32_e32 vcc, 11, v38
	s_xor_b64 s[18:19], s[16:17], -1
	s_and_b64 s[20:21], s[18:19], vcc
	s_and_saveexec_b64 s[18:19], s[20:21]
	s_cbranch_execz .LBB38_196
; %bb.195:
	scratch_load_dwordx2 v[44:45], off, off offset:1024 ; 8-byte Folded Reload
	v_ashrrev_i32_e32 v39, 31, v38
	s_waitcnt vmcnt(0)
	v_lshl_add_u64 v[40:41], v[38:39], 2, v[44:45]
	global_load_dword v39, v[40:41], off
	global_load_dword v42, v[44:45], off offset:44
	s_waitcnt vmcnt(1)
	global_store_dword v[44:45], v39, off offset:44
	s_waitcnt vmcnt(1)
	global_store_dword v[40:41], v42, off
.LBB38_196:
	s_or_b64 exec, exec, s[18:19]
	v_mov_b32_e32 v249, v38
	v_mov_b32_e32 v255, v38
.LBB38_197:
	s_or_b64 exec, exec, s[2:3]
.LBB38_198:
	s_andn2_saveexec_b64 s[0:1], s[0:1]
	s_cbranch_execz .LBB38_200
; %bb.199:
	v_mov_b32_e32 v255, 11
	ds_write2_b32 v254, v12, v13 offset0:12 offset1:13
	ds_write2_b32 v254, v14, v15 offset0:14 offset1:15
	;; [unrolled: 1-line block ×4, first 2 shown]
.LBB38_200:
	s_or_b64 exec, exec, s[0:1]
	v_cmp_lt_i32_e32 vcc, 11, v255
	s_waitcnt lgkmcnt(0)
	s_barrier
	s_and_saveexec_b64 s[0:1], vcc
	s_cbranch_execz .LBB38_202
; %bb.201:
	ds_read2_b32 v[0:1], v254 offset0:12 offset1:13
	ds_read2_b32 v[2:3], v254 offset0:14 offset1:15
	;; [unrolled: 1-line block ×4, first 2 shown]
	v_mul_f32_e32 v8, v69, v37
	s_waitcnt lgkmcnt(3)
	v_pk_fma_f32 v[90:91], v[8:9], v[0:1], v[12:13] op_sel_hi:[0,1,1] neg_lo:[1,0,0] neg_hi:[1,0,0]
	s_waitcnt lgkmcnt(2)
	v_pk_fma_f32 v[130:131], v[8:9], v[2:3], v[14:15] op_sel_hi:[0,1,1] neg_lo:[1,0,0] neg_hi:[1,0,0]
	;; [unrolled: 2-line block ×3, first 2 shown]
	s_waitcnt vmcnt(7)
	v_mov_b32_e32 v20, v212
	v_mov_b32_e32 v21, v213
	v_mov_b32_e32 v22, v214
	v_mov_b32_e32 v23, v215
	s_waitcnt vmcnt(6)
	v_mov_b32_e32 v24, v216
	v_mov_b32_e32 v25, v217
	v_mov_b32_e32 v26, v218
	v_mov_b32_e32 v27, v219
	;; [unrolled: 5-line block ×3, first 2 shown]
	v_mov_b32_e32 v32, v90
	v_mov_b32_e32 v33, v91
	;; [unrolled: 1-line block ×4, first 2 shown]
	scratch_store_dwordx4 off, v[20:23], off offset:384 ; 16-byte Folded Spill
	s_nop 0
	scratch_store_dwordx4 off, v[24:27], off offset:400 ; 16-byte Folded Spill
	scratch_store_dwordx4 off, v[28:31], off offset:416 ; 16-byte Folded Spill
	;; [unrolled: 1-line block ×7, first 2 shown]
	s_waitcnt lgkmcnt(0)
	v_pk_fma_f32 v[18:19], v[8:9], v[6:7], v[18:19] op_sel_hi:[0,1,1] neg_lo:[1,0,0] neg_hi:[1,0,0]
	v_mov_b32_e32 v223, v8
	s_waitcnt vmcnt(8)
	v_mov_b64_e32 v[180:181], v[212:213]
	v_mov_b32_e32 v78, v212
	v_mov_b32_e32 v79, v213
	;; [unrolled: 1-line block ×76, first 2 shown]
	v_mov_b64_e32 v[182:183], v[214:215]
	v_mov_b64_e32 v[184:185], v[216:217]
	;; [unrolled: 1-line block ×6, first 2 shown]
	v_mov_b32_e32 v253, v18
	v_mov_b32_e32 v251, v19
	;; [unrolled: 1-line block ×6, first 2 shown]
	v_mov_b64_e32 v[194:195], v[226:227]
	v_mov_b64_e32 v[196:197], v[228:229]
	;; [unrolled: 1-line block ×9, first 2 shown]
	scratch_store_dwordx4 off, v[116:119], off offset:256 ; 16-byte Folded Spill
	s_nop 0
	scratch_store_dwordx4 off, v[120:123], off offset:272 ; 16-byte Folded Spill
	scratch_store_dwordx4 off, v[124:127], off offset:288 ; 16-byte Folded Spill
	;; [unrolled: 1-line block ×8, first 2 shown]
	s_nop 0
	scratch_store_dwordx4 off, v[26:29], off offset:144 ; 16-byte Folded Spill
	scratch_store_dwordx4 off, v[30:33], off offset:160 ; 16-byte Folded Spill
	;; [unrolled: 1-line block ×7, first 2 shown]
	scratch_store_dwordx4 off, v[20:23], off ; 16-byte Folded Spill
	s_nop 0
	scratch_store_dwordx4 off, v[24:27], off offset:16 ; 16-byte Folded Spill
	scratch_store_dwordx4 off, v[28:31], off offset:32 ; 16-byte Folded Spill
	;; [unrolled: 1-line block ×7, first 2 shown]
.LBB38_202:
	s_or_b64 exec, exec, s[0:1]
	v_lshl_add_u32 v37, v255, 2, v254
	s_barrier
	ds_write_b32 v37, v110
	s_waitcnt lgkmcnt(0)
	s_barrier
	ds_read_b32 v37, v254 offset:48
	s_cmp_lt_i32 s22, 14
	v_mov_b32_e32 v38, 12
	s_cbranch_scc1 .LBB38_341
; %bb.203:
	scratch_load_dwordx4 v[198:201], off, off offset:384 ; 16-byte Folded Reload
	scratch_load_dwordx4 v[202:205], off, off offset:400 ; 16-byte Folded Reload
	;; [unrolled: 1-line block ×8, first 2 shown]
	v_add3_u32 v39, v248, 0, 52
	v_mov_b32_e32 v38, 12
	s_mov_b32 s0, 13
.LBB38_204:                             ; =>This Inner Loop Header: Depth=1
	ds_read_b32 v40, v39
	v_mov_b32_e32 v41, s0
	s_add_i32 s0, s0, 1
	v_add_u32_e32 v39, 4, v39
	s_cmp_lg_u32 s22, s0
	s_waitcnt lgkmcnt(0)
	v_cmp_lt_f32_e64 vcc, |v37|, |v40|
	s_nop 1
	v_cndmask_b32_e32 v37, v37, v40, vcc
	v_cndmask_b32_e32 v38, v38, v41, vcc
	s_cbranch_scc1 .LBB38_204
; %bb.205:
	v_cmp_eq_f32_e32 vcc, 0, v37
	s_and_saveexec_b64 s[0:1], vcc
	s_xor_b64 s[0:1], exec, s[0:1]
.LBB38_206:
	v_cmp_ne_u32_e32 vcc, 0, v250
	s_nop 1
	v_cndmask_b32_e32 v250, 13, v250, vcc
.LBB38_207:
	s_andn2_saveexec_b64 s[0:1], s[0:1]
	s_cbranch_execz .LBB38_209
; %bb.208:
	v_div_scale_f32 v39, s[2:3], v37, v37, 1.0
	v_rcp_f32_e32 v40, v39
	v_div_scale_f32 v41, vcc, 1.0, v37, 1.0
	v_fma_f32 v42, -v39, v40, 1.0
	v_fmac_f32_e32 v40, v42, v40
	v_mul_f32_e32 v42, v41, v40
	v_fma_f32 v43, -v39, v42, v41
	v_fmac_f32_e32 v42, v43, v40
	v_fma_f32 v39, -v39, v42, v41
	v_div_fmas_f32 v39, v39, v40, v42
	v_div_fixup_f32 v37, v39, v37, 1.0
.LBB38_209:
	s_or_b64 exec, exec, s[0:1]
	v_cmp_ne_u32_e32 vcc, v255, v38
	s_and_saveexec_b64 s[0:1], vcc
	s_xor_b64 s[0:1], exec, s[0:1]
	s_cbranch_execz .LBB38_215
; %bb.210:
	v_cmp_eq_u32_e32 vcc, 12, v255
	s_and_saveexec_b64 s[2:3], vcc
	s_cbranch_execz .LBB38_214
; %bb.211:
	v_cmp_ne_u32_e32 vcc, 12, v38
	s_xor_b64 s[18:19], s[16:17], -1
	s_and_b64 s[20:21], s[18:19], vcc
	s_and_saveexec_b64 s[18:19], s[20:21]
	s_cbranch_execz .LBB38_213
; %bb.212:
	scratch_load_dwordx2 v[44:45], off, off offset:1024 ; 8-byte Folded Reload
	v_ashrrev_i32_e32 v39, 31, v38
	s_waitcnt vmcnt(0)
	v_lshl_add_u64 v[40:41], v[38:39], 2, v[44:45]
	global_load_dword v39, v[40:41], off
	global_load_dword v42, v[44:45], off offset:48
	s_waitcnt vmcnt(1)
	global_store_dword v[44:45], v39, off offset:48
	s_waitcnt vmcnt(1)
	global_store_dword v[40:41], v42, off
.LBB38_213:
	s_or_b64 exec, exec, s[18:19]
	v_mov_b32_e32 v249, v38
	v_mov_b32_e32 v255, v38
.LBB38_214:
	s_or_b64 exec, exec, s[2:3]
.LBB38_215:
	s_andn2_saveexec_b64 s[0:1], s[0:1]
	s_cbranch_execz .LBB38_217
; %bb.216:
	v_mov_b32_e32 v255, 12
	ds_write2_b32 v254, v13, v14 offset0:13 offset1:14
	ds_write2_b32 v254, v15, v16 offset0:15 offset1:16
	;; [unrolled: 1-line block ×3, first 2 shown]
	ds_write_b32 v254, v251 offset:76
.LBB38_217:
	s_or_b64 exec, exec, s[0:1]
	v_cmp_lt_i32_e32 vcc, 12, v255
	s_waitcnt lgkmcnt(0)
	s_barrier
	s_and_saveexec_b64 s[0:1], vcc
	s_cbranch_execz .LBB38_219
; %bb.218:
	ds_read2_b32 v[0:1], v254 offset0:13 offset1:14
	ds_read2_b32 v[4:5], v254 offset0:15 offset1:16
	;; [unrolled: 1-line block ×3, first 2 shown]
	ds_read_b32 v8, v254 offset:76
	s_waitcnt vmcnt(20)
	v_mul_f32_e32 v192, v110, v37
	v_mov_b32_e32 v2, v13
	v_mov_b32_e32 v3, v14
	s_waitcnt lgkmcnt(3)
	v_pk_fma_f32 v[38:39], v[192:193], v[0:1], v[2:3] op_sel_hi:[0,1,1] neg_lo:[1,0,0] neg_hi:[1,0,0]
	v_mov_b32_e32 v0, v15
	v_mov_b32_e32 v1, v16
	s_waitcnt lgkmcnt(2)
	v_pk_fma_f32 v[40:41], v[192:193], v[4:5], v[0:1] op_sel_hi:[0,1,1] neg_lo:[1,0,0] neg_hi:[1,0,0]
	v_mov_b32_e32 v0, v17
	v_mov_b32_e32 v1, v18
	v_mov_b32_e32 v22, v182
	v_mov_b32_e32 v23, v183
	v_mov_b32_e32 v24, v184
	v_mov_b32_e32 v25, v185
	v_mov_b32_e32 v26, v186
	v_mov_b32_e32 v27, v187
	v_mov_b32_e32 v28, v188
	v_mov_b32_e32 v29, v189
	v_mov_b32_e32 v30, v190
	v_mov_b32_e32 v31, v191
	v_mov_b32_e32 v32, v192
	v_mov_b32_e32 v33, v38
	v_mov_b32_e32 v34, v39
	v_mov_b32_e32 v35, v40
	v_mov_b32_e32 v36, v41
	v_mov_b32_e32 v37, v40
	s_waitcnt lgkmcnt(1)
	v_pk_fma_f32 v[252:253], v[192:193], v[6:7], v[0:1] op_sel_hi:[0,1,1] neg_lo:[1,0,0] neg_hi:[1,0,0]
	v_mov_b32_e32 v193, v38
	v_mov_b32_e32 v129, v38
	;; [unrolled: 1-line block ×3, first 2 shown]
	s_waitcnt vmcnt(4)
	v_mov_b32_e32 v211, v38
	v_mov_b32_e32 v212, v39
	;; [unrolled: 1-line block ×13, first 2 shown]
	scratch_store_dwordx4 off, v[22:25], off offset:256 ; 16-byte Folded Spill
	s_nop 0
	scratch_store_dwordx4 off, v[26:29], off offset:272 ; 16-byte Folded Spill
	scratch_store_dwordx4 off, v[30:33], off offset:288 ; 16-byte Folded Spill
	;; [unrolled: 1-line block ×7, first 2 shown]
	v_mov_b64_e32 v[84:85], v[180:181]
	s_waitcnt lgkmcnt(0)
	v_fma_f32 v19, -v192, v8, v251
	v_mov_b32_e32 v116, v180
	v_mov_b32_e32 v117, v181
	;; [unrolled: 1-line block ×54, first 2 shown]
	v_mov_b64_e32 v[86:87], v[182:183]
	v_mov_b64_e32 v[88:89], v[184:185]
	;; [unrolled: 1-line block ×16, first 2 shown]
	v_mov_b32_e32 v38, v41
	scratch_store_dwordx4 off, v[22:25], off offset:128 ; 16-byte Folded Spill
	s_nop 0
	scratch_store_dwordx4 off, v[26:29], off offset:144 ; 16-byte Folded Spill
	scratch_store_dwordx4 off, v[30:33], off offset:160 ; 16-byte Folded Spill
	;; [unrolled: 1-line block ×7, first 2 shown]
	v_mov_b64_e32 v[176:177], v[94:95]
	v_mov_b64_e32 v[174:175], v[92:93]
	;; [unrolled: 1-line block ×7, first 2 shown]
	v_mov_b32_e32 v165, v252
	v_mov_b32_e32 v17, v252
	;; [unrolled: 1-line block ×3, first 2 shown]
	v_mov_b64_e32 v[80:81], v[86:87]
	v_mov_b64_e32 v[82:83], v[88:89]
	;; [unrolled: 1-line block ×6, first 2 shown]
	v_mov_b32_e32 v251, v19
	v_mov_b32_e32 v37, v252
	v_mov_b64_e32 v[92:93], v[98:99]
	v_mov_b64_e32 v[94:95], v[100:101]
	;; [unrolled: 1-line block ×9, first 2 shown]
	scratch_store_dwordx4 off, v[20:23], off ; 16-byte Folded Spill
	s_nop 0
	scratch_store_dwordx4 off, v[24:27], off offset:16 ; 16-byte Folded Spill
	scratch_store_dwordx4 off, v[28:31], off offset:32 ; 16-byte Folded Spill
	;; [unrolled: 1-line block ×7, first 2 shown]
.LBB38_219:
	s_or_b64 exec, exec, s[0:1]
	v_lshl_add_u32 v37, v255, 2, v254
	s_barrier
	ds_write_b32 v37, v61
	s_waitcnt lgkmcnt(0)
	s_barrier
	ds_read_b32 v37, v254 offset:52
	s_cmp_lt_i32 s22, 15
	v_mov_b32_e32 v38, 13
	s_cbranch_scc1 .LBB38_222
; %bb.220:
	v_add3_u32 v39, v248, 0, 56
	v_mov_b32_e32 v38, 13
	s_mov_b32 s0, 14
.LBB38_221:                             ; =>This Inner Loop Header: Depth=1
	ds_read_b32 v40, v39
	v_mov_b32_e32 v41, s0
	s_add_i32 s0, s0, 1
	v_add_u32_e32 v39, 4, v39
	s_cmp_lg_u32 s22, s0
	s_waitcnt lgkmcnt(0)
	v_cmp_lt_f32_e64 vcc, |v37|, |v40|
	s_nop 1
	v_cndmask_b32_e32 v37, v37, v40, vcc
	v_cndmask_b32_e32 v38, v38, v41, vcc
	s_cbranch_scc1 .LBB38_221
.LBB38_222:
	s_waitcnt lgkmcnt(0)
	v_cmp_eq_f32_e32 vcc, 0, v37
	s_and_saveexec_b64 s[0:1], vcc
	s_xor_b64 s[0:1], exec, s[0:1]
; %bb.223:
	v_cmp_ne_u32_e32 vcc, 0, v250
	s_nop 1
	v_cndmask_b32_e32 v250, 14, v250, vcc
; %bb.224:
	s_andn2_saveexec_b64 s[0:1], s[0:1]
	s_cbranch_execz .LBB38_226
; %bb.225:
	v_div_scale_f32 v39, s[2:3], v37, v37, 1.0
	v_rcp_f32_e32 v40, v39
	v_div_scale_f32 v41, vcc, 1.0, v37, 1.0
	v_fma_f32 v42, -v39, v40, 1.0
	v_fmac_f32_e32 v40, v42, v40
	v_mul_f32_e32 v42, v41, v40
	v_fma_f32 v43, -v39, v42, v41
	v_fmac_f32_e32 v42, v43, v40
	v_fma_f32 v39, -v39, v42, v41
	v_div_fmas_f32 v39, v39, v40, v42
	v_div_fixup_f32 v37, v39, v37, 1.0
.LBB38_226:
	s_or_b64 exec, exec, s[0:1]
	v_cmp_ne_u32_e32 vcc, v255, v38
	s_and_saveexec_b64 s[0:1], vcc
	s_xor_b64 s[0:1], exec, s[0:1]
	s_cbranch_execz .LBB38_232
; %bb.227:
	v_cmp_eq_u32_e32 vcc, 13, v255
	s_and_saveexec_b64 s[2:3], vcc
	s_cbranch_execz .LBB38_231
; %bb.228:
	v_cmp_ne_u32_e32 vcc, 13, v38
	s_xor_b64 s[18:19], s[16:17], -1
	s_and_b64 s[20:21], s[18:19], vcc
	s_and_saveexec_b64 s[18:19], s[20:21]
	s_cbranch_execz .LBB38_230
; %bb.229:
	scratch_load_dwordx2 v[44:45], off, off offset:1024 ; 8-byte Folded Reload
	v_ashrrev_i32_e32 v39, 31, v38
	s_waitcnt vmcnt(0)
	v_lshl_add_u64 v[40:41], v[38:39], 2, v[44:45]
	global_load_dword v39, v[40:41], off
	global_load_dword v42, v[44:45], off offset:52
	s_waitcnt vmcnt(1)
	global_store_dword v[44:45], v39, off offset:52
	s_waitcnt vmcnt(1)
	global_store_dword v[40:41], v42, off
.LBB38_230:
	s_or_b64 exec, exec, s[18:19]
	v_mov_b32_e32 v249, v38
	v_mov_b32_e32 v255, v38
.LBB38_231:
	s_or_b64 exec, exec, s[2:3]
.LBB38_232:
	s_andn2_saveexec_b64 s[0:1], s[0:1]
	s_cbranch_execz .LBB38_234
; %bb.233:
	v_mov_b32_e32 v255, 13
	ds_write2_b32 v254, v14, v15 offset0:14 offset1:15
	ds_write2_b32 v254, v16, v17 offset0:16 offset1:17
	;; [unrolled: 1-line block ×3, first 2 shown]
.LBB38_234:
	s_or_b64 exec, exec, s[0:1]
	v_cmp_lt_i32_e32 vcc, 13, v255
	s_waitcnt lgkmcnt(0)
	s_barrier
	s_and_saveexec_b64 s[0:1], vcc
	s_cbranch_execz .LBB38_236
; %bb.235:
	ds_read2_b32 v[0:1], v254 offset0:14 offset1:15
	ds_read2_b32 v[2:3], v254 offset0:16 offset1:17
	;; [unrolled: 1-line block ×3, first 2 shown]
	v_mul_f32_e32 v38, v61, v37
	v_mov_b32_e32 v91, v38
	s_waitcnt lgkmcnt(2)
	v_pk_fma_f32 v[130:131], v[38:39], v[0:1], v[14:15] op_sel_hi:[0,1,1] neg_lo:[1,0,0] neg_hi:[1,0,0]
	s_waitcnt lgkmcnt(1)
	v_pk_fma_f32 v[36:37], v[38:39], v[2:3], v[16:17] op_sel_hi:[0,1,1] neg_lo:[1,0,0] neg_hi:[1,0,0]
	;; [unrolled: 2-line block ×3, first 2 shown]
	s_waitcnt vmcnt(19)
	v_mov_b64_e32 v[196:197], v[108:109]
	v_mov_b32_e32 v116, v78
	v_mov_b32_e32 v117, v79
	;; [unrolled: 1-line block ×14, first 2 shown]
	s_waitcnt vmcnt(7)
	v_mov_b32_e32 v198, v78
	v_mov_b32_e32 v199, v79
	v_mov_b32_e32 v200, v80
	v_mov_b32_e32 v201, v81
	s_waitcnt vmcnt(6)
	v_mov_b32_e32 v202, v82
	v_mov_b32_e32 v203, v83
	v_mov_b32_e32 v204, v84
	v_mov_b32_e32 v205, v85
	;; [unrolled: 5-line block ×4, first 2 shown]
	v_mov_b32_e32 v20, v78
	v_mov_b32_e32 v21, v79
	;; [unrolled: 1-line block ×52, first 2 shown]
	v_mov_b64_e32 v[194:195], v[106:107]
	v_mov_b64_e32 v[192:193], v[104:105]
	;; [unrolled: 1-line block ×15, first 2 shown]
	v_mov_b32_e32 v60, v130
	v_mov_b32_e32 v253, v18
	;; [unrolled: 1-line block ×4, first 2 shown]
	scratch_store_dwordx4 off, v[116:119], off offset:256 ; 16-byte Folded Spill
	s_nop 0
	scratch_store_dwordx4 off, v[120:123], off offset:272 ; 16-byte Folded Spill
	scratch_store_dwordx4 off, v[124:127], off offset:288 ; 16-byte Folded Spill
	;; [unrolled: 1-line block ×8, first 2 shown]
	s_nop 0
	scratch_store_dwordx4 off, v[26:29], off offset:144 ; 16-byte Folded Spill
	scratch_store_dwordx4 off, v[30:33], off offset:160 ; 16-byte Folded Spill
	;; [unrolled: 1-line block ×7, first 2 shown]
	scratch_store_dwordx4 off, v[20:23], off ; 16-byte Folded Spill
	s_nop 0
	scratch_store_dwordx4 off, v[24:27], off offset:16 ; 16-byte Folded Spill
	scratch_store_dwordx4 off, v[28:31], off offset:32 ; 16-byte Folded Spill
	;; [unrolled: 1-line block ×7, first 2 shown]
.LBB38_236:
	s_or_b64 exec, exec, s[0:1]
	v_lshl_add_u32 v37, v255, 2, v254
	s_barrier
	ds_write_b32 v37, v60
	s_waitcnt lgkmcnt(0)
	s_barrier
	ds_read_b32 v37, v254 offset:56
	s_cmp_lt_i32 s22, 16
	v_mov_b32_e32 v38, 14
	s_cbranch_scc1 .LBB38_239
; %bb.237:
	v_add3_u32 v39, v248, 0, 60
	v_mov_b32_e32 v38, 14
	s_mov_b32 s0, 15
.LBB38_238:                             ; =>This Inner Loop Header: Depth=1
	ds_read_b32 v40, v39
	v_mov_b32_e32 v41, s0
	s_add_i32 s0, s0, 1
	v_add_u32_e32 v39, 4, v39
	s_cmp_lg_u32 s22, s0
	s_waitcnt lgkmcnt(0)
	v_cmp_lt_f32_e64 vcc, |v37|, |v40|
	s_nop 1
	v_cndmask_b32_e32 v37, v37, v40, vcc
	v_cndmask_b32_e32 v38, v38, v41, vcc
	s_cbranch_scc1 .LBB38_238
.LBB38_239:
	s_waitcnt lgkmcnt(0)
	v_cmp_eq_f32_e32 vcc, 0, v37
	s_and_saveexec_b64 s[0:1], vcc
	s_xor_b64 s[0:1], exec, s[0:1]
; %bb.240:
	v_cmp_ne_u32_e32 vcc, 0, v250
	s_nop 1
	v_cndmask_b32_e32 v250, 15, v250, vcc
; %bb.241:
	s_andn2_saveexec_b64 s[0:1], s[0:1]
	s_cbranch_execz .LBB38_243
; %bb.242:
	v_div_scale_f32 v39, s[2:3], v37, v37, 1.0
	v_rcp_f32_e32 v40, v39
	v_div_scale_f32 v41, vcc, 1.0, v37, 1.0
	v_fma_f32 v42, -v39, v40, 1.0
	v_fmac_f32_e32 v40, v42, v40
	v_mul_f32_e32 v42, v41, v40
	v_fma_f32 v43, -v39, v42, v41
	v_fmac_f32_e32 v42, v43, v40
	v_fma_f32 v39, -v39, v42, v41
	v_div_fmas_f32 v39, v39, v40, v42
	v_div_fixup_f32 v37, v39, v37, 1.0
.LBB38_243:
	s_or_b64 exec, exec, s[0:1]
	v_cmp_ne_u32_e32 vcc, v255, v38
	s_and_saveexec_b64 s[0:1], vcc
	s_xor_b64 s[0:1], exec, s[0:1]
	s_cbranch_execz .LBB38_249
; %bb.244:
	v_cmp_eq_u32_e32 vcc, 14, v255
	s_and_saveexec_b64 s[2:3], vcc
	s_cbranch_execz .LBB38_248
; %bb.245:
	v_cmp_ne_u32_e32 vcc, 14, v38
	s_xor_b64 s[18:19], s[16:17], -1
	s_and_b64 s[20:21], s[18:19], vcc
	s_and_saveexec_b64 s[18:19], s[20:21]
	s_cbranch_execz .LBB38_247
; %bb.246:
	scratch_load_dwordx2 v[44:45], off, off offset:1024 ; 8-byte Folded Reload
	v_ashrrev_i32_e32 v39, 31, v38
	s_waitcnt vmcnt(0)
	v_lshl_add_u64 v[40:41], v[38:39], 2, v[44:45]
	global_load_dword v39, v[40:41], off
	global_load_dword v42, v[44:45], off offset:56
	s_waitcnt vmcnt(1)
	global_store_dword v[44:45], v39, off offset:56
	s_waitcnt vmcnt(1)
	global_store_dword v[40:41], v42, off
.LBB38_247:
	s_or_b64 exec, exec, s[18:19]
	v_mov_b32_e32 v249, v38
	v_mov_b32_e32 v255, v38
.LBB38_248:
	s_or_b64 exec, exec, s[2:3]
.LBB38_249:
	s_andn2_saveexec_b64 s[0:1], s[0:1]
	s_cbranch_execz .LBB38_251
; %bb.250:
	v_mov_b32_e32 v255, 14
	ds_write2_b32 v254, v15, v16 offset0:15 offset1:16
	ds_write2_b32 v254, v17, v18 offset0:17 offset1:18
	ds_write_b32 v254, v251 offset:76
.LBB38_251:
	s_or_b64 exec, exec, s[0:1]
	v_cmp_lt_i32_e32 vcc, 14, v255
	s_waitcnt lgkmcnt(0)
	s_barrier
	s_and_saveexec_b64 s[0:1], vcc
	s_cbranch_execz .LBB38_253
; %bb.252:
	ds_read2_b32 v[0:1], v254 offset0:15 offset1:16
	ds_read2_b32 v[4:5], v254 offset0:17 offset1:18
	ds_read_b32 v6, v254 offset:76
	s_waitcnt vmcnt(23)
	v_mul_f32_e32 v180, v60, v37
	v_mov_b32_e32 v2, v15
	v_mov_b32_e32 v3, v16
	s_waitcnt lgkmcnt(2)
	v_pk_fma_f32 v[38:39], v[180:181], v[0:1], v[2:3] op_sel_hi:[0,1,1] neg_lo:[1,0,0] neg_hi:[1,0,0]
	v_mov_b32_e32 v0, v17
	v_mov_b32_e32 v1, v18
	;; [unrolled: 1-line block ×18, first 2 shown]
	s_waitcnt lgkmcnt(1)
	v_pk_fma_f32 v[252:253], v[180:181], v[4:5], v[0:1] op_sel_hi:[0,1,1] neg_lo:[1,0,0] neg_hi:[1,0,0]
	v_mov_b32_e32 v181, v38
	v_mov_b32_e32 v163, v38
	;; [unrolled: 1-line block ×5, first 2 shown]
	scratch_store_dwordx4 off, v[22:25], off offset:256 ; 16-byte Folded Spill
	s_nop 0
	scratch_store_dwordx4 off, v[26:29], off offset:272 ; 16-byte Folded Spill
	scratch_store_dwordx4 off, v[30:33], off offset:288 ; 16-byte Folded Spill
	;; [unrolled: 1-line block ×7, first 2 shown]
	s_waitcnt lgkmcnt(0)
	v_fma_f32 v19, -v180, v6, v251
	s_waitcnt vmcnt(8)
	v_mov_b64_e32 v[228:229], v[196:197]
	v_mov_b64_e32 v[116:117], v[166:167]
	v_mov_b32_e32 v20, v166
	v_mov_b32_e32 v21, v167
	;; [unrolled: 1-line block ×35, first 2 shown]
	v_mov_b64_e32 v[226:227], v[194:195]
	v_mov_b64_e32 v[224:225], v[192:193]
	;; [unrolled: 1-line block ×22, first 2 shown]
	v_mov_b32_e32 v251, v19
	v_mov_b64_e32 v[132:133], v[182:183]
	v_mov_b64_e32 v[134:135], v[184:185]
	;; [unrolled: 1-line block ×8, first 2 shown]
	v_mov_b32_e32 v38, v39
	scratch_store_dwordx4 off, v[22:25], off offset:128 ; 16-byte Folded Spill
	s_nop 0
	scratch_store_dwordx4 off, v[26:29], off offset:144 ; 16-byte Folded Spill
	scratch_store_dwordx4 off, v[30:33], off offset:160 ; 16-byte Folded Spill
	;; [unrolled: 1-line block ×7, first 2 shown]
	v_mov_b32_e32 v37, v252
	scratch_store_dwordx4 off, v[20:23], off ; 16-byte Folded Spill
	s_nop 0
	scratch_store_dwordx4 off, v[24:27], off offset:16 ; 16-byte Folded Spill
	scratch_store_dwordx4 off, v[28:31], off offset:32 ; 16-byte Folded Spill
	;; [unrolled: 1-line block ×7, first 2 shown]
.LBB38_253:
	s_or_b64 exec, exec, s[0:1]
	s_barrier
	scratch_load_dwordx4 v[68:71], off, off offset:256 ; 16-byte Folded Reload
	scratch_load_dwordx4 v[72:75], off, off offset:272 ; 16-byte Folded Reload
	;; [unrolled: 1-line block ×8, first 2 shown]
	v_lshl_add_u32 v37, v255, 2, v254
	s_cmp_lt_i32 s22, 17
	v_mov_b32_e32 v38, 15
	s_waitcnt vmcnt(4)
	ds_write_b32 v37, v83
	s_waitcnt lgkmcnt(0)
	s_barrier
	ds_read_b32 v37, v254 offset:60
	s_cbranch_scc1 .LBB38_256
; %bb.254:
	v_add3_u32 v39, v248, 0, 64
	v_mov_b32_e32 v38, 15
	s_mov_b32 s0, 16
.LBB38_255:                             ; =>This Inner Loop Header: Depth=1
	ds_read_b32 v40, v39
	v_mov_b32_e32 v41, s0
	s_add_i32 s0, s0, 1
	v_add_u32_e32 v39, 4, v39
	s_cmp_lg_u32 s22, s0
	s_waitcnt lgkmcnt(0)
	v_cmp_lt_f32_e64 vcc, |v37|, |v40|
	s_nop 1
	v_cndmask_b32_e32 v37, v37, v40, vcc
	v_cndmask_b32_e32 v38, v38, v41, vcc
	s_cbranch_scc1 .LBB38_255
.LBB38_256:
	s_waitcnt lgkmcnt(0)
	v_cmp_eq_f32_e32 vcc, 0, v37
	s_and_saveexec_b64 s[0:1], vcc
	s_xor_b64 s[0:1], exec, s[0:1]
; %bb.257:
	v_cmp_ne_u32_e32 vcc, 0, v250
	s_nop 1
	v_cndmask_b32_e32 v250, 16, v250, vcc
; %bb.258:
	s_andn2_saveexec_b64 s[0:1], s[0:1]
	s_cbranch_execz .LBB38_260
; %bb.259:
	v_div_scale_f32 v39, s[2:3], v37, v37, 1.0
	v_rcp_f32_e32 v40, v39
	v_div_scale_f32 v41, vcc, 1.0, v37, 1.0
	v_fma_f32 v42, -v39, v40, 1.0
	v_fmac_f32_e32 v40, v42, v40
	v_mul_f32_e32 v42, v41, v40
	v_fma_f32 v43, -v39, v42, v41
	v_fmac_f32_e32 v42, v43, v40
	v_fma_f32 v39, -v39, v42, v41
	v_div_fmas_f32 v39, v39, v40, v42
	v_div_fixup_f32 v37, v39, v37, 1.0
.LBB38_260:
	s_or_b64 exec, exec, s[0:1]
	v_cmp_ne_u32_e32 vcc, v255, v38
	s_and_saveexec_b64 s[0:1], vcc
	s_xor_b64 s[0:1], exec, s[0:1]
	s_cbranch_execz .LBB38_266
; %bb.261:
	v_cmp_eq_u32_e32 vcc, 15, v255
	s_and_saveexec_b64 s[2:3], vcc
	s_cbranch_execz .LBB38_265
; %bb.262:
	v_cmp_ne_u32_e32 vcc, 15, v38
	s_xor_b64 s[18:19], s[16:17], -1
	s_and_b64 s[20:21], s[18:19], vcc
	s_and_saveexec_b64 s[18:19], s[20:21]
	s_cbranch_execz .LBB38_264
; %bb.263:
	scratch_load_dwordx2 v[44:45], off, off offset:1024 ; 8-byte Folded Reload
	v_ashrrev_i32_e32 v39, 31, v38
	s_waitcnt vmcnt(0)
	v_lshl_add_u64 v[40:41], v[38:39], 2, v[44:45]
	global_load_dword v39, v[40:41], off
	global_load_dword v42, v[44:45], off offset:60
	s_waitcnt vmcnt(1)
	global_store_dword v[44:45], v39, off offset:60
	s_waitcnt vmcnt(1)
	global_store_dword v[40:41], v42, off
.LBB38_264:
	s_or_b64 exec, exec, s[18:19]
	v_mov_b32_e32 v249, v38
	v_mov_b32_e32 v255, v38
.LBB38_265:
	s_or_b64 exec, exec, s[2:3]
.LBB38_266:
	s_andn2_saveexec_b64 s[0:1], s[0:1]
	s_cbranch_execz .LBB38_268
; %bb.267:
	v_mov_b32_e32 v255, 15
	ds_write2_b32 v254, v16, v17 offset0:16 offset1:17
	ds_write2_b32 v254, v18, v19 offset0:18 offset1:19
.LBB38_268:
	s_or_b64 exec, exec, s[0:1]
	v_cmp_lt_i32_e32 vcc, 15, v255
	s_waitcnt lgkmcnt(0)
	s_barrier
	s_and_saveexec_b64 s[0:1], vcc
	s_cbranch_execz .LBB38_270
; %bb.269:
	ds_read2_b32 v[0:1], v254 offset0:16 offset1:17
	ds_read2_b32 v[2:3], v254 offset0:18 offset1:19
	scratch_load_dwordx4 v[68:71], off, off offset:256 ; 16-byte Folded Reload
	scratch_load_dwordx4 v[72:75], off, off offset:272 ; 16-byte Folded Reload
	;; [unrolled: 1-line block ×8, first 2 shown]
	v_mov_b32_e32 v20, v116
	v_mov_b32_e32 v21, v117
	;; [unrolled: 1-line block ×41, first 2 shown]
	s_waitcnt vmcnt(4)
	v_mul_f32_e32 v38, v83, v37
	v_mov_b32_e32 v131, v38
	s_waitcnt lgkmcnt(1)
	v_pk_fma_f32 v[36:37], v[38:39], v[0:1], v[16:17] op_sel_hi:[0,1,1] neg_lo:[1,0,0] neg_hi:[1,0,0]
	s_waitcnt lgkmcnt(0)
	v_pk_fma_f32 v[18:19], v[38:39], v[2:3], v[18:19] op_sel_hi:[0,1,1] neg_lo:[1,0,0] neg_hi:[1,0,0]
	v_mov_b64_e32 v[228:229], v[146:147]
	v_mov_b32_e32 v35, v38
	v_mov_b32_e32 v163, v38
	;; [unrolled: 1-line block ×11, first 2 shown]
	v_mov_b64_e32 v[226:227], v[144:145]
	v_mov_b64_e32 v[224:225], v[142:143]
	;; [unrolled: 1-line block ×15, first 2 shown]
	v_mov_b32_e32 v38, v36
	v_mov_b32_e32 v253, v18
	;; [unrolled: 1-line block ×3, first 2 shown]
	scratch_store_dwordx4 off, v[22:25], off offset:128 ; 16-byte Folded Spill
	s_nop 0
	scratch_store_dwordx4 off, v[26:29], off offset:144 ; 16-byte Folded Spill
	scratch_store_dwordx4 off, v[30:33], off offset:160 ; 16-byte Folded Spill
	;; [unrolled: 1-line block ×7, first 2 shown]
	scratch_store_dwordx4 off, v[20:23], off ; 16-byte Folded Spill
	s_nop 0
	scratch_store_dwordx4 off, v[24:27], off offset:16 ; 16-byte Folded Spill
	scratch_store_dwordx4 off, v[28:31], off offset:32 ; 16-byte Folded Spill
	;; [unrolled: 1-line block ×7, first 2 shown]
.LBB38_270:
	s_or_b64 exec, exec, s[0:1]
	s_barrier
	scratch_load_dwordx4 v[38:41], off, off offset:128 ; 16-byte Folded Reload
	scratch_load_dwordx4 v[42:45], off, off offset:144 ; 16-byte Folded Reload
	;; [unrolled: 1-line block ×8, first 2 shown]
	v_lshl_add_u32 v37, v255, 2, v254
	s_cmp_lt_i32 s22, 18
	s_waitcnt vmcnt(7)
	v_mov_b32_e32 v38, 16
	s_waitcnt vmcnt(3)
	ds_write_b32 v37, v54
	s_waitcnt lgkmcnt(0)
	s_barrier
	ds_read_b32 v37, v254 offset:64
	s_cbranch_scc1 .LBB38_273
; %bb.271:
	v_add_u32_e32 v39, 0x44, v254
	v_mov_b32_e32 v38, 16
	s_mov_b32 s0, 17
.LBB38_272:                             ; =>This Inner Loop Header: Depth=1
	ds_read_b32 v40, v39
	v_mov_b32_e32 v41, s0
	s_add_i32 s0, s0, 1
	v_add_u32_e32 v39, 4, v39
	s_cmp_lg_u32 s22, s0
	s_waitcnt lgkmcnt(0)
	v_cmp_lt_f32_e64 vcc, |v37|, |v40|
	s_nop 1
	v_cndmask_b32_e32 v37, v37, v40, vcc
	v_cndmask_b32_e32 v38, v38, v41, vcc
	s_cbranch_scc1 .LBB38_272
.LBB38_273:
	s_waitcnt lgkmcnt(0)
	v_cmp_eq_f32_e32 vcc, 0, v37
	s_and_saveexec_b64 s[0:1], vcc
	s_xor_b64 s[0:1], exec, s[0:1]
; %bb.274:
	v_cmp_ne_u32_e32 vcc, 0, v250
	s_nop 1
	v_cndmask_b32_e32 v250, 17, v250, vcc
; %bb.275:
	s_andn2_saveexec_b64 s[0:1], s[0:1]
	s_cbranch_execz .LBB38_277
; %bb.276:
	v_div_scale_f32 v39, s[2:3], v37, v37, 1.0
	v_rcp_f32_e32 v40, v39
	v_div_scale_f32 v41, vcc, 1.0, v37, 1.0
	v_fma_f32 v42, -v39, v40, 1.0
	v_fmac_f32_e32 v40, v42, v40
	v_mul_f32_e32 v42, v41, v40
	v_fma_f32 v43, -v39, v42, v41
	v_fmac_f32_e32 v42, v43, v40
	v_fma_f32 v39, -v39, v42, v41
	v_div_fmas_f32 v39, v39, v40, v42
	v_div_fixup_f32 v37, v39, v37, 1.0
.LBB38_277:
	s_or_b64 exec, exec, s[0:1]
	v_cmp_ne_u32_e32 vcc, v255, v38
	s_and_saveexec_b64 s[0:1], vcc
	s_xor_b64 s[0:1], exec, s[0:1]
	s_cbranch_execz .LBB38_283
; %bb.278:
	v_cmp_eq_u32_e32 vcc, 16, v255
	s_and_saveexec_b64 s[2:3], vcc
	s_cbranch_execz .LBB38_282
; %bb.279:
	v_cmp_ne_u32_e32 vcc, 16, v38
	s_xor_b64 s[18:19], s[16:17], -1
	s_and_b64 s[20:21], s[18:19], vcc
	s_and_saveexec_b64 s[18:19], s[20:21]
	s_cbranch_execz .LBB38_281
; %bb.280:
	scratch_load_dwordx2 v[44:45], off, off offset:1024 ; 8-byte Folded Reload
	v_ashrrev_i32_e32 v39, 31, v38
	s_waitcnt vmcnt(0)
	v_lshl_add_u64 v[40:41], v[38:39], 2, v[44:45]
	global_load_dword v39, v[40:41], off
	global_load_dword v42, v[44:45], off offset:64
	s_waitcnt vmcnt(1)
	global_store_dword v[44:45], v39, off offset:64
	s_waitcnt vmcnt(1)
	global_store_dword v[40:41], v42, off
.LBB38_281:
	s_or_b64 exec, exec, s[18:19]
	v_mov_b32_e32 v249, v38
	v_mov_b32_e32 v255, v38
.LBB38_282:
	s_or_b64 exec, exec, s[2:3]
.LBB38_283:
	s_andn2_saveexec_b64 s[0:1], s[0:1]
	s_cbranch_execz .LBB38_285
; %bb.284:
	v_mov_b32_e32 v255, 16
	ds_write2_b32 v254, v17, v18 offset0:17 offset1:18
	ds_write_b32 v254, v251 offset:76
.LBB38_285:
	s_or_b64 exec, exec, s[0:1]
	v_cmp_lt_i32_e32 vcc, 16, v255
	s_waitcnt lgkmcnt(0)
	s_barrier
	s_and_saveexec_b64 s[0:1], vcc
	s_cbranch_execz .LBB38_287
; %bb.286:
	ds_read2_b32 v[0:1], v254 offset0:17 offset1:18
	ds_read_b32 v4, v254 offset:76
	scratch_load_dwordx4 v[38:41], off, off offset:128 ; 16-byte Folded Reload
	scratch_load_dwordx4 v[42:45], off, off offset:144 ; 16-byte Folded Reload
	;; [unrolled: 1-line block ×8, first 2 shown]
	v_mov_b32_e32 v2, v17
	v_mov_b32_e32 v3, v18
	;; [unrolled: 1-line block ×13, first 2 shown]
	s_waitcnt vmcnt(3)
	v_mul_f32_e32 v214, v54, v37
	s_waitcnt lgkmcnt(1)
	v_pk_fma_f32 v[252:253], v[214:215], v[0:1], v[2:3] op_sel_hi:[0,1,1] neg_lo:[1,0,0] neg_hi:[1,0,0]
	v_mov_b32_e32 v215, v252
	v_mov_b64_e32 v[20:21], v[198:199]
	s_waitcnt lgkmcnt(0)
	v_fma_f32 v19, -v214, v4, v251
	v_mov_b64_e32 v[148:149], v[198:199]
	v_mov_b64_e32 v[36:37], v[214:215]
	v_mov_b32_e32 v0, v198
	v_mov_b32_e32 v1, v199
	;; [unrolled: 1-line block ×8, first 2 shown]
	v_mov_b64_e32 v[150:151], v[200:201]
	v_mov_b64_e32 v[152:153], v[202:203]
	;; [unrolled: 1-line block ×22, first 2 shown]
	v_mov_b32_e32 v37, v252
	v_mov_b32_e32 v251, v19
	v_mov_b64_e32 v[166:167], v[216:217]
	v_mov_b64_e32 v[168:169], v[218:219]
	;; [unrolled: 1-line block ×7, first 2 shown]
	scratch_store_dwordx4 off, v[20:23], off ; 16-byte Folded Spill
	s_nop 0
	scratch_store_dwordx4 off, v[24:27], off offset:16 ; 16-byte Folded Spill
	scratch_store_dwordx4 off, v[28:31], off offset:32 ; 16-byte Folded Spill
	;; [unrolled: 1-line block ×7, first 2 shown]
.LBB38_287:
	s_or_b64 exec, exec, s[0:1]
	s_barrier
	scratch_load_dwordx4 v[38:41], off, off ; 16-byte Folded Reload
	scratch_load_dwordx4 v[42:45], off, off offset:16 ; 16-byte Folded Reload
	scratch_load_dwordx4 v[46:49], off, off offset:32 ; 16-byte Folded Reload
	;; [unrolled: 1-line block ×7, first 2 shown]
	v_lshl_add_u32 v37, v255, 2, v254
	s_cmp_lt_i32 s22, 19
	s_waitcnt vmcnt(7)
	v_mov_b32_e32 v38, 17
	s_waitcnt vmcnt(3)
	ds_write_b32 v37, v55
	s_waitcnt lgkmcnt(0)
	s_barrier
	ds_read_b32 v37, v254 offset:68
	s_cbranch_scc1 .LBB38_290
; %bb.288:
	v_add_u32_e32 v39, 0x48, v254
	v_mov_b32_e32 v38, 17
	s_mov_b32 s0, 18
.LBB38_289:                             ; =>This Inner Loop Header: Depth=1
	ds_read_b32 v40, v39
	v_mov_b32_e32 v41, s0
	s_add_i32 s0, s0, 1
	v_add_u32_e32 v39, 4, v39
	s_cmp_lg_u32 s22, s0
	s_waitcnt lgkmcnt(0)
	v_cmp_lt_f32_e64 vcc, |v37|, |v40|
	s_nop 1
	v_cndmask_b32_e32 v37, v37, v40, vcc
	v_cndmask_b32_e32 v38, v38, v41, vcc
	s_cbranch_scc1 .LBB38_289
.LBB38_290:
	s_waitcnt lgkmcnt(0)
	v_cmp_eq_f32_e32 vcc, 0, v37
	s_and_saveexec_b64 s[0:1], vcc
	s_xor_b64 s[0:1], exec, s[0:1]
; %bb.291:
	v_cmp_ne_u32_e32 vcc, 0, v250
	s_nop 1
	v_cndmask_b32_e32 v250, 18, v250, vcc
; %bb.292:
	s_andn2_saveexec_b64 s[0:1], s[0:1]
	s_cbranch_execz .LBB38_294
; %bb.293:
	v_div_scale_f32 v39, s[2:3], v37, v37, 1.0
	v_rcp_f32_e32 v40, v39
	v_div_scale_f32 v41, vcc, 1.0, v37, 1.0
	v_fma_f32 v42, -v39, v40, 1.0
	v_fmac_f32_e32 v40, v42, v40
	v_mul_f32_e32 v42, v41, v40
	v_fma_f32 v43, -v39, v42, v41
	v_fmac_f32_e32 v42, v43, v40
	v_fma_f32 v39, -v39, v42, v41
	v_div_fmas_f32 v39, v39, v40, v42
	v_div_fixup_f32 v37, v39, v37, 1.0
.LBB38_294:
	s_or_b64 exec, exec, s[0:1]
	v_cmp_ne_u32_e32 vcc, v255, v38
	s_and_saveexec_b64 s[0:1], vcc
	s_xor_b64 s[0:1], exec, s[0:1]
	s_cbranch_execz .LBB38_300
; %bb.295:
	v_cmp_eq_u32_e32 vcc, 17, v255
	s_and_saveexec_b64 s[2:3], vcc
	s_cbranch_execz .LBB38_299
; %bb.296:
	v_cmp_ne_u32_e32 vcc, 17, v38
	s_xor_b64 s[18:19], s[16:17], -1
	s_and_b64 s[20:21], s[18:19], vcc
	s_and_saveexec_b64 s[18:19], s[20:21]
	s_cbranch_execz .LBB38_298
; %bb.297:
	scratch_load_dwordx2 v[44:45], off, off offset:1024 ; 8-byte Folded Reload
	v_ashrrev_i32_e32 v39, 31, v38
	s_waitcnt vmcnt(0)
	v_lshl_add_u64 v[40:41], v[38:39], 2, v[44:45]
	global_load_dword v39, v[40:41], off
	global_load_dword v42, v[44:45], off offset:68
	s_waitcnt vmcnt(1)
	global_store_dword v[44:45], v39, off offset:68
	s_waitcnt vmcnt(1)
	global_store_dword v[40:41], v42, off
.LBB38_298:
	s_or_b64 exec, exec, s[18:19]
	v_mov_b32_e32 v249, v38
	v_mov_b32_e32 v255, v38
.LBB38_299:
	s_or_b64 exec, exec, s[2:3]
.LBB38_300:
	s_andn2_saveexec_b64 s[0:1], s[0:1]
; %bb.301:
	v_mov_b32_e32 v255, 17
	ds_write2_b32 v254, v18, v19 offset0:18 offset1:19
; %bb.302:
	s_or_b64 exec, exec, s[0:1]
	v_cmp_lt_i32_e32 vcc, 17, v255
	s_waitcnt lgkmcnt(0)
	s_barrier
	s_and_saveexec_b64 s[0:1], vcc
	s_cbranch_execz .LBB38_304
; %bb.303:
	ds_read2_b32 v[2:3], v254 offset0:18 offset1:19
	scratch_load_dwordx4 v[38:41], off, off ; 16-byte Folded Reload
	scratch_load_dwordx4 v[42:45], off, off offset:16 ; 16-byte Folded Reload
	scratch_load_dwordx4 v[46:49], off, off offset:32 ; 16-byte Folded Reload
	scratch_load_dwordx4 v[50:53], off, off offset:48 ; 16-byte Folded Reload
	scratch_load_dwordx4 v[54:57], off, off offset:64 ; 16-byte Folded Reload
	scratch_load_dwordx4 v[58:61], off, off offset:80 ; 16-byte Folded Reload
	scratch_load_dwordx4 v[62:65], off, off offset:96 ; 16-byte Folded Reload
	scratch_load_dwordx4 v[66:69], off, off offset:112 ; 16-byte Folded Reload
	v_mov_b32_e32 v0, v20
	v_mov_b32_e32 v1, v21
	;; [unrolled: 1-line block ×15, first 2 shown]
	s_waitcnt vmcnt(3)
	v_mul_f32_e32 v38, v55, v37
	v_mov_b32_e32 v37, v38
	s_waitcnt lgkmcnt(0)
	v_pk_fma_f32 v[18:19], v[38:39], v[2:3], v[18:19] op_sel_hi:[0,1,1] neg_lo:[1,0,0] neg_hi:[1,0,0]
	v_mov_b64_e32 v[178:179], v[50:51]
	v_mov_b32_e32 v2, v22
	v_mov_b32_e32 v3, v23
	;; [unrolled: 1-line block ×3, first 2 shown]
	v_mov_b64_e32 v[164:165], v[36:37]
	v_mov_b64_e32 v[162:163], v[34:35]
	;; [unrolled: 1-line block ×9, first 2 shown]
	v_mov_b32_e32 v253, v18
	v_mov_b32_e32 v251, v19
	v_mov_b64_e32 v[176:177], v[48:49]
	v_mov_b64_e32 v[174:175], v[46:47]
	;; [unrolled: 1-line block ×6, first 2 shown]
.LBB38_304:
	s_or_b64 exec, exec, s[0:1]
	v_lshl_add_u32 v20, v255, 2, v254
	s_barrier
	ds_write_b32 v20, v253
	s_waitcnt lgkmcnt(0)
	s_barrier
	ds_read_b32 v22, v254 offset:72
	s_cmp_lt_i32 s22, 20
	v_mov_b32_e32 v20, 18
	s_cbranch_scc1 .LBB38_307
; %bb.305:
	v_add_u32_e32 v21, 0x4c, v254
	v_mov_b32_e32 v20, 18
	s_mov_b32 s0, 19
.LBB38_306:                             ; =>This Inner Loop Header: Depth=1
	ds_read_b32 v23, v21
	v_mov_b32_e32 v24, s0
	s_add_i32 s0, s0, 1
	v_add_u32_e32 v21, 4, v21
	s_cmp_lg_u32 s22, s0
	s_waitcnt lgkmcnt(0)
	v_cmp_lt_f32_e64 vcc, |v22|, |v23|
	s_nop 1
	v_cndmask_b32_e32 v22, v22, v23, vcc
	v_cndmask_b32_e32 v20, v20, v24, vcc
	s_cbranch_scc1 .LBB38_306
.LBB38_307:
	s_waitcnt lgkmcnt(0)
	v_cmp_eq_f32_e32 vcc, 0, v22
	s_and_saveexec_b64 s[0:1], vcc
	s_xor_b64 s[0:1], exec, s[0:1]
; %bb.308:
	v_cmp_ne_u32_e32 vcc, 0, v250
	s_nop 1
	v_cndmask_b32_e32 v250, 19, v250, vcc
; %bb.309:
	s_andn2_saveexec_b64 s[0:1], s[0:1]
	s_cbranch_execz .LBB38_311
; %bb.310:
	v_div_scale_f32 v21, s[2:3], v22, v22, 1.0
	v_rcp_f32_e32 v23, v21
	v_div_scale_f32 v24, vcc, 1.0, v22, 1.0
	v_fma_f32 v25, -v21, v23, 1.0
	v_fmac_f32_e32 v23, v25, v23
	v_mul_f32_e32 v25, v24, v23
	v_fma_f32 v26, -v21, v25, v24
	v_fmac_f32_e32 v25, v26, v23
	v_fma_f32 v21, -v21, v25, v24
	v_div_fmas_f32 v21, v21, v23, v25
	v_div_fixup_f32 v22, v21, v22, 1.0
.LBB38_311:
	s_or_b64 exec, exec, s[0:1]
	v_cmp_ne_u32_e32 vcc, v255, v20
	s_and_saveexec_b64 s[0:1], vcc
	s_xor_b64 s[0:1], exec, s[0:1]
	s_cbranch_execz .LBB38_317
; %bb.312:
	v_cmp_eq_u32_e32 vcc, 18, v255
	s_and_saveexec_b64 s[2:3], vcc
	s_cbranch_execz .LBB38_316
; %bb.313:
	v_cmp_ne_u32_e32 vcc, 18, v20
	s_xor_b64 s[18:19], s[16:17], -1
	s_and_b64 s[20:21], s[18:19], vcc
	s_and_saveexec_b64 s[18:19], s[20:21]
	s_cbranch_execz .LBB38_315
; %bb.314:
	scratch_load_dwordx2 v[26:27], off, off offset:1024 ; 8-byte Folded Reload
	v_ashrrev_i32_e32 v21, 31, v20
	s_waitcnt vmcnt(0)
	v_lshl_add_u64 v[24:25], v[20:21], 2, v[26:27]
	global_load_dword v21, v[24:25], off
	global_load_dword v23, v[26:27], off offset:72
	s_waitcnt vmcnt(1)
	global_store_dword v[26:27], v21, off offset:72
	s_waitcnt vmcnt(1)
	global_store_dword v[24:25], v23, off
.LBB38_315:
	s_or_b64 exec, exec, s[18:19]
	v_mov_b32_e32 v249, v20
	v_mov_b32_e32 v255, v20
.LBB38_316:
	s_or_b64 exec, exec, s[2:3]
.LBB38_317:
	s_andn2_saveexec_b64 s[0:1], s[0:1]
; %bb.318:
	v_mov_b32_e32 v255, 18
	ds_write_b32 v254, v251 offset:76
; %bb.319:
	s_or_b64 exec, exec, s[0:1]
	v_cmp_lt_i32_e32 vcc, 18, v255
	s_waitcnt lgkmcnt(0)
	s_barrier
	s_and_saveexec_b64 s[0:1], vcc
	s_cbranch_execz .LBB38_321
; %bb.320:
	ds_read_b32 v0, v254 offset:76
	v_mul_f32_e32 v166, v253, v22
	s_waitcnt lgkmcnt(0)
	v_fma_f32 v167, -v166, v0, v251
	v_mov_b64_e32 v[0:1], v[148:149]
	v_mov_b64_e32 v[2:3], v[150:151]
	;; [unrolled: 1-line block ×10, first 2 shown]
	v_mov_b32_e32 v251, v167
	v_mov_b64_e32 v[20:21], v[168:169]
	v_mov_b64_e32 v[22:23], v[170:171]
	;; [unrolled: 1-line block ×6, first 2 shown]
.LBB38_321:
	s_or_b64 exec, exec, s[0:1]
	v_lshl_add_u32 v20, v255, 2, v254
	s_barrier
	ds_write_b32 v20, v251
	s_waitcnt lgkmcnt(0)
	s_barrier
	ds_read_b32 v24, v254 offset:76
	s_cmp_lt_i32 s22, 21
	v_mov_b32_e32 v20, 19
	s_cbranch_scc1 .LBB38_324
; %bb.322:
	v_add_u32_e32 v21, 0x50, v254
	v_mov_b32_e32 v20, 19
	s_mov_b32 s0, 20
.LBB38_323:                             ; =>This Inner Loop Header: Depth=1
	ds_read_b32 v22, v21
	v_mov_b32_e32 v23, s0
	s_add_i32 s0, s0, 1
	v_add_u32_e32 v21, 4, v21
	s_cmp_lg_u32 s22, s0
	s_waitcnt lgkmcnt(0)
	v_cmp_lt_f32_e64 vcc, |v24|, |v22|
	s_nop 1
	v_cndmask_b32_e32 v24, v24, v22, vcc
	v_cndmask_b32_e32 v20, v20, v23, vcc
	s_cbranch_scc1 .LBB38_323
.LBB38_324:
	s_waitcnt lgkmcnt(0)
	v_cmp_eq_f32_e32 vcc, 0, v24
	s_and_saveexec_b64 s[0:1], vcc
	s_xor_b64 s[0:1], exec, s[0:1]
; %bb.325:
	v_cmp_ne_u32_e32 vcc, 0, v250
	s_nop 1
	v_cndmask_b32_e32 v250, 20, v250, vcc
; %bb.326:
	s_andn2_saveexec_b64 s[0:1], s[0:1]
	s_cbranch_execz .LBB38_328
; %bb.327:
	v_div_scale_f32 v21, s[2:3], v24, v24, 1.0
	v_rcp_f32_e32 v22, v21
	v_div_scale_f32 v23, vcc, 1.0, v24, 1.0
	v_fma_f32 v25, -v21, v22, 1.0
	v_fmac_f32_e32 v22, v25, v22
	v_mul_f32_e32 v25, v23, v22
	v_fma_f32 v26, -v21, v25, v23
	v_fmac_f32_e32 v25, v26, v22
	v_fma_f32 v21, -v21, v25, v23
	v_div_fmas_f32 v21, v21, v22, v25
	v_div_fixup_f32 v24, v21, v24, 1.0
.LBB38_328:
	s_or_b64 exec, exec, s[0:1]
	v_cmp_ne_u32_e32 vcc, v255, v20
	v_mov_b32_e32 v22, 19
	s_and_saveexec_b64 s[0:1], vcc
	s_cbranch_execz .LBB38_334
; %bb.329:
	v_cmp_eq_u32_e32 vcc, 19, v255
	s_and_saveexec_b64 s[2:3], vcc
	s_cbranch_execz .LBB38_333
; %bb.330:
	v_cmp_ne_u32_e32 vcc, 19, v20
	s_xor_b64 s[16:17], s[16:17], -1
	s_and_b64 s[18:19], s[16:17], vcc
	s_and_saveexec_b64 s[16:17], s[18:19]
	s_cbranch_execz .LBB38_332
; %bb.331:
	scratch_load_dwordx2 v[26:27], off, off offset:1024 ; 8-byte Folded Reload
	v_ashrrev_i32_e32 v21, 31, v20
	s_waitcnt vmcnt(0)
	v_lshl_add_u64 v[22:23], v[20:21], 2, v[26:27]
	global_load_dword v21, v[22:23], off
	global_load_dword v25, v[26:27], off offset:76
	s_waitcnt vmcnt(1)
	global_store_dword v[26:27], v21, off offset:76
	s_waitcnt vmcnt(1)
	global_store_dword v[22:23], v25, off
.LBB38_332:
	s_or_b64 exec, exec, s[16:17]
	v_mov_b32_e32 v249, v20
	v_mov_b32_e32 v255, v20
.LBB38_333:
	s_or_b64 exec, exec, s[2:3]
	v_mov_b32_e32 v22, v255
.LBB38_334:
	s_or_b64 exec, exec, s[0:1]
	v_cmp_gt_i32_e32 vcc, 20, v22
	v_ashrrev_i32_e32 v23, 31, v22
	s_barrier
	s_barrier
	s_and_saveexec_b64 s[0:1], vcc
	s_cbranch_execz .LBB38_336
; %bb.335:
	v_mul_lo_u32 v25, s11, v246
	v_mul_lo_u32 v28, s10, v247
	v_mad_u64_u32 v[26:27], s[2:3], s10, v246, 0
	v_mov_b32_e32 v20, s6
	v_mov_b32_e32 v21, s7
	v_add3_u32 v27, v27, v28, v25
	v_lshl_add_u64 v[20:21], v[26:27], 2, v[20:21]
	v_lshl_add_u64 v[20:21], s[8:9], 2, v[20:21]
	;; [unrolled: 1-line block ×3, first 2 shown]
	v_add3_u32 v25, v249, s15, 1
	global_store_dword v[20:21], v25, off
.LBB38_336:
	s_or_b64 exec, exec, s[0:1]
	v_cmp_eq_u32_e32 vcc, 0, v22
	s_and_saveexec_b64 s[2:3], vcc
	s_cbranch_execz .LBB38_339
; %bb.337:
	v_mov_b32_e32 v20, s4
	v_mov_b32_e32 v21, s5
	v_lshl_add_u64 v[20:21], v[246:247], 2, v[20:21]
	global_load_dword v25, v[20:21], off
	v_cmp_ne_u32_e64 s[0:1], 0, v250
	s_waitcnt vmcnt(0)
	v_cmp_eq_u32_e32 vcc, 0, v25
	s_and_b64 s[0:1], vcc, s[0:1]
	s_and_b64 exec, exec, s[0:1]
	s_cbranch_execz .LBB38_339
; %bb.338:
	v_add_u32_e32 v25, s15, v250
	global_store_dword v[20:21], v25, off
.LBB38_339:
	s_or_b64 exec, exec, s[2:3]
	v_mul_f32_e32 v20, v251, v24
	v_cmp_lt_i32_e32 vcc, 19, v22
	s_nop 1
	v_cndmask_b32_e32 v19, v19, v20, vcc
	v_lshl_add_u64 v[20:21], v[22:23], 2, v[244:245]
	global_store_dword v[20:21], v0, off
	v_lshl_add_u64 v[20:21], s[12:13], 2, v[20:21]
	v_add_u32_e32 v0, s14, v22
	global_store_dword v[20:21], v1, off
	v_ashrrev_i32_e32 v1, 31, v0
	v_lshl_add_u64 v[20:21], v[0:1], 2, v[244:245]
	v_add_u32_e32 v0, s12, v0
	v_ashrrev_i32_e32 v1, 31, v0
	global_store_dword v[20:21], v2, off
	v_lshl_add_u64 v[20:21], v[0:1], 2, v[244:245]
	v_add_u32_e32 v0, s12, v0
	v_ashrrev_i32_e32 v1, 31, v0
	global_store_dword v[20:21], v3, off
	;; [unrolled: 4-line block ×16, first 2 shown]
	v_lshl_add_u64 v[2:3], v[0:1], 2, v[244:245]
	v_add_u32_e32 v0, s12, v0
	v_ashrrev_i32_e32 v1, 31, v0
	v_lshl_add_u64 v[0:1], v[0:1], 2, v[244:245]
	global_store_dword v[2:3], v18, off
	global_store_dword v[0:1], v19, off
.LBB38_340:
	s_endpgm
.LBB38_341:
	scratch_load_dwordx4 v[198:201], off, off offset:384 ; 16-byte Folded Reload
	scratch_load_dwordx4 v[202:205], off, off offset:400 ; 16-byte Folded Reload
	;; [unrolled: 1-line block ×8, first 2 shown]
	s_waitcnt lgkmcnt(0)
	v_cmp_eq_f32_e32 vcc, 0, v37
	s_and_saveexec_b64 s[0:1], vcc
	s_xor_b64 s[0:1], exec, s[0:1]
	s_cbranch_execnz .LBB38_206
	s_branch .LBB38_207
	.section	.rodata,"a",@progbits
	.p2align	6, 0x0
	.amdhsa_kernel _ZN9rocsolver6v33100L18getf2_small_kernelILi20EfiiPfEEvT1_T3_lS3_lPS3_llPT2_S3_S3_S5_l
		.amdhsa_group_segment_fixed_size 0
		.amdhsa_private_segment_fixed_size 2316
		.amdhsa_kernarg_size 352
		.amdhsa_user_sgpr_count 2
		.amdhsa_user_sgpr_dispatch_ptr 0
		.amdhsa_user_sgpr_queue_ptr 0
		.amdhsa_user_sgpr_kernarg_segment_ptr 1
		.amdhsa_user_sgpr_dispatch_id 0
		.amdhsa_user_sgpr_kernarg_preload_length 0
		.amdhsa_user_sgpr_kernarg_preload_offset 0
		.amdhsa_user_sgpr_private_segment_size 0
		.amdhsa_uses_dynamic_stack 0
		.amdhsa_enable_private_segment 1
		.amdhsa_system_sgpr_workgroup_id_x 1
		.amdhsa_system_sgpr_workgroup_id_y 1
		.amdhsa_system_sgpr_workgroup_id_z 0
		.amdhsa_system_sgpr_workgroup_info 0
		.amdhsa_system_vgpr_workitem_id 1
		.amdhsa_next_free_vgpr 256
		.amdhsa_next_free_sgpr 28
		.amdhsa_accum_offset 256
		.amdhsa_reserve_vcc 1
		.amdhsa_float_round_mode_32 0
		.amdhsa_float_round_mode_16_64 0
		.amdhsa_float_denorm_mode_32 3
		.amdhsa_float_denorm_mode_16_64 3
		.amdhsa_dx10_clamp 1
		.amdhsa_ieee_mode 1
		.amdhsa_fp16_overflow 0
		.amdhsa_tg_split 0
		.amdhsa_exception_fp_ieee_invalid_op 0
		.amdhsa_exception_fp_denorm_src 0
		.amdhsa_exception_fp_ieee_div_zero 0
		.amdhsa_exception_fp_ieee_overflow 0
		.amdhsa_exception_fp_ieee_underflow 0
		.amdhsa_exception_fp_ieee_inexact 0
		.amdhsa_exception_int_div_zero 0
	.end_amdhsa_kernel
	.section	.text._ZN9rocsolver6v33100L18getf2_small_kernelILi20EfiiPfEEvT1_T3_lS3_lPS3_llPT2_S3_S3_S5_l,"axG",@progbits,_ZN9rocsolver6v33100L18getf2_small_kernelILi20EfiiPfEEvT1_T3_lS3_lPS3_llPT2_S3_S3_S5_l,comdat
.Lfunc_end38:
	.size	_ZN9rocsolver6v33100L18getf2_small_kernelILi20EfiiPfEEvT1_T3_lS3_lPS3_llPT2_S3_S3_S5_l, .Lfunc_end38-_ZN9rocsolver6v33100L18getf2_small_kernelILi20EfiiPfEEvT1_T3_lS3_lPS3_llPT2_S3_S3_S5_l
                                        ; -- End function
	.set _ZN9rocsolver6v33100L18getf2_small_kernelILi20EfiiPfEEvT1_T3_lS3_lPS3_llPT2_S3_S3_S5_l.num_vgpr, 256
	.set _ZN9rocsolver6v33100L18getf2_small_kernelILi20EfiiPfEEvT1_T3_lS3_lPS3_llPT2_S3_S3_S5_l.num_agpr, 0
	.set _ZN9rocsolver6v33100L18getf2_small_kernelILi20EfiiPfEEvT1_T3_lS3_lPS3_llPT2_S3_S3_S5_l.numbered_sgpr, 28
	.set _ZN9rocsolver6v33100L18getf2_small_kernelILi20EfiiPfEEvT1_T3_lS3_lPS3_llPT2_S3_S3_S5_l.num_named_barrier, 0
	.set _ZN9rocsolver6v33100L18getf2_small_kernelILi20EfiiPfEEvT1_T3_lS3_lPS3_llPT2_S3_S3_S5_l.private_seg_size, 2316
	.set _ZN9rocsolver6v33100L18getf2_small_kernelILi20EfiiPfEEvT1_T3_lS3_lPS3_llPT2_S3_S3_S5_l.uses_vcc, 1
	.set _ZN9rocsolver6v33100L18getf2_small_kernelILi20EfiiPfEEvT1_T3_lS3_lPS3_llPT2_S3_S3_S5_l.uses_flat_scratch, 0
	.set _ZN9rocsolver6v33100L18getf2_small_kernelILi20EfiiPfEEvT1_T3_lS3_lPS3_llPT2_S3_S3_S5_l.has_dyn_sized_stack, 0
	.set _ZN9rocsolver6v33100L18getf2_small_kernelILi20EfiiPfEEvT1_T3_lS3_lPS3_llPT2_S3_S3_S5_l.has_recursion, 0
	.set _ZN9rocsolver6v33100L18getf2_small_kernelILi20EfiiPfEEvT1_T3_lS3_lPS3_llPT2_S3_S3_S5_l.has_indirect_call, 0
	.section	.AMDGPU.csdata,"",@progbits
; Kernel info:
; codeLenInByte = 32172
; TotalNumSgprs: 34
; NumVgprs: 256
; NumAgprs: 0
; TotalNumVgprs: 256
; ScratchSize: 2316
; MemoryBound: 0
; FloatMode: 240
; IeeeMode: 1
; LDSByteSize: 0 bytes/workgroup (compile time only)
; SGPRBlocks: 4
; VGPRBlocks: 31
; NumSGPRsForWavesPerEU: 34
; NumVGPRsForWavesPerEU: 256
; AccumOffset: 256
; Occupancy: 2
; WaveLimiterHint : 0
; COMPUTE_PGM_RSRC2:SCRATCH_EN: 1
; COMPUTE_PGM_RSRC2:USER_SGPR: 2
; COMPUTE_PGM_RSRC2:TRAP_HANDLER: 0
; COMPUTE_PGM_RSRC2:TGID_X_EN: 1
; COMPUTE_PGM_RSRC2:TGID_Y_EN: 1
; COMPUTE_PGM_RSRC2:TGID_Z_EN: 0
; COMPUTE_PGM_RSRC2:TIDIG_COMP_CNT: 1
; COMPUTE_PGM_RSRC3_GFX90A:ACCUM_OFFSET: 63
; COMPUTE_PGM_RSRC3_GFX90A:TG_SPLIT: 0
	.section	.text._ZN9rocsolver6v33100L23getf2_npvt_small_kernelILi20EfiiPfEEvT1_T3_lS3_lPT2_S3_S3_,"axG",@progbits,_ZN9rocsolver6v33100L23getf2_npvt_small_kernelILi20EfiiPfEEvT1_T3_lS3_lPT2_S3_S3_,comdat
	.globl	_ZN9rocsolver6v33100L23getf2_npvt_small_kernelILi20EfiiPfEEvT1_T3_lS3_lPT2_S3_S3_ ; -- Begin function _ZN9rocsolver6v33100L23getf2_npvt_small_kernelILi20EfiiPfEEvT1_T3_lS3_lPT2_S3_S3_
	.p2align	8
	.type	_ZN9rocsolver6v33100L23getf2_npvt_small_kernelILi20EfiiPfEEvT1_T3_lS3_lPT2_S3_S3_,@function
_ZN9rocsolver6v33100L23getf2_npvt_small_kernelILi20EfiiPfEEvT1_T3_lS3_lPT2_S3_S3_: ; @_ZN9rocsolver6v33100L23getf2_npvt_small_kernelILi20EfiiPfEEvT1_T3_lS3_lPT2_S3_S3_
; %bb.0:
	s_load_dword s2, s[0:1], 0x44
	s_load_dwordx2 s[40:41], s[0:1], 0x30
	v_bfe_u32 v1, v0, 10, 10
	s_waitcnt lgkmcnt(0)
	s_lshr_b32 s8, s2, 16
	s_mul_i32 s3, s3, s8
	v_add_u32_e32 v246, s3, v1
	v_cmp_gt_i32_e32 vcc, s40, v246
	s_and_saveexec_b64 s[2:3], vcc
	s_cbranch_execz .LBB39_105
; %bb.1:
	s_load_dwordx4 s[12:15], s[0:1], 0x8
	s_load_dword s2, s[0:1], 0x18
	s_load_dwordx4 s[4:7], s[0:1], 0x20
	v_ashrrev_i32_e32 v247, 31, v246
	v_and_b32_e32 v252, 0x3ff, v0
	s_waitcnt lgkmcnt(0)
	v_mov_b32_e32 v2, s12
	v_mov_b32_e32 v3, s13
	v_mul_lo_u32 v0, s5, v246
	v_mul_lo_u32 v6, s4, v247
	v_mad_u64_u32 v[4:5], s[0:1], s4, v246, 0
	v_add3_u32 v5, v5, v6, v0
	v_lshl_add_u64 v[2:3], v[4:5], 2, v[2:3]
	v_lshl_add_u64 v[2:3], s[14:15], 2, v[2:3]
	v_lshlrev_b32_e32 v4, 2, v252
	v_mov_b32_e32 v5, 0
	s_add_i32 s0, s2, s2
	v_lshl_add_u64 v[20:21], v[2:3], 0, v[4:5]
	v_add_u32_e32 v4, s0, v252
	v_ashrrev_i32_e32 v5, 31, v4
	v_lshl_add_u64 v[16:17], v[4:5], 2, v[2:3]
	v_add_u32_e32 v4, s2, v4
	v_ashrrev_i32_e32 v5, 31, v4
	;; [unrolled: 3-line block ×17, first 2 shown]
	v_lshl_add_u64 v[46:47], v[4:5], 2, v[2:3]
	v_add_u32_e32 v4, s2, v4
	s_ashr_i32 s3, s2, 31
	v_ashrrev_i32_e32 v5, 31, v4
	v_lshl_add_u64 v[14:15], s[2:3], 2, v[20:21]
	v_lshl_add_u64 v[48:49], v[4:5], 2, v[2:3]
	scratch_store_dwordx2 off, v[6:7], off offset:1600 ; 8-byte Folded Spill
	global_load_dword v13, v[6:7], off
	global_load_dword v10, v[8:9], off
	;; [unrolled: 1-line block ×10, first 2 shown]
	s_mulk_i32 s8, 0x50
	scratch_store_dwordx2 off, v[8:9], off offset:1608 ; 8-byte Folded Spill
	scratch_store_dwordx2 off, v[18:19], off offset:1616 ; 8-byte Folded Spill
	;; [unrolled: 1-line block ×3, first 2 shown]
	global_load_dword v18, v[14:15], off
	s_movk_i32 s0, 0x50
	scratch_store_dwordx2 off, v[16:17], off offset:1552 ; 8-byte Folded Spill
	global_load_dword v19, v[16:17], off
	global_load_dword v6, v[40:41], off
	;; [unrolled: 1-line block ×9, first 2 shown]
	s_add_i32 s1, s8, 0
	v_mad_u32_u24 v254, v1, s0, 0
	v_lshl_add_u32 v253, v1, 2, s1
	v_cmp_ne_u32_e64 s[2:3], 0, v252
	v_cmp_eq_u32_e64 s[0:1], 0, v252
	scratch_store_dwordx2 off, v[32:33], off offset:1624 ; 8-byte Folded Spill
	scratch_store_dwordx2 off, v[34:35], off offset:1632 ; 8-byte Folded Spill
	;; [unrolled: 1-line block ×15, first 2 shown]
	s_and_saveexec_b64 s[4:5], s[0:1]
	s_cbranch_execz .LBB39_4
; %bb.2:
	s_waitcnt vmcnt(34)
	ds_write_b32 v253, v0
	s_waitcnt vmcnt(23)
	ds_write2_b32 v254, v18, v19 offset0:1 offset1:2
	s_waitcnt vmcnt(18)
	ds_write2_b32 v254, v14, v15 offset0:3 offset1:4
	s_waitcnt vmcnt(16)
	ds_write2_b32 v254, v16, v17 offset0:5 offset1:6
	ds_write2_b32 v254, v12, v13 offset0:7 offset1:8
	ds_write2_b32 v254, v10, v11 offset0:9 offset1:10
	;; [unrolled: 1-line block ×5, first 2 shown]
	s_waitcnt vmcnt(15)
	ds_write2_b32 v254, v8, v9 offset0:17 offset1:18
	ds_write_b32 v254, v251 offset:76
	ds_read_b32 v1, v253
	s_waitcnt lgkmcnt(0)
	v_cmp_neq_f32_e32 vcc, 0, v1
	s_and_b64 exec, exec, vcc
	s_cbranch_execz .LBB39_4
; %bb.3:
	v_div_scale_f32 v20, s[8:9], v1, v1, 1.0
	v_rcp_f32_e32 v21, v20
	v_div_scale_f32 v22, vcc, 1.0, v1, 1.0
	v_fma_f32 v23, -v20, v21, 1.0
	v_fmac_f32_e32 v21, v23, v21
	v_mul_f32_e32 v23, v22, v21
	v_fma_f32 v24, -v20, v23, v22
	v_fmac_f32_e32 v23, v24, v21
	v_fma_f32 v20, -v20, v23, v22
	v_div_fmas_f32 v20, v20, v21, v23
	v_div_fixup_f32 v1, v20, v1, 1.0
	ds_write_b32 v253, v1
.LBB39_4:
	s_or_b64 exec, exec, s[4:5]
	s_waitcnt lgkmcnt(0)
	s_barrier
	ds_read_b32 v245, v253
                                        ; implicit-def: $vgpr55
                                        ; implicit-def: $vgpr142
                                        ; implicit-def: $vgpr20
                                        ; implicit-def: $vgpr113
                                        ; implicit-def: $vgpr36
                                        ; implicit-def: $vgpr33
                                        ; implicit-def: $vgpr96
                                        ; implicit-def: $vgpr31
                                        ; implicit-def: $vgpr222
                                        ; implicit-def: $vgpr125
                                        ; implicit-def: $vgpr28
                                        ; implicit-def: $vgpr27
                                        ; implicit-def: $vgpr44
                                        ; implicit-def: $vgpr25
                                        ; implicit-def: $vgpr24
                                        ; implicit-def: $vgpr23
                                        ; implicit-def: $vgpr146
	s_and_saveexec_b64 s[4:5], s[2:3]
	s_xor_b64 s[2:3], exec, s[4:5]
	s_cbranch_execz .LBB39_6
; %bb.5:
	ds_read2_b32 v[20:21], v254 offset0:1 offset1:2
	ds_read2_b32 v[22:23], v254 offset0:3 offset1:4
	;; [unrolled: 1-line block ×3, first 2 shown]
	s_waitcnt vmcnt(34) lgkmcnt(3)
	v_mul_f32_e32 v0, v0, v245
	ds_read2_b32 v[26:27], v254 offset0:7 offset1:8
	s_waitcnt vmcnt(23) lgkmcnt(3)
	v_pk_fma_f32 v[20:21], v[0:1], v[20:21], v[18:19] op_sel_hi:[0,1,1] neg_lo:[1,0,0] neg_hi:[1,0,0]
	s_waitcnt vmcnt(18) lgkmcnt(2)
	v_pk_fma_f32 v[22:23], v[0:1], v[22:23], v[14:15] op_sel_hi:[0,1,1] neg_lo:[1,0,0] neg_hi:[1,0,0]
	ds_read2_b32 v[14:15], v254 offset0:9 offset1:10
	s_waitcnt vmcnt(16) lgkmcnt(2)
	v_pk_fma_f32 v[24:25], v[0:1], v[24:25], v[16:17] op_sel_hi:[0,1,1] neg_lo:[1,0,0] neg_hi:[1,0,0]
	s_waitcnt lgkmcnt(1)
	v_pk_fma_f32 v[26:27], v[0:1], v[26:27], v[12:13] op_sel_hi:[0,1,1] neg_lo:[1,0,0] neg_hi:[1,0,0]
	ds_read2_b32 v[12:13], v254 offset0:11 offset1:12
	ds_read2_b32 v[16:17], v254 offset0:13 offset1:14
	;; [unrolled: 1-line block ×3, first 2 shown]
	v_mov_b32_e32 v44, v25
	s_waitcnt lgkmcnt(3)
	v_pk_fma_f32 v[28:29], v[0:1], v[14:15], v[10:11] op_sel_hi:[0,1,1] neg_lo:[1,0,0] neg_hi:[1,0,0]
	ds_read2_b32 v[10:11], v254 offset0:17 offset1:18
	ds_read_b32 v1, v254 offset:76
                                        ; implicit-def: $vgpr14
	v_mov_b32_e32 v222, v29
	v_mov_b32_e32 v125, v28
	;; [unrolled: 1-line block ×4, first 2 shown]
	s_waitcnt lgkmcnt(0)
	v_pk_fma_f32 v[30:31], v[0:1], v[12:13], v[2:3] op_sel_hi:[0,1,1] neg_lo:[1,0,0] neg_hi:[1,0,0]
	v_pk_fma_f32 v[32:33], v[0:1], v[16:17], v[4:5] op_sel_hi:[0,1,1] neg_lo:[1,0,0] neg_hi:[1,0,0]
	;; [unrolled: 1-line block ×3, first 2 shown]
	s_waitcnt vmcnt(15)
	v_pk_fma_f32 v[36:37], v[0:1], v[10:11], v[8:9] op_sel_hi:[0,1,1] neg_lo:[1,0,0] neg_hi:[1,0,0]
	v_fma_f32 v251, -v0, v1, v251
	v_mov_b32_e32 v250, v37
                                        ; implicit-def: $vgpr18
                                        ; implicit-def: $vgpr16
                                        ; implicit-def: $vgpr12
                                        ; implicit-def: $vgpr10
                                        ; implicit-def: $vgpr2
                                        ; implicit-def: $vgpr4
                                        ; implicit-def: $vgpr6
                                        ; implicit-def: $vgpr8
	v_mov_b32_e32 v55, v36
	v_mov_b32_e32 v142, v35
	;; [unrolled: 1-line block ×11, first 2 shown]
.LBB39_6:
	s_or_saveexec_b64 s[2:3], s[2:3]
	v_mov_b32_e32 v1, v20
	s_xor_b64 exec, exec, s[2:3]
	s_cbranch_execz .LBB39_8
; %bb.7:
	s_waitcnt vmcnt(25)
	v_mov_b32_e32 v1, v18
	s_waitcnt vmcnt(23)
	v_mov_b32_e32 v146, v19
	s_waitcnt vmcnt(15)
	v_mov_b32_e32 v250, v9
	v_mov_b32_e32 v23, v14
	v_mov_b32_e32 v24, v15
	v_mov_b32_e32 v25, v16
	v_mov_b32_e32 v44, v17
	v_mov_b32_e32 v27, v12
	v_mov_b32_e32 v28, v13
	v_mov_b32_e32 v125, v10
	v_mov_b32_e32 v222, v11
	v_mov_b32_e32 v31, v2
	v_mov_b32_e32 v96, v3
	v_mov_b32_e32 v33, v4
	v_mov_b32_e32 v36, v5
	v_mov_b32_e32 v113, v6
	v_mov_b32_e32 v142, v7
	v_mov_b32_e32 v55, v8
.LBB39_8:
	s_or_b64 exec, exec, s[2:3]
	s_waitcnt vmcnt(36)
	v_mov_b32_e32 v2, v146
	v_mov_b32_e32 v49, v23
	s_waitcnt vmcnt(29)
	v_mov_b32_e32 v3, v23
	v_mov_b32_e32 v54, v24
	;; [unrolled: 1-line block ×5, first 2 shown]
	s_waitcnt vmcnt(22)
	v_mov_b32_e32 v6, v44
	v_mov_b32_e32 v69, v27
	s_waitcnt vmcnt(21)
	v_mov_b32_e32 v7, v27
	s_waitcnt vmcnt(20)
	;; [unrolled: 2-line block ×3, first 2 shown]
	v_mov_b32_e32 v9, v125
	v_mov_b32_e32 v10, v222
	;; [unrolled: 1-line block ×11, first 2 shown]
	v_cmp_eq_u32_e32 vcc, 1, v252
	s_waitcnt lgkmcnt(0)
	s_barrier
	s_and_saveexec_b64 s[2:3], vcc
	s_cbranch_execz .LBB39_11
; %bb.9:
	v_mov_b32_e32 v147, v49
	v_mov_b32_e32 v20, v54
	;; [unrolled: 1-line block ×3, first 2 shown]
	ds_write_b32 v253, v1
	ds_write2_b64 v254, v[146:147], v[20:21] offset0:1 offset1:2
	v_mov_b32_e32 v45, v69
	v_mov_b32_e32 v20, v28
	v_mov_b32_e32 v21, v125
	ds_write2_b64 v254, v[44:45], v[20:21] offset0:3 offset1:4
	v_mov_b32_e32 v223, v31
	v_mov_b32_e32 v20, v96
	v_mov_b32_e32 v21, v33
	;; [unrolled: 4-line block ×3, first 2 shown]
	ds_write2_b64 v254, v[36:37], v[20:21] offset0:7 offset1:8
	ds_write_b64 v254, v[250:251] offset:72
	ds_read_b32 v20, v253
	s_waitcnt lgkmcnt(0)
	v_cmp_neq_f32_e32 vcc, 0, v20
	s_and_b64 exec, exec, vcc
	s_cbranch_execz .LBB39_11
; %bb.10:
	v_div_scale_f32 v21, s[4:5], v20, v20, 1.0
	v_rcp_f32_e32 v22, v21
	v_div_scale_f32 v23, vcc, 1.0, v20, 1.0
	v_fma_f32 v24, -v21, v22, 1.0
	v_fmac_f32_e32 v22, v24, v22
	v_mul_f32_e32 v24, v23, v22
	v_fma_f32 v25, -v21, v24, v23
	v_fmac_f32_e32 v24, v25, v22
	v_fma_f32 v21, -v21, v24, v23
	v_div_fmas_f32 v21, v21, v22, v24
	v_div_fixup_f32 v20, v21, v20, 1.0
	ds_write_b32 v253, v20
.LBB39_11:
	s_or_b64 exec, exec, s[2:3]
	v_mov_b32_e32 v20, v0
	v_mov_b32_e32 v21, v1
	;; [unrolled: 1-line block ×68, first 2 shown]
	scratch_store_dwordx4 off, v[46:49], off offset:1828 ; 16-byte Folded Spill
	s_nop 0
	scratch_store_dwordx4 off, v[50:53], off offset:1844 ; 16-byte Folded Spill
	scratch_store_dwordx4 off, v[54:57], off offset:1860 ; 16-byte Folded Spill
	scratch_store_dwordx4 off, v[58:61], off offset:1876 ; 16-byte Folded Spill
	scratch_store_dwordx4 off, v[62:65], off offset:1892 ; 16-byte Folded Spill
	scratch_store_dwordx4 off, v[66:69], off offset:1908 ; 16-byte Folded Spill
	scratch_store_dwordx4 off, v[70:73], off offset:1924 ; 16-byte Folded Spill
	scratch_store_dwordx4 off, v[74:77], off offset:1940 ; 16-byte Folded Spill
	v_mov_b32_e32 v30, v78
	v_mov_b32_e32 v106, v78
	;; [unrolled: 1-line block ×68, first 2 shown]
	v_cmp_lt_u32_e32 vcc, 1, v252
	v_mov_b32_e32 v108, v222
	v_mov_b32_e32 v111, v161
	;; [unrolled: 1-line block ×4, first 2 shown]
	scratch_store_dwordx4 off, v[50:53], off offset:1956 ; 16-byte Folded Spill
	s_nop 0
	scratch_store_dwordx4 off, v[54:57], off offset:1972 ; 16-byte Folded Spill
	scratch_store_dwordx4 off, v[58:61], off offset:1988 ; 16-byte Folded Spill
	;; [unrolled: 1-line block ×7, first 2 shown]
	v_mov_b32_e32 v213, v1
	v_mov_b32_e32 v158, v222
	;; [unrolled: 1-line block ×3, first 2 shown]
	scratch_store_dwordx4 off, v[56:59], off offset:2212 ; 16-byte Folded Spill
	s_nop 0
	scratch_store_dwordx4 off, v[60:63], off offset:2228 ; 16-byte Folded Spill
	scratch_store_dwordx4 off, v[64:67], off offset:2244 ; 16-byte Folded Spill
	scratch_store_dwordx4 off, v[68:71], off offset:2260 ; 16-byte Folded Spill
	scratch_store_dwordx4 off, v[72:75], off offset:2276 ; 16-byte Folded Spill
	scratch_store_dwordx4 off, v[76:79], off offset:2292 ; 16-byte Folded Spill
	scratch_store_dwordx4 off, v[80:83], off offset:2308 ; 16-byte Folded Spill
	scratch_store_dwordx4 off, v[84:87], off offset:2324 ; 16-byte Folded Spill
	scratch_store_dwordx4 off, v[38:41], off offset:2084 ; 16-byte Folded Spill
	s_nop 0
	scratch_store_dwordx4 off, v[42:45], off offset:2100 ; 16-byte Folded Spill
	scratch_store_dwordx4 off, v[46:49], off offset:2116 ; 16-byte Folded Spill
	;; [unrolled: 1-line block ×7, first 2 shown]
	v_mov_b32_e32 v47, v125
	v_mov_b32_e32 v48, v222
	;; [unrolled: 1-line block ×8, first 2 shown]
	scratch_store_dwordx4 off, v[62:65], off offset:2468 ; 16-byte Folded Spill
	s_nop 0
	scratch_store_dwordx4 off, v[66:69], off offset:2484 ; 16-byte Folded Spill
	scratch_store_dwordx4 off, v[70:73], off offset:2500 ; 16-byte Folded Spill
	;; [unrolled: 1-line block ×7, first 2 shown]
	v_mov_b32_e32 v21, v55
	v_mov_b32_e32 v134, v78
	scratch_store_dwordx4 off, v[70:73], off offset:2340 ; 16-byte Folded Spill
	s_nop 0
	scratch_store_dwordx4 off, v[74:77], off offset:2356 ; 16-byte Folded Spill
	scratch_store_dwordx4 off, v[78:81], off offset:2372 ; 16-byte Folded Spill
	;; [unrolled: 1-line block ×7, first 2 shown]
	s_waitcnt lgkmcnt(0)
	s_barrier
	ds_read_b32 v20, v253
	v_mov_b32_e32 v45, v69
	v_mov_b32_e32 v70, v142
	;; [unrolled: 1-line block ×4, first 2 shown]
	s_waitcnt lgkmcnt(0)
	scratch_store_dword off, v20, off offset:1696 ; 4-byte Folded Spill
	v_mov_b32_e32 v79, v125
	v_mov_b32_e32 v75, v113
	;; [unrolled: 1-line block ×7, first 2 shown]
	scratch_store_dwordx4 off, v[4:7], off  ; 16-byte Folded Spill
	s_nop 0
	scratch_store_dwordx4 off, v[8:11], off offset:16 ; 16-byte Folded Spill
	scratch_store_dwordx4 off, v[12:15], off offset:32 ; 16-byte Folded Spill
	;; [unrolled: 1-line block ×8, first 2 shown]
	s_nop 0
	scratch_store_dwordx4 off, v[42:45], off offset:144 ; 16-byte Folded Spill
	scratch_store_dwordx4 off, v[46:49], off offset:160 ; 16-byte Folded Spill
	;; [unrolled: 1-line block ×8, first 2 shown]
	s_nop 0
	scratch_store_dwordx4 off, v[130:133], off offset:272 ; 16-byte Folded Spill
	scratch_store_dwordx4 off, v[134:137], off offset:288 ; 16-byte Folded Spill
	;; [unrolled: 1-line block ×7, first 2 shown]
	v_mov_b32_e32 v126, v96
	scratch_store_dwordx4 off, v[224:227], off offset:384 ; 16-byte Folded Spill
	s_nop 0
	scratch_store_dwordx4 off, v[228:231], off offset:400 ; 16-byte Folded Spill
	scratch_store_dwordx4 off, v[232:235], off offset:416 ; 16-byte Folded Spill
	;; [unrolled: 1-line block ×8, first 2 shown]
	s_nop 0
	scratch_store_dwordx4 off, v[120:123], off offset:528 ; 16-byte Folded Spill
	scratch_store_dwordx4 off, v[124:127], off offset:544 ; 16-byte Folded Spill
	;; [unrolled: 1-line block ×7, first 2 shown]
	v_mov_b64_e32 v[20:21], v[22:23]
	v_mov_b64_e32 v[22:23], v[24:25]
	v_mov_b64_e32 v[24:25], v[26:27]
	v_mov_b64_e32 v[26:27], v[28:29]
	v_mov_b64_e32 v[28:29], v[30:31]
	v_mov_b64_e32 v[30:31], v[32:33]
	v_mov_b64_e32 v[32:33], v[34:35]
	v_mov_b64_e32 v[34:35], v[36:37]
	v_mov_b64_e32 v[36:37], v[38:39]
	v_mov_b64_e32 v[38:39], v[40:41]
	v_mov_b64_e32 v[40:41], v[42:43]
	v_mov_b64_e32 v[42:43], v[44:45]
	v_mov_b64_e32 v[44:45], v[46:47]
	v_mov_b64_e32 v[46:47], v[48:49]
	v_mov_b64_e32 v[48:49], v[50:51]
	v_mov_b64_e32 v[50:51], v[52:53]
	scratch_load_dwordx4 v[36:39], off, off offset:2340 ; 16-byte Folded Reload
	scratch_load_dwordx4 v[40:43], off, off offset:2356 ; 16-byte Folded Reload
	;; [unrolled: 1-line block ×8, first 2 shown]
	v_mov_b64_e32 v[194:195], v[112:113]
	v_mov_b64_e32 v[192:193], v[110:111]
	;; [unrolled: 1-line block ×8, first 2 shown]
	s_waitcnt vmcnt(5)
	v_mov_b32_e32 v98, v44
	scratch_store_dwordx4 off, v[36:39], off offset:640 ; 16-byte Folded Spill
	s_nop 0
	scratch_store_dwordx4 off, v[40:43], off offset:656 ; 16-byte Folded Spill
	scratch_store_dwordx4 off, v[44:47], off offset:672 ; 16-byte Folded Spill
	s_waitcnt vmcnt(7)
	scratch_store_dwordx4 off, v[48:51], off offset:688 ; 16-byte Folded Spill
	s_waitcnt vmcnt(7)
	scratch_store_dwordx4 off, v[52:55], off offset:704 ; 16-byte Folded Spill
	s_waitcnt vmcnt(7)
	scratch_store_dwordx4 off, v[56:59], off offset:720 ; 16-byte Folded Spill
	s_waitcnt vmcnt(7)
	scratch_store_dwordx4 off, v[60:63], off offset:736 ; 16-byte Folded Spill
	s_waitcnt vmcnt(7)
	scratch_store_dwordx4 off, v[64:67], off offset:752 ; 16-byte Folded Spill
	scratch_load_dwordx4 v[36:39], off, off offset:2468 ; 16-byte Folded Reload
	s_nop 0
	scratch_load_dwordx4 v[40:43], off, off offset:2484 ; 16-byte Folded Reload
	scratch_load_dwordx4 v[44:47], off, off offset:2500 ; 16-byte Folded Reload
	scratch_load_dwordx4 v[48:51], off, off offset:2516 ; 16-byte Folded Reload
	scratch_load_dwordx4 v[52:55], off, off offset:2532 ; 16-byte Folded Reload
	scratch_load_dwordx4 v[56:59], off, off offset:2548 ; 16-byte Folded Reload
	scratch_load_dwordx4 v[60:63], off, off offset:2564 ; 16-byte Folded Reload
	scratch_load_dwordx4 v[64:67], off, off offset:2580 ; 16-byte Folded Reload
	s_waitcnt vmcnt(6)
	v_mov_b32_e32 v77, v43
	scratch_store_dwordx4 off, v[36:39], off offset:768 ; 16-byte Folded Spill
	s_nop 0
	scratch_store_dwordx4 off, v[40:43], off offset:784 ; 16-byte Folded Spill
	s_waitcnt vmcnt(7)
	scratch_store_dwordx4 off, v[44:47], off offset:800 ; 16-byte Folded Spill
	s_waitcnt vmcnt(7)
	scratch_store_dwordx4 off, v[48:51], off offset:816 ; 16-byte Folded Spill
	s_waitcnt vmcnt(7)
	scratch_store_dwordx4 off, v[52:55], off offset:832 ; 16-byte Folded Spill
	s_waitcnt vmcnt(7)
	scratch_store_dwordx4 off, v[56:59], off offset:848 ; 16-byte Folded Spill
	s_waitcnt vmcnt(7)
	scratch_store_dwordx4 off, v[60:63], off offset:864 ; 16-byte Folded Spill
	s_waitcnt vmcnt(7)
	scratch_store_dwordx4 off, v[64:67], off offset:880 ; 16-byte Folded Spill
	scratch_load_dwordx4 v[36:39], off, off offset:2084 ; 16-byte Folded Reload
	s_nop 0
	scratch_load_dwordx4 v[40:43], off, off offset:2100 ; 16-byte Folded Reload
	scratch_load_dwordx4 v[44:47], off, off offset:2116 ; 16-byte Folded Reload
	scratch_load_dwordx4 v[48:51], off, off offset:2132 ; 16-byte Folded Reload
	scratch_load_dwordx4 v[52:55], off, off offset:2148 ; 16-byte Folded Reload
	scratch_load_dwordx4 v[56:59], off, off offset:2164 ; 16-byte Folded Reload
	scratch_load_dwordx4 v[60:63], off, off offset:2180 ; 16-byte Folded Reload
	scratch_load_dwordx4 v[64:67], off, off offset:2196 ; 16-byte Folded Reload
	s_waitcnt vmcnt(6)
	v_mov_b32_e32 v118, v42
	scratch_store_dwordx4 off, v[36:39], off offset:896 ; 16-byte Folded Spill
	s_nop 0
	scratch_store_dwordx4 off, v[40:43], off offset:912 ; 16-byte Folded Spill
	s_waitcnt vmcnt(7)
	;; [unrolled: 26-line block ×4, first 2 shown]
	scratch_store_dwordx4 off, v[44:47], off offset:1184 ; 16-byte Folded Spill
	s_waitcnt vmcnt(7)
	scratch_store_dwordx4 off, v[48:51], off offset:1200 ; 16-byte Folded Spill
	s_waitcnt vmcnt(7)
	;; [unrolled: 2-line block ×5, first 2 shown]
	scratch_store_dwordx4 off, v[64:67], off offset:1264 ; 16-byte Folded Spill
	scratch_load_dwordx4 v[36:39], off, off offset:1828 ; 16-byte Folded Reload
	s_nop 0
	scratch_load_dwordx4 v[40:43], off, off offset:1844 ; 16-byte Folded Reload
	scratch_load_dwordx4 v[44:47], off, off offset:1860 ; 16-byte Folded Reload
	;; [unrolled: 1-line block ×7, first 2 shown]
	s_waitcnt vmcnt(7)
	v_mov_b32_e32 v147, v39
	scratch_store_dwordx4 off, v[36:39], off offset:1280 ; 16-byte Folded Spill
	s_waitcnt vmcnt(7)
	scratch_store_dwordx4 off, v[40:43], off offset:1296 ; 16-byte Folded Spill
	s_waitcnt vmcnt(7)
	scratch_store_dwordx4 off, v[44:47], off offset:1312 ; 16-byte Folded Spill
	s_waitcnt vmcnt(7)
	scratch_store_dwordx4 off, v[48:51], off offset:1328 ; 16-byte Folded Spill
	s_waitcnt vmcnt(7)
	scratch_store_dwordx4 off, v[52:55], off offset:1344 ; 16-byte Folded Spill
	s_waitcnt vmcnt(7)
	scratch_store_dwordx4 off, v[56:59], off offset:1360 ; 16-byte Folded Spill
	s_waitcnt vmcnt(7)
	scratch_store_dwordx4 off, v[60:63], off offset:1376 ; 16-byte Folded Spill
	s_waitcnt vmcnt(7)
	scratch_store_dwordx4 off, v[64:67], off offset:1392 ; 16-byte Folded Spill
	scratch_store_dwordx4 off, v[144:147], off offset:1408 ; 16-byte Folded Spill
	s_nop 0
	scratch_store_dwordx4 off, v[148:151], off offset:1424 ; 16-byte Folded Spill
	scratch_store_dwordx4 off, v[152:155], off offset:1440 ; 16-byte Folded Spill
	;; [unrolled: 1-line block ×8, first 2 shown]
	s_nop 0
	scratch_store_dwordx4 off, v[4:7], off offset:1716 ; 16-byte Folded Spill
	scratch_store_dwordx4 off, v[8:11], off offset:1732 ; 16-byte Folded Spill
	;; [unrolled: 1-line block ×7, first 2 shown]
	s_and_saveexec_b64 s[2:3], vcc
	s_cbranch_execz .LBB39_13
; %bb.12:
	scratch_load_dwordx4 v[2:5], off, off   ; 16-byte Folded Reload
	scratch_load_dwordx4 v[6:9], off, off offset:16 ; 16-byte Folded Reload
	scratch_load_dwordx4 v[10:13], off, off offset:32 ; 16-byte Folded Reload
	;; [unrolled: 1-line block ×7, first 2 shown]
	scratch_load_dword v2, off, off offset:1696 ; 4-byte Folded Reload
	v_mov_b32_e32 v116, v118
	v_mov_b32_e32 v117, v77
	;; [unrolled: 1-line block ×10, first 2 shown]
	s_waitcnt vmcnt(4)
	v_mov_b32_e32 v131, v19
	s_waitcnt vmcnt(0)
	v_mul_f32_e32 v18, v1, v2
	ds_read2_b64 v[2:5], v254 offset0:1 offset1:2
	ds_read2_b64 v[6:9], v254 offset0:3 offset1:4
	v_mov_b32_e32 v1, v18
	s_waitcnt lgkmcnt(1)
	v_pk_fma_f32 v[146:147], v[18:19], v[2:3], v[146:147] op_sel_hi:[0,1,1] neg_lo:[1,0,0] neg_hi:[1,0,0]
	v_pk_fma_f32 v[120:121], v[18:19], v[4:5], v[120:121] op_sel_hi:[0,1,1] neg_lo:[1,0,0] neg_hi:[1,0,0]
	s_waitcnt lgkmcnt(0)
	v_pk_fma_f32 v[116:117], v[18:19], v[6:7], v[116:117] op_sel_hi:[0,1,1] neg_lo:[1,0,0] neg_hi:[1,0,0]
	v_pk_fma_f32 v[122:123], v[18:19], v[8:9], v[122:123] op_sel_hi:[0,1,1] neg_lo:[1,0,0] neg_hi:[1,0,0]
	ds_read2_b64 v[2:5], v254 offset0:5 offset1:6
	ds_read2_b64 v[6:9], v254 offset0:7 offset1:8
	v_mov_b32_e32 v118, v116
	v_mov_b32_e32 v77, v117
	;; [unrolled: 1-line block ×3, first 2 shown]
	s_waitcnt lgkmcnt(1)
	v_pk_fma_f32 v[124:125], v[18:19], v[2:3], v[124:125] op_sel_hi:[0,1,1] neg_lo:[1,0,0] neg_hi:[1,0,0]
	ds_read_b64 v[2:3], v254 offset:72
	v_pk_fma_f32 v[126:127], v[18:19], v[4:5], v[126:127] op_sel_hi:[0,1,1] neg_lo:[1,0,0] neg_hi:[1,0,0]
	s_waitcnt lgkmcnt(1)
	v_pk_fma_f32 v[128:129], v[18:19], v[6:7], v[128:129] op_sel_hi:[0,1,1] neg_lo:[1,0,0] neg_hi:[1,0,0]
	v_pk_fma_f32 v[130:131], v[18:19], v[8:9], v[130:131] op_sel_hi:[0,1,1] neg_lo:[1,0,0] neg_hi:[1,0,0]
	v_mov_b32_e32 v74, v124
	s_waitcnt lgkmcnt(0)
	v_pk_fma_f32 v[250:251], v[18:19], v[2:3], v[250:251] op_sel_hi:[0,1,1] neg_lo:[1,0,0] neg_hi:[1,0,0]
	scratch_store_dwordx4 off, v[0:3], off offset:1700 ; 16-byte Folded Spill
	s_nop 0
	scratch_store_dwordx4 off, v[4:7], off offset:1716 ; 16-byte Folded Spill
	scratch_store_dwordx4 off, v[8:11], off offset:1732 ; 16-byte Folded Spill
	scratch_store_dwordx4 off, v[12:15], off offset:1748 ; 16-byte Folded Spill
	scratch_store_dwordx4 off, v[16:19], off offset:1764 ; 16-byte Folded Spill
	scratch_store_dwordx4 off, v[20:23], off offset:1780 ; 16-byte Folded Spill
	scratch_store_dwordx4 off, v[24:27], off offset:1796 ; 16-byte Folded Spill
	scratch_store_dwordx4 off, v[28:31], off offset:1812 ; 16-byte Folded Spill
	v_mov_b32_e32 v2, v146
	v_mov_b32_e32 v73, v125
	;; [unrolled: 1-line block ×6, first 2 shown]
	scratch_store_dwordx4 off, v[0:3], off offset:1408 ; 16-byte Folded Spill
	s_nop 0
	scratch_store_dwordx4 off, v[4:7], off offset:1424 ; 16-byte Folded Spill
	scratch_store_dwordx4 off, v[8:11], off offset:1440 ; 16-byte Folded Spill
	scratch_store_dwordx4 off, v[12:15], off offset:1456 ; 16-byte Folded Spill
	scratch_store_dwordx4 off, v[16:19], off offset:1472 ; 16-byte Folded Spill
	scratch_store_dwordx4 off, v[20:23], off offset:1488 ; 16-byte Folded Spill
	scratch_store_dwordx4 off, v[24:27], off offset:1504 ; 16-byte Folded Spill
	scratch_store_dwordx4 off, v[28:31], off offset:1520 ; 16-byte Folded Spill
	v_mov_b32_e32 v3, v147
	scratch_store_dwordx4 off, v[0:3], off offset:1280 ; 16-byte Folded Spill
	s_nop 0
	scratch_store_dwordx4 off, v[4:7], off offset:1296 ; 16-byte Folded Spill
	scratch_store_dwordx4 off, v[8:11], off offset:1312 ; 16-byte Folded Spill
	scratch_store_dwordx4 off, v[12:15], off offset:1328 ; 16-byte Folded Spill
	scratch_store_dwordx4 off, v[16:19], off offset:1344 ; 16-byte Folded Spill
	scratch_store_dwordx4 off, v[20:23], off offset:1360 ; 16-byte Folded Spill
	scratch_store_dwordx4 off, v[24:27], off offset:1376 ; 16-byte Folded Spill
	scratch_store_dwordx4 off, v[28:31], off offset:1392 ; 16-byte Folded Spill
	v_mov_b32_e32 v4, v120
	;; [unrolled: 10-line block ×8, first 2 shown]
	v_mov_b64_e32 v[242:243], v[30:31]
	v_mov_b64_e32 v[240:241], v[28:29]
	;; [unrolled: 1-line block ×16, first 2 shown]
	v_mov_b32_e32 v11, v125
	scratch_store_dwordx4 off, v[0:3], off offset:384 ; 16-byte Folded Spill
	s_nop 0
	scratch_store_dwordx4 off, v[4:7], off offset:400 ; 16-byte Folded Spill
	scratch_store_dwordx4 off, v[8:11], off offset:416 ; 16-byte Folded Spill
	;; [unrolled: 1-line block ×7, first 2 shown]
	v_mov_b32_e32 v12, v126
	v_mov_b64_e32 v[114:115], v[30:31]
	v_mov_b64_e32 v[112:113], v[28:29]
	v_mov_b64_e32 v[110:111], v[26:27]
	v_mov_b64_e32 v[108:109], v[24:25]
	v_mov_b64_e32 v[106:107], v[22:23]
	v_mov_b64_e32 v[104:105], v[20:21]
	v_mov_b64_e32 v[102:103], v[18:19]
	v_mov_b64_e32 v[100:101], v[16:17]
	v_mov_b64_e32 v[98:99], v[14:15]
	v_mov_b64_e32 v[96:97], v[12:13]
	v_mov_b64_e32 v[94:95], v[10:11]
	v_mov_b64_e32 v[92:93], v[8:9]
	v_mov_b64_e32 v[90:91], v[6:7]
	v_mov_b64_e32 v[88:89], v[4:5]
	v_mov_b64_e32 v[86:87], v[2:3]
	v_mov_b64_e32 v[84:85], v[0:1]
	v_mov_b32_e32 v13, v127
	v_mov_b64_e32 v[178:179], v[30:31]
	v_mov_b64_e32 v[176:177], v[28:29]
	v_mov_b64_e32 v[174:175], v[26:27]
	v_mov_b64_e32 v[172:173], v[24:25]
	v_mov_b64_e32 v[170:171], v[22:23]
	v_mov_b64_e32 v[168:169], v[20:21]
	v_mov_b64_e32 v[166:167], v[18:19]
	v_mov_b64_e32 v[164:165], v[16:17]
	v_mov_b64_e32 v[162:163], v[14:15]
	v_mov_b64_e32 v[160:161], v[12:13]
	v_mov_b64_e32 v[158:159], v[10:11]
	v_mov_b64_e32 v[156:157], v[8:9]
	v_mov_b64_e32 v[154:155], v[6:7]
	v_mov_b64_e32 v[152:153], v[4:5]
	v_mov_b64_e32 v[150:151], v[2:3]
	v_mov_b64_e32 v[148:149], v[0:1]
	;; [unrolled: 17-line block ×4, first 2 shown]
	v_mov_b32_e32 v16, v130
	scratch_store_dwordx4 off, v[0:3], off offset:256 ; 16-byte Folded Spill
	s_nop 0
	scratch_store_dwordx4 off, v[4:7], off offset:272 ; 16-byte Folded Spill
	scratch_store_dwordx4 off, v[8:11], off offset:288 ; 16-byte Folded Spill
	;; [unrolled: 1-line block ×7, first 2 shown]
	v_mov_b32_e32 v17, v131
	scratch_store_dwordx4 off, v[0:3], off offset:128 ; 16-byte Folded Spill
	s_nop 0
	scratch_store_dwordx4 off, v[4:7], off offset:144 ; 16-byte Folded Spill
	scratch_store_dwordx4 off, v[8:11], off offset:160 ; 16-byte Folded Spill
	;; [unrolled: 1-line block ×7, first 2 shown]
	v_mov_b32_e32 v18, v250
	v_mov_b32_e32 v19, v251
	;; [unrolled: 1-line block ×4, first 2 shown]
	scratch_store_dwordx4 off, v[18:21], off ; 16-byte Folded Spill
	s_nop 0
	scratch_store_dwordx4 off, v[22:25], off offset:16 ; 16-byte Folded Spill
	scratch_store_dwordx4 off, v[26:29], off offset:32 ; 16-byte Folded Spill
	;; [unrolled: 1-line block ×7, first 2 shown]
.LBB39_13:
	s_or_b64 exec, exec, s[2:3]
	v_cmp_eq_u32_e32 vcc, 2, v252
	s_waitcnt vmcnt(63) expcnt(7) lgkmcnt(15)
	s_barrier
	s_and_saveexec_b64 s[2:3], vcc
	s_cbranch_execz .LBB39_16
; %bb.14:
	ds_write_b32 v253, v146
	ds_write2_b32 v254, v3, v4 offset0:3 offset1:4
	ds_write2_b32 v254, v5, v6 offset0:5 offset1:6
	;; [unrolled: 1-line block ×8, first 2 shown]
	ds_write_b32 v254, v251 offset:76
	ds_read_b32 v35, v253
	s_waitcnt lgkmcnt(0)
	v_cmp_neq_f32_e32 vcc, 0, v35
	s_and_b64 exec, exec, vcc
	s_cbranch_execz .LBB39_16
; %bb.15:
	v_div_scale_f32 v36, s[4:5], v35, v35, 1.0
	v_rcp_f32_e32 v37, v36
	v_div_scale_f32 v38, vcc, 1.0, v35, 1.0
	v_fma_f32 v39, -v36, v37, 1.0
	v_fmac_f32_e32 v37, v39, v37
	v_mul_f32_e32 v39, v38, v37
	v_fma_f32 v40, -v36, v39, v38
	v_fmac_f32_e32 v39, v40, v37
	v_fma_f32 v36, -v36, v39, v38
	v_div_fmas_f32 v36, v36, v37, v39
	v_div_fixup_f32 v35, v36, v35, 1.0
	ds_write_b32 v253, v35
.LBB39_16:
	s_or_b64 exec, exec, s[2:3]
	s_waitcnt lgkmcnt(0)
	s_barrier
	ds_read_b32 v99, v253
	v_cmp_lt_u32_e32 vcc, 2, v252
	s_and_saveexec_b64 s[2:3], vcc
	s_cbranch_execz .LBB39_18
; %bb.17:
	scratch_load_dwordx4 v[20:23], off, off offset:1700 ; 16-byte Folded Reload
	scratch_load_dwordx4 v[24:27], off, off offset:1716 ; 16-byte Folded Reload
	;; [unrolled: 1-line block ×8, first 2 shown]
	ds_read2_b32 v[0:1], v254 offset0:3 offset1:4
	s_waitcnt lgkmcnt(1)
	v_mul_f32_e32 v72, v146, v99
	v_mov_b32_e32 v2, v3
	v_mov_b32_e32 v3, v4
	;; [unrolled: 1-line block ×3, first 2 shown]
	s_waitcnt vmcnt(3) lgkmcnt(0)
	v_pk_fma_f32 v[36:37], v[72:73], v[0:1], v[2:3] op_sel_hi:[0,1,1] neg_lo:[1,0,0] neg_hi:[1,0,0]
	v_mov_b32_e32 v0, v5
	v_mov_b32_e32 v1, v6
	;; [unrolled: 1-line block ×17, first 2 shown]
	v_mov_b64_e32 v[70:71], v[20:21]
	ds_read2_b32 v[20:21], v254 offset0:5 offset1:6
	ds_read2_b32 v[22:23], v254 offset0:7 offset1:8
	;; [unrolled: 1-line block ×3, first 2 shown]
	v_mov_b32_e32 v84, v70
	v_mov_b32_e32 v85, v71
	s_waitcnt lgkmcnt(2)
	v_pk_fma_f32 v[38:39], v[72:73], v[20:21], v[0:1] op_sel_hi:[0,1,1] neg_lo:[1,0,0] neg_hi:[1,0,0]
	v_mov_b32_e32 v0, v7
	v_mov_b32_e32 v1, v8
	s_waitcnt vmcnt(2) lgkmcnt(1)
	v_pk_fma_f32 v[40:41], v[72:73], v[22:23], v[0:1] op_sel_hi:[0,1,1] neg_lo:[1,0,0] neg_hi:[1,0,0]
	v_mov_b32_e32 v0, v9
	v_mov_b32_e32 v1, v10
	s_waitcnt lgkmcnt(0)
	v_pk_fma_f32 v[42:43], v[72:73], v[24:25], v[0:1] op_sel_hi:[0,1,1] neg_lo:[1,0,0] neg_hi:[1,0,0]
	ds_read2_b32 v[0:1], v254 offset0:11 offset1:12
	ds_read2_b32 v[4:5], v254 offset0:13 offset1:14
	;; [unrolled: 1-line block ×4, first 2 shown]
	v_mov_b32_e32 v89, v38
	v_mov_b32_e32 v90, v39
	;; [unrolled: 1-line block ×3, first 2 shown]
	s_waitcnt vmcnt(1) lgkmcnt(3)
	v_pk_fma_f32 v[44:45], v[72:73], v[0:1], v[2:3] op_sel_hi:[0,1,1] neg_lo:[1,0,0] neg_hi:[1,0,0]
	v_mov_b32_e32 v0, v13
	v_mov_b32_e32 v1, v14
	s_waitcnt lgkmcnt(2)
	v_pk_fma_f32 v[46:47], v[72:73], v[4:5], v[0:1] op_sel_hi:[0,1,1] neg_lo:[1,0,0] neg_hi:[1,0,0]
	v_mov_b32_e32 v0, v15
	v_mov_b32_e32 v1, v16
	s_waitcnt vmcnt(0) lgkmcnt(1)
	v_pk_fma_f32 v[48:49], v[72:73], v[6:7], v[0:1] op_sel_hi:[0,1,1] neg_lo:[1,0,0] neg_hi:[1,0,0]
	v_mov_b32_e32 v0, v17
	v_mov_b32_e32 v1, v18
	s_waitcnt lgkmcnt(0)
	v_pk_fma_f32 v[50:51], v[72:73], v[8:9], v[0:1] op_sel_hi:[0,1,1] neg_lo:[1,0,0] neg_hi:[1,0,0]
	v_mov_b32_e32 v0, v70
	v_mov_b32_e32 v1, v71
	;; [unrolled: 1-line block ×5, first 2 shown]
	scratch_store_dwordx4 off, v[0:3], off offset:1152 ; 16-byte Folded Spill
	s_nop 0
	scratch_store_dwordx4 off, v[4:7], off offset:1168 ; 16-byte Folded Spill
	scratch_store_dwordx4 off, v[8:11], off offset:1184 ; 16-byte Folded Spill
	;; [unrolled: 1-line block ×7, first 2 shown]
	v_mov_b32_e32 v5, v38
	v_mov_b32_e32 v73, v36
	;; [unrolled: 1-line block ×47, first 2 shown]
	scratch_store_dwordx4 off, v[0:3], off offset:1024 ; 16-byte Folded Spill
	s_nop 0
	scratch_store_dwordx4 off, v[4:7], off offset:1040 ; 16-byte Folded Spill
	scratch_store_dwordx4 off, v[8:11], off offset:1056 ; 16-byte Folded Spill
	scratch_store_dwordx4 off, v[12:15], off offset:1072 ; 16-byte Folded Spill
	scratch_store_dwordx4 off, v[16:19], off offset:1088 ; 16-byte Folded Spill
	scratch_store_dwordx4 off, v[20:23], off offset:1104 ; 16-byte Folded Spill
	scratch_store_dwordx4 off, v[24:27], off offset:1120 ; 16-byte Folded Spill
	scratch_store_dwordx4 off, v[28:31], off offset:1136 ; 16-byte Folded Spill
	v_mov_b32_e32 v6, v39
	scratch_store_dwordx4 off, v[0:3], off offset:896 ; 16-byte Folded Spill
	s_nop 0
	scratch_store_dwordx4 off, v[4:7], off offset:912 ; 16-byte Folded Spill
	scratch_store_dwordx4 off, v[8:11], off offset:928 ; 16-byte Folded Spill
	scratch_store_dwordx4 off, v[12:15], off offset:944 ; 16-byte Folded Spill
	scratch_store_dwordx4 off, v[16:19], off offset:960 ; 16-byte Folded Spill
	scratch_store_dwordx4 off, v[20:23], off offset:976 ; 16-byte Folded Spill
	scratch_store_dwordx4 off, v[24:27], off offset:992 ; 16-byte Folded Spill
	scratch_store_dwordx4 off, v[28:31], off offset:1008 ; 16-byte Folded Spill
	v_mov_b32_e32 v7, v40
	;; [unrolled: 10-line block ×5, first 2 shown]
	v_mov_b32_e32 v11, v44
	scratch_store_dwordx4 off, v[0:3], off offset:384 ; 16-byte Folded Spill
	s_nop 0
	scratch_store_dwordx4 off, v[4:7], off offset:400 ; 16-byte Folded Spill
	scratch_store_dwordx4 off, v[8:11], off offset:416 ; 16-byte Folded Spill
	;; [unrolled: 1-line block ×7, first 2 shown]
	v_mov_b32_e32 v20, v70
	v_mov_b32_e32 v21, v71
	v_mov_b32_e32 v22, v72
	v_mov_b32_e32 v23, v36
	v_mov_b32_e32 v24, v37
	v_mov_b32_e32 v25, v38
	v_mov_b32_e32 v26, v39
	v_mov_b32_e32 v27, v40
	v_mov_b32_e32 v28, v41
	v_mov_b32_e32 v29, v42
	v_mov_b32_e32 v30, v43
	v_mov_b32_e32 v31, v44
	v_mov_b32_e32 v12, v45
	v_mov_b32_e32 v13, v46
	v_mov_b32_e32 v14, v47
	v_mov_b32_e32 v15, v48
	v_mov_b32_e32 v16, v49
	scratch_store_dwordx4 off, v[0:3], off offset:256 ; 16-byte Folded Spill
	s_nop 0
	scratch_store_dwordx4 off, v[4:7], off offset:272 ; 16-byte Folded Spill
	scratch_store_dwordx4 off, v[8:11], off offset:288 ; 16-byte Folded Spill
	;; [unrolled: 1-line block ×7, first 2 shown]
	v_mov_b32_e32 v17, v50
	scratch_store_dwordx4 off, v[0:3], off offset:128 ; 16-byte Folded Spill
	s_nop 0
	scratch_store_dwordx4 off, v[4:7], off offset:144 ; 16-byte Folded Spill
	scratch_store_dwordx4 off, v[8:11], off offset:160 ; 16-byte Folded Spill
	;; [unrolled: 1-line block ×7, first 2 shown]
	ds_read_b32 v0, v254 offset:76
	v_mov_b32_e32 v18, v51
	s_waitcnt lgkmcnt(0)
	v_fma_f32 v19, -v72, v0, v251
	v_mov_b32_e32 v0, v70
	scratch_store_dwordx4 off, v[70:73], off offset:1280 ; 16-byte Folded Spill
	s_nop 0
	scratch_store_dwordx4 off, v[74:77], off offset:1296 ; 16-byte Folded Spill
	scratch_store_dwordx4 off, v[78:81], off offset:1312 ; 16-byte Folded Spill
	;; [unrolled: 1-line block ×8, first 2 shown]
	s_nop 0
	scratch_store_dwordx4 off, v[74:77], off offset:1424 ; 16-byte Folded Spill
	scratch_store_dwordx4 off, v[78:81], off offset:1440 ; 16-byte Folded Spill
	;; [unrolled: 1-line block ×7, first 2 shown]
	v_mov_b32_e32 v251, v19
	v_mov_b32_e32 v77, v40
	v_mov_b32_e32 v98, v41
	v_mov_b32_e32 v79, v42
	v_mov_b32_e32 v74, v43
	v_mov_b32_e32 v73, v44
	v_mov_b32_e32 v71, v46
	v_mov_b32_e32 v72, v47
	v_mov_b32_e32 v75, v48
	v_mov_b32_e32 v70, v49
	scratch_store_dwordx4 off, v[18:21], off ; 16-byte Folded Spill
	s_nop 0
	scratch_store_dwordx4 off, v[22:25], off offset:16 ; 16-byte Folded Spill
	scratch_store_dwordx4 off, v[26:29], off offset:32 ; 16-byte Folded Spill
	scratch_store_dwordx4 off, v[30:33], off offset:48 ; 16-byte Folded Spill
	scratch_store_dwordx4 off, v[34:37], off offset:64 ; 16-byte Folded Spill
	scratch_store_dwordx4 off, v[38:41], off offset:80 ; 16-byte Folded Spill
	scratch_store_dwordx4 off, v[42:45], off offset:96 ; 16-byte Folded Spill
	scratch_store_dwordx4 off, v[46:49], off offset:112 ; 16-byte Folded Spill
.LBB39_18:
	s_or_b64 exec, exec, s[2:3]
	v_cmp_eq_u32_e32 vcc, 3, v252
	s_waitcnt lgkmcnt(0)
	s_barrier
	s_and_saveexec_b64 s[2:3], vcc
	s_cbranch_execz .LBB39_21
; %bb.19:
	ds_write_b32 v253, v147
	ds_write2_b64 v254, v[4:5], v[6:7] offset0:2 offset1:3
	ds_write2_b64 v254, v[8:9], v[10:11] offset0:4 offset1:5
	ds_write2_b64 v254, v[12:13], v[14:15] offset0:6 offset1:7
	ds_write2_b64 v254, v[16:17], v[18:19] offset0:8 offset1:9
	ds_read_b32 v35, v253
	s_waitcnt lgkmcnt(0)
	v_cmp_neq_f32_e32 vcc, 0, v35
	s_and_b64 exec, exec, vcc
	s_cbranch_execz .LBB39_21
; %bb.20:
	v_div_scale_f32 v36, s[4:5], v35, v35, 1.0
	v_rcp_f32_e32 v37, v36
	v_div_scale_f32 v38, vcc, 1.0, v35, 1.0
	v_fma_f32 v39, -v36, v37, 1.0
	v_fmac_f32_e32 v37, v39, v37
	v_mul_f32_e32 v39, v38, v37
	v_fma_f32 v40, -v36, v39, v38
	v_fmac_f32_e32 v39, v40, v37
	v_fma_f32 v36, -v36, v39, v38
	v_div_fmas_f32 v36, v36, v37, v39
	v_div_fixup_f32 v35, v36, v35, 1.0
	ds_write_b32 v253, v35
.LBB39_21:
	s_or_b64 exec, exec, s[2:3]
	s_waitcnt lgkmcnt(0)
	s_barrier
	ds_read_b32 v50, v253
	v_cmp_lt_u32_e32 vcc, 3, v252
	s_and_saveexec_b64 s[2:3], vcc
	s_cbranch_execz .LBB39_23
; %bb.22:
	ds_read2_b64 v[20:23], v254 offset0:2 offset1:3
	ds_read2_b64 v[24:27], v254 offset0:4 offset1:5
	;; [unrolled: 1-line block ×3, first 2 shown]
	s_waitcnt lgkmcnt(3)
	v_mul_f32_e32 v0, v147, v50
	v_mov_b32_e32 v81, v0
	s_waitcnt lgkmcnt(2)
	v_pk_fma_f32 v[82:83], v[0:1], v[20:21], v[4:5] op_sel_hi:[0,1,1] neg_lo:[1,0,0] neg_hi:[1,0,0]
	ds_read2_b64 v[2:5], v254 offset0:6 offset1:7
	scratch_load_dwordx4 v[118:121], off, off offset:1408 ; 16-byte Folded Reload
	scratch_load_dwordx4 v[122:125], off, off offset:1424 ; 16-byte Folded Reload
	;; [unrolled: 1-line block ×8, first 2 shown]
	v_pk_fma_f32 v[76:77], v[0:1], v[22:23], v[6:7] op_sel_hi:[0,1,1] neg_lo:[1,0,0] neg_hi:[1,0,0]
	s_waitcnt lgkmcnt(2)
	v_pk_fma_f32 v[46:47], v[0:1], v[24:25], v[8:9] op_sel_hi:[0,1,1] neg_lo:[1,0,0] neg_hi:[1,0,0]
	v_mov_b32_e32 v23, v0
	v_mov_b32_e32 v24, v82
	;; [unrolled: 1-line block ×3, first 2 shown]
	s_waitcnt lgkmcnt(1)
	v_pk_fma_f32 v[18:19], v[0:1], v[38:39], v[18:19] op_sel_hi:[0,1,1] neg_lo:[1,0,0] neg_hi:[1,0,0]
	v_mov_b32_e32 v73, v0
	v_mov_b32_e32 v74, v82
	;; [unrolled: 1-line block ×3, first 2 shown]
	s_waitcnt lgkmcnt(0)
	v_pk_fma_f32 v[96:97], v[0:1], v[2:3], v[12:13] op_sel_hi:[0,1,1] neg_lo:[1,0,0] neg_hi:[1,0,0]
	s_waitcnt vmcnt(7)
	v_mov_b32_e32 v121, v0
	v_mov_b32_e32 v215, v0
	;; [unrolled: 1-line block ×20, first 2 shown]
	scratch_store_dwordx4 off, v[20:23], off offset:1024 ; 16-byte Folded Spill
	s_nop 0
	scratch_store_dwordx4 off, v[24:27], off offset:1040 ; 16-byte Folded Spill
	scratch_store_dwordx4 off, v[28:31], off offset:1056 ; 16-byte Folded Spill
	;; [unrolled: 1-line block ×7, first 2 shown]
	v_mov_b32_e32 v28, v118
	v_mov_b32_e32 v29, v119
	v_mov_b32_e32 v30, v120
	v_mov_b32_e32 v31, v0
	v_mov_b32_e32 v32, v82
	v_mov_b32_e32 v33, v83
	v_mov_b32_e32 v34, v76
	v_mov_b32_e32 v35, v77
	v_mov_b32_e32 v78, v118
	v_mov_b32_e32 v79, v119
	v_mov_b32_e32 v80, v120
	v_mov_b32_e32 v70, v118
	v_mov_b32_e32 v71, v119
	v_mov_b32_e32 v72, v120
	s_waitcnt vmcnt(8)
	v_mov_b32_e32 v148, v118
	v_mov_b32_e32 v149, v119
	v_mov_b32_e32 v212, v118
	v_mov_b32_e32 v213, v119
	v_mov_b32_e32 v214, v120
	v_mov_b32_e32 v84, v118
	v_mov_b32_e32 v85, v119
	v_mov_b32_e32 v86, v120
	v_mov_b32_e32 v150, v120
	v_mov_b32_e32 v180, v118
	v_mov_b32_e32 v181, v119
	v_mov_b32_e32 v182, v120
	v_mov_b32_e32 v100, v118
	v_mov_b32_e32 v101, v119
	v_mov_b32_e32 v102, v120
	v_mov_b32_e32 v2, v120
	scratch_store_dwordx4 off, v[28:31], off offset:768 ; 16-byte Folded Spill
	s_nop 0
	scratch_store_dwordx4 off, v[32:35], off offset:784 ; 16-byte Folded Spill
	scratch_store_dwordx4 off, v[36:39], off offset:800 ; 16-byte Folded Spill
	;; [unrolled: 1-line block ×7, first 2 shown]
	s_nop 0
	v_mov_b32_e32 v52, v118
	v_mov_b32_e32 v53, v119
	;; [unrolled: 1-line block ×12, first 2 shown]
	v_pk_fma_f32 v[222:223], v[0:1], v[26:27], v[10:11] op_sel_hi:[0,1,1] neg_lo:[1,0,0] neg_hi:[1,0,0]
	v_mov_b32_e32 v38, v118
	v_mov_b32_e32 v39, v119
	;; [unrolled: 1-line block ×18, first 2 shown]
	scratch_store_dwordx4 off, v[52:55], off offset:512 ; 16-byte Folded Spill
	s_nop 0
	scratch_store_dwordx4 off, v[56:59], off offset:528 ; 16-byte Folded Spill
	scratch_store_dwordx4 off, v[60:63], off offset:544 ; 16-byte Folded Spill
	;; [unrolled: 1-line block ×7, first 2 shown]
	v_mov_b32_e32 v28, v46
	v_mov_b32_e32 v29, v47
	;; [unrolled: 1-line block ×10, first 2 shown]
	scratch_store_dwordx4 off, v[20:23], off offset:384 ; 16-byte Folded Spill
	s_nop 0
	scratch_store_dwordx4 off, v[24:27], off offset:400 ; 16-byte Folded Spill
	scratch_store_dwordx4 off, v[28:31], off offset:416 ; 16-byte Folded Spill
	scratch_store_dwordx4 off, v[32:35], off offset:432 ; 16-byte Folded Spill
	scratch_store_dwordx4 off, v[36:39], off offset:448 ; 16-byte Folded Spill
	scratch_store_dwordx4 off, v[40:43], off offset:464 ; 16-byte Folded Spill
	scratch_store_dwordx4 off, v[44:47], off offset:480 ; 16-byte Folded Spill
	scratch_store_dwordx4 off, v[48:51], off offset:496 ; 16-byte Folded Spill
	v_pk_fma_f32 v[34:35], v[0:1], v[4:5], v[14:15] op_sel_hi:[0,1,1] neg_lo:[1,0,0] neg_hi:[1,0,0]
	v_mov_b32_e32 v66, v34
	v_mov_b32_e32 v67, v35
	;; [unrolled: 1-line block ×30, first 2 shown]
	v_pk_fma_f32 v[116:117], v[0:1], v[36:37], v[16:17] op_sel_hi:[0,1,1] neg_lo:[1,0,0] neg_hi:[1,0,0]
	v_mov_b32_e32 v68, v116
	v_mov_b32_e32 v69, v117
	scratch_store_dwordx4 off, v[52:55], off offset:128 ; 16-byte Folded Spill
	s_nop 0
	scratch_store_dwordx4 off, v[56:59], off offset:144 ; 16-byte Folded Spill
	scratch_store_dwordx4 off, v[60:63], off offset:160 ; 16-byte Folded Spill
	;; [unrolled: 1-line block ×7, first 2 shown]
	v_mov_b32_e32 v92, v46
	v_mov_b32_e32 v93, v47
	;; [unrolled: 1-line block ×6, first 2 shown]
	scratch_store_dwordx4 off, v[118:121], off offset:1280 ; 16-byte Folded Spill
	s_nop 0
	scratch_store_dwordx4 off, v[122:125], off offset:1296 ; 16-byte Folded Spill
	scratch_store_dwordx4 off, v[126:129], off offset:1312 ; 16-byte Folded Spill
	;; [unrolled: 1-line block ×7, first 2 shown]
	v_mov_b32_e32 v156, v46
	v_mov_b32_e32 v157, v47
	;; [unrolled: 1-line block ×11, first 2 shown]
	scratch_store_dwordx4 off, v[78:81], off offset:1152 ; 16-byte Folded Spill
	s_nop 0
	scratch_store_dwordx4 off, v[82:85], off offset:1168 ; 16-byte Folded Spill
	scratch_store_dwordx4 off, v[86:89], off offset:1184 ; 16-byte Folded Spill
	;; [unrolled: 1-line block ×7, first 2 shown]
	v_mov_b32_e32 v6, v76
	v_mov_b32_e32 v7, v77
	;; [unrolled: 1-line block ×4, first 2 shown]
	scratch_store_dwordx4 off, v[70:73], off offset:896 ; 16-byte Folded Spill
	s_nop 0
	scratch_store_dwordx4 off, v[74:77], off offset:912 ; 16-byte Folded Spill
	scratch_store_dwordx4 off, v[78:81], off offset:928 ; 16-byte Folded Spill
	;; [unrolled: 1-line block ×7, first 2 shown]
	v_mov_b32_e32 v70, v116
	v_mov_b32_e32 v74, v222
	;; [unrolled: 1-line block ×3, first 2 shown]
	scratch_store_dwordx4 off, v[38:41], off offset:640 ; 16-byte Folded Spill
	s_nop 0
	scratch_store_dwordx4 off, v[42:45], off offset:656 ; 16-byte Folded Spill
	scratch_store_dwordx4 off, v[46:49], off offset:672 ; 16-byte Folded Spill
	;; [unrolled: 1-line block ×7, first 2 shown]
	v_mov_b32_e32 v73, v223
	v_mov_b32_e32 v72, v34
	;; [unrolled: 1-line block ×4, first 2 shown]
	scratch_store_dwordx4 off, v[100:103], off offset:256 ; 16-byte Folded Spill
	s_nop 0
	scratch_store_dwordx4 off, v[104:107], off offset:272 ; 16-byte Folded Spill
	scratch_store_dwordx4 off, v[108:111], off offset:288 ; 16-byte Folded Spill
	;; [unrolled: 1-line block ×7, first 2 shown]
	v_mov_b32_e32 v71, v97
	v_mov_b32_e32 v79, v47
	;; [unrolled: 1-line block ×3, first 2 shown]
	scratch_store_dwordx4 off, v[116:119], off ; 16-byte Folded Spill
	s_nop 0
	scratch_store_dwordx4 off, v[120:123], off offset:16 ; 16-byte Folded Spill
	scratch_store_dwordx4 off, v[124:127], off offset:32 ; 16-byte Folded Spill
	;; [unrolled: 1-line block ×7, first 2 shown]
.LBB39_23:
	s_or_b64 exec, exec, s[2:3]
	v_cmp_eq_u32_e32 vcc, 4, v252
	s_waitcnt lgkmcnt(0)
	s_barrier
	s_and_saveexec_b64 s[2:3], vcc
	s_cbranch_execz .LBB39_26
; %bb.24:
	ds_write_b32 v253, v120
	ds_write2_b32 v254, v5, v6 offset0:5 offset1:6
	ds_write2_b32 v254, v7, v8 offset0:7 offset1:8
	;; [unrolled: 1-line block ×7, first 2 shown]
	ds_write_b32 v254, v251 offset:76
	ds_read_b32 v35, v253
	s_waitcnt lgkmcnt(0)
	v_cmp_neq_f32_e32 vcc, 0, v35
	s_and_b64 exec, exec, vcc
	s_cbranch_execz .LBB39_26
; %bb.25:
	v_div_scale_f32 v36, s[4:5], v35, v35, 1.0
	v_rcp_f32_e32 v37, v36
	v_div_scale_f32 v38, vcc, 1.0, v35, 1.0
	v_fma_f32 v39, -v36, v37, 1.0
	v_fmac_f32_e32 v37, v39, v37
	v_mul_f32_e32 v39, v38, v37
	v_fma_f32 v40, -v36, v39, v38
	v_fmac_f32_e32 v39, v40, v37
	v_fma_f32 v36, -v36, v39, v38
	v_div_fmas_f32 v36, v36, v37, v39
	v_div_fixup_f32 v35, v36, v35, 1.0
	ds_write_b32 v253, v35
.LBB39_26:
	s_or_b64 exec, exec, s[2:3]
	s_waitcnt lgkmcnt(0)
	s_barrier
	ds_read_b32 v51, v253
	v_cmp_lt_u32_e32 vcc, 4, v252
	s_and_saveexec_b64 s[2:3], vcc
	s_cbranch_execz .LBB39_28
; %bb.27:
	scratch_load_dwordx4 v[52:55], off, off offset:1280 ; 16-byte Folded Reload
	scratch_load_dwordx4 v[56:59], off, off offset:1296 ; 16-byte Folded Reload
	;; [unrolled: 1-line block ×8, first 2 shown]
	ds_read2_b32 v[0:1], v254 offset0:5 offset1:6
	v_mov_b32_e32 v2, v5
	ds_read2_b32 v[4:5], v254 offset0:7 offset1:8
	ds_read2_b32 v[20:21], v254 offset0:9 offset1:10
	;; [unrolled: 1-line block ×3, first 2 shown]
	s_waitcnt vmcnt(2) lgkmcnt(4)
	v_mul_f32_e32 v74, v120, v51
	v_mov_b32_e32 v3, v6
	v_mov_b32_e32 v56, v74
	;; [unrolled: 1-line block ×6, first 2 shown]
	v_mov_b64_e32 v[72:73], v[54:55]
	v_mov_b64_e32 v[70:71], v[52:53]
	v_mov_b32_e32 v212, v70
	v_mov_b32_e32 v213, v71
	;; [unrolled: 1-line block ×3, first 2 shown]
	s_waitcnt lgkmcnt(3)
	v_pk_fma_f32 v[36:37], v[74:75], v[0:1], v[2:3] op_sel_hi:[0,1,1] neg_lo:[1,0,0] neg_hi:[1,0,0]
	v_mov_b32_e32 v0, v7
	v_mov_b32_e32 v1, v8
	s_waitcnt lgkmcnt(2)
	v_pk_fma_f32 v[38:39], v[74:75], v[4:5], v[0:1] op_sel_hi:[0,1,1] neg_lo:[1,0,0] neg_hi:[1,0,0]
	v_mov_b32_e32 v0, v9
	v_mov_b32_e32 v1, v10
	;; [unrolled: 4-line block ×3, first 2 shown]
	s_waitcnt lgkmcnt(0)
	v_pk_fma_f32 v[42:43], v[74:75], v[22:23], v[0:1] op_sel_hi:[0,1,1] neg_lo:[1,0,0] neg_hi:[1,0,0]
	ds_read2_b32 v[0:1], v254 offset0:13 offset1:14
	ds_read2_b32 v[4:5], v254 offset0:15 offset1:16
	;; [unrolled: 1-line block ×3, first 2 shown]
	ds_read_b32 v8, v254 offset:76
	v_mov_b32_e32 v2, v13
	v_mov_b32_e32 v3, v14
	;; [unrolled: 1-line block ×3, first 2 shown]
	s_waitcnt lgkmcnt(3)
	v_pk_fma_f32 v[44:45], v[74:75], v[0:1], v[2:3] op_sel_hi:[0,1,1] neg_lo:[1,0,0] neg_hi:[1,0,0]
	v_mov_b32_e32 v0, v15
	v_mov_b32_e32 v1, v16
	s_waitcnt lgkmcnt(2)
	v_pk_fma_f32 v[46:47], v[74:75], v[4:5], v[0:1] op_sel_hi:[0,1,1] neg_lo:[1,0,0] neg_hi:[1,0,0]
	v_mov_b32_e32 v0, v17
	v_mov_b32_e32 v1, v18
	;; [unrolled: 4-line block ×3, first 2 shown]
	v_mov_b32_e32 v2, v72
	v_mov_b32_e32 v3, v73
	;; [unrolled: 1-line block ×5, first 2 shown]
	scratch_store_dwordx4 off, v[0:3], off offset:896 ; 16-byte Folded Spill
	s_nop 0
	scratch_store_dwordx4 off, v[4:7], off offset:912 ; 16-byte Folded Spill
	s_waitcnt lgkmcnt(0)
	scratch_store_dwordx4 off, v[8:11], off offset:928 ; 16-byte Folded Spill
	scratch_store_dwordx4 off, v[12:15], off offset:944 ; 16-byte Folded Spill
	;; [unrolled: 1-line block ×6, first 2 shown]
	v_mov_b32_e32 v7, v38
	v_mov_b32_e32 v75, v36
	;; [unrolled: 1-line block ×32, first 2 shown]
	scratch_store_dwordx4 off, v[0:3], off offset:768 ; 16-byte Folded Spill
	s_nop 0
	scratch_store_dwordx4 off, v[4:7], off offset:784 ; 16-byte Folded Spill
	scratch_store_dwordx4 off, v[8:11], off offset:800 ; 16-byte Folded Spill
	;; [unrolled: 1-line block ×7, first 2 shown]
	v_mov_b32_e32 v10, v70
	v_mov_b32_e32 v11, v71
	;; [unrolled: 1-line block ×9, first 2 shown]
	scratch_store_dwordx4 off, v[10:13], off offset:640 ; 16-byte Folded Spill
	s_nop 0
	scratch_store_dwordx4 off, v[14:17], off offset:656 ; 16-byte Folded Spill
	scratch_store_dwordx4 off, v[18:21], off offset:672 ; 16-byte Folded Spill
	;; [unrolled: 1-line block ×7, first 2 shown]
	v_mov_b32_e32 v19, v40
	scratch_store_dwordx4 off, v[10:13], off offset:512 ; 16-byte Folded Spill
	s_nop 0
	scratch_store_dwordx4 off, v[14:17], off offset:528 ; 16-byte Folded Spill
	scratch_store_dwordx4 off, v[18:21], off offset:544 ; 16-byte Folded Spill
	;; [unrolled: 1-line block ×7, first 2 shown]
	v_mov_b32_e32 v21, v42
	v_mov_b32_e32 v20, v41
	;; [unrolled: 1-line block ×8, first 2 shown]
	scratch_store_dwordx4 off, v[10:13], off offset:384 ; 16-byte Folded Spill
	s_nop 0
	scratch_store_dwordx4 off, v[14:17], off offset:400 ; 16-byte Folded Spill
	scratch_store_dwordx4 off, v[18:21], off offset:416 ; 16-byte Folded Spill
	;; [unrolled: 1-line block ×7, first 2 shown]
	v_mov_b32_e32 v20, v70
	v_mov_b32_e32 v21, v71
	;; [unrolled: 1-line block ×24, first 2 shown]
	scratch_store_dwordx4 off, v[52:55], off offset:256 ; 16-byte Folded Spill
	s_nop 0
	scratch_store_dwordx4 off, v[56:59], off offset:272 ; 16-byte Folded Spill
	scratch_store_dwordx4 off, v[60:63], off offset:288 ; 16-byte Folded Spill
	;; [unrolled: 1-line block ×5, first 2 shown]
	s_waitcnt vmcnt(47)
	scratch_store_dwordx4 off, v[76:79], off offset:352 ; 16-byte Folded Spill
	s_waitcnt vmcnt(47)
	scratch_store_dwordx4 off, v[80:83], off offset:368 ; 16-byte Folded Spill
	v_mov_b32_e32 v69, v48
	v_mov_b32_e32 v89, v36
	;; [unrolled: 1-line block ×29, first 2 shown]
	scratch_store_dwordx4 off, v[52:55], off offset:128 ; 16-byte Folded Spill
	s_nop 0
	scratch_store_dwordx4 off, v[56:59], off offset:144 ; 16-byte Folded Spill
	scratch_store_dwordx4 off, v[60:63], off offset:160 ; 16-byte Folded Spill
	;; [unrolled: 1-line block ×7, first 2 shown]
	v_fma_f32 v19, -v74, v8, v251
	scratch_store_dwordx4 off, v[70:73], off offset:1024 ; 16-byte Folded Spill
	s_nop 0
	scratch_store_dwordx4 off, v[74:77], off offset:1040 ; 16-byte Folded Spill
	scratch_store_dwordx4 off, v[78:81], off offset:1056 ; 16-byte Folded Spill
	scratch_store_dwordx4 off, v[82:85], off offset:1072 ; 16-byte Folded Spill
	scratch_store_dwordx4 off, v[86:89], off offset:1088 ; 16-byte Folded Spill
	scratch_store_dwordx4 off, v[90:93], off offset:1104 ; 16-byte Folded Spill
	scratch_store_dwordx4 off, v[94:97], off offset:1120 ; 16-byte Folded Spill
	scratch_store_dwordx4 off, v[98:101], off offset:1136 ; 16-byte Folded Spill
	scratch_store_dwordx4 off, v[70:73], off offset:1152 ; 16-byte Folded Spill
	s_nop 0
	scratch_store_dwordx4 off, v[74:77], off offset:1168 ; 16-byte Folded Spill
	scratch_store_dwordx4 off, v[78:81], off offset:1184 ; 16-byte Folded Spill
	;; [unrolled: 1-line block ×7, first 2 shown]
	v_mov_b32_e32 v8, v39
	v_mov_b32_e32 v251, v19
	;; [unrolled: 1-line block ×11, first 2 shown]
	scratch_store_dwordx4 off, v[18:21], off ; 16-byte Folded Spill
	s_nop 0
	scratch_store_dwordx4 off, v[22:25], off offset:16 ; 16-byte Folded Spill
	scratch_store_dwordx4 off, v[26:29], off offset:32 ; 16-byte Folded Spill
	;; [unrolled: 1-line block ×7, first 2 shown]
.LBB39_28:
	s_or_b64 exec, exec, s[2:3]
	v_cmp_eq_u32_e32 vcc, 5, v252
	s_waitcnt lgkmcnt(0)
	s_barrier
	s_and_saveexec_b64 s[2:3], vcc
	s_cbranch_execz .LBB39_31
; %bb.29:
	ds_write_b32 v253, v121
	ds_write2_b64 v254, v[6:7], v[8:9] offset0:3 offset1:4
	ds_write2_b64 v254, v[10:11], v[12:13] offset0:5 offset1:6
	;; [unrolled: 1-line block ×3, first 2 shown]
	ds_write_b64 v254, v[18:19] offset:72
	ds_read_b32 v35, v253
	s_waitcnt lgkmcnt(0)
	v_cmp_neq_f32_e32 vcc, 0, v35
	s_and_b64 exec, exec, vcc
	s_cbranch_execz .LBB39_31
; %bb.30:
	v_div_scale_f32 v36, s[4:5], v35, v35, 1.0
	v_rcp_f32_e32 v37, v36
	v_div_scale_f32 v38, vcc, 1.0, v35, 1.0
	v_fma_f32 v39, -v36, v37, 1.0
	v_fmac_f32_e32 v37, v39, v37
	v_mul_f32_e32 v39, v38, v37
	v_fma_f32 v40, -v36, v39, v38
	v_fmac_f32_e32 v39, v40, v37
	v_fma_f32 v36, -v36, v39, v38
	v_div_fmas_f32 v36, v36, v37, v39
	v_div_fixup_f32 v35, v36, v35, 1.0
	ds_write_b32 v253, v35
.LBB39_31:
	s_or_b64 exec, exec, s[2:3]
	s_waitcnt lgkmcnt(0)
	s_barrier
	ds_read_b32 v48, v253
	v_cmp_lt_u32_e32 vcc, 5, v252
	s_and_saveexec_b64 s[2:3], vcc
	s_cbranch_execz .LBB39_33
; %bb.32:
	ds_read2_b64 v[2:5], v254 offset0:3 offset1:4
	ds_read2_b64 v[20:23], v254 offset0:5 offset1:6
	ds_read_b64 v[24:25], v254 offset:72
	s_waitcnt lgkmcnt(3)
	v_mul_f32_e32 v0, v121, v48
	v_mov_b32_e32 v29, v0
	s_waitcnt lgkmcnt(2)
	v_pk_fma_f32 v[76:77], v[0:1], v[2:3], v[6:7] op_sel_hi:[0,1,1] neg_lo:[1,0,0] neg_hi:[1,0,0]
	v_pk_fma_f32 v[44:45], v[0:1], v[4:5], v[8:9] op_sel_hi:[0,1,1] neg_lo:[1,0,0] neg_hi:[1,0,0]
	ds_read2_b64 v[2:5], v254 offset0:7 offset1:8
	scratch_load_dwordx4 v[100:103], off, off offset:1152 ; 16-byte Folded Reload
	scratch_load_dwordx4 v[104:107], off, off offset:1168 ; 16-byte Folded Reload
	;; [unrolled: 1-line block ×8, first 2 shown]
	s_waitcnt lgkmcnt(1)
	v_pk_fma_f32 v[18:19], v[0:1], v[24:25], v[18:19] op_sel_hi:[0,1,1] neg_lo:[1,0,0] neg_hi:[1,0,0]
	v_mov_b32_e32 v30, v76
	v_mov_b32_e32 v31, v77
	v_pk_fma_f32 v[222:223], v[0:1], v[20:21], v[10:11] op_sel_hi:[0,1,1] neg_lo:[1,0,0] neg_hi:[1,0,0]
	v_pk_fma_f32 v[96:97], v[0:1], v[22:23], v[12:13] op_sel_hi:[0,1,1] neg_lo:[1,0,0] neg_hi:[1,0,0]
	s_waitcnt vmcnt(3) lgkmcnt(0)
	v_pk_fma_f32 v[116:117], v[0:1], v[4:5], v[16:17] op_sel_hi:[0,1,1] neg_lo:[1,0,0] neg_hi:[1,0,0]
	v_mov_b32_e32 v83, v0
	v_mov_b32_e32 v75, v0
	;; [unrolled: 1-line block ×59, first 2 shown]
	scratch_store_dwordx4 off, v[24:27], off offset:768 ; 16-byte Folded Spill
	s_nop 0
	scratch_store_dwordx4 off, v[28:31], off offset:784 ; 16-byte Folded Spill
	scratch_store_dwordx4 off, v[32:35], off offset:800 ; 16-byte Folded Spill
	;; [unrolled: 1-line block ×7, first 2 shown]
	v_mov_b32_e32 v36, v78
	v_mov_b32_e32 v37, v79
	;; [unrolled: 1-line block ×40, first 2 shown]
	scratch_store_dwordx4 off, v[24:27], off offset:512 ; 16-byte Folded Spill
	s_nop 0
	scratch_store_dwordx4 off, v[28:31], off offset:528 ; 16-byte Folded Spill
	scratch_store_dwordx4 off, v[32:35], off offset:544 ; 16-byte Folded Spill
	;; [unrolled: 1-line block ×7, first 2 shown]
	v_mov_b32_e32 v34, v222
	v_mov_b32_e32 v35, v223
	;; [unrolled: 1-line block ×4, first 2 shown]
	scratch_store_dwordx4 off, v[24:27], off offset:384 ; 16-byte Folded Spill
	s_nop 0
	scratch_store_dwordx4 off, v[28:31], off offset:400 ; 16-byte Folded Spill
	scratch_store_dwordx4 off, v[32:35], off offset:416 ; 16-byte Folded Spill
	;; [unrolled: 1-line block ×7, first 2 shown]
	v_pk_fma_f32 v[34:35], v[0:1], v[2:3], v[14:15] op_sel_hi:[0,1,1] neg_lo:[1,0,0] neg_hi:[1,0,0]
	v_mov_b32_e32 v66, v34
	v_mov_b32_e32 v52, v78
	;; [unrolled: 1-line block ×22, first 2 shown]
	scratch_store_dwordx4 off, v[52:55], off offset:128 ; 16-byte Folded Spill
	s_nop 0
	scratch_store_dwordx4 off, v[56:59], off offset:144 ; 16-byte Folded Spill
	scratch_store_dwordx4 off, v[60:63], off offset:160 ; 16-byte Folded Spill
	;; [unrolled: 1-line block ×7, first 2 shown]
	v_mov_b32_e32 v92, v44
	v_mov_b32_e32 v93, v45
	v_mov_b32_e32 v108, v44
	v_mov_b32_e32 v109, v45
	v_mov_b32_e32 v156, v44
	v_mov_b32_e32 v157, v45
	v_mov_b32_e32 v28, v44
	v_mov_b32_e32 v29, v45
	v_mov_b32_e32 v188, v44
	v_mov_b32_e32 v189, v45
	v_mov_b32_e32 v8, v44
	v_mov_b32_e32 v9, v45
	v_mov_b32_e32 v0, v78
	v_mov_b32_e32 v1, v79
	v_mov_b32_e32 v2, v80
	v_mov_b32_e32 v3, v81
	v_mov_b32_e32 v4, v82
	scratch_store_dwordx4 off, v[78:81], off offset:1024 ; 16-byte Folded Spill
	s_nop 0
	scratch_store_dwordx4 off, v[82:85], off offset:1040 ; 16-byte Folded Spill
	scratch_store_dwordx4 off, v[86:89], off offset:1056 ; 16-byte Folded Spill
	;; [unrolled: 1-line block ×7, first 2 shown]
	v_mov_b32_e32 v6, v76
	v_mov_b32_e32 v7, v77
	;; [unrolled: 1-line block ×3, first 2 shown]
	scratch_store_dwordx4 off, v[70:73], off offset:896 ; 16-byte Folded Spill
	s_nop 0
	scratch_store_dwordx4 off, v[74:77], off offset:912 ; 16-byte Folded Spill
	scratch_store_dwordx4 off, v[78:81], off offset:928 ; 16-byte Folded Spill
	;; [unrolled: 1-line block ×7, first 2 shown]
	s_nop 1
	v_mov_b32_e32 v98, v44
	scratch_store_dwordx4 off, v[36:39], off offset:640 ; 16-byte Folded Spill
	s_nop 0
	scratch_store_dwordx4 off, v[40:43], off offset:656 ; 16-byte Folded Spill
	scratch_store_dwordx4 off, v[44:47], off offset:672 ; 16-byte Folded Spill
	;; [unrolled: 1-line block ×7, first 2 shown]
	v_mov_b32_e32 v70, v116
	v_mov_b32_e32 v74, v222
	;; [unrolled: 1-line block ×5, first 2 shown]
	s_waitcnt vmcnt(57)
	v_mov_b32_e32 v126, v96
	scratch_store_dwordx4 off, v[100:103], off offset:256 ; 16-byte Folded Spill
	s_nop 0
	scratch_store_dwordx4 off, v[104:107], off offset:272 ; 16-byte Folded Spill
	scratch_store_dwordx4 off, v[108:111], off offset:288 ; 16-byte Folded Spill
	;; [unrolled: 1-line block ×6, first 2 shown]
	s_waitcnt vmcnt(62)
	scratch_store_dwordx4 off, v[128:131], off offset:368 ; 16-byte Folded Spill
	v_mov_b32_e32 v79, v45
	v_mov_b32_e32 v71, v97
	;; [unrolled: 1-line block ×3, first 2 shown]
	scratch_store_dwordx4 off, v[116:119], off ; 16-byte Folded Spill
	s_nop 0
	scratch_store_dwordx4 off, v[120:123], off offset:16 ; 16-byte Folded Spill
	scratch_store_dwordx4 off, v[124:127], off offset:32 ; 16-byte Folded Spill
	;; [unrolled: 1-line block ×7, first 2 shown]
.LBB39_33:
	s_or_b64 exec, exec, s[2:3]
	v_cmp_eq_u32_e32 vcc, 6, v252
	s_waitcnt lgkmcnt(0)
	s_barrier
	s_and_saveexec_b64 s[2:3], vcc
	s_cbranch_execz .LBB39_36
; %bb.34:
	ds_write_b32 v253, v118
	ds_write2_b32 v254, v7, v8 offset0:7 offset1:8
	ds_write2_b32 v254, v9, v10 offset0:9 offset1:10
	ds_write2_b32 v254, v11, v12 offset0:11 offset1:12
	ds_write2_b32 v254, v13, v14 offset0:13 offset1:14
	ds_write2_b32 v254, v15, v16 offset0:15 offset1:16
	ds_write2_b32 v254, v17, v18 offset0:17 offset1:18
	ds_write_b32 v254, v251 offset:76
	ds_read_b32 v35, v253
	s_waitcnt lgkmcnt(0)
	v_cmp_neq_f32_e32 vcc, 0, v35
	s_and_b64 exec, exec, vcc
	s_cbranch_execz .LBB39_36
; %bb.35:
	v_div_scale_f32 v36, s[4:5], v35, v35, 1.0
	v_rcp_f32_e32 v37, v36
	v_div_scale_f32 v38, vcc, 1.0, v35, 1.0
	v_fma_f32 v39, -v36, v37, 1.0
	v_fmac_f32_e32 v37, v39, v37
	v_mul_f32_e32 v39, v38, v37
	v_fma_f32 v40, -v36, v39, v38
	v_fmac_f32_e32 v39, v40, v37
	v_fma_f32 v36, -v36, v39, v38
	v_div_fmas_f32 v36, v36, v37, v39
	v_div_fixup_f32 v35, v36, v35, 1.0
	ds_write_b32 v253, v35
.LBB39_36:
	s_or_b64 exec, exec, s[2:3]
	s_waitcnt lgkmcnt(0)
	s_barrier
	ds_read_b32 v49, v253
	v_cmp_lt_u32_e32 vcc, 6, v252
	s_and_saveexec_b64 s[2:3], vcc
	s_cbranch_execz .LBB39_38
; %bb.37:
	scratch_load_dwordx4 v[52:55], off, off offset:1024 ; 16-byte Folded Reload
	scratch_load_dwordx4 v[56:59], off, off offset:1040 ; 16-byte Folded Reload
	scratch_load_dwordx4 v[60:63], off, off offset:1056 ; 16-byte Folded Reload
	scratch_load_dwordx4 v[64:67], off, off offset:1072 ; 16-byte Folded Reload
	scratch_load_dwordx4 v[68:71], off, off offset:1088 ; 16-byte Folded Reload
	scratch_load_dwordx4 v[72:75], off, off offset:1104 ; 16-byte Folded Reload
	scratch_load_dwordx4 v[76:79], off, off offset:1120 ; 16-byte Folded Reload
	scratch_load_dwordx4 v[80:83], off, off offset:1136 ; 16-byte Folded Reload
	ds_read2_b32 v[0:1], v254 offset0:7 offset1:8
	v_mov_b32_e32 v2, v7
	ds_read2_b32 v[4:5], v254 offset0:9 offset1:10
	ds_read2_b32 v[6:7], v254 offset0:11 offset1:12
	;; [unrolled: 1-line block ×3, first 2 shown]
	s_waitcnt vmcnt(1) lgkmcnt(4)
	v_mul_f32_e32 v76, v118, v49
	v_mov_b32_e32 v3, v8
	v_mov_b32_e32 v58, v76
	;; [unrolled: 1-line block ×6, first 2 shown]
	v_mov_b64_e32 v[74:75], v[56:57]
	v_mov_b64_e32 v[72:73], v[54:55]
	;; [unrolled: 1-line block ×3, first 2 shown]
	v_mov_b32_e32 v8, v70
	v_mov_b32_e32 v212, v70
	s_waitcnt lgkmcnt(3)
	v_pk_fma_f32 v[36:37], v[76:77], v[0:1], v[2:3] op_sel_hi:[0,1,1] neg_lo:[1,0,0] neg_hi:[1,0,0]
	v_mov_b32_e32 v0, v9
	v_mov_b32_e32 v1, v10
	s_waitcnt lgkmcnt(2)
	v_pk_fma_f32 v[38:39], v[76:77], v[4:5], v[0:1] op_sel_hi:[0,1,1] neg_lo:[1,0,0] neg_hi:[1,0,0]
	;; [unrolled: 4-line block ×4, first 2 shown]
	ds_read2_b32 v[0:1], v254 offset0:15 offset1:16
	ds_read2_b32 v[4:5], v254 offset0:17 offset1:18
	ds_read_b32 v6, v254 offset:76
	v_mov_b32_e32 v2, v15
	v_mov_b32_e32 v3, v16
	;; [unrolled: 1-line block ×3, first 2 shown]
	s_waitcnt lgkmcnt(2)
	v_pk_fma_f32 v[44:45], v[76:77], v[0:1], v[2:3] op_sel_hi:[0,1,1] neg_lo:[1,0,0] neg_hi:[1,0,0]
	v_mov_b32_e32 v0, v17
	v_mov_b32_e32 v1, v18
	;; [unrolled: 1-line block ×9, first 2 shown]
	s_waitcnt lgkmcnt(1)
	v_pk_fma_f32 v[46:47], v[76:77], v[4:5], v[0:1] op_sel_hi:[0,1,1] neg_lo:[1,0,0] neg_hi:[1,0,0]
	v_mov_b32_e32 v77, v36
	scratch_store_dwordx4 off, v[8:11], off offset:640 ; 16-byte Folded Spill
	s_nop 0
	scratch_store_dwordx4 off, v[12:15], off offset:656 ; 16-byte Folded Spill
	scratch_store_dwordx4 off, v[16:19], off offset:672 ; 16-byte Folded Spill
	;; [unrolled: 1-line block ×7, first 2 shown]
	v_mov_b32_e32 v63, v40
	v_mov_b32_e32 v64, v41
	;; [unrolled: 1-line block ×42, first 2 shown]
	scratch_store_dwordx4 off, v[8:11], off offset:512 ; 16-byte Folded Spill
	s_nop 0
	scratch_store_dwordx4 off, v[12:15], off offset:528 ; 16-byte Folded Spill
	scratch_store_dwordx4 off, v[16:19], off offset:544 ; 16-byte Folded Spill
	;; [unrolled: 1-line block ×7, first 2 shown]
	v_mov_b32_e32 v19, v40
	v_mov_b32_e32 v18, v39
	;; [unrolled: 1-line block ×6, first 2 shown]
	scratch_store_dwordx4 off, v[8:11], off offset:384 ; 16-byte Folded Spill
	s_nop 0
	scratch_store_dwordx4 off, v[12:15], off offset:400 ; 16-byte Folded Spill
	scratch_store_dwordx4 off, v[16:19], off offset:416 ; 16-byte Folded Spill
	;; [unrolled: 1-line block ×7, first 2 shown]
	v_mov_b32_e32 v20, v70
	v_mov_b32_e32 v21, v71
	;; [unrolled: 1-line block ×24, first 2 shown]
	scratch_store_dwordx4 off, v[52:55], off offset:256 ; 16-byte Folded Spill
	s_nop 0
	scratch_store_dwordx4 off, v[56:59], off offset:272 ; 16-byte Folded Spill
	scratch_store_dwordx4 off, v[60:63], off offset:288 ; 16-byte Folded Spill
	;; [unrolled: 1-line block ×6, first 2 shown]
	s_waitcnt vmcnt(31)
	scratch_store_dwordx4 off, v[80:83], off offset:368 ; 16-byte Folded Spill
	v_mov_b32_e32 v69, v46
	v_mov_b32_e32 v91, v36
	;; [unrolled: 1-line block ×21, first 2 shown]
	scratch_store_dwordx4 off, v[52:55], off offset:128 ; 16-byte Folded Spill
	s_nop 0
	scratch_store_dwordx4 off, v[56:59], off offset:144 ; 16-byte Folded Spill
	scratch_store_dwordx4 off, v[60:63], off offset:160 ; 16-byte Folded Spill
	;; [unrolled: 1-line block ×7, first 2 shown]
	s_waitcnt lgkmcnt(0)
	v_fma_f32 v19, -v76, v6, v251
	v_mov_b32_e32 v0, v70
	v_mov_b32_e32 v1, v71
	;; [unrolled: 1-line block ×7, first 2 shown]
	scratch_store_dwordx4 off, v[70:73], off offset:768 ; 16-byte Folded Spill
	s_nop 0
	scratch_store_dwordx4 off, v[74:77], off offset:784 ; 16-byte Folded Spill
	scratch_store_dwordx4 off, v[78:81], off offset:800 ; 16-byte Folded Spill
	;; [unrolled: 1-line block ×8, first 2 shown]
	s_nop 0
	scratch_store_dwordx4 off, v[74:77], off offset:912 ; 16-byte Folded Spill
	scratch_store_dwordx4 off, v[78:81], off offset:928 ; 16-byte Folded Spill
	;; [unrolled: 1-line block ×7, first 2 shown]
	v_mov_b32_e32 v251, v19
	v_mov_b32_e32 v79, v38
	;; [unrolled: 1-line block ×9, first 2 shown]
	scratch_store_dwordx4 off, v[18:21], off ; 16-byte Folded Spill
	s_nop 0
	scratch_store_dwordx4 off, v[22:25], off offset:16 ; 16-byte Folded Spill
	scratch_store_dwordx4 off, v[26:29], off offset:32 ; 16-byte Folded Spill
	;; [unrolled: 1-line block ×7, first 2 shown]
.LBB39_38:
	s_or_b64 exec, exec, s[2:3]
	v_cmp_eq_u32_e32 vcc, 7, v252
	s_waitcnt lgkmcnt(0)
	s_barrier
	s_and_saveexec_b64 s[2:3], vcc
	s_cbranch_execz .LBB39_41
; %bb.39:
	ds_write_b32 v253, v77
	ds_write2_b64 v254, v[8:9], v[10:11] offset0:4 offset1:5
	ds_write2_b64 v254, v[12:13], v[14:15] offset0:6 offset1:7
	;; [unrolled: 1-line block ×3, first 2 shown]
	ds_read_b32 v35, v253
	s_waitcnt lgkmcnt(0)
	v_cmp_neq_f32_e32 vcc, 0, v35
	s_and_b64 exec, exec, vcc
	s_cbranch_execz .LBB39_41
; %bb.40:
	v_div_scale_f32 v36, s[4:5], v35, v35, 1.0
	v_rcp_f32_e32 v37, v36
	v_div_scale_f32 v38, vcc, 1.0, v35, 1.0
	v_fma_f32 v39, -v36, v37, 1.0
	v_fmac_f32_e32 v37, v39, v37
	v_mul_f32_e32 v39, v38, v37
	v_fma_f32 v40, -v36, v39, v38
	v_fmac_f32_e32 v39, v40, v37
	v_fma_f32 v36, -v36, v39, v38
	v_div_fmas_f32 v36, v36, v37, v39
	v_div_fixup_f32 v35, v36, v35, 1.0
	ds_write_b32 v253, v35
.LBB39_41:
	s_or_b64 exec, exec, s[2:3]
	s_waitcnt lgkmcnt(0)
	s_barrier
	ds_read_b32 v255, v253
	v_cmp_lt_u32_e32 vcc, 7, v252
	s_and_saveexec_b64 s[2:3], vcc
	s_cbranch_execz .LBB39_43
; %bb.42:
	ds_read2_b64 v[0:3], v254 offset0:4 offset1:5
	ds_read2_b64 v[4:7], v254 offset0:6 offset1:7
	;; [unrolled: 1-line block ×3, first 2 shown]
	scratch_load_dwordx4 v[100:103], off, off offset:896 ; 16-byte Folded Reload
	scratch_load_dwordx4 v[104:107], off, off offset:912 ; 16-byte Folded Reload
	;; [unrolled: 1-line block ×8, first 2 shown]
	s_waitcnt lgkmcnt(3)
	v_mul_f32_e32 v40, v77, v255
	s_waitcnt lgkmcnt(2)
	v_pk_fma_f32 v[78:79], v[40:41], v[0:1], v[8:9] op_sel_hi:[0,1,1] neg_lo:[1,0,0] neg_hi:[1,0,0]
	v_mov_b32_e32 v27, v40
	v_mov_b32_e32 v28, v78
	;; [unrolled: 1-line block ×3, first 2 shown]
	v_pk_fma_f32 v[222:223], v[40:41], v[2:3], v[10:11] op_sel_hi:[0,1,1] neg_lo:[1,0,0] neg_hi:[1,0,0]
	s_waitcnt lgkmcnt(1)
	v_pk_fma_f32 v[96:97], v[40:41], v[4:5], v[12:13] op_sel_hi:[0,1,1] neg_lo:[1,0,0] neg_hi:[1,0,0]
	s_waitcnt lgkmcnt(0)
	v_pk_fma_f32 v[18:19], v[40:41], v[38:39], v[18:19] op_sel_hi:[0,1,1] neg_lo:[1,0,0] neg_hi:[1,0,0]
	s_waitcnt vmcnt(6)
	v_mov_b32_e32 v107, v40
	v_mov_b32_e32 v77, v40
	;; [unrolled: 1-line block ×16, first 2 shown]
	s_waitcnt vmcnt(3)
	v_mov_b32_e32 v116, v78
	v_mov_b32_e32 v117, v79
	;; [unrolled: 1-line block ×4, first 2 shown]
	s_waitcnt vmcnt(2)
	v_mov_b32_e32 v120, v96
	v_mov_b32_e32 v121, v97
	;; [unrolled: 1-line block ×25, first 2 shown]
	scratch_store_dwordx4 off, v[20:23], off offset:512 ; 16-byte Folded Spill
	s_nop 0
	scratch_store_dwordx4 off, v[24:27], off offset:528 ; 16-byte Folded Spill
	scratch_store_dwordx4 off, v[28:31], off offset:544 ; 16-byte Folded Spill
	;; [unrolled: 1-line block ×7, first 2 shown]
	v_mov_b32_e32 v30, v222
	v_mov_b32_e32 v31, v223
	;; [unrolled: 1-line block ×58, first 2 shown]
	scratch_store_dwordx4 off, v[20:23], off offset:384 ; 16-byte Folded Spill
	s_nop 0
	scratch_store_dwordx4 off, v[24:27], off offset:400 ; 16-byte Folded Spill
	scratch_store_dwordx4 off, v[28:31], off offset:416 ; 16-byte Folded Spill
	;; [unrolled: 1-line block ×7, first 2 shown]
	v_mov_b32_e32 v32, v96
	v_mov_b32_e32 v33, v97
	v_pk_fma_f32 v[34:35], v[40:41], v[6:7], v[14:15] op_sel_hi:[0,1,1] neg_lo:[1,0,0] neg_hi:[1,0,0]
	s_waitcnt vmcnt(17)
	v_pk_fma_f32 v[124:125], v[40:41], v[36:37], v[16:17] op_sel_hi:[0,1,1] neg_lo:[1,0,0] neg_hi:[1,0,0]
	v_mov_b32_e32 v59, v40
	v_mov_b32_e32 v66, v34
	v_mov_b32_e32 v67, v35
	v_mov_b32_e32 v68, v124
	v_mov_b32_e32 v69, v125
	v_mov_b32_e32 v115, v40
	v_mov_b32_e32 v122, v34
	v_mov_b32_e32 v123, v35
	scratch_store_dwordx4 off, v[52:55], off offset:128 ; 16-byte Folded Spill
	s_nop 0
	scratch_store_dwordx4 off, v[56:59], off offset:144 ; 16-byte Folded Spill
	scratch_store_dwordx4 off, v[60:63], off offset:160 ; 16-byte Folded Spill
	;; [unrolled: 1-line block ×7, first 2 shown]
	v_mov_b32_e32 v6, v106
	v_mov_b32_e32 v16, v124
	;; [unrolled: 1-line block ×3, first 2 shown]
	scratch_store_dwordx4 off, v[100:103], off offset:768 ; 16-byte Folded Spill
	s_nop 0
	scratch_store_dwordx4 off, v[104:107], off offset:784 ; 16-byte Folded Spill
	scratch_store_dwordx4 off, v[108:111], off offset:800 ; 16-byte Folded Spill
	;; [unrolled: 1-line block ×6, first 2 shown]
	s_waitcnt vmcnt(31)
	scratch_store_dwordx4 off, v[128:131], off offset:880 ; 16-byte Folded Spill
	v_mov_b32_e32 v91, v40
	v_mov_b32_e32 v155, v40
	;; [unrolled: 1-line block ×11, first 2 shown]
	scratch_store_dwordx4 off, v[70:73], off offset:640 ; 16-byte Folded Spill
	s_nop 0
	scratch_store_dwordx4 off, v[74:77], off offset:656 ; 16-byte Folded Spill
	scratch_store_dwordx4 off, v[78:81], off offset:672 ; 16-byte Folded Spill
	;; [unrolled: 1-line block ×7, first 2 shown]
	v_mov_b32_e32 v70, v124
	v_mov_b32_e32 v74, v222
	;; [unrolled: 1-line block ×6, first 2 shown]
	scratch_store_dwordx4 off, v[108:111], off offset:256 ; 16-byte Folded Spill
	s_nop 0
	scratch_store_dwordx4 off, v[112:115], off offset:272 ; 16-byte Folded Spill
	scratch_store_dwordx4 off, v[116:119], off offset:288 ; 16-byte Folded Spill
	;; [unrolled: 1-line block ×7, first 2 shown]
	v_mov_b32_e32 v71, v97
	v_mov_b32_e32 v133, v125
	scratch_store_dwordx4 off, v[116:119], off ; 16-byte Folded Spill
	s_nop 0
	scratch_store_dwordx4 off, v[120:123], off offset:16 ; 16-byte Folded Spill
	scratch_store_dwordx4 off, v[124:127], off offset:32 ; 16-byte Folded Spill
	;; [unrolled: 1-line block ×7, first 2 shown]
.LBB39_43:
	s_or_b64 exec, exec, s[2:3]
	v_cmp_eq_u32_e32 vcc, 8, v252
	s_waitcnt lgkmcnt(0)
	s_barrier
	s_and_saveexec_b64 s[2:3], vcc
	s_cbranch_execz .LBB39_46
; %bb.44:
	ds_write_b32 v253, v98
	ds_write2_b32 v254, v9, v10 offset0:9 offset1:10
	ds_write2_b32 v254, v11, v12 offset0:11 offset1:12
	;; [unrolled: 1-line block ×5, first 2 shown]
	ds_write_b32 v254, v251 offset:76
	ds_read_b32 v35, v253
	s_waitcnt lgkmcnt(0)
	v_cmp_neq_f32_e32 vcc, 0, v35
	s_and_b64 exec, exec, vcc
	s_cbranch_execz .LBB39_46
; %bb.45:
	v_div_scale_f32 v36, s[4:5], v35, v35, 1.0
	v_rcp_f32_e32 v37, v36
	v_div_scale_f32 v38, vcc, 1.0, v35, 1.0
	v_fma_f32 v39, -v36, v37, 1.0
	v_fmac_f32_e32 v37, v39, v37
	v_mul_f32_e32 v39, v38, v37
	v_fma_f32 v40, -v36, v39, v38
	v_fmac_f32_e32 v39, v40, v37
	v_fma_f32 v36, -v36, v39, v38
	v_div_fmas_f32 v36, v36, v37, v39
	v_div_fixup_f32 v35, v36, v35, 1.0
	ds_write_b32 v253, v35
.LBB39_46:
	s_or_b64 exec, exec, s[2:3]
	s_waitcnt lgkmcnt(0)
	s_barrier
	ds_read_b32 v248, v253
	v_cmp_lt_u32_e32 vcc, 8, v252
	s_and_saveexec_b64 s[2:3], vcc
	s_cbranch_execz .LBB39_48
; %bb.47:
	scratch_load_dwordx4 v[52:55], off, off offset:768 ; 16-byte Folded Reload
	scratch_load_dwordx4 v[56:59], off, off offset:784 ; 16-byte Folded Reload
	scratch_load_dwordx4 v[60:63], off, off offset:800 ; 16-byte Folded Reload
	scratch_load_dwordx4 v[64:67], off, off offset:816 ; 16-byte Folded Reload
	scratch_load_dwordx4 v[68:71], off, off offset:832 ; 16-byte Folded Reload
	scratch_load_dwordx4 v[72:75], off, off offset:848 ; 16-byte Folded Reload
	scratch_load_dwordx4 v[76:79], off, off offset:864 ; 16-byte Folded Reload
	scratch_load_dwordx4 v[80:83], off, off offset:880 ; 16-byte Folded Reload
	ds_read2_b32 v[0:1], v254 offset0:9 offset1:10
	s_waitcnt vmcnt(1) lgkmcnt(1)
	v_mul_f32_e32 v78, v98, v248
	v_mov_b32_e32 v2, v9
	v_mov_b32_e32 v3, v10
	ds_read2_b32 v[4:5], v254 offset0:11 offset1:12
	ds_read2_b32 v[6:7], v254 offset0:13 offset1:14
	;; [unrolled: 1-line block ×3, first 2 shown]
	v_mov_b32_e32 v60, v78
	v_mov_b32_e32 v220, v78
	;; [unrolled: 1-line block ×5, first 2 shown]
	v_mov_b64_e32 v[76:77], v[58:59]
	v_mov_b64_e32 v[74:75], v[56:57]
	;; [unrolled: 1-line block ×4, first 2 shown]
	v_mov_b32_e32 v10, v74
	s_waitcnt lgkmcnt(3)
	v_pk_fma_f32 v[36:37], v[78:79], v[0:1], v[2:3] op_sel_hi:[0,1,1] neg_lo:[1,0,0] neg_hi:[1,0,0]
	ds_read2_b32 v[2:3], v254 offset0:17 offset1:18
	v_mov_b32_e32 v0, v11
	v_mov_b32_e32 v1, v12
	s_waitcnt lgkmcnt(3)
	v_pk_fma_f32 v[38:39], v[78:79], v[4:5], v[0:1] op_sel_hi:[0,1,1] neg_lo:[1,0,0] neg_hi:[1,0,0]
	v_mov_b32_e32 v0, v13
	v_mov_b32_e32 v1, v14
	s_waitcnt lgkmcnt(2)
	v_pk_fma_f32 v[40:41], v[78:79], v[6:7], v[0:1] op_sel_hi:[0,1,1] neg_lo:[1,0,0] neg_hi:[1,0,0]
	;; [unrolled: 4-line block ×3, first 2 shown]
	v_mov_b32_e32 v0, v17
	v_mov_b32_e32 v1, v18
	;; [unrolled: 1-line block ×13, first 2 shown]
	ds_read_b32 v4, v254 offset:76
	s_waitcnt lgkmcnt(1)
	v_pk_fma_f32 v[44:45], v[78:79], v[2:3], v[0:1] op_sel_hi:[0,1,1] neg_lo:[1,0,0] neg_hi:[1,0,0]
	v_mov_b32_e32 v79, v36
	v_mov_b32_e32 v221, v36
	v_mov_b32_e32 v222, v37
	scratch_store_dwordx4 off, v[6:9], off offset:384 ; 16-byte Folded Spill
	s_nop 0
	scratch_store_dwordx4 off, v[10:13], off offset:400 ; 16-byte Folded Spill
	scratch_store_dwordx4 off, v[14:17], off offset:416 ; 16-byte Folded Spill
	;; [unrolled: 1-line block ×7, first 2 shown]
	v_mov_b32_e32 v63, v38
	v_mov_b32_e32 v64, v39
	;; [unrolled: 1-line block ×74, first 2 shown]
	scratch_store_dwordx4 off, v[52:55], off offset:256 ; 16-byte Folded Spill
	s_nop 0
	scratch_store_dwordx4 off, v[56:59], off offset:272 ; 16-byte Folded Spill
	scratch_store_dwordx4 off, v[60:63], off offset:288 ; 16-byte Folded Spill
	;; [unrolled: 1-line block ×6, first 2 shown]
	s_waitcnt vmcnt(15)
	scratch_store_dwordx4 off, v[80:83], off offset:368 ; 16-byte Folded Spill
	v_mov_b32_e32 v69, v44
	v_mov_b32_e32 v93, v36
	;; [unrolled: 1-line block ×11, first 2 shown]
	scratch_store_dwordx4 off, v[52:55], off offset:128 ; 16-byte Folded Spill
	s_nop 0
	scratch_store_dwordx4 off, v[56:59], off offset:144 ; 16-byte Folded Spill
	scratch_store_dwordx4 off, v[60:63], off offset:160 ; 16-byte Folded Spill
	;; [unrolled: 1-line block ×7, first 2 shown]
	s_waitcnt lgkmcnt(0)
	v_fma_f32 v19, -v78, v4, v251
	v_mov_b32_e32 v0, v70
	v_mov_b32_e32 v1, v71
	;; [unrolled: 1-line block ×9, first 2 shown]
	scratch_store_dwordx4 off, v[70:73], off offset:512 ; 16-byte Folded Spill
	s_nop 0
	scratch_store_dwordx4 off, v[74:77], off offset:528 ; 16-byte Folded Spill
	scratch_store_dwordx4 off, v[78:81], off offset:544 ; 16-byte Folded Spill
	;; [unrolled: 1-line block ×8, first 2 shown]
	s_nop 0
	scratch_store_dwordx4 off, v[74:77], off offset:656 ; 16-byte Folded Spill
	scratch_store_dwordx4 off, v[78:81], off offset:672 ; 16-byte Folded Spill
	;; [unrolled: 1-line block ×7, first 2 shown]
	v_mov_b32_e32 v251, v19
	v_mov_b32_e32 v74, v37
	v_mov_b32_e32 v73, v38
	v_mov_b32_e32 v71, v40
	v_mov_b32_e32 v72, v41
	v_mov_b32_e32 v75, v42
	v_mov_b32_e32 v70, v43
	scratch_store_dwordx4 off, v[18:21], off ; 16-byte Folded Spill
	s_nop 0
	scratch_store_dwordx4 off, v[22:25], off offset:16 ; 16-byte Folded Spill
	scratch_store_dwordx4 off, v[26:29], off offset:32 ; 16-byte Folded Spill
	;; [unrolled: 1-line block ×7, first 2 shown]
.LBB39_48:
	s_or_b64 exec, exec, s[2:3]
	v_cmp_eq_u32_e32 vcc, 9, v252
	s_waitcnt lgkmcnt(0)
	s_barrier
	s_and_saveexec_b64 s[2:3], vcc
	s_cbranch_execz .LBB39_51
; %bb.49:
	ds_write_b32 v253, v79
	ds_write2_b64 v254, v[10:11], v[12:13] offset0:5 offset1:6
	ds_write2_b64 v254, v[14:15], v[16:17] offset0:7 offset1:8
	ds_write_b64 v254, v[18:19] offset:72
	ds_read_b32 v35, v253
	s_waitcnt lgkmcnt(0)
	v_cmp_neq_f32_e32 vcc, 0, v35
	s_and_b64 exec, exec, vcc
	s_cbranch_execz .LBB39_51
; %bb.50:
	v_div_scale_f32 v36, s[4:5], v35, v35, 1.0
	v_rcp_f32_e32 v37, v36
	v_div_scale_f32 v38, vcc, 1.0, v35, 1.0
	v_fma_f32 v39, -v36, v37, 1.0
	v_fmac_f32_e32 v37, v39, v37
	v_mul_f32_e32 v39, v38, v37
	v_fma_f32 v40, -v36, v39, v38
	v_fmac_f32_e32 v39, v40, v37
	v_fma_f32 v36, -v36, v39, v38
	v_div_fmas_f32 v36, v36, v37, v39
	v_div_fixup_f32 v35, v36, v35, 1.0
	ds_write_b32 v253, v35
.LBB39_51:
	s_or_b64 exec, exec, s[2:3]
	s_waitcnt lgkmcnt(0)
	s_barrier
	ds_read_b32 v249, v253
	v_cmp_lt_u32_e32 vcc, 9, v252
	s_and_saveexec_b64 s[2:3], vcc
	s_cbranch_execz .LBB39_53
; %bb.52:
	ds_read2_b64 v[0:3], v254 offset0:5 offset1:6
	ds_read2_b64 v[4:7], v254 offset0:7 offset1:8
	ds_read_b64 v[8:9], v254 offset:72
	s_waitcnt lgkmcnt(3)
	v_mul_f32_e32 v36, v79, v249
	scratch_load_dwordx4 v[52:55], off, off offset:640 ; 16-byte Folded Reload
	scratch_load_dwordx4 v[56:59], off, off offset:656 ; 16-byte Folded Reload
	;; [unrolled: 1-line block ×8, first 2 shown]
	s_waitcnt lgkmcnt(2)
	v_pk_fma_f32 v[222:223], v[36:37], v[0:1], v[10:11] op_sel_hi:[0,1,1] neg_lo:[1,0,0] neg_hi:[1,0,0]
	s_waitcnt lgkmcnt(1)
	v_pk_fma_f32 v[34:35], v[36:37], v[4:5], v[14:15] op_sel_hi:[0,1,1] neg_lo:[1,0,0] neg_hi:[1,0,0]
	v_mov_b32_e32 v47, v36
	v_mov_b32_e32 v29, v36
	;; [unrolled: 1-line block ×4, first 2 shown]
	v_pk_fma_f32 v[96:97], v[36:37], v[2:3], v[12:13] op_sel_hi:[0,1,1] neg_lo:[1,0,0] neg_hi:[1,0,0]
	s_waitcnt lgkmcnt(0)
	v_pk_fma_f32 v[18:19], v[36:37], v[8:9], v[18:19] op_sel_hi:[0,1,1] neg_lo:[1,0,0] neg_hi:[1,0,0]
	v_mov_b32_e32 v221, v36
	s_waitcnt vmcnt(5)
	v_mov_b32_e32 v62, v222
	v_mov_b32_e32 v63, v223
	s_waitcnt vmcnt(4)
	v_mov_b32_e32 v64, v96
	v_mov_b32_e32 v65, v97
	;; [unrolled: 1-line block ×50, first 2 shown]
	scratch_store_dwordx4 off, v[20:23], off offset:384 ; 16-byte Folded Spill
	s_nop 0
	scratch_store_dwordx4 off, v[24:27], off offset:400 ; 16-byte Folded Spill
	scratch_store_dwordx4 off, v[28:31], off offset:416 ; 16-byte Folded Spill
	;; [unrolled: 1-line block ×7, first 2 shown]
	v_mov_b32_e32 v32, v96
	v_mov_b32_e32 v33, v97
	v_pk_fma_f32 v[116:117], v[36:37], v[6:7], v[16:17] op_sel_hi:[0,1,1] neg_lo:[1,0,0] neg_hi:[1,0,0]
	v_mov_b32_e32 v61, v36
	v_mov_b32_e32 v66, v34
	;; [unrolled: 1-line block ×3, first 2 shown]
	s_waitcnt vmcnt(11)
	v_mov_b32_e32 v68, v116
	v_mov_b32_e32 v69, v117
	scratch_store_dwordx4 off, v[52:55], off offset:128 ; 16-byte Folded Spill
	s_nop 0
	scratch_store_dwordx4 off, v[56:59], off offset:144 ; 16-byte Folded Spill
	scratch_store_dwordx4 off, v[60:63], off offset:160 ; 16-byte Folded Spill
	;; [unrolled: 1-line block ×4, first 2 shown]
	s_waitcnt vmcnt(15)
	scratch_store_dwordx4 off, v[72:75], off offset:208 ; 16-byte Folded Spill
	s_waitcnt vmcnt(15)
	scratch_store_dwordx4 off, v[76:79], off offset:224 ; 16-byte Folded Spill
	;; [unrolled: 2-line block ×3, first 2 shown]
	v_mov_b32_e32 v100, v38
	v_mov_b32_e32 v101, v39
	;; [unrolled: 1-line block ×50, first 2 shown]
	scratch_store_dwordx4 off, v[38:41], off offset:512 ; 16-byte Folded Spill
	s_nop 0
	scratch_store_dwordx4 off, v[42:45], off offset:528 ; 16-byte Folded Spill
	scratch_store_dwordx4 off, v[46:49], off offset:544 ; 16-byte Folded Spill
	;; [unrolled: 1-line block ×7, first 2 shown]
	v_mov_b32_e32 v70, v116
	scratch_store_dwordx4 off, v[100:103], off offset:256 ; 16-byte Folded Spill
	s_nop 0
	scratch_store_dwordx4 off, v[104:107], off offset:272 ; 16-byte Folded Spill
	scratch_store_dwordx4 off, v[108:111], off offset:288 ; 16-byte Folded Spill
	;; [unrolled: 1-line block ×7, first 2 shown]
	v_mov_b32_e32 v93, v36
	v_mov_b32_e32 v157, v36
	;; [unrolled: 1-line block ×14, first 2 shown]
	scratch_store_dwordx4 off, v[116:119], off ; 16-byte Folded Spill
	s_nop 0
	scratch_store_dwordx4 off, v[120:123], off offset:16 ; 16-byte Folded Spill
	scratch_store_dwordx4 off, v[124:127], off offset:32 ; 16-byte Folded Spill
	;; [unrolled: 1-line block ×7, first 2 shown]
.LBB39_53:
	s_or_b64 exec, exec, s[2:3]
	v_cmp_eq_u32_e32 vcc, 10, v252
	s_waitcnt lgkmcnt(0)
	s_barrier
	s_and_saveexec_b64 s[2:3], vcc
	s_cbranch_execz .LBB39_56
; %bb.54:
	ds_write_b32 v253, v74
	ds_write2_b32 v254, v11, v12 offset0:11 offset1:12
	ds_write2_b32 v254, v13, v14 offset0:13 offset1:14
	;; [unrolled: 1-line block ×4, first 2 shown]
	ds_write_b32 v254, v251 offset:76
	ds_read_b32 v35, v253
	s_waitcnt lgkmcnt(0)
	v_cmp_neq_f32_e32 vcc, 0, v35
	s_and_b64 exec, exec, vcc
	s_cbranch_execz .LBB39_56
; %bb.55:
	v_div_scale_f32 v36, s[4:5], v35, v35, 1.0
	v_rcp_f32_e32 v37, v36
	v_div_scale_f32 v38, vcc, 1.0, v35, 1.0
	v_fma_f32 v39, -v36, v37, 1.0
	v_fmac_f32_e32 v37, v39, v37
	v_mul_f32_e32 v39, v38, v37
	v_fma_f32 v40, -v36, v39, v38
	v_fmac_f32_e32 v39, v40, v37
	v_fma_f32 v36, -v36, v39, v38
	v_div_fmas_f32 v36, v36, v37, v39
	v_div_fixup_f32 v35, v36, v35, 1.0
	ds_write_b32 v253, v35
.LBB39_56:
	s_or_b64 exec, exec, s[2:3]
	s_waitcnt lgkmcnt(0)
	s_barrier
	ds_read_b32 v244, v253
	v_cmp_lt_u32_e32 vcc, 10, v252
	s_and_saveexec_b64 s[2:3], vcc
	s_cbranch_execz .LBB39_58
; %bb.57:
	scratch_load_dwordx4 v[212:215], off, off offset:512 ; 16-byte Folded Reload
	scratch_load_dwordx4 v[216:219], off, off offset:528 ; 16-byte Folded Reload
	;; [unrolled: 1-line block ×8, first 2 shown]
	ds_read2_b32 v[0:1], v254 offset0:11 offset1:12
	ds_read2_b32 v[4:5], v254 offset0:13 offset1:14
	;; [unrolled: 1-line block ×4, first 2 shown]
	s_waitcnt vmcnt(5) lgkmcnt(4)
	v_mul_f32_e32 v222, v74, v244
	v_mov_b32_e32 v2, v11
	v_mov_b32_e32 v3, v12
	;; [unrolled: 1-line block ×9, first 2 shown]
	s_waitcnt lgkmcnt(3)
	v_pk_fma_f32 v[36:37], v[222:223], v[0:1], v[2:3] op_sel_hi:[0,1,1] neg_lo:[1,0,0] neg_hi:[1,0,0]
	v_mov_b32_e32 v0, v13
	v_mov_b32_e32 v1, v14
	s_waitcnt lgkmcnt(2)
	v_pk_fma_f32 v[38:39], v[222:223], v[4:5], v[0:1] op_sel_hi:[0,1,1] neg_lo:[1,0,0] neg_hi:[1,0,0]
	v_mov_b32_e32 v0, v15
	v_mov_b32_e32 v1, v16
	;; [unrolled: 4-line block ×4, first 2 shown]
	v_mov_b32_e32 v24, v216
	v_mov_b32_e32 v25, v217
	;; [unrolled: 1-line block ×25, first 2 shown]
	ds_read_b32 v0, v254 offset:76
	scratch_store_dwordx4 off, v[2:5], off offset:256 ; 16-byte Folded Spill
	s_nop 0
	scratch_store_dwordx4 off, v[6:9], off offset:272 ; 16-byte Folded Spill
	scratch_store_dwordx4 off, v[10:13], off offset:288 ; 16-byte Folded Spill
	;; [unrolled: 1-line block ×7, first 2 shown]
	v_mov_b32_e32 v19, v42
	v_mov_b32_e32 v223, v36
	;; [unrolled: 1-line block ×38, first 2 shown]
	scratch_store_dwordx4 off, v[2:5], off offset:128 ; 16-byte Folded Spill
	s_nop 0
	scratch_store_dwordx4 off, v[6:9], off offset:144 ; 16-byte Folded Spill
	scratch_store_dwordx4 off, v[10:13], off offset:160 ; 16-byte Folded Spill
	;; [unrolled: 1-line block ×7, first 2 shown]
	s_waitcnt lgkmcnt(0)
	v_fma_f32 v19, -v222, v0, v251
	v_mov_b32_e32 v191, v36
	v_mov_b32_e32 v192, v37
	;; [unrolled: 1-line block ×33, first 2 shown]
	scratch_store_dwordx4 off, v[212:215], off offset:384 ; 16-byte Folded Spill
	s_nop 0
	scratch_store_dwordx4 off, v[216:219], off offset:400 ; 16-byte Folded Spill
	scratch_store_dwordx4 off, v[220:223], off offset:416 ; 16-byte Folded Spill
	s_waitcnt vmcnt(23)
	scratch_store_dwordx4 off, v[224:227], off offset:432 ; 16-byte Folded Spill
	s_waitcnt vmcnt(23)
	;; [unrolled: 2-line block ×5, first 2 shown]
	scratch_store_dwordx4 off, v[240:243], off offset:496 ; 16-byte Folded Spill
	scratch_store_dwordx4 off, v[18:21], off ; 16-byte Folded Spill
	s_nop 0
	scratch_store_dwordx4 off, v[22:25], off offset:16 ; 16-byte Folded Spill
	scratch_store_dwordx4 off, v[26:29], off offset:32 ; 16-byte Folded Spill
	;; [unrolled: 1-line block ×7, first 2 shown]
.LBB39_58:
	s_or_b64 exec, exec, s[2:3]
	v_cmp_eq_u32_e32 vcc, 11, v252
	s_waitcnt lgkmcnt(0)
	s_barrier
	s_and_saveexec_b64 s[2:3], vcc
	s_cbranch_execz .LBB39_61
; %bb.59:
	ds_write_b32 v253, v73
	ds_write2_b64 v254, v[12:13], v[14:15] offset0:6 offset1:7
	ds_write2_b64 v254, v[16:17], v[18:19] offset0:8 offset1:9
	ds_read_b32 v35, v253
	s_waitcnt lgkmcnt(0)
	v_cmp_neq_f32_e32 vcc, 0, v35
	s_and_b64 exec, exec, vcc
	s_cbranch_execz .LBB39_61
; %bb.60:
	v_div_scale_f32 v36, s[4:5], v35, v35, 1.0
	v_rcp_f32_e32 v37, v36
	v_div_scale_f32 v38, vcc, 1.0, v35, 1.0
	v_fma_f32 v39, -v36, v37, 1.0
	v_fmac_f32_e32 v37, v39, v37
	v_mul_f32_e32 v39, v38, v37
	v_fma_f32 v40, -v36, v39, v38
	v_fmac_f32_e32 v39, v40, v37
	v_fma_f32 v36, -v36, v39, v38
	v_div_fmas_f32 v36, v36, v37, v39
	v_div_fixup_f32 v35, v36, v35, 1.0
	ds_write_b32 v253, v35
.LBB39_61:
	s_or_b64 exec, exec, s[2:3]
	s_waitcnt lgkmcnt(0)
	s_barrier
	ds_read_b32 v224, v253
	v_cmp_lt_u32_e32 vcc, 11, v252
	s_and_saveexec_b64 s[2:3], vcc
	s_cbranch_execz .LBB39_63
; %bb.62:
	ds_read2_b64 v[0:3], v254 offset0:6 offset1:7
	ds_read2_b64 v[4:7], v254 offset0:8 offset1:9
	s_waitcnt lgkmcnt(2)
	v_mul_f32_e32 v8, v73, v224
	v_mov_b32_e32 v63, v8
	v_mov_b32_e32 v52, v212
	s_waitcnt lgkmcnt(1)
	v_pk_fma_f32 v[96:97], v[8:9], v[0:1], v[12:13] op_sel_hi:[0,1,1] neg_lo:[1,0,0] neg_hi:[1,0,0]
	v_pk_fma_f32 v[34:35], v[8:9], v[2:3], v[14:15] op_sel_hi:[0,1,1] neg_lo:[1,0,0] neg_hi:[1,0,0]
	s_waitcnt lgkmcnt(0)
	v_pk_fma_f32 v[116:117], v[8:9], v[4:5], v[16:17] op_sel_hi:[0,1,1] neg_lo:[1,0,0] neg_hi:[1,0,0]
	v_mov_b32_e32 v53, v213
	v_mov_b32_e32 v54, v214
	;; [unrolled: 1-line block ×33, first 2 shown]
	scratch_store_dwordx4 off, v[52:55], off offset:128 ; 16-byte Folded Spill
	s_nop 0
	scratch_store_dwordx4 off, v[56:59], off offset:144 ; 16-byte Folded Spill
	scratch_store_dwordx4 off, v[60:63], off offset:160 ; 16-byte Folded Spill
	;; [unrolled: 1-line block ×7, first 2 shown]
	v_mov_b32_e32 v126, v96
	v_pk_fma_f32 v[18:19], v[8:9], v[6:7], v[18:19] op_sel_hi:[0,1,1] neg_lo:[1,0,0] neg_hi:[1,0,0]
	v_mov_b32_e32 v84, v212
	v_mov_b32_e32 v85, v213
	;; [unrolled: 1-line block ×62, first 2 shown]
	scratch_store_dwordx4 off, v[212:215], off offset:384 ; 16-byte Folded Spill
	s_nop 0
	scratch_store_dwordx4 off, v[216:219], off offset:400 ; 16-byte Folded Spill
	scratch_store_dwordx4 off, v[220:223], off offset:416 ; 16-byte Folded Spill
	scratch_store_dwordx4 off, v[224:227], off offset:432 ; 16-byte Folded Spill
	scratch_store_dwordx4 off, v[228:231], off offset:448 ; 16-byte Folded Spill
	scratch_store_dwordx4 off, v[232:235], off offset:464 ; 16-byte Folded Spill
	scratch_store_dwordx4 off, v[236:239], off offset:480 ; 16-byte Folded Spill
	scratch_store_dwordx4 off, v[240:243], off offset:496 ; 16-byte Folded Spill
	v_mov_b32_e32 v70, v116
	scratch_store_dwordx4 off, v[100:103], off offset:256 ; 16-byte Folded Spill
	s_nop 0
	scratch_store_dwordx4 off, v[104:107], off offset:272 ; 16-byte Folded Spill
	scratch_store_dwordx4 off, v[108:111], off offset:288 ; 16-byte Folded Spill
	;; [unrolled: 1-line block ×7, first 2 shown]
	v_mov_b32_e32 v160, v96
	v_mov_b32_e32 v161, v97
	;; [unrolled: 1-line block ×18, first 2 shown]
	scratch_store_dwordx4 off, v[116:119], off ; 16-byte Folded Spill
	s_nop 0
	scratch_store_dwordx4 off, v[120:123], off offset:16 ; 16-byte Folded Spill
	scratch_store_dwordx4 off, v[124:127], off offset:32 ; 16-byte Folded Spill
	scratch_store_dwordx4 off, v[128:131], off offset:48 ; 16-byte Folded Spill
	scratch_store_dwordx4 off, v[132:135], off offset:64 ; 16-byte Folded Spill
	scratch_store_dwordx4 off, v[136:139], off offset:80 ; 16-byte Folded Spill
	scratch_store_dwordx4 off, v[140:143], off offset:96 ; 16-byte Folded Spill
	scratch_store_dwordx4 off, v[144:147], off offset:112 ; 16-byte Folded Spill
.LBB39_63:
	s_or_b64 exec, exec, s[2:3]
	v_cmp_eq_u32_e32 vcc, 12, v252
	s_waitcnt lgkmcnt(0)
	s_barrier
	s_and_saveexec_b64 s[2:3], vcc
	s_cbranch_execz .LBB39_66
; %bb.64:
	ds_write_b32 v253, v126
	ds_write2_b32 v254, v13, v14 offset0:13 offset1:14
	ds_write2_b32 v254, v15, v16 offset0:15 offset1:16
	ds_write2_b32 v254, v17, v18 offset0:17 offset1:18
	ds_write_b32 v254, v251 offset:76
	ds_read_b32 v35, v253
	s_waitcnt lgkmcnt(0)
	v_cmp_neq_f32_e32 vcc, 0, v35
	s_and_b64 exec, exec, vcc
	s_cbranch_execz .LBB39_66
; %bb.65:
	v_div_scale_f32 v36, s[4:5], v35, v35, 1.0
	v_rcp_f32_e32 v37, v36
	v_div_scale_f32 v38, vcc, 1.0, v35, 1.0
	v_fma_f32 v39, -v36, v37, 1.0
	v_fmac_f32_e32 v37, v39, v37
	v_mul_f32_e32 v39, v38, v37
	v_fma_f32 v40, -v36, v39, v38
	v_fmac_f32_e32 v39, v40, v37
	v_fma_f32 v36, -v36, v39, v38
	v_div_fmas_f32 v36, v36, v37, v39
	v_div_fixup_f32 v35, v36, v35, 1.0
	ds_write_b32 v253, v35
.LBB39_66:
	s_or_b64 exec, exec, s[2:3]
	s_waitcnt lgkmcnt(0)
	s_barrier
	ds_read_b32 v212, v253
	v_cmp_lt_u32_e32 vcc, 12, v252
	s_and_saveexec_b64 s[2:3], vcc
	s_cbranch_execz .LBB39_68
; %bb.67:
	scratch_load_dwordx4 v[52:55], off, off offset:384 ; 16-byte Folded Reload
	scratch_load_dwordx4 v[56:59], off, off offset:400 ; 16-byte Folded Reload
	scratch_load_dwordx4 v[60:63], off, off offset:416 ; 16-byte Folded Reload
	scratch_load_dwordx4 v[64:67], off, off offset:432 ; 16-byte Folded Reload
	scratch_load_dwordx4 v[68:71], off, off offset:448 ; 16-byte Folded Reload
	scratch_load_dwordx4 v[72:75], off, off offset:464 ; 16-byte Folded Reload
	scratch_load_dwordx4 v[76:79], off, off offset:480 ; 16-byte Folded Reload
	scratch_load_dwordx4 v[80:83], off, off offset:496 ; 16-byte Folded Reload
	ds_read2_b32 v[0:1], v254 offset0:13 offset1:14
	ds_read2_b32 v[4:5], v254 offset0:15 offset1:16
	;; [unrolled: 1-line block ×3, first 2 shown]
	ds_read_b32 v8, v254 offset:76
	s_waitcnt lgkmcnt(4)
	v_mul_f32_e32 v96, v126, v212
	v_mov_b32_e32 v2, v13
	v_mov_b32_e32 v3, v14
	s_waitcnt lgkmcnt(3)
	v_pk_fma_f32 v[36:37], v[96:97], v[0:1], v[2:3] op_sel_hi:[0,1,1] neg_lo:[1,0,0] neg_hi:[1,0,0]
	v_mov_b32_e32 v0, v15
	v_mov_b32_e32 v1, v16
	s_waitcnt lgkmcnt(2)
	v_pk_fma_f32 v[38:39], v[96:97], v[4:5], v[0:1] op_sel_hi:[0,1,1] neg_lo:[1,0,0] neg_hi:[1,0,0]
	;; [unrolled: 4-line block ×3, first 2 shown]
	s_waitcnt lgkmcnt(0)
	v_fma_f32 v19, -v96, v8, v251
	v_mov_b32_e32 v12, v96
	v_mov_b32_e32 v13, v36
	;; [unrolled: 1-line block ×14, first 2 shown]
	s_waitcnt vmcnt(3)
	v_mov_b32_e32 v71, v36
	s_waitcnt vmcnt(2)
	v_mov_b32_e32 v72, v37
	v_mov_b32_e32 v75, v38
	v_mov_b32_e32 v70, v39
	v_mov_b32_e32 v35, v40
	v_mov_b64_e32 v[94:95], v[62:63]
	v_mov_b64_e32 v[92:93], v[60:61]
	;; [unrolled: 1-line block ×6, first 2 shown]
	v_mov_b32_e32 v20, v84
	v_mov_b32_e32 v21, v85
	;; [unrolled: 1-line block ×24, first 2 shown]
	scratch_store_dwordx4 off, v[0:3], off offset:256 ; 16-byte Folded Spill
	s_nop 0
	scratch_store_dwordx4 off, v[4:7], off offset:272 ; 16-byte Folded Spill
	scratch_store_dwordx4 off, v[8:11], off offset:288 ; 16-byte Folded Spill
	;; [unrolled: 1-line block ×7, first 2 shown]
	v_mov_b32_e32 v17, v40
	v_mov_b64_e32 v[178:179], v[114:115]
	v_mov_b32_e32 v180, v84
	v_mov_b32_e32 v181, v85
	;; [unrolled: 1-line block ×12, first 2 shown]
	v_mov_b64_e32 v[160:161], v[96:97]
	v_mov_b64_e32 v[158:159], v[94:95]
	;; [unrolled: 1-line block ×15, first 2 shown]
	scratch_store_dwordx4 off, v[0:3], off offset:128 ; 16-byte Folded Spill
	s_nop 0
	scratch_store_dwordx4 off, v[4:7], off offset:144 ; 16-byte Folded Spill
	scratch_store_dwordx4 off, v[8:11], off offset:160 ; 16-byte Folded Spill
	;; [unrolled: 1-line block ×7, first 2 shown]
	v_mov_b32_e32 v18, v41
	v_mov_b32_e32 v251, v19
	scratch_store_dwordx4 off, v[18:21], off ; 16-byte Folded Spill
	s_nop 0
	scratch_store_dwordx4 off, v[22:25], off offset:16 ; 16-byte Folded Spill
	scratch_store_dwordx4 off, v[26:29], off offset:32 ; 16-byte Folded Spill
	;; [unrolled: 1-line block ×7, first 2 shown]
.LBB39_68:
	s_or_b64 exec, exec, s[2:3]
	v_cmp_eq_u32_e32 vcc, 13, v252
	s_waitcnt lgkmcnt(0)
	s_barrier
	s_and_saveexec_b64 s[2:3], vcc
	s_cbranch_execz .LBB39_71
; %bb.69:
	ds_write_b32 v253, v71
	ds_write2_b64 v254, v[14:15], v[16:17] offset0:7 offset1:8
	ds_write_b64 v254, v[18:19] offset:72
	ds_read_b32 v35, v253
	s_waitcnt lgkmcnt(0)
	v_cmp_neq_f32_e32 vcc, 0, v35
	s_and_b64 exec, exec, vcc
	s_cbranch_execz .LBB39_71
; %bb.70:
	v_div_scale_f32 v36, s[4:5], v35, v35, 1.0
	v_rcp_f32_e32 v37, v36
	v_div_scale_f32 v38, vcc, 1.0, v35, 1.0
	v_fma_f32 v39, -v36, v37, 1.0
	v_fmac_f32_e32 v37, v39, v37
	v_mul_f32_e32 v39, v38, v37
	v_fma_f32 v40, -v36, v39, v38
	v_fmac_f32_e32 v39, v40, v37
	v_fma_f32 v36, -v36, v39, v38
	v_div_fmas_f32 v36, v36, v37, v39
	v_div_fixup_f32 v35, v36, v35, 1.0
	ds_write_b32 v253, v35
.LBB39_71:
	s_or_b64 exec, exec, s[2:3]
	s_waitcnt lgkmcnt(0)
	s_barrier
	ds_read_b32 v98, v253
	v_cmp_lt_u32_e32 vcc, 13, v252
	s_mov_b64 s[2:3], exec
	scratch_load_dwordx4 v[100:103], off, off offset:256 ; 16-byte Folded Reload
	scratch_load_dwordx4 v[104:107], off, off offset:272 ; 16-byte Folded Reload
	;; [unrolled: 1-line block ×8, first 2 shown]
	s_and_b64 s[4:5], s[2:3], vcc
	s_mov_b64 exec, s[4:5]
	s_cbranch_execz .LBB39_73
; %bb.72:
	ds_read2_b64 v[0:3], v254 offset0:7 offset1:8
	ds_read_b64 v[4:5], v254 offset:72
	s_waitcnt lgkmcnt(2)
	v_mul_f32_e32 v36, v71, v98
	v_mov_b32_e32 v20, v84
	v_mov_b32_e32 v21, v85
	s_waitcnt lgkmcnt(1)
	v_pk_fma_f32 v[34:35], v[36:37], v[0:1], v[14:15] op_sel_hi:[0,1,1] neg_lo:[1,0,0] neg_hi:[1,0,0]
	s_waitcnt vmcnt(3)
	v_pk_fma_f32 v[116:117], v[36:37], v[2:3], v[16:17] op_sel_hi:[0,1,1] neg_lo:[1,0,0] neg_hi:[1,0,0]
	s_waitcnt lgkmcnt(0)
	v_pk_fma_f32 v[18:19], v[36:37], v[4:5], v[18:19] op_sel_hi:[0,1,1] neg_lo:[1,0,0] neg_hi:[1,0,0]
	v_mov_b32_e32 v22, v86
	v_mov_b32_e32 v23, v87
	;; [unrolled: 1-line block ×28, first 2 shown]
	scratch_store_dwordx4 off, v[0:3], off offset:128 ; 16-byte Folded Spill
	s_nop 0
	scratch_store_dwordx4 off, v[4:7], off offset:144 ; 16-byte Folded Spill
	scratch_store_dwordx4 off, v[8:11], off offset:160 ; 16-byte Folded Spill
	;; [unrolled: 1-line block ×7, first 2 shown]
	v_mov_b32_e32 v114, v34
	v_mov_b32_e32 v115, v35
	;; [unrolled: 1-line block ×17, first 2 shown]
	v_mov_b64_e32 v[178:179], v[114:115]
	v_mov_b32_e32 v32, v96
	v_mov_b32_e32 v33, v36
	;; [unrolled: 1-line block ×18, first 2 shown]
	v_mov_b64_e32 v[160:161], v[96:97]
	v_mov_b64_e32 v[158:159], v[94:95]
	;; [unrolled: 1-line block ×7, first 2 shown]
	v_mov_b32_e32 v72, v34
	v_mov_b32_e32 v75, v35
	;; [unrolled: 1-line block ×4, first 2 shown]
	v_mov_b64_e32 v[176:177], v[112:113]
	v_mov_b64_e32 v[174:175], v[110:111]
	v_mov_b64_e32 v[172:173], v[108:109]
	v_mov_b64_e32 v[170:171], v[106:107]
	v_mov_b64_e32 v[168:169], v[104:105]
	v_mov_b64_e32 v[166:167], v[102:103]
	v_mov_b64_e32 v[164:165], v[100:101]
	v_mov_b64_e32 v[162:163], v[98:99]
	scratch_store_dwordx4 off, v[116:119], off ; 16-byte Folded Spill
	s_waitcnt vmcnt(11)
	scratch_store_dwordx4 off, v[120:123], off offset:16 ; 16-byte Folded Spill
	s_waitcnt vmcnt(11)
	scratch_store_dwordx4 off, v[124:127], off offset:32 ; 16-byte Folded Spill
	;; [unrolled: 2-line block ×3, first 2 shown]
	scratch_store_dwordx4 off, v[132:135], off offset:64 ; 16-byte Folded Spill
	scratch_store_dwordx4 off, v[136:139], off offset:80 ; 16-byte Folded Spill
	;; [unrolled: 1-line block ×4, first 2 shown]
	v_mov_b32_e32 v250, v18
	v_mov_b32_e32 v251, v19
.LBB39_73:
	s_or_b64 exec, exec, s[2:3]
	v_cmp_eq_u32_e32 vcc, 14, v252
	s_waitcnt lgkmcnt(0)
	s_barrier
	s_and_saveexec_b64 s[2:3], vcc
	s_cbranch_execz .LBB39_76
; %bb.74:
	ds_write_b32 v253, v72
	ds_write2_b32 v254, v15, v16 offset0:15 offset1:16
	ds_write2_b32 v254, v17, v18 offset0:17 offset1:18
	ds_write_b32 v254, v251 offset:76
	ds_read_b32 v35, v253
	s_waitcnt lgkmcnt(0)
	v_cmp_neq_f32_e32 vcc, 0, v35
	s_and_b64 exec, exec, vcc
	s_cbranch_execz .LBB39_76
; %bb.75:
	v_div_scale_f32 v36, s[4:5], v35, v35, 1.0
	v_rcp_f32_e32 v37, v36
	v_div_scale_f32 v38, vcc, 1.0, v35, 1.0
	v_fma_f32 v39, -v36, v37, 1.0
	v_fmac_f32_e32 v37, v39, v37
	v_mul_f32_e32 v39, v38, v37
	v_fma_f32 v40, -v36, v39, v38
	v_fmac_f32_e32 v39, v40, v37
	v_fma_f32 v36, -v36, v39, v38
	v_div_fmas_f32 v36, v36, v37, v39
	v_div_fixup_f32 v35, v36, v35, 1.0
	ds_write_b32 v253, v35
.LBB39_76:
	s_or_b64 exec, exec, s[2:3]
	s_waitcnt lgkmcnt(0)
	s_barrier
	ds_read_b32 v84, v253
	v_cmp_lt_u32_e32 vcc, 14, v252
	s_and_saveexec_b64 s[2:3], vcc
	s_cbranch_execz .LBB39_78
; %bb.77:
	ds_read2_b32 v[0:1], v254 offset0:15 offset1:16
	ds_read2_b32 v[4:5], v254 offset0:17 offset1:18
	ds_read_b32 v6, v254 offset:76
	s_waitcnt lgkmcnt(3)
	v_mul_f32_e32 v162, v72, v84
	v_mov_b32_e32 v2, v15
	v_mov_b32_e32 v3, v16
	s_waitcnt lgkmcnt(2)
	v_pk_fma_f32 v[70:71], v[162:163], v[0:1], v[2:3] op_sel_hi:[0,1,1] neg_lo:[1,0,0] neg_hi:[1,0,0]
	v_mov_b32_e32 v0, v17
	v_mov_b32_e32 v1, v18
	s_waitcnt lgkmcnt(1)
	v_pk_fma_f32 v[72:73], v[162:163], v[4:5], v[0:1] op_sel_hi:[0,1,1] neg_lo:[1,0,0] neg_hi:[1,0,0]
	s_waitcnt lgkmcnt(0)
	v_fma_f32 v19, -v162, v6, v251
	v_mov_b32_e32 v0, v148
	v_mov_b32_e32 v1, v149
	;; [unrolled: 1-line block ×18, first 2 shown]
	scratch_store_dwordx4 off, v[0:3], off offset:128 ; 16-byte Folded Spill
	s_nop 0
	scratch_store_dwordx4 off, v[4:7], off offset:144 ; 16-byte Folded Spill
	scratch_store_dwordx4 off, v[8:11], off offset:160 ; 16-byte Folded Spill
	;; [unrolled: 1-line block ×7, first 2 shown]
	v_mov_b32_e32 v163, v70
	v_mov_b32_e32 v74, v50
	;; [unrolled: 1-line block ×3, first 2 shown]
	s_waitcnt vmcnt(41)
	v_mov_b32_e32 v76, v48
	v_mov_b32_e32 v77, v49
	v_mov_b64_e32 v[20:21], v[148:149]
	v_mov_b64_e32 v[210:211], v[178:179]
	;; [unrolled: 1-line block ×5, first 2 shown]
	s_waitcnt vmcnt(15)
	v_mov_b32_e32 v100, v148
	v_mov_b32_e32 v101, v149
	v_mov_b32_e32 v102, v150
	v_mov_b32_e32 v103, v151
	s_waitcnt vmcnt(14)
	v_mov_b32_e32 v104, v152
	v_mov_b32_e32 v105, v153
	v_mov_b32_e32 v106, v154
	v_mov_b32_e32 v107, v155
	;; [unrolled: 5-line block ×4, first 2 shown]
	s_waitcnt vmcnt(11)
	v_mov_b32_e32 v116, v71
	v_mov_b32_e32 v18, v73
	v_mov_b64_e32 v[194:195], v[162:163]
	v_mov_b64_e32 v[192:193], v[160:161]
	;; [unrolled: 1-line block ×20, first 2 shown]
	v_mov_b32_e32 v49, v77
	v_mov_b32_e32 v48, v76
	;; [unrolled: 1-line block ×8, first 2 shown]
	v_mov_b64_e32 v[208:209], v[176:177]
	v_mov_b64_e32 v[206:207], v[174:175]
	;; [unrolled: 1-line block ×7, first 2 shown]
	v_mov_b32_e32 v251, v19
	scratch_store_dwordx4 off, v[18:21], off ; 16-byte Folded Spill
	s_nop 0
	scratch_store_dwordx4 off, v[22:25], off offset:16 ; 16-byte Folded Spill
	scratch_store_dwordx4 off, v[26:29], off offset:32 ; 16-byte Folded Spill
	;; [unrolled: 1-line block ×7, first 2 shown]
.LBB39_78:
	s_or_b64 exec, exec, s[2:3]
	v_cmp_eq_u32_e32 vcc, 15, v252
	s_waitcnt lgkmcnt(0)
	s_barrier
	s_and_saveexec_b64 s[2:3], vcc
	s_cbranch_execz .LBB39_81
; %bb.79:
	ds_write_b32 v253, v75
	ds_write2_b64 v254, v[16:17], v[18:19] offset0:8 offset1:9
	ds_read_b32 v35, v253
	s_waitcnt lgkmcnt(0)
	v_cmp_neq_f32_e32 vcc, 0, v35
	s_and_b64 exec, exec, vcc
	s_cbranch_execz .LBB39_81
; %bb.80:
	v_div_scale_f32 v36, s[4:5], v35, v35, 1.0
	v_rcp_f32_e32 v37, v36
	v_div_scale_f32 v38, vcc, 1.0, v35, 1.0
	v_fma_f32 v39, -v36, v37, 1.0
	v_fmac_f32_e32 v37, v39, v37
	v_mul_f32_e32 v39, v38, v37
	v_fma_f32 v40, -v36, v39, v38
	v_fmac_f32_e32 v39, v40, v37
	v_fma_f32 v36, -v36, v39, v38
	v_div_fmas_f32 v36, v36, v37, v39
	v_div_fixup_f32 v35, v36, v35, 1.0
	ds_write_b32 v253, v35
.LBB39_81:
	s_or_b64 exec, exec, s[2:3]
	s_waitcnt lgkmcnt(0)
	s_barrier
	ds_read_b32 v36, v253
	v_cmp_lt_u32_e32 vcc, 15, v252
	s_and_saveexec_b64 s[2:3], vcc
	s_cbranch_execz .LBB39_83
; %bb.82:
	ds_read2_b64 v[0:3], v254 offset0:8 offset1:9
	s_waitcnt lgkmcnt(1)
	v_mul_f32_e32 v38, v75, v36
	v_mov_b32_e32 v4, v24
	v_mov_b32_e32 v5, v25
	;; [unrolled: 1-line block ×3, first 2 shown]
	s_waitcnt vmcnt(3) lgkmcnt(0)
	v_pk_fma_f32 v[116:117], v[38:39], v[0:1], v[16:17] op_sel_hi:[0,1,1] neg_lo:[1,0,0] neg_hi:[1,0,0]
	v_pk_fma_f32 v[18:19], v[38:39], v[2:3], v[18:19] op_sel_hi:[0,1,1] neg_lo:[1,0,0] neg_hi:[1,0,0]
	v_mov_b32_e32 v0, v20
	v_mov_b32_e32 v1, v21
	;; [unrolled: 1-line block ×27, first 2 shown]
	scratch_store_dwordx4 off, v[0:3], off offset:128 ; 16-byte Folded Spill
	s_nop 0
	scratch_store_dwordx4 off, v[4:7], off offset:144 ; 16-byte Folded Spill
	scratch_store_dwordx4 off, v[8:11], off offset:160 ; 16-byte Folded Spill
	scratch_store_dwordx4 off, v[12:15], off offset:176 ; 16-byte Folded Spill
	scratch_store_dwordx4 off, v[16:19], off offset:192 ; 16-byte Folded Spill
	scratch_store_dwordx4 off, v[20:23], off offset:208 ; 16-byte Folded Spill
	scratch_store_dwordx4 off, v[24:27], off offset:224 ; 16-byte Folded Spill
	scratch_store_dwordx4 off, v[28:31], off offset:240 ; 16-byte Folded Spill
	v_mov_b32_e32 v35, v38
	v_mov_b32_e32 v112, v32
	;; [unrolled: 1-line block ×7, first 2 shown]
	scratch_store_dwordx4 off, v[116:119], off ; 16-byte Folded Spill
	s_waitcnt vmcnt(11)
	scratch_store_dwordx4 off, v[120:123], off offset:16 ; 16-byte Folded Spill
	s_waitcnt vmcnt(11)
	scratch_store_dwordx4 off, v[124:127], off offset:32 ; 16-byte Folded Spill
	s_waitcnt vmcnt(11)
	scratch_store_dwordx4 off, v[128:131], off offset:48 ; 16-byte Folded Spill
	scratch_store_dwordx4 off, v[132:135], off offset:64 ; 16-byte Folded Spill
	scratch_store_dwordx4 off, v[136:139], off offset:80 ; 16-byte Folded Spill
	;; [unrolled: 1-line block ×4, first 2 shown]
	v_mov_b64_e32 v[210:211], v[50:51]
	v_mov_b64_e32 v[194:195], v[34:35]
	;; [unrolled: 1-line block ×9, first 2 shown]
	v_mov_b32_e32 v250, v18
	v_mov_b32_e32 v251, v19
	v_mov_b64_e32 v[208:209], v[48:49]
	v_mov_b64_e32 v[206:207], v[46:47]
	;; [unrolled: 1-line block ×7, first 2 shown]
.LBB39_83:
	s_or_b64 exec, exec, s[2:3]
	v_cmp_eq_u32_e32 vcc, 16, v252
	s_waitcnt lgkmcnt(0)
	s_barrier
	s_and_saveexec_b64 s[2:3], vcc
	s_cbranch_execz .LBB39_86
; %bb.84:
	ds_write_b32 v253, v70
	ds_write2_b32 v254, v17, v18 offset0:17 offset1:18
	ds_write_b32 v254, v251 offset:76
	ds_read_b32 v20, v253
	s_waitcnt lgkmcnt(0)
	v_cmp_neq_f32_e32 vcc, 0, v20
	s_and_b64 exec, exec, vcc
	s_cbranch_execz .LBB39_86
; %bb.85:
	v_div_scale_f32 v21, s[4:5], v20, v20, 1.0
	v_rcp_f32_e32 v22, v21
	v_div_scale_f32 v23, vcc, 1.0, v20, 1.0
	v_fma_f32 v24, -v21, v22, 1.0
	v_fmac_f32_e32 v22, v24, v22
	v_mul_f32_e32 v24, v23, v22
	v_fma_f32 v25, -v21, v24, v23
	v_fmac_f32_e32 v24, v25, v22
	v_fma_f32 v21, -v21, v24, v23
	v_div_fmas_f32 v21, v21, v22, v24
	v_div_fixup_f32 v20, v21, v20, 1.0
	ds_write_b32 v253, v20
.LBB39_86:
	s_or_b64 exec, exec, s[2:3]
	s_waitcnt lgkmcnt(0)
	s_barrier
	ds_read_b32 v32, v253
	v_cmp_lt_u32_e32 vcc, 16, v252
	s_and_saveexec_b64 s[2:3], vcc
	s_cbranch_execz .LBB39_88
; %bb.87:
	ds_read2_b32 v[0:1], v254 offset0:17 offset1:18
	ds_read_b32 v4, v254 offset:76
	s_waitcnt lgkmcnt(2)
	v_mul_f32_e32 v196, v70, v32
	v_mov_b32_e32 v2, v17
	v_mov_b32_e32 v3, v18
	s_waitcnt lgkmcnt(1)
	v_pk_fma_f32 v[20:21], v[196:197], v[0:1], v[2:3] op_sel_hi:[0,1,1] neg_lo:[1,0,0] neg_hi:[1,0,0]
	v_mov_b32_e32 v197, v20
	s_waitcnt lgkmcnt(0)
	v_fma_f32 v19, -v196, v4, v251
	v_mov_b32_e32 v0, v180
	v_mov_b32_e32 v1, v181
	;; [unrolled: 1-line block ×19, first 2 shown]
	scratch_store_dwordx4 off, v[180:183], off offset:128 ; 16-byte Folded Spill
	s_nop 0
	scratch_store_dwordx4 off, v[184:187], off offset:144 ; 16-byte Folded Spill
	scratch_store_dwordx4 off, v[188:191], off offset:160 ; 16-byte Folded Spill
	;; [unrolled: 1-line block ×7, first 2 shown]
	v_mov_b32_e32 v23, v20
	scratch_store_dwordx4 off, v[6:9], off  ; 16-byte Folded Spill
	s_nop 0
	scratch_store_dwordx4 off, v[10:13], off offset:16 ; 16-byte Folded Spill
	scratch_store_dwordx4 off, v[14:17], off offset:32 ; 16-byte Folded Spill
	;; [unrolled: 1-line block ×7, first 2 shown]
	s_waitcnt vmcnt(16)
	v_mov_b64_e32 v[100:101], v[180:181]
	v_mov_b64_e32 v[102:103], v[182:183]
	;; [unrolled: 1-line block ×16, first 2 shown]
	v_mov_b32_e32 v250, v21
	v_mov_b32_e32 v251, v19
.LBB39_88:
	s_or_b64 exec, exec, s[2:3]
	v_cmp_eq_u32_e32 vcc, 17, v252
	s_waitcnt lgkmcnt(0)
	s_barrier
	s_and_saveexec_b64 s[2:3], vcc
	s_cbranch_execz .LBB39_91
; %bb.89:
	scratch_load_dwordx4 v[134:137], off, off ; 16-byte Folded Reload
	scratch_load_dwordx4 v[138:141], off, off offset:16 ; 16-byte Folded Reload
	scratch_load_dwordx4 v[142:145], off, off offset:32 ; 16-byte Folded Reload
	scratch_load_dwordx4 v[146:149], off, off offset:48 ; 16-byte Folded Reload
	scratch_load_dwordx4 v[150:153], off, off offset:64 ; 16-byte Folded Reload
	scratch_load_dwordx4 v[154:157], off, off offset:80 ; 16-byte Folded Reload
	scratch_load_dwordx4 v[158:161], off, off offset:96 ; 16-byte Folded Reload
	scratch_load_dwordx4 v[162:165], off, off offset:112 ; 16-byte Folded Reload
	s_waitcnt vmcnt(3)
	ds_write_b32 v253, v151
	ds_write_b64 v254, v[18:19] offset:72
	ds_read_b32 v20, v253
	s_waitcnt lgkmcnt(0)
	v_cmp_neq_f32_e32 vcc, 0, v20
	s_and_b64 exec, exec, vcc
	s_cbranch_execz .LBB39_91
; %bb.90:
	v_div_scale_f32 v21, s[4:5], v20, v20, 1.0
	v_rcp_f32_e32 v22, v21
	v_div_scale_f32 v23, vcc, 1.0, v20, 1.0
	v_fma_f32 v24, -v21, v22, 1.0
	v_fmac_f32_e32 v22, v24, v22
	v_mul_f32_e32 v24, v23, v22
	v_fma_f32 v25, -v21, v24, v23
	v_fmac_f32_e32 v24, v25, v22
	v_fma_f32 v21, -v21, v24, v23
	v_div_fmas_f32 v21, v21, v22, v24
	v_div_fixup_f32 v20, v21, v20, 1.0
	ds_write_b32 v253, v20
.LBB39_91:
	s_or_b64 exec, exec, s[2:3]
	s_waitcnt lgkmcnt(0)
	s_barrier
	ds_read_b32 v33, v253
	v_cmp_lt_u32_e32 vcc, 17, v252
	s_and_saveexec_b64 s[2:3], vcc
	s_cbranch_execz .LBB39_93
; %bb.92:
	ds_read_b64 v[2:3], v254 offset:72
	scratch_load_dwordx4 v[52:55], off, off ; 16-byte Folded Reload
	scratch_load_dwordx4 v[56:59], off, off offset:16 ; 16-byte Folded Reload
	scratch_load_dwordx4 v[60:63], off, off offset:32 ; 16-byte Folded Reload
	;; [unrolled: 1-line block ×7, first 2 shown]
	s_waitcnt vmcnt(15)
	v_mov_b32_e32 v0, v100
	v_mov_b32_e32 v1, v101
	s_waitcnt vmcnt(14)
	v_mov_b32_e32 v4, v104
	v_mov_b32_e32 v5, v105
	v_mov_b32_e32 v6, v106
	v_mov_b32_e32 v7, v107
	s_waitcnt vmcnt(13)
	v_mov_b32_e32 v8, v108
	v_mov_b32_e32 v9, v109
	;; [unrolled: 5-line block ×3, first 2 shown]
	v_mov_b32_e32 v14, v114
	v_mov_b32_e32 v15, v115
	s_waitcnt vmcnt(11)
	v_mov_b32_e32 v16, v116
	s_waitcnt vmcnt(3) lgkmcnt(1)
	v_mul_f32_e32 v20, v69, v33
	s_waitcnt lgkmcnt(0)
	v_pk_fma_f32 v[18:19], v[20:21], v[2:3], v[18:19] op_sel_hi:[0,1,1] neg_lo:[1,0,0] neg_hi:[1,0,0]
	v_mov_b32_e32 v117, v20
	v_mov_b32_e32 v2, v102
	;; [unrolled: 1-line block ×6, first 2 shown]
	scratch_store_dwordx4 off, v[100:103], off offset:128 ; 16-byte Folded Spill
	s_nop 0
	scratch_store_dwordx4 off, v[104:107], off offset:144 ; 16-byte Folded Spill
	scratch_store_dwordx4 off, v[108:111], off offset:160 ; 16-byte Folded Spill
	;; [unrolled: 1-line block ×7, first 2 shown]
.LBB39_93:
	s_or_b64 exec, exec, s[2:3]
	v_cmp_eq_u32_e32 vcc, 18, v252
	s_waitcnt lgkmcnt(0)
	s_barrier
	s_and_saveexec_b64 s[2:3], vcc
	s_cbranch_execz .LBB39_96
; %bb.94:
	ds_write_b32 v253, v250
	ds_write_b32 v254, v251 offset:76
	ds_read_b32 v20, v253
	s_waitcnt lgkmcnt(0)
	v_cmp_neq_f32_e32 vcc, 0, v20
	s_and_b64 exec, exec, vcc
	s_cbranch_execz .LBB39_96
; %bb.95:
	v_div_scale_f32 v21, s[4:5], v20, v20, 1.0
	v_rcp_f32_e32 v22, v21
	v_div_scale_f32 v23, vcc, 1.0, v20, 1.0
	v_fma_f32 v24, -v21, v22, 1.0
	v_fmac_f32_e32 v22, v24, v22
	v_mul_f32_e32 v24, v23, v22
	v_fma_f32 v25, -v21, v24, v23
	v_fmac_f32_e32 v24, v25, v22
	v_fma_f32 v21, -v21, v24, v23
	v_div_fmas_f32 v21, v21, v22, v24
	v_div_fixup_f32 v20, v21, v20, 1.0
	ds_write_b32 v253, v20
.LBB39_96:
	s_or_b64 exec, exec, s[2:3]
	s_waitcnt lgkmcnt(0)
	s_barrier
	ds_read_b32 v34, v253
	v_cmp_lt_u32_e32 vcc, 18, v252
	s_and_saveexec_b64 s[2:3], vcc
	s_cbranch_execz .LBB39_98
; %bb.97:
	ds_read_b32 v0, v254 offset:76
	scratch_load_dwordx4 v[52:55], off, off offset:128 ; 16-byte Folded Reload
	scratch_load_dwordx4 v[56:59], off, off offset:144 ; 16-byte Folded Reload
	;; [unrolled: 1-line block ×8, first 2 shown]
	s_waitcnt vmcnt(3) lgkmcnt(1)
	v_mul_f32_e32 v70, v250, v34
	s_waitcnt lgkmcnt(0)
	v_fma_f32 v71, -v70, v0, v251
	v_mov_b32_e32 v251, v71
	s_waitcnt vmcnt(0)
	v_mov_b64_e32 v[0:1], v[52:53]
	v_mov_b64_e32 v[2:3], v[54:55]
	;; [unrolled: 1-line block ×16, first 2 shown]
.LBB39_98:
	s_or_b64 exec, exec, s[2:3]
	v_cmp_eq_u32_e32 vcc, 19, v252
	s_waitcnt lgkmcnt(0)
	s_barrier
	s_and_saveexec_b64 s[2:3], vcc
	s_cbranch_execz .LBB39_101
; %bb.99:
	v_cmp_neq_f32_e32 vcc, 0, v251
	ds_write_b32 v253, v251
	s_and_b64 exec, exec, vcc
	s_cbranch_execz .LBB39_101
; %bb.100:
	v_div_scale_f32 v20, s[4:5], v251, v251, 1.0
	v_rcp_f32_e32 v21, v20
	v_div_scale_f32 v22, vcc, 1.0, v251, 1.0
	v_fma_f32 v23, -v20, v21, 1.0
	v_fmac_f32_e32 v21, v23, v21
	v_mul_f32_e32 v23, v22, v21
	v_fma_f32 v24, -v20, v23, v22
	v_fmac_f32_e32 v23, v24, v21
	v_fma_f32 v20, -v20, v23, v22
	v_div_fmas_f32 v20, v20, v21, v23
	v_div_fixup_f32 v20, v20, v251, 1.0
	ds_write_b32 v253, v20
.LBB39_101:
	s_or_b64 exec, exec, s[2:3]
	s_waitcnt lgkmcnt(0)
	s_barrier
	ds_read_b32 v22, v253
	s_waitcnt lgkmcnt(0)
	s_barrier
	s_and_saveexec_b64 s[42:43], s[0:1]
	s_cbranch_execz .LBB39_104
; %bb.102:
	scratch_load_dword v25, off, off offset:1696 ; 4-byte Folded Reload
	v_mov_b32_e32 v20, s6
	v_mov_b32_e32 v21, s7
	v_lshl_add_u64 v[20:21], v[246:247], 2, v[20:21]
	global_load_dword v24, v[20:21], off
	v_cmp_eq_f32_e32 vcc, 0, v245
	v_cmp_eq_f32_e64 s[2:3], 0, v99
	v_cmp_eq_f32_e64 s[4:5], 0, v50
	v_cndmask_b32_e64 v23, 0, 1, vcc
	v_cmp_eq_f32_e64 s[6:7], 0, v51
	v_cmp_eq_f32_e64 s[8:9], 0, v48
	;; [unrolled: 1-line block ×16, first 2 shown]
	s_waitcnt vmcnt(1)
	v_cmp_neq_f32_e64 s[0:1], 0, v25
	s_or_b64 vcc, s[0:1], vcc
	v_cndmask_b32_e32 v23, 2, v23, vcc
	v_cmp_eq_u32_e32 vcc, 0, v23
	s_and_b64 s[0:1], s[2:3], vcc
	v_cndmask_b32_e64 v23, v23, 3, s[0:1]
	v_cmp_eq_u32_e32 vcc, 0, v23
	s_and_b64 s[0:1], s[4:5], vcc
	v_cndmask_b32_e64 v23, v23, 4, s[0:1]
	v_cmp_eq_u32_e32 vcc, 0, v23
	s_and_b64 s[0:1], s[6:7], vcc
	v_cndmask_b32_e64 v23, v23, 5, s[0:1]
	v_cmp_eq_u32_e32 vcc, 0, v23
	s_and_b64 s[0:1], s[8:9], vcc
	v_cndmask_b32_e64 v23, v23, 6, s[0:1]
	v_cmp_eq_u32_e32 vcc, 0, v23
	s_and_b64 s[0:1], s[10:11], vcc
	v_cndmask_b32_e64 v23, v23, 7, s[0:1]
	v_cmp_eq_u32_e32 vcc, 0, v23
	s_and_b64 s[0:1], s[12:13], vcc
	v_cndmask_b32_e64 v23, v23, 8, s[0:1]
	v_cmp_eq_u32_e32 vcc, 0, v23
	s_and_b64 s[0:1], s[14:15], vcc
	v_cndmask_b32_e64 v23, v23, 9, s[0:1]
	v_cmp_eq_u32_e32 vcc, 0, v23
	s_and_b64 s[0:1], s[16:17], vcc
	v_cndmask_b32_e64 v23, v23, 10, s[0:1]
	v_cmp_eq_u32_e32 vcc, 0, v23
	s_and_b64 s[0:1], s[18:19], vcc
	v_cndmask_b32_e64 v23, v23, 11, s[0:1]
	v_cmp_eq_u32_e32 vcc, 0, v23
	s_and_b64 s[0:1], s[20:21], vcc
	v_cndmask_b32_e64 v23, v23, 12, s[0:1]
	v_cmp_eq_u32_e32 vcc, 0, v23
	s_and_b64 s[0:1], s[22:23], vcc
	v_cndmask_b32_e64 v23, v23, 13, s[0:1]
	v_cmp_eq_u32_e32 vcc, 0, v23
	s_and_b64 s[0:1], s[24:25], vcc
	v_cndmask_b32_e64 v23, v23, 14, s[0:1]
	v_cmp_eq_u32_e32 vcc, 0, v23
	s_and_b64 s[0:1], s[26:27], vcc
	v_cndmask_b32_e64 v23, v23, 15, s[0:1]
	v_cmp_eq_u32_e32 vcc, 0, v23
	s_and_b64 s[0:1], s[28:29], vcc
	v_cndmask_b32_e64 v23, v23, 16, s[0:1]
	v_cmp_eq_u32_e32 vcc, 0, v23
	s_and_b64 s[0:1], s[30:31], vcc
	v_cndmask_b32_e64 v23, v23, 17, s[0:1]
	v_cmp_eq_u32_e32 vcc, 0, v23
	s_and_b64 s[0:1], s[34:35], vcc
	v_cndmask_b32_e64 v23, v23, 18, s[0:1]
	v_cmp_eq_u32_e32 vcc, 0, v23
	s_and_b64 s[0:1], s[36:37], vcc
	v_cndmask_b32_e64 v23, v23, 19, s[0:1]
	v_cmp_eq_u32_e32 vcc, 0, v23
	s_and_b64 s[0:1], s[38:39], vcc
	v_cndmask_b32_e64 v23, v23, 20, s[0:1]
	s_waitcnt vmcnt(0)
	v_cmp_eq_u32_e32 vcc, 0, v24
	v_cmp_ne_u32_e64 s[0:1], 0, v23
	s_and_b64 s[0:1], vcc, s[0:1]
	s_and_b64 exec, exec, s[0:1]
	s_cbranch_execz .LBB39_104
; %bb.103:
	v_add_u32_e32 v23, s41, v23
	global_store_dword v[20:21], v23, off
.LBB39_104:
	s_or_b64 exec, exec, s[42:43]
	v_mul_f32_e32 v20, v251, v22
	v_cmp_lt_u32_e32 vcc, 19, v252
	s_nop 1
	v_cndmask_b32_e32 v19, v19, v20, vcc
	scratch_load_dwordx2 v[20:21], off, off offset:1536 ; 8-byte Folded Reload
	s_waitcnt vmcnt(0)
	global_store_dword v[20:21], v0, off
	scratch_load_dwordx2 v[20:21], off, off offset:1544 ; 8-byte Folded Reload
	s_waitcnt vmcnt(0)
	global_store_dword v[20:21], v1, off
	scratch_load_dwordx2 v[0:1], off, off offset:1552 ; 8-byte Folded Reload
	s_waitcnt vmcnt(0)
	global_store_dword v[0:1], v2, off
	scratch_load_dwordx2 v[0:1], off, off offset:1560 ; 8-byte Folded Reload
	s_waitcnt vmcnt(0)
	global_store_dword v[0:1], v3, off
	scratch_load_dwordx2 v[0:1], off, off offset:1568 ; 8-byte Folded Reload
	s_waitcnt vmcnt(0)
	global_store_dword v[0:1], v4, off
	scratch_load_dwordx2 v[0:1], off, off offset:1576 ; 8-byte Folded Reload
	s_waitcnt vmcnt(0)
	global_store_dword v[0:1], v5, off
	scratch_load_dwordx2 v[0:1], off, off offset:1584 ; 8-byte Folded Reload
	s_waitcnt vmcnt(0)
	global_store_dword v[0:1], v6, off
	scratch_load_dwordx2 v[0:1], off, off offset:1592 ; 8-byte Folded Reload
	s_waitcnt vmcnt(0)
	global_store_dword v[0:1], v7, off
	scratch_load_dwordx2 v[0:1], off, off offset:1600 ; 8-byte Folded Reload
	s_waitcnt vmcnt(0)
	global_store_dword v[0:1], v8, off
	scratch_load_dwordx2 v[0:1], off, off offset:1608 ; 8-byte Folded Reload
	s_waitcnt vmcnt(0)
	global_store_dword v[0:1], v9, off
	scratch_load_dwordx2 v[0:1], off, off offset:1616 ; 8-byte Folded Reload
	s_waitcnt vmcnt(0)
	global_store_dword v[0:1], v10, off
	scratch_load_dwordx2 v[0:1], off, off offset:1624 ; 8-byte Folded Reload
	s_waitcnt vmcnt(0)
	global_store_dword v[0:1], v11, off
	scratch_load_dwordx2 v[0:1], off, off offset:1632 ; 8-byte Folded Reload
	s_waitcnt vmcnt(0)
	global_store_dword v[0:1], v12, off
	scratch_load_dwordx2 v[0:1], off, off offset:1640 ; 8-byte Folded Reload
	s_waitcnt vmcnt(0)
	global_store_dword v[0:1], v13, off
	scratch_load_dwordx2 v[0:1], off, off offset:1648 ; 8-byte Folded Reload
	s_waitcnt vmcnt(0)
	global_store_dword v[0:1], v14, off
	scratch_load_dwordx2 v[0:1], off, off offset:1656 ; 8-byte Folded Reload
	s_waitcnt vmcnt(0)
	global_store_dword v[0:1], v15, off
	scratch_load_dwordx2 v[0:1], off, off offset:1664 ; 8-byte Folded Reload
	s_waitcnt vmcnt(0)
	global_store_dword v[0:1], v16, off
	scratch_load_dwordx2 v[0:1], off, off offset:1672 ; 8-byte Folded Reload
	s_waitcnt vmcnt(0)
	global_store_dword v[0:1], v17, off
	scratch_load_dwordx2 v[0:1], off, off offset:1680 ; 8-byte Folded Reload
	s_waitcnt vmcnt(0)
	global_store_dword v[0:1], v18, off
	scratch_load_dwordx2 v[0:1], off, off offset:1688 ; 8-byte Folded Reload
	s_waitcnt vmcnt(0)
	global_store_dword v[0:1], v19, off
.LBB39_105:
	s_endpgm
	.section	.rodata,"a",@progbits
	.p2align	6, 0x0
	.amdhsa_kernel _ZN9rocsolver6v33100L23getf2_npvt_small_kernelILi20EfiiPfEEvT1_T3_lS3_lPT2_S3_S3_
		.amdhsa_group_segment_fixed_size 0
		.amdhsa_private_segment_fixed_size 2600
		.amdhsa_kernarg_size 312
		.amdhsa_user_sgpr_count 2
		.amdhsa_user_sgpr_dispatch_ptr 0
		.amdhsa_user_sgpr_queue_ptr 0
		.amdhsa_user_sgpr_kernarg_segment_ptr 1
		.amdhsa_user_sgpr_dispatch_id 0
		.amdhsa_user_sgpr_kernarg_preload_length 0
		.amdhsa_user_sgpr_kernarg_preload_offset 0
		.amdhsa_user_sgpr_private_segment_size 0
		.amdhsa_uses_dynamic_stack 0
		.amdhsa_enable_private_segment 1
		.amdhsa_system_sgpr_workgroup_id_x 1
		.amdhsa_system_sgpr_workgroup_id_y 1
		.amdhsa_system_sgpr_workgroup_id_z 0
		.amdhsa_system_sgpr_workgroup_info 0
		.amdhsa_system_vgpr_workitem_id 1
		.amdhsa_next_free_vgpr 256
		.amdhsa_next_free_sgpr 44
		.amdhsa_accum_offset 256
		.amdhsa_reserve_vcc 1
		.amdhsa_float_round_mode_32 0
		.amdhsa_float_round_mode_16_64 0
		.amdhsa_float_denorm_mode_32 3
		.amdhsa_float_denorm_mode_16_64 3
		.amdhsa_dx10_clamp 1
		.amdhsa_ieee_mode 1
		.amdhsa_fp16_overflow 0
		.amdhsa_tg_split 0
		.amdhsa_exception_fp_ieee_invalid_op 0
		.amdhsa_exception_fp_denorm_src 0
		.amdhsa_exception_fp_ieee_div_zero 0
		.amdhsa_exception_fp_ieee_overflow 0
		.amdhsa_exception_fp_ieee_underflow 0
		.amdhsa_exception_fp_ieee_inexact 0
		.amdhsa_exception_int_div_zero 0
	.end_amdhsa_kernel
	.section	.text._ZN9rocsolver6v33100L23getf2_npvt_small_kernelILi20EfiiPfEEvT1_T3_lS3_lPT2_S3_S3_,"axG",@progbits,_ZN9rocsolver6v33100L23getf2_npvt_small_kernelILi20EfiiPfEEvT1_T3_lS3_lPT2_S3_S3_,comdat
.Lfunc_end39:
	.size	_ZN9rocsolver6v33100L23getf2_npvt_small_kernelILi20EfiiPfEEvT1_T3_lS3_lPT2_S3_S3_, .Lfunc_end39-_ZN9rocsolver6v33100L23getf2_npvt_small_kernelILi20EfiiPfEEvT1_T3_lS3_lPT2_S3_S3_
                                        ; -- End function
	.set _ZN9rocsolver6v33100L23getf2_npvt_small_kernelILi20EfiiPfEEvT1_T3_lS3_lPT2_S3_S3_.num_vgpr, 256
	.set _ZN9rocsolver6v33100L23getf2_npvt_small_kernelILi20EfiiPfEEvT1_T3_lS3_lPT2_S3_S3_.num_agpr, 0
	.set _ZN9rocsolver6v33100L23getf2_npvt_small_kernelILi20EfiiPfEEvT1_T3_lS3_lPT2_S3_S3_.numbered_sgpr, 44
	.set _ZN9rocsolver6v33100L23getf2_npvt_small_kernelILi20EfiiPfEEvT1_T3_lS3_lPT2_S3_S3_.num_named_barrier, 0
	.set _ZN9rocsolver6v33100L23getf2_npvt_small_kernelILi20EfiiPfEEvT1_T3_lS3_lPT2_S3_S3_.private_seg_size, 2600
	.set _ZN9rocsolver6v33100L23getf2_npvt_small_kernelILi20EfiiPfEEvT1_T3_lS3_lPT2_S3_S3_.uses_vcc, 1
	.set _ZN9rocsolver6v33100L23getf2_npvt_small_kernelILi20EfiiPfEEvT1_T3_lS3_lPT2_S3_S3_.uses_flat_scratch, 0
	.set _ZN9rocsolver6v33100L23getf2_npvt_small_kernelILi20EfiiPfEEvT1_T3_lS3_lPT2_S3_S3_.has_dyn_sized_stack, 0
	.set _ZN9rocsolver6v33100L23getf2_npvt_small_kernelILi20EfiiPfEEvT1_T3_lS3_lPT2_S3_S3_.has_recursion, 0
	.set _ZN9rocsolver6v33100L23getf2_npvt_small_kernelILi20EfiiPfEEvT1_T3_lS3_lPT2_S3_S3_.has_indirect_call, 0
	.section	.AMDGPU.csdata,"",@progbits
; Kernel info:
; codeLenInByte = 26196
; TotalNumSgprs: 50
; NumVgprs: 256
; NumAgprs: 0
; TotalNumVgprs: 256
; ScratchSize: 2600
; MemoryBound: 0
; FloatMode: 240
; IeeeMode: 1
; LDSByteSize: 0 bytes/workgroup (compile time only)
; SGPRBlocks: 6
; VGPRBlocks: 31
; NumSGPRsForWavesPerEU: 50
; NumVGPRsForWavesPerEU: 256
; AccumOffset: 256
; Occupancy: 2
; WaveLimiterHint : 0
; COMPUTE_PGM_RSRC2:SCRATCH_EN: 1
; COMPUTE_PGM_RSRC2:USER_SGPR: 2
; COMPUTE_PGM_RSRC2:TRAP_HANDLER: 0
; COMPUTE_PGM_RSRC2:TGID_X_EN: 1
; COMPUTE_PGM_RSRC2:TGID_Y_EN: 1
; COMPUTE_PGM_RSRC2:TGID_Z_EN: 0
; COMPUTE_PGM_RSRC2:TIDIG_COMP_CNT: 1
; COMPUTE_PGM_RSRC3_GFX90A:ACCUM_OFFSET: 63
; COMPUTE_PGM_RSRC3_GFX90A:TG_SPLIT: 0
	.section	.text._ZN9rocsolver6v33100L18getf2_small_kernelILi21EfiiPfEEvT1_T3_lS3_lPS3_llPT2_S3_S3_S5_l,"axG",@progbits,_ZN9rocsolver6v33100L18getf2_small_kernelILi21EfiiPfEEvT1_T3_lS3_lPS3_llPT2_S3_S3_S5_l,comdat
	.globl	_ZN9rocsolver6v33100L18getf2_small_kernelILi21EfiiPfEEvT1_T3_lS3_lPS3_llPT2_S3_S3_S5_l ; -- Begin function _ZN9rocsolver6v33100L18getf2_small_kernelILi21EfiiPfEEvT1_T3_lS3_lPS3_llPT2_S3_S3_S5_l
	.p2align	8
	.type	_ZN9rocsolver6v33100L18getf2_small_kernelILi21EfiiPfEEvT1_T3_lS3_lPS3_llPT2_S3_S3_S5_l,@function
_ZN9rocsolver6v33100L18getf2_small_kernelILi21EfiiPfEEvT1_T3_lS3_lPS3_llPT2_S3_S3_S5_l: ; @_ZN9rocsolver6v33100L18getf2_small_kernelILi21EfiiPfEEvT1_T3_lS3_lPS3_llPT2_S3_S3_S5_l
; %bb.0:
	s_load_dword s2, s[0:1], 0x6c
	s_load_dwordx2 s[14:15], s[0:1], 0x48
	v_bfe_u32 v4, v0, 10, 10
	s_waitcnt lgkmcnt(0)
	s_lshr_b32 s2, s2, 16
	s_mul_i32 s3, s3, s2
	v_add_u32_e32 v248, s3, v4
	v_cmp_gt_i32_e32 vcc, s14, v248
	s_and_saveexec_b64 s[2:3], vcc
	s_cbranch_execz .LBB40_356
; %bb.1:
	s_load_dwordx4 s[4:7], s[0:1], 0x50
	v_ashrrev_i32_e32 v249, 31, v248
	v_mov_b64_e32 v[2:3], 0
	scratch_store_dwordx2 off, v[2:3], off offset:1792 ; 8-byte Folded Spill
	s_waitcnt lgkmcnt(0)
	s_cmp_eq_u64 s[4:5], 0
	s_cselect_b64 s[16:17], -1, 0
	s_and_b64 vcc, exec, s[16:17]
	s_cbranch_vccnz .LBB40_3
; %bb.2:
	v_mul_lo_u32 v1, s7, v248
	v_mul_lo_u32 v5, s6, v249
	v_mad_u64_u32 v[2:3], s[2:3], s6, v248, 0
	v_add3_u32 v3, v3, v5, v1
	v_lshl_add_u64 v[2:3], v[2:3], 2, s[4:5]
	scratch_store_dwordx2 off, v[2:3], off offset:1792 ; 8-byte Folded Spill
.LBB40_3:
	s_load_dwordx4 s[24:27], s[0:1], 0x8
	s_load_dwordx8 s[4:11], s[0:1], 0x20
	s_load_dword s12, s[0:1], 0x18
	s_load_dword s22, s[0:1], 0x0
	s_waitcnt lgkmcnt(0)
	v_mov_b32_e32 v2, s24
	v_mul_lo_u32 v1, s5, v248
	v_mul_lo_u32 v5, s4, v249
	v_mad_u64_u32 v[6:7], s[2:3], s4, v248, 0
	v_mov_b32_e32 v3, s25
	v_add3_u32 v7, v7, v5, v1
	v_lshl_add_u64 v[2:3], v[6:7], 2, v[2:3]
	v_and_b32_e32 v1, 0x3ff, v0
	v_lshl_add_u64 v[246:247], s[26:27], 2, v[2:3]
	v_lshlrev_b32_e32 v2, 2, v1
	v_mov_b32_e32 v3, 0
	v_lshl_add_u64 v[6:7], v[246:247], 0, v[2:3]
	global_load_dword v0, v[6:7], off
	s_max_i32 s2, s22, 21
	s_add_i32 s14, s12, s12
	v_mul_lo_u32 v44, s2, v4
	v_add_u32_e32 v4, s14, v1
	v_add_u32_e32 v8, s12, v4
	;; [unrolled: 1-line block ×18, first 2 shown]
	s_ashr_i32 s13, s12, 31
	v_lshl_add_u32 v254, v44, 2, 0
	v_ashrrev_i32_e32 v41, 31, v40
	v_add_u32_e32 v42, s12, v40
	v_ashrrev_i32_e32 v5, 31, v4
	v_ashrrev_i32_e32 v9, 31, v8
	v_add_u32_e32 v2, v254, v2
	v_ashrrev_i32_e32 v11, 31, v10
	v_lshl_add_u64 v[6:7], s[12:13], 2, v[6:7]
	v_ashrrev_i32_e32 v13, 31, v12
	v_ashrrev_i32_e32 v15, 31, v14
	;; [unrolled: 1-line block ×3, first 2 shown]
	v_lshl_add_u64 v[40:41], v[40:41], 2, v[246:247]
	v_ashrrev_i32_e32 v43, 31, v42
	v_ashrrev_i32_e32 v21, 31, v20
	;; [unrolled: 1-line block ×3, first 2 shown]
	v_lshl_add_u64 v[4:5], v[4:5], 2, v[246:247]
	v_lshl_add_u64 v[8:9], v[8:9], 2, v[246:247]
	v_lshl_add_u64 v[10:11], v[10:11], 2, v[246:247]
	v_lshl_add_u64 v[12:13], v[12:13], 2, v[246:247]
	v_lshl_add_u64 v[14:15], v[14:15], 2, v[246:247]
	v_lshl_add_u64 v[16:17], v[16:17], 2, v[246:247]
	v_lshl_add_u64 v[42:43], v[42:43], 2, v[246:247]
	global_load_dword v252, v[40:41], off
	global_load_dword v253, v[42:43], off
	;; [unrolled: 1-line block ×9, first 2 shown]
	v_ashrrev_i32_e32 v19, 31, v18
	v_lshl_add_u64 v[6:7], v[20:21], 2, v[246:247]
	v_ashrrev_i32_e32 v23, 31, v22
	v_ashrrev_i32_e32 v25, 31, v24
	;; [unrolled: 1-line block ×6, first 2 shown]
	v_lshl_add_u64 v[20:21], v[34:35], 2, v[246:247]
	v_ashrrev_i32_e32 v37, 31, v36
	v_ashrrev_i32_e32 v39, 31, v38
	v_lshl_add_u64 v[4:5], v[18:19], 2, v[246:247]
	v_lshl_add_u64 v[8:9], v[22:23], 2, v[246:247]
	;; [unrolled: 1-line block ×9, first 2 shown]
	s_load_dwordx2 s[4:5], s[0:1], 0x40
	s_cmp_lt_i32 s22, 2
	s_waitcnt vmcnt(9)
	ds_write_b32 v2, v0
	global_load_dword v216, v[20:21], off
	global_load_dword v199, v[22:23], off
	;; [unrolled: 1-line block ×11, first 2 shown]
	s_waitcnt lgkmcnt(0)
	s_barrier
	ds_read_b32 v2, v254
	v_mov_b32_e32 v42, v0
	v_lshlrev_b32_e32 v21, 2, v44
	s_cbranch_scc1 .LBB40_6
; %bb.4:
	v_add3_u32 v4, v21, 0, 4
	v_mov_b32_e32 v3, 0
	s_mov_b32 s0, 1
.LBB40_5:                               ; =>This Inner Loop Header: Depth=1
	ds_read_b32 v5, v4
	v_mov_b32_e32 v6, s0
	s_add_i32 s0, s0, 1
	v_add_u32_e32 v4, 4, v4
	s_cmp_eq_u32 s22, s0
	s_waitcnt lgkmcnt(0)
	v_cmp_lt_f32_e64 vcc, |v2|, |v5|
	s_nop 1
	v_cndmask_b32_e32 v2, v2, v5, vcc
	v_cndmask_b32_e32 v3, v3, v6, vcc
	s_cbranch_scc0 .LBB40_5
.LBB40_6:
	v_cmp_ne_u32_e32 vcc, v1, v3
                                        ; implicit-def: $vgpr255
	s_and_saveexec_b64 s[0:1], vcc
	s_xor_b64 s[0:1], exec, s[0:1]
	s_cbranch_execz .LBB40_12
; %bb.7:
	v_cmp_eq_u32_e32 vcc, 0, v1
	s_and_saveexec_b64 s[2:3], vcc
	s_cbranch_execz .LBB40_11
; %bb.8:
	v_cmp_ne_u32_e32 vcc, 0, v3
	s_xor_b64 s[18:19], s[16:17], -1
	s_and_b64 s[20:21], s[18:19], vcc
	s_and_saveexec_b64 s[18:19], s[20:21]
	s_cbranch_execz .LBB40_10
; %bb.9:
	scratch_load_dwordx2 v[8:9], off, off offset:1792 ; 8-byte Folded Reload
	v_ashrrev_i32_e32 v5, 31, v3
	v_mov_b32_e32 v4, v3
	s_waitcnt vmcnt(0)
	v_lshl_add_u64 v[4:5], v[4:5], 2, v[8:9]
	global_load_dword v1, v[4:5], off
	global_load_dword v6, v[8:9], off
	s_waitcnt vmcnt(1)
	global_store_dword v[8:9], v1, off
	s_waitcnt vmcnt(1)
	global_store_dword v[4:5], v6, off
.LBB40_10:
	s_or_b64 exec, exec, s[18:19]
	v_mov_b32_e32 v1, v3
.LBB40_11:
	s_or_b64 exec, exec, s[2:3]
	v_mov_b32_e32 v255, v1
                                        ; implicit-def: $vgpr1
.LBB40_12:
	s_or_saveexec_b64 s[0:1], s[0:1]
	v_mov_b32_e32 v251, v255
	s_xor_b64 exec, exec, s[0:1]
	s_cbranch_execz .LBB40_14
; %bb.13:
	v_mov_b32_e32 v251, v1
	v_mov_b32_e32 v255, 0
	s_waitcnt vmcnt(16)
	ds_write2_b32 v254, v63, v50 offset0:1 offset1:2
	s_waitcnt vmcnt(14)
	ds_write2_b32 v254, v45, v46 offset0:3 offset1:4
	;; [unrolled: 2-line block ×8, first 2 shown]
	ds_write2_b32 v254, v199, v40 offset0:17 offset1:18
	ds_write2_b32 v254, v252, v253 offset0:19 offset1:20
.LBB40_14:
	s_or_b64 exec, exec, s[0:1]
	s_waitcnt lgkmcnt(0)
	v_cmp_eq_f32_e64 s[0:1], 0, v2
	v_cmp_gt_i32_e32 vcc, 1, v255
	s_barrier
	s_and_saveexec_b64 s[2:3], vcc
	s_xor_b64 s[2:3], exec, s[2:3]
; %bb.15:
                                        ; implicit-def: $vgpr2
; %bb.16:
	s_andn2_saveexec_b64 s[2:3], s[2:3]
	s_cbranch_execz .LBB40_18
; %bb.17:
	v_div_scale_f32 v1, s[18:19], v2, v2, 1.0
	v_rcp_f32_e32 v3, v1
	s_waitcnt vmcnt(7)
	v_mov_b32_e32 v11, v26
	s_waitcnt vmcnt(4)
	v_mov_b32_e32 v14, v27
	v_mov_b32_e32 v0, v42
	v_fma_f32 v20, -v1, v3, 1.0
	v_fmac_f32_e32 v3, v20, v3
	v_div_scale_f32 v20, vcc, 1.0, v2, 1.0
	v_mul_f32_e32 v24, v20, v3
	v_fma_f32 v25, -v1, v24, v20
	v_fmac_f32_e32 v24, v25, v3
	v_fma_f32 v1, -v1, v24, v20
	v_div_fmas_f32 v1, v1, v3, v24
	v_div_fixup_f32 v1, v1, v2, 1.0
	v_cndmask_b32_e64 v1, v1, v2, s[0:1]
	ds_read2_b32 v[2:3], v254 offset0:1 offset1:2
	ds_read2_b32 v[24:25], v254 offset0:3 offset1:4
	;; [unrolled: 1-line block ×3, first 2 shown]
	v_mov_b32_e32 v4, v63
	v_mov_b32_e32 v5, v50
	;; [unrolled: 1-line block ×7, first 2 shown]
	v_mul_f32_e32 v0, v0, v1
	ds_read2_b32 v[28:29], v254 offset0:7 offset1:8
	s_waitcnt lgkmcnt(3)
	v_pk_fma_f32 v[2:3], v[0:1], v[2:3], v[4:5] op_sel_hi:[0,1,1] neg_lo:[1,0,0] neg_hi:[1,0,0]
	s_waitcnt lgkmcnt(2)
	v_pk_fma_f32 v[4:5], v[0:1], v[24:25], v[6:7] op_sel_hi:[0,1,1] neg_lo:[1,0,0] neg_hi:[1,0,0]
	;; [unrolled: 2-line block ×3, first 2 shown]
	ds_read2_b32 v[8:9], v254 offset0:9 offset1:10
	v_mov_b32_e32 v10, v49
	v_mov_b32_e32 v13, v228
	s_waitcnt lgkmcnt(1)
	v_pk_fma_f32 v[10:11], v[0:1], v[28:29], v[10:11] op_sel_hi:[0,1,1] neg_lo:[1,0,0] neg_hi:[1,0,0]
	ds_read2_b32 v[24:25], v254 offset0:11 offset1:12
	ds_read2_b32 v[26:27], v254 offset0:13 offset1:14
	ds_read2_b32 v[28:29], v254 offset0:15 offset1:16
	s_waitcnt lgkmcnt(3)
	v_pk_fma_f32 v[8:9], v[0:1], v[8:9], v[12:13] op_sel_hi:[0,1,1] neg_lo:[1,0,0] neg_hi:[1,0,0]
	ds_read2_b32 v[12:13], v254 offset0:17 offset1:18
	ds_read2_b32 v[30:31], v254 offset0:19 offset1:20
	s_waitcnt vmcnt(3)
	v_mov_b32_e32 v15, v130
	s_waitcnt vmcnt(2)
	v_mov_b32_e32 v16, v145
	;; [unrolled: 2-line block ×4, first 2 shown]
	v_mov_b32_e32 v19, v216
	v_mov_b32_e32 v22, v199
	;; [unrolled: 1-line block ×3, first 2 shown]
	s_waitcnt lgkmcnt(4)
	v_pk_fma_f32 v[14:15], v[0:1], v[24:25], v[14:15] op_sel_hi:[0,1,1] neg_lo:[1,0,0] neg_hi:[1,0,0]
	s_waitcnt lgkmcnt(3)
	v_pk_fma_f32 v[16:17], v[0:1], v[26:27], v[16:17] op_sel_hi:[0,1,1] neg_lo:[1,0,0] neg_hi:[1,0,0]
	;; [unrolled: 2-line block ×4, first 2 shown]
	v_mov_b32_e32 v42, v0
	s_waitcnt lgkmcnt(0)
	v_pk_fma_f32 v[252:253], v[0:1], v[30:31], v[252:253] op_sel_hi:[0,1,1] neg_lo:[1,0,0] neg_hi:[1,0,0]
	v_mov_b32_e32 v63, v2
	v_mov_b32_e32 v50, v3
	;; [unrolled: 1-line block ×18, first 2 shown]
.LBB40_18:
	s_or_b64 exec, exec, s[2:3]
	v_lshl_add_u32 v1, v255, 2, v254
	s_barrier
	s_waitcnt vmcnt(17)
	ds_write_b32 v1, v63
	s_waitcnt lgkmcnt(0)
	s_barrier
	ds_read_b32 v250, v254 offset:4
	s_mov_b32 s2, 2
	s_cmp_lt_i32 s22, 3
	v_mov_b32_e32 v2, 1
	s_cbranch_scc1 .LBB40_21
; %bb.19:
	v_add3_u32 v1, v21, 0, 8
	v_mov_b32_e32 v2, 1
.LBB40_20:                              ; =>This Inner Loop Header: Depth=1
	ds_read_b32 v3, v1
	v_mov_b32_e32 v4, s2
	s_add_i32 s2, s2, 1
	v_add_u32_e32 v1, 4, v1
	s_cmp_lg_u32 s22, s2
	s_waitcnt lgkmcnt(0)
	v_cmp_lt_f32_e64 vcc, |v250|, |v3|
	s_nop 1
	v_cndmask_b32_e32 v250, v250, v3, vcc
	v_cndmask_b32_e32 v2, v2, v4, vcc
	s_cbranch_scc1 .LBB40_20
.LBB40_21:
	v_cmp_ne_u32_e32 vcc, v255, v2
	s_and_saveexec_b64 s[2:3], vcc
	s_xor_b64 s[2:3], exec, s[2:3]
	s_cbranch_execz .LBB40_27
; %bb.22:
	v_cmp_eq_u32_e32 vcc, 1, v255
	s_and_saveexec_b64 s[18:19], vcc
	s_cbranch_execz .LBB40_26
; %bb.23:
	v_cmp_ne_u32_e32 vcc, 1, v2
	s_xor_b64 s[20:21], s[16:17], -1
	s_and_b64 s[24:25], s[20:21], vcc
	s_and_saveexec_b64 s[20:21], s[24:25]
	s_cbranch_execz .LBB40_25
; %bb.24:
	scratch_load_dwordx2 v[6:7], off, off offset:1792 ; 8-byte Folded Reload
	v_ashrrev_i32_e32 v3, 31, v2
	s_waitcnt vmcnt(0)
	v_lshl_add_u64 v[4:5], v[2:3], 2, v[6:7]
	global_load_dword v1, v[4:5], off
	global_load_dword v3, v[6:7], off offset:4
	s_waitcnt vmcnt(1)
	global_store_dword v[6:7], v1, off offset:4
	s_waitcnt vmcnt(1)
	global_store_dword v[4:5], v3, off
.LBB40_25:
	s_or_b64 exec, exec, s[20:21]
	v_mov_b32_e32 v251, v2
	v_mov_b32_e32 v255, v2
.LBB40_26:
	s_or_b64 exec, exec, s[18:19]
.LBB40_27:
	s_or_saveexec_b64 s[2:3], s[2:3]
	v_mov_b32_e32 v43, v63
	s_waitcnt vmcnt(16)
	v_mov_b32_e32 v44, v50
	v_mov_b32_e32 v66, v50
	s_waitcnt vmcnt(15)
	v_mov_b32_e32 v3, v45
	s_waitcnt vmcnt(14)
	;; [unrolled: 2-line block ×6, first 2 shown]
	v_mov_b32_e32 v20, v26
	v_mov_b32_e32 v50, v26
	s_waitcnt vmcnt(6)
	v_mov_b32_e32 v111, v29
	v_mov_b32_e32 v51, v29
	s_waitcnt vmcnt(5)
	v_mov_b32_e32 v52, v228
	s_waitcnt vmcnt(4)
	v_mov_b32_e32 v11, v27
	v_mov_b32_e32 v53, v27
	s_waitcnt vmcnt(3)
	v_mov_b32_e32 v54, v130
	s_waitcnt vmcnt(2)
	;; [unrolled: 2-line block ×4, first 2 shown]
	v_mov_b32_e32 v57, v165
	v_mov_b32_e32 v58, v216
	;; [unrolled: 1-line block ×6, first 2 shown]
	scratch_store_dwordx4 off, v[42:45], off ; 16-byte Folded Spill
	s_nop 0
	scratch_store_dwordx4 off, v[46:49], off offset:16 ; 16-byte Folded Spill
	scratch_store_dwordx4 off, v[50:53], off offset:32 ; 16-byte Folded Spill
	;; [unrolled: 1-line block ×7, first 2 shown]
	s_xor_b64 exec, exec, s[2:3]
	s_cbranch_execz .LBB40_29
; %bb.28:
	v_mov_b32_e32 v255, 1
	ds_write2_b32 v254, v66, v3 offset0:2 offset1:3
	ds_write2_b32 v254, v116, v5 offset0:4 offset1:5
	;; [unrolled: 1-line block ×9, first 2 shown]
	ds_write_b32 v254, v253 offset:80
.LBB40_29:
	s_or_b64 exec, exec, s[2:3]
	scratch_load_dwordx4 v[166:169], off, off ; 16-byte Folded Reload
	scratch_load_dwordx4 v[170:173], off, off offset:16 ; 16-byte Folded Reload
	scratch_load_dwordx4 v[174:177], off, off offset:32 ; 16-byte Folded Reload
	;; [unrolled: 1-line block ×7, first 2 shown]
	v_mov_b32_e32 v4, v116
	v_mov_b32_e32 v1, v63
	;; [unrolled: 1-line block ×19, first 2 shown]
	s_waitcnt vmcnt(3)
	v_mov_b32_e32 v183, v63
	v_mov_b32_e32 v184, v66
	v_mov_b32_e32 v185, v3
	s_waitcnt vmcnt(2)
	v_mov_b32_e32 v186, v116
	v_mov_b32_e32 v188, v74
	v_mov_b32_e32 v189, v7
	;; [unrolled: 4-line block ×3, first 2 shown]
	v_mov_b32_e32 v193, v11
	s_waitcnt vmcnt(0)
	v_mov_b32_e32 v194, v130
	v_mov_b32_e32 v195, v145
	;; [unrolled: 1-line block ×44, first 2 shown]
	v_mov_b64_e32 v[30:31], v[4:5]
	v_mov_b32_e32 v54, v166
	v_mov_b64_e32 v[28:29], v[2:3]
	v_mov_b64_e32 v[26:27], v[0:1]
	v_mov_b32_e32 v123, v31
	v_mov_b32_e32 v137, v31
	;; [unrolled: 1-line block ×6, first 2 shown]
	scratch_store_dwordx4 off, v[26:29], off offset:2440 ; 16-byte Folded Spill
	s_nop 0
	scratch_store_dwordx4 off, v[30:33], off offset:2456 ; 16-byte Folded Spill
	scratch_store_dwordx4 off, v[34:37], off offset:2472 ; 16-byte Folded Spill
	scratch_store_dwordx4 off, v[38:41], off offset:2488 ; 16-byte Folded Spill
	scratch_store_dwordx4 off, v[42:45], off offset:2504 ; 16-byte Folded Spill
	scratch_store_dwordx4 off, v[46:49], off offset:2520 ; 16-byte Folded Spill
	scratch_store_dwordx4 off, v[50:53], off offset:2536 ; 16-byte Folded Spill
	scratch_store_dwordx4 off, v[54:57], off offset:2552 ; 16-byte Folded Spill
	v_mov_b32_e32 v24, v166
	v_mov_b64_e32 v[26:27], v[24:25]
	v_mov_b32_e32 v24, v66
	v_mov_b32_e32 v25, v3
	;; [unrolled: 1-line block ×61, first 2 shown]
	scratch_store_dwordx4 off, v[26:29], off offset:2184 ; 16-byte Folded Spill
	s_nop 0
	scratch_store_dwordx4 off, v[30:33], off offset:2200 ; 16-byte Folded Spill
	scratch_store_dwordx4 off, v[34:37], off offset:2216 ; 16-byte Folded Spill
	;; [unrolled: 1-line block ×7, first 2 shown]
	v_mov_b32_e32 v26, v116
	v_mov_b32_e32 v28, v74
	v_mov_b32_e32 v29, v7
	v_mov_b32_e32 v30, v20
	v_mov_b32_e32 v32, v228
	v_mov_b32_e32 v33, v11
	v_mov_b32_e32 v34, v130
	v_mov_b32_e32 v35, v145
	v_mov_b32_e32 v36, v100
	v_mov_b32_e32 v37, v165
	v_mov_b32_e32 v38, v216
	v_mov_b32_e32 v39, v199
	s_waitcnt lgkmcnt(0)
	s_barrier
	v_mov_b32_e32 v64, v166
	v_mov_b32_e32 v65, v63
	;; [unrolled: 1-line block ×15, first 2 shown]
	v_cmp_neq_f32_e64 s[2:3], 0, v250
	v_cmp_lt_i32_e32 vcc, 1, v255
	v_mov_b32_e32 v27, v31
	v_mov_b32_e32 v31, v111
	;; [unrolled: 1-line block ×3, first 2 shown]
	scratch_store_dwordx4 off, v[24:27], off offset:128 ; 16-byte Folded Spill
	s_nop 0
	scratch_store_dwordx4 off, v[28:31], off offset:144 ; 16-byte Folded Spill
	scratch_store_dwordx4 off, v[32:35], off offset:160 ; 16-byte Folded Spill
	;; [unrolled: 1-line block ×7, first 2 shown]
	v_mov_b32_e32 v41, v199
	scratch_store_dwordx4 off, v[24:27], off offset:256 ; 16-byte Folded Spill
	s_nop 0
	scratch_store_dwordx4 off, v[28:31], off offset:272 ; 16-byte Folded Spill
	scratch_store_dwordx4 off, v[32:35], off offset:288 ; 16-byte Folded Spill
	;; [unrolled: 1-line block ×8, first 2 shown]
	s_nop 0
	scratch_store_dwordx4 off, v[186:189], off offset:784 ; 16-byte Folded Spill
	scratch_store_dwordx4 off, v[190:193], off offset:800 ; 16-byte Folded Spill
	;; [unrolled: 1-line block ×7, first 2 shown]
	v_mov_b32_e32 v42, v216
	scratch_store_dwordx4 off, v[26:29], off offset:384 ; 16-byte Folded Spill
	s_nop 0
	scratch_store_dwordx4 off, v[30:33], off offset:400 ; 16-byte Folded Spill
	scratch_store_dwordx4 off, v[34:37], off offset:416 ; 16-byte Folded Spill
	scratch_store_dwordx4 off, v[38:41], off offset:432 ; 16-byte Folded Spill
	scratch_store_dwordx4 off, v[42:45], off offset:448 ; 16-byte Folded Spill
	scratch_store_dwordx4 off, v[46:49], off offset:464 ; 16-byte Folded Spill
	scratch_store_dwordx4 off, v[50:53], off offset:480 ; 16-byte Folded Spill
	scratch_store_dwordx4 off, v[54:57], off offset:496 ; 16-byte Folded Spill
	scratch_store_dwordx4 off, v[200:203], off offset:512 ; 16-byte Folded Spill
	s_nop 0
	scratch_store_dwordx4 off, v[204:207], off offset:528 ; 16-byte Folded Spill
	scratch_store_dwordx4 off, v[208:211], off offset:544 ; 16-byte Folded Spill
	scratch_store_dwordx4 off, v[212:215], off offset:560 ; 16-byte Folded Spill
	scratch_store_dwordx4 off, v[216:219], off offset:576 ; 16-byte Folded Spill
	scratch_store_dwordx4 off, v[220:223], off offset:592 ; 16-byte Folded Spill
	scratch_store_dwordx4 off, v[224:227], off offset:608 ; 16-byte Folded Spill
	scratch_store_dwordx4 off, v[228:231], off offset:624 ; 16-byte Folded Spill
	;; [unrolled: 9-line block ×5, first 2 shown]
	v_mov_b32_e32 v214, v218
	v_mov_b32_e32 v78, v228
	;; [unrolled: 1-line block ×13, first 2 shown]
	scratch_store_dwordx4 off, v[214:217], off offset:1152 ; 16-byte Folded Spill
	s_nop 0
	scratch_store_dwordx4 off, v[218:221], off offset:1168 ; 16-byte Folded Spill
	scratch_store_dwordx4 off, v[222:225], off offset:1184 ; 16-byte Folded Spill
	scratch_store_dwordx4 off, v[226:229], off offset:1200 ; 16-byte Folded Spill
	scratch_store_dwordx4 off, v[230:233], off offset:1216 ; 16-byte Folded Spill
	scratch_store_dwordx4 off, v[234:237], off offset:1232 ; 16-byte Folded Spill
	scratch_store_dwordx4 off, v[238:241], off offset:1248 ; 16-byte Folded Spill
	scratch_store_dwordx4 off, v[242:245], off offset:1264 ; 16-byte Folded Spill
	scratch_store_dwordx4 off, v[102:105], off offset:1280 ; 16-byte Folded Spill
	s_nop 0
	scratch_store_dwordx4 off, v[106:109], off offset:1296 ; 16-byte Folded Spill
	scratch_store_dwordx4 off, v[110:113], off offset:1312 ; 16-byte Folded Spill
	scratch_store_dwordx4 off, v[114:117], off offset:1328 ; 16-byte Folded Spill
	scratch_store_dwordx4 off, v[118:121], off offset:1344 ; 16-byte Folded Spill
	scratch_store_dwordx4 off, v[122:125], off offset:1360 ; 16-byte Folded Spill
	scratch_store_dwordx4 off, v[126:129], off offset:1376 ; 16-byte Folded Spill
	scratch_store_dwordx4 off, v[130:133], off offset:1392 ; 16-byte Folded Spill
	;; [unrolled: 9-line block ×4, first 2 shown]
	v_mov_b32_e32 v135, v7
	v_mov_b32_e32 v138, v116
	;; [unrolled: 1-line block ×3, first 2 shown]
	scratch_store_dwordx4 off, v[68:71], off offset:1664 ; 16-byte Folded Spill
	s_nop 0
	scratch_store_dwordx4 off, v[72:75], off offset:1680 ; 16-byte Folded Spill
	scratch_store_dwordx4 off, v[76:79], off offset:1696 ; 16-byte Folded Spill
	;; [unrolled: 1-line block ×7, first 2 shown]
	scratch_load_dwordx4 v[166:169], off, off offset:2440 ; 16-byte Folded Reload
	scratch_load_dwordx4 v[170:173], off, off offset:2456 ; 16-byte Folded Reload
	;; [unrolled: 1-line block ×8, first 2 shown]
	v_mov_b32_e32 v63, v83
	s_waitcnt vmcnt(6)
	v_mov_b64_e32 v[0:1], v[166:167]
	v_mov_b64_e32 v[4:5], v[170:171]
	;; [unrolled: 1-line block ×3, first 2 shown]
	v_mov_b32_e32 v137, v5
	scratch_store_dwordx4 off, v[0:3], off offset:1800 ; 16-byte Folded Spill
	s_nop 0
	scratch_store_dwordx4 off, v[4:7], off offset:1816 ; 16-byte Folded Spill
	scratch_store_dwordx4 off, v[8:11], off offset:1832 ; 16-byte Folded Spill
	scratch_store_dwordx4 off, v[12:15], off offset:1848 ; 16-byte Folded Spill
	scratch_store_dwordx4 off, v[16:19], off offset:1864 ; 16-byte Folded Spill
	scratch_store_dwordx4 off, v[20:23], off offset:1880 ; 16-byte Folded Spill
	scratch_store_dwordx4 off, v[24:27], off offset:1896 ; 16-byte Folded Spill
	scratch_store_dwordx4 off, v[28:31], off offset:1912 ; 16-byte Folded Spill
	scratch_store_dwordx4 off, v[112:115], off offset:1928 ; 16-byte Folded Spill
	s_nop 0
	scratch_store_dwordx4 off, v[116:119], off offset:1944 ; 16-byte Folded Spill
	scratch_store_dwordx4 off, v[120:123], off offset:1960 ; 16-byte Folded Spill
	scratch_store_dwordx4 off, v[124:127], off offset:1976 ; 16-byte Folded Spill
	scratch_store_dwordx4 off, v[128:131], off offset:1992 ; 16-byte Folded Spill
	scratch_store_dwordx4 off, v[132:135], off offset:2008 ; 16-byte Folded Spill
	scratch_store_dwordx4 off, v[136:139], off offset:2024 ; 16-byte Folded Spill
	scratch_store_dwordx4 off, v[140:143], off offset:2040 ; 16-byte Folded Spill
	;; [unrolled: 9-line block ×3, first 2 shown]
	v_mov_b32_e32 v92, v66
	scratch_store_dwordx4 off, v[64:67], off offset:2312 ; 16-byte Folded Spill
	s_nop 0
	scratch_store_dwordx4 off, v[68:71], off offset:2328 ; 16-byte Folded Spill
	scratch_store_dwordx4 off, v[72:75], off offset:2344 ; 16-byte Folded Spill
	;; [unrolled: 1-line block ×7, first 2 shown]
	s_mov_b64 s[18:19], exec
	s_and_b64 s[20:21], s[18:19], vcc
	v_mov_b32_e32 v86, v20
	s_mov_b64 exec, s[20:21]
	s_cbranch_execz .LBB40_31
; %bb.30:
	scratch_load_dwordx4 v[22:25], off, off offset:384 ; 16-byte Folded Reload
	scratch_load_dwordx4 v[26:29], off, off offset:400 ; 16-byte Folded Reload
	;; [unrolled: 1-line block ×8, first 2 shown]
	v_div_scale_f32 v1, s[20:21], v250, v250, 1.0
	v_rcp_f32_e32 v2, v1
	v_mov_b32_e32 v93, v63
	v_mov_b32_e32 v90, v138
	;; [unrolled: 1-line block ×3, first 2 shown]
	v_fma_f32 v3, -v1, v2, 1.0
	v_fmac_f32_e32 v2, v3, v2
	v_div_scale_f32 v3, vcc, 1.0, v250, 1.0
	v_mul_f32_e32 v4, v3, v2
	v_fma_f32 v5, -v1, v4, v3
	v_fmac_f32_e32 v4, v5, v2
	v_fma_f32 v1, -v1, v4, v3
	v_div_fmas_f32 v1, v1, v2, v4
	v_div_fixup_f32 v1, v1, v250, 1.0
	v_cndmask_b32_e64 v1, v250, v1, s[2:3]
	v_mov_b32_e32 v88, v132
	v_mov_b32_e32 v89, v135
	;; [unrolled: 1-line block ×10, first 2 shown]
	s_waitcnt vmcnt(3)
	v_mov_b32_e32 v64, v38
	scratch_load_dwordx4 v[22:25], off, off offset:256 ; 16-byte Folded Reload
	scratch_load_dwordx4 v[26:29], off, off offset:272 ; 16-byte Folded Reload
	;; [unrolled: 1-line block ×8, first 2 shown]
	s_waitcnt vmcnt(3)
	v_mov_b32_e32 v65, v39
	scratch_load_dwordx4 v[22:25], off, off offset:2184 ; 16-byte Folded Reload
	scratch_load_dwordx4 v[26:29], off, off offset:2200 ; 16-byte Folded Reload
	;; [unrolled: 1-line block ×8, first 2 shown]
	ds_read2_b32 v[2:3], v254 offset0:2 offset1:3
	ds_read2_b32 v[4:5], v254 offset0:4 offset1:5
	;; [unrolled: 1-line block ×4, first 2 shown]
	s_waitcnt vmcnt(7)
	v_mul_f32_e32 v20, v23, v1
	s_waitcnt lgkmcnt(3)
	v_pk_fma_f32 v[92:93], v[20:21], v[2:3], v[92:93] op_sel_hi:[0,1,1] neg_lo:[1,0,0] neg_hi:[1,0,0]
	s_waitcnt lgkmcnt(2)
	v_pk_fma_f32 v[90:91], v[20:21], v[4:5], v[90:91] op_sel_hi:[0,1,1] neg_lo:[1,0,0] neg_hi:[1,0,0]
	;; [unrolled: 2-line block ×4, first 2 shown]
	ds_read2_b32 v[2:3], v254 offset0:10 offset1:11
	ds_read2_b32 v[4:5], v254 offset0:12 offset1:13
	;; [unrolled: 1-line block ×4, first 2 shown]
	scratch_load_dwordx4 v[22:25], off, off offset:128 ; 16-byte Folded Reload
	scratch_load_dwordx4 v[26:29], off, off offset:144 ; 16-byte Folded Reload
	;; [unrolled: 1-line block ×8, first 2 shown]
	s_waitcnt lgkmcnt(3)
	v_pk_fma_f32 v[224:225], v[20:21], v[2:3], v[224:225] op_sel_hi:[0,1,1] neg_lo:[1,0,0] neg_hi:[1,0,0]
	ds_read2_b32 v[2:3], v254 offset0:18 offset1:19
	ds_read_b32 v1, v254 offset:80
	s_waitcnt lgkmcnt(4)
	v_pk_fma_f32 v[54:55], v[20:21], v[4:5], v[54:55] op_sel_hi:[0,1,1] neg_lo:[1,0,0] neg_hi:[1,0,0]
	s_waitcnt lgkmcnt(3)
	v_pk_fma_f32 v[60:61], v[20:21], v[6:7], v[60:61] op_sel_hi:[0,1,1] neg_lo:[1,0,0] neg_hi:[1,0,0]
	;; [unrolled: 2-line block ×3, first 2 shown]
	v_mov_b32_e32 v63, v93
	s_waitcnt lgkmcnt(0)
	v_fma_f32 v253, -v20, v1, v253
	v_mov_b32_e32 v1, v20
	v_mov_b32_e32 v78, v224
	;; [unrolled: 1-line block ×5, first 2 shown]
	s_waitcnt vmcnt(3)
	v_mov_b32_e32 v56, v40
	scratch_load_dwordx4 v[22:25], off, off ; 16-byte Folded Reload
	scratch_load_dwordx4 v[26:29], off, off offset:16 ; 16-byte Folded Reload
	scratch_load_dwordx4 v[30:33], off, off offset:32 ; 16-byte Folded Reload
	;; [unrolled: 1-line block ×7, first 2 shown]
	v_pk_fma_f32 v[56:57], v[20:21], v[2:3], v[56:57] op_sel_hi:[0,1,1] neg_lo:[1,0,0] neg_hi:[1,0,0]
	v_mov_b32_e32 v252, v57
	s_waitcnt vmcnt(7)
	v_mov_b32_e32 v0, v22
	s_waitcnt vmcnt(0)
	v_mov_b64_e32 v[52:53], v[30:31]
	v_mov_b64_e32 v[50:51], v[28:29]
	v_mov_b64_e32 v[48:49], v[26:27]
	v_mov_b64_e32 v[46:47], v[24:25]
	v_mov_b64_e32 v[44:45], v[22:23]
	v_mov_b64_e32 v[42:43], v[20:21]
	v_mov_b64_e32 v[40:41], v[18:19]
	v_mov_b64_e32 v[38:39], v[16:17]
	v_mov_b64_e32 v[36:37], v[14:15]
	v_mov_b64_e32 v[34:35], v[12:13]
	v_mov_b64_e32 v[32:33], v[10:11]
	v_mov_b64_e32 v[30:31], v[8:9]
	v_mov_b64_e32 v[28:29], v[6:7]
	v_mov_b64_e32 v[26:27], v[4:5]
	v_mov_b64_e32 v[24:25], v[2:3]
	v_mov_b64_e32 v[22:23], v[0:1]
	scratch_store_dwordx4 off, v[22:25], off offset:2184 ; 16-byte Folded Spill
	s_nop 0
	scratch_store_dwordx4 off, v[26:29], off offset:2200 ; 16-byte Folded Spill
	scratch_store_dwordx4 off, v[30:33], off offset:2216 ; 16-byte Folded Spill
	scratch_store_dwordx4 off, v[34:37], off offset:2232 ; 16-byte Folded Spill
	scratch_store_dwordx4 off, v[38:41], off offset:2248 ; 16-byte Folded Spill
	scratch_store_dwordx4 off, v[42:45], off offset:2264 ; 16-byte Folded Spill
	scratch_store_dwordx4 off, v[46:49], off offset:2280 ; 16-byte Folded Spill
	scratch_store_dwordx4 off, v[50:53], off offset:2296 ; 16-byte Folded Spill
	v_mov_b32_e32 v2, v92
	scratch_store_dwordx4 off, v[0:3], off offset:2312 ; 16-byte Folded Spill
	s_nop 0
	scratch_store_dwordx4 off, v[4:7], off offset:2328 ; 16-byte Folded Spill
	scratch_store_dwordx4 off, v[8:11], off offset:2344 ; 16-byte Folded Spill
	scratch_store_dwordx4 off, v[12:15], off offset:2360 ; 16-byte Folded Spill
	scratch_store_dwordx4 off, v[16:19], off offset:2376 ; 16-byte Folded Spill
	scratch_store_dwordx4 off, v[20:23], off offset:2392 ; 16-byte Folded Spill
	scratch_store_dwordx4 off, v[24:27], off offset:2408 ; 16-byte Folded Spill
	scratch_store_dwordx4 off, v[28:31], off offset:2424 ; 16-byte Folded Spill
	v_mov_b32_e32 v3, v93
	;; [unrolled: 10-line block ×11, first 2 shown]
	v_mov_b64_e32 v[148:149], v[30:31]
	v_mov_b64_e32 v[146:147], v[28:29]
	;; [unrolled: 1-line block ×16, first 2 shown]
	v_mov_b32_e32 v13, v55
	scratch_store_dwordx4 off, v[0:3], off offset:896 ; 16-byte Folded Spill
	s_nop 0
	scratch_store_dwordx4 off, v[4:7], off offset:912 ; 16-byte Folded Spill
	scratch_store_dwordx4 off, v[8:11], off offset:928 ; 16-byte Folded Spill
	;; [unrolled: 1-line block ×7, first 2 shown]
	v_mov_b32_e32 v14, v60
	v_mov_b32_e32 v138, v90
	;; [unrolled: 1-line block ×6, first 2 shown]
	scratch_store_dwordx4 off, v[0:3], off offset:640 ; 16-byte Folded Spill
	s_nop 0
	scratch_store_dwordx4 off, v[4:7], off offset:656 ; 16-byte Folded Spill
	scratch_store_dwordx4 off, v[8:11], off offset:672 ; 16-byte Folded Spill
	;; [unrolled: 1-line block ×7, first 2 shown]
	v_mov_b32_e32 v15, v61
	v_mov_b64_e32 v[180:181], v[30:31]
	v_mov_b64_e32 v[178:179], v[28:29]
	;; [unrolled: 1-line block ×16, first 2 shown]
	v_mov_b32_e32 v16, v64
	scratch_store_dwordx4 off, v[0:3], off offset:512 ; 16-byte Folded Spill
	s_nop 0
	scratch_store_dwordx4 off, v[4:7], off offset:528 ; 16-byte Folded Spill
	scratch_store_dwordx4 off, v[8:11], off offset:544 ; 16-byte Folded Spill
	;; [unrolled: 1-line block ×7, first 2 shown]
	v_mov_b32_e32 v17, v65
	scratch_store_dwordx4 off, v[0:3], off offset:768 ; 16-byte Folded Spill
	s_nop 0
	scratch_store_dwordx4 off, v[4:7], off offset:784 ; 16-byte Folded Spill
	scratch_store_dwordx4 off, v[8:11], off offset:800 ; 16-byte Folded Spill
	;; [unrolled: 1-line block ×7, first 2 shown]
	v_mov_b32_e32 v18, v56
	v_mov_b64_e32 v[52:53], v[30:31]
	v_mov_b64_e32 v[50:51], v[28:29]
	;; [unrolled: 1-line block ×16, first 2 shown]
	v_mov_b32_e32 v19, v57
	v_mov_b32_e32 v20, v253
	scratch_store_dwordx4 off, v[0:3], off  ; 16-byte Folded Spill
	s_nop 0
	scratch_store_dwordx4 off, v[4:7], off offset:16 ; 16-byte Folded Spill
	scratch_store_dwordx4 off, v[8:11], off offset:32 ; 16-byte Folded Spill
	;; [unrolled: 1-line block ×7, first 2 shown]
	v_mov_b32_e32 v42, v56
	scratch_store_dwordx4 off, v[24:27], off offset:128 ; 16-byte Folded Spill
	s_nop 0
	scratch_store_dwordx4 off, v[28:31], off offset:144 ; 16-byte Folded Spill
	scratch_store_dwordx4 off, v[32:35], off offset:160 ; 16-byte Folded Spill
	;; [unrolled: 1-line block ×7, first 2 shown]
	v_mov_b32_e32 v42, v64
	v_mov_b32_e32 v62, v54
	;; [unrolled: 1-line block ×3, first 2 shown]
	scratch_store_dwordx4 off, v[26:29], off offset:384 ; 16-byte Folded Spill
	s_nop 0
	scratch_store_dwordx4 off, v[30:33], off offset:400 ; 16-byte Folded Spill
	scratch_store_dwordx4 off, v[34:37], off offset:416 ; 16-byte Folded Spill
	;; [unrolled: 1-line block ×7, first 2 shown]
	v_mov_b32_e32 v41, v65
	scratch_store_dwordx4 off, v[24:27], off offset:256 ; 16-byte Folded Spill
	s_nop 0
	scratch_store_dwordx4 off, v[28:31], off offset:272 ; 16-byte Folded Spill
	scratch_store_dwordx4 off, v[32:35], off offset:288 ; 16-byte Folded Spill
	;; [unrolled: 1-line block ×7, first 2 shown]
.LBB40_31:
	s_or_b64 exec, exec, s[18:19]
	v_lshl_add_u32 v41, v255, 2, v254
	s_waitcnt vmcnt(63) expcnt(7) lgkmcnt(15)
	s_barrier
	ds_write_b32 v41, v92
	s_waitcnt lgkmcnt(0)
	s_barrier
	ds_read_b32 v41, v254 offset:8
	v_mov_b32_e32 v50, v92
	s_cmp_lt_i32 s22, 4
	v_mov_b32_e32 v42, 2
	s_cbranch_scc1 .LBB40_34
; %bb.32:
	v_mov_b32_e32 v42, 2
	v_add3_u32 v43, v21, 0, 12
	s_mov_b32 s18, 3
.LBB40_33:                              ; =>This Inner Loop Header: Depth=1
	ds_read_b32 v44, v43
	v_mov_b32_e32 v45, s18
	s_add_i32 s18, s18, 1
	v_add_u32_e32 v43, 4, v43
	s_cmp_lg_u32 s22, s18
	s_waitcnt lgkmcnt(0)
	v_cmp_lt_f32_e64 vcc, |v41|, |v44|
	s_nop 1
	v_cndmask_b32_e32 v41, v41, v44, vcc
	v_cndmask_b32_e32 v42, v42, v45, vcc
	s_cbranch_scc1 .LBB40_33
.LBB40_34:
	v_cndmask_b32_e64 v43, 2, 1, s[0:1]
	v_cndmask_b32_e64 v44, 0, 1, s[0:1]
	;; [unrolled: 1-line block ×3, first 2 shown]
	s_waitcnt lgkmcnt(0)
	v_cmp_eq_f32_e32 vcc, 0, v41
	s_and_saveexec_b64 s[0:1], vcc
	s_xor_b64 s[0:1], exec, s[0:1]
; %bb.35:
	v_cmp_ne_u32_e32 vcc, 0, v250
	s_nop 1
	v_cndmask_b32_e32 v250, 3, v250, vcc
; %bb.36:
	s_andn2_saveexec_b64 s[0:1], s[0:1]
	s_cbranch_execz .LBB40_38
; %bb.37:
	v_div_scale_f32 v43, s[2:3], v41, v41, 1.0
	v_rcp_f32_e32 v44, v43
	v_div_scale_f32 v45, vcc, 1.0, v41, 1.0
	v_fma_f32 v46, -v43, v44, 1.0
	v_fmac_f32_e32 v44, v46, v44
	v_mul_f32_e32 v46, v45, v44
	v_fma_f32 v47, -v43, v46, v45
	v_fmac_f32_e32 v46, v47, v44
	v_fma_f32 v43, -v43, v46, v45
	v_div_fmas_f32 v43, v43, v44, v46
	v_div_fixup_f32 v41, v43, v41, 1.0
.LBB40_38:
	s_or_b64 exec, exec, s[0:1]
	v_cmp_ne_u32_e32 vcc, v255, v42
	s_and_saveexec_b64 s[0:1], vcc
	s_xor_b64 s[0:1], exec, s[0:1]
	s_cbranch_execz .LBB40_44
; %bb.39:
	v_cmp_eq_u32_e32 vcc, 2, v255
	s_and_saveexec_b64 s[2:3], vcc
	s_cbranch_execz .LBB40_43
; %bb.40:
	v_cmp_ne_u32_e32 vcc, 2, v42
	s_xor_b64 s[18:19], s[16:17], -1
	s_and_b64 s[20:21], s[18:19], vcc
	s_and_saveexec_b64 s[18:19], s[20:21]
	s_cbranch_execz .LBB40_42
; %bb.41:
	scratch_load_dwordx2 v[48:49], off, off offset:1792 ; 8-byte Folded Reload
	v_ashrrev_i32_e32 v43, 31, v42
	s_waitcnt vmcnt(0)
	v_lshl_add_u64 v[44:45], v[42:43], 2, v[48:49]
	global_load_dword v43, v[44:45], off
	global_load_dword v46, v[48:49], off offset:8
	s_waitcnt vmcnt(1)
	global_store_dword v[48:49], v43, off offset:8
	s_waitcnt vmcnt(1)
	global_store_dword v[44:45], v46, off
.LBB40_42:
	s_or_b64 exec, exec, s[18:19]
	v_mov_b32_e32 v251, v42
	v_mov_b32_e32 v255, v42
.LBB40_43:
	s_or_b64 exec, exec, s[2:3]
.LBB40_44:
	s_andn2_saveexec_b64 s[0:1], s[0:1]
	s_cbranch_execz .LBB40_46
; %bb.45:
	v_mov_b32_e32 v42, v86
	scratch_load_dwordx4 v[82:85], off, off ; 16-byte Folded Reload
	scratch_load_dwordx4 v[86:89], off, off offset:16 ; 16-byte Folded Reload
	scratch_load_dwordx4 v[90:93], off, off offset:32 ; 16-byte Folded Reload
	;; [unrolled: 1-line block ×7, first 2 shown]
	v_mov_b32_e32 v255, 2
	s_waitcnt vmcnt(4)
	v_mov_b64_e32 v[0:1], v[82:83]
	v_mov_b64_e32 v[2:3], v[84:85]
	;; [unrolled: 1-line block ×8, first 2 shown]
	s_waitcnt vmcnt(2)
	v_mov_b32_e32 v16, v98
	v_mov_b32_e32 v86, v42
	;; [unrolled: 1-line block ×6, first 2 shown]
	ds_write2_b32 v254, v3, v4 offset0:3 offset1:4
	ds_write2_b32 v254, v5, v6 offset0:5 offset1:6
	;; [unrolled: 1-line block ×9, first 2 shown]
.LBB40_46:
	s_or_b64 exec, exec, s[0:1]
	v_cmp_lt_i32_e32 vcc, 2, v255
	s_waitcnt lgkmcnt(0)
	s_barrier
	s_and_saveexec_b64 s[0:1], vcc
	s_cbranch_execz .LBB40_48
; %bb.47:
	scratch_load_dwordx4 v[76:79], off, off offset:2184 ; 16-byte Folded Reload
	scratch_load_dwordx4 v[80:83], off, off offset:2200 ; 16-byte Folded Reload
	;; [unrolled: 1-line block ×8, first 2 shown]
	s_waitcnt vmcnt(7)
	v_mul_f32_e32 v78, v50, v41
	ds_read2_b32 v[0:1], v254 offset0:3 offset1:4
	scratch_load_dwordx4 v[22:25], off, off ; 16-byte Folded Reload
	scratch_load_dwordx4 v[26:29], off, off offset:16 ; 16-byte Folded Reload
	scratch_load_dwordx4 v[30:33], off, off offset:32 ; 16-byte Folded Reload
	;; [unrolled: 1-line block ×7, first 2 shown]
	v_mov_b32_e32 v120, v78
	v_mov_b32_e32 v152, v78
	;; [unrolled: 1-line block ×6, first 2 shown]
	s_waitcnt vmcnt(3)
	v_mov_b32_e32 v3, v25
	v_mov_b32_e32 v4, v26
	;; [unrolled: 1-line block ×16, first 2 shown]
	ds_read2_b32 v[22:23], v254 offset0:5 offset1:6
	ds_read2_b32 v[24:25], v254 offset0:7 offset1:8
	;; [unrolled: 1-line block ×3, first 2 shown]
	s_waitcnt vmcnt(2)
	v_mov_b32_e32 v19, v41
	v_mov_b32_e32 v2, v3
	;; [unrolled: 1-line block ×4, first 2 shown]
	s_waitcnt lgkmcnt(3)
	v_pk_fma_f32 v[42:43], v[78:79], v[0:1], v[2:3] op_sel_hi:[0,1,1] neg_lo:[1,0,0] neg_hi:[1,0,0]
	v_mov_b32_e32 v0, v5
	v_mov_b32_e32 v1, v6
	s_waitcnt lgkmcnt(2)
	v_pk_fma_f32 v[44:45], v[78:79], v[22:23], v[0:1] op_sel_hi:[0,1,1] neg_lo:[1,0,0] neg_hi:[1,0,0]
	v_mov_b32_e32 v0, v7
	v_mov_b32_e32 v1, v8
	s_waitcnt vmcnt(1) lgkmcnt(1)
	v_pk_fma_f32 v[46:47], v[78:79], v[24:25], v[0:1] op_sel_hi:[0,1,1] neg_lo:[1,0,0] neg_hi:[1,0,0]
	v_mov_b32_e32 v0, v9
	v_mov_b32_e32 v1, v10
	s_waitcnt lgkmcnt(0)
	v_pk_fma_f32 v[48:49], v[78:79], v[26:27], v[0:1] op_sel_hi:[0,1,1] neg_lo:[1,0,0] neg_hi:[1,0,0]
	ds_read2_b32 v[0:1], v254 offset0:11 offset1:12
	v_mov_b32_e32 v2, v11
	v_mov_b32_e32 v3, v12
	ds_read2_b32 v[4:5], v254 offset0:13 offset1:14
	ds_read2_b32 v[6:7], v254 offset0:15 offset1:16
	;; [unrolled: 1-line block ×3, first 2 shown]
	v_mov_b32_e32 v121, v42
	s_waitcnt vmcnt(0) lgkmcnt(3)
	v_pk_fma_f32 v[50:51], v[78:79], v[0:1], v[2:3] op_sel_hi:[0,1,1] neg_lo:[1,0,0] neg_hi:[1,0,0]
	ds_read2_b32 v[2:3], v254 offset0:19 offset1:20
	v_mov_b32_e32 v0, v13
	v_mov_b32_e32 v1, v14
	s_waitcnt lgkmcnt(3)
	v_pk_fma_f32 v[52:53], v[78:79], v[4:5], v[0:1] op_sel_hi:[0,1,1] neg_lo:[1,0,0] neg_hi:[1,0,0]
	v_mov_b32_e32 v0, v15
	v_mov_b32_e32 v1, v16
	s_waitcnt lgkmcnt(2)
	v_pk_fma_f32 v[72:73], v[78:79], v[6:7], v[0:1] op_sel_hi:[0,1,1] neg_lo:[1,0,0] neg_hi:[1,0,0]
	;; [unrolled: 4-line block ×4, first 2 shown]
	v_mov_b32_e32 v0, v76
	v_mov_b32_e32 v1, v77
	;; [unrolled: 1-line block ×5, first 2 shown]
	scratch_store_dwordx4 off, v[0:3], off offset:1928 ; 16-byte Folded Spill
	s_nop 0
	scratch_store_dwordx4 off, v[4:7], off offset:1944 ; 16-byte Folded Spill
	scratch_store_dwordx4 off, v[8:11], off offset:1960 ; 16-byte Folded Spill
	;; [unrolled: 1-line block ×7, first 2 shown]
	v_mov_b32_e32 v5, v44
	v_mov_b32_e32 v79, v42
	;; [unrolled: 1-line block ×32, first 2 shown]
	scratch_store_dwordx4 off, v[0:3], off offset:1800 ; 16-byte Folded Spill
	s_nop 0
	scratch_store_dwordx4 off, v[4:7], off offset:1816 ; 16-byte Folded Spill
	scratch_store_dwordx4 off, v[8:11], off offset:1832 ; 16-byte Folded Spill
	;; [unrolled: 1-line block ×7, first 2 shown]
	v_mov_b32_e32 v6, v45
	v_mov_b32_e32 v164, v53
	;; [unrolled: 1-line block ×10, first 2 shown]
	scratch_store_dwordx4 off, v[0:3], off offset:1664 ; 16-byte Folded Spill
	s_nop 0
	scratch_store_dwordx4 off, v[4:7], off offset:1680 ; 16-byte Folded Spill
	scratch_store_dwordx4 off, v[8:11], off offset:1696 ; 16-byte Folded Spill
	scratch_store_dwordx4 off, v[12:15], off offset:1712 ; 16-byte Folded Spill
	scratch_store_dwordx4 off, v[16:19], off offset:1728 ; 16-byte Folded Spill
	scratch_store_dwordx4 off, v[20:23], off offset:1744 ; 16-byte Folded Spill
	scratch_store_dwordx4 off, v[24:27], off offset:1760 ; 16-byte Folded Spill
	scratch_store_dwordx4 off, v[28:31], off offset:1776 ; 16-byte Folded Spill
	v_mov_b32_e32 v7, v46
	scratch_store_dwordx4 off, v[0:3], off offset:1536 ; 16-byte Folded Spill
	s_nop 0
	scratch_store_dwordx4 off, v[4:7], off offset:1552 ; 16-byte Folded Spill
	scratch_store_dwordx4 off, v[8:11], off offset:1568 ; 16-byte Folded Spill
	scratch_store_dwordx4 off, v[12:15], off offset:1584 ; 16-byte Folded Spill
	scratch_store_dwordx4 off, v[16:19], off offset:1600 ; 16-byte Folded Spill
	scratch_store_dwordx4 off, v[20:23], off offset:1616 ; 16-byte Folded Spill
	scratch_store_dwordx4 off, v[24:27], off offset:1632 ; 16-byte Folded Spill
	scratch_store_dwordx4 off, v[28:31], off offset:1648 ; 16-byte Folded Spill
	v_mov_b32_e32 v8, v47
	;; [unrolled: 10-line block ×5, first 2 shown]
	v_mov_b32_e32 v4, v43
	v_mov_b32_e32 v5, v44
	;; [unrolled: 1-line block ×7, first 2 shown]
	scratch_store_dwordx4 off, v[0:3], off offset:1024 ; 16-byte Folded Spill
	s_nop 0
	scratch_store_dwordx4 off, v[4:7], off offset:1040 ; 16-byte Folded Spill
	scratch_store_dwordx4 off, v[8:11], off offset:1056 ; 16-byte Folded Spill
	;; [unrolled: 1-line block ×7, first 2 shown]
	v_mov_b32_e32 v3, v42
	v_mov_b32_e32 v4, v43
	;; [unrolled: 1-line block ×10, first 2 shown]
	scratch_store_dwordx4 off, v[0:3], off offset:896 ; 16-byte Folded Spill
	s_nop 0
	scratch_store_dwordx4 off, v[4:7], off offset:912 ; 16-byte Folded Spill
	scratch_store_dwordx4 off, v[8:11], off offset:928 ; 16-byte Folded Spill
	;; [unrolled: 1-line block ×7, first 2 shown]
	v_mov_b32_e32 v3, v42
	v_mov_b32_e32 v4, v43
	;; [unrolled: 1-line block ×11, first 2 shown]
	scratch_store_dwordx4 off, v[0:3], off offset:640 ; 16-byte Folded Spill
	s_nop 0
	scratch_store_dwordx4 off, v[4:7], off offset:656 ; 16-byte Folded Spill
	scratch_store_dwordx4 off, v[8:11], off offset:672 ; 16-byte Folded Spill
	;; [unrolled: 1-line block ×7, first 2 shown]
	v_mov_b32_e32 v3, v42
	v_mov_b32_e32 v4, v43
	v_mov_b32_e32 v5, v44
	v_mov_b32_e32 v6, v45
	v_mov_b32_e32 v7, v46
	v_mov_b32_e32 v8, v47
	v_mov_b32_e32 v9, v48
	v_mov_b32_e32 v10, v49
	v_mov_b32_e32 v11, v50
	v_mov_b32_e32 v12, v51
	v_mov_b32_e32 v13, v52
	v_mov_b32_e32 v15, v72
	v_mov_b32_e32 v16, v73
	scratch_store_dwordx4 off, v[0:3], off offset:512 ; 16-byte Folded Spill
	s_nop 0
	scratch_store_dwordx4 off, v[4:7], off offset:528 ; 16-byte Folded Spill
	scratch_store_dwordx4 off, v[8:11], off offset:544 ; 16-byte Folded Spill
	scratch_store_dwordx4 off, v[12:15], off offset:560 ; 16-byte Folded Spill
	scratch_store_dwordx4 off, v[16:19], off offset:576 ; 16-byte Folded Spill
	scratch_store_dwordx4 off, v[20:23], off offset:592 ; 16-byte Folded Spill
	scratch_store_dwordx4 off, v[24:27], off offset:608 ; 16-byte Folded Spill
	scratch_store_dwordx4 off, v[28:31], off offset:624 ; 16-byte Folded Spill
	v_mov_b32_e32 v3, v42
	v_mov_b32_e32 v4, v43
	;; [unrolled: 1-line block ×14, first 2 shown]
	scratch_store_dwordx4 off, v[0:3], off offset:768 ; 16-byte Folded Spill
	s_nop 0
	scratch_store_dwordx4 off, v[4:7], off offset:784 ; 16-byte Folded Spill
	scratch_store_dwordx4 off, v[8:11], off offset:800 ; 16-byte Folded Spill
	;; [unrolled: 1-line block ×7, first 2 shown]
	v_mov_b32_e32 v22, v76
	v_mov_b32_e32 v23, v77
	;; [unrolled: 1-line block ×28, first 2 shown]
	scratch_store_dwordx4 off, v[0:3], off  ; 16-byte Folded Spill
	s_nop 0
	scratch_store_dwordx4 off, v[4:7], off offset:16 ; 16-byte Folded Spill
	scratch_store_dwordx4 off, v[8:11], off offset:32 ; 16-byte Folded Spill
	;; [unrolled: 1-line block ×8, first 2 shown]
	s_nop 0
	scratch_store_dwordx4 off, v[80:83], off offset:2072 ; 16-byte Folded Spill
	scratch_store_dwordx4 off, v[84:87], off offset:2088 ; 16-byte Folded Spill
	;; [unrolled: 1-line block ×8, first 2 shown]
	s_nop 0
	scratch_store_dwordx4 off, v[80:83], off offset:2328 ; 16-byte Folded Spill
	scratch_store_dwordx4 off, v[84:87], off offset:2344 ; 16-byte Folded Spill
	;; [unrolled: 1-line block ×7, first 2 shown]
	v_mov_b32_e32 v86, v47
	v_mov_b32_e32 v78, v49
	;; [unrolled: 1-line block ×5, first 2 shown]
	scratch_store_dwordx4 off, v[26:29], off offset:384 ; 16-byte Folded Spill
	s_nop 0
	scratch_store_dwordx4 off, v[30:33], off offset:400 ; 16-byte Folded Spill
	scratch_store_dwordx4 off, v[34:37], off offset:416 ; 16-byte Folded Spill
	;; [unrolled: 1-line block ×7, first 2 shown]
	v_mov_b32_e32 v41, v74
	scratch_store_dwordx4 off, v[24:27], off offset:256 ; 16-byte Folded Spill
	s_nop 0
	scratch_store_dwordx4 off, v[28:31], off offset:272 ; 16-byte Folded Spill
	scratch_store_dwordx4 off, v[32:35], off offset:288 ; 16-byte Folded Spill
	scratch_store_dwordx4 off, v[36:39], off offset:304 ; 16-byte Folded Spill
	scratch_store_dwordx4 off, v[40:43], off offset:320 ; 16-byte Folded Spill
	scratch_store_dwordx4 off, v[44:47], off offset:336 ; 16-byte Folded Spill
	scratch_store_dwordx4 off, v[48:51], off offset:352 ; 16-byte Folded Spill
	scratch_store_dwordx4 off, v[52:55], off offset:368 ; 16-byte Folded Spill
	v_mov_b32_e32 v42, v75
	scratch_store_dwordx4 off, v[24:27], off offset:128 ; 16-byte Folded Spill
	s_nop 0
	scratch_store_dwordx4 off, v[28:31], off offset:144 ; 16-byte Folded Spill
	scratch_store_dwordx4 off, v[32:35], off offset:160 ; 16-byte Folded Spill
	;; [unrolled: 1-line block ×7, first 2 shown]
.LBB40_48:
	s_or_b64 exec, exec, s[0:1]
	v_lshl_add_u32 v41, v255, 2, v254
	s_waitcnt vmcnt(63) expcnt(7) lgkmcnt(15)
	s_barrier
	ds_write_b32 v41, v63
	s_waitcnt lgkmcnt(0)
	s_barrier
	ds_read_b32 v41, v254 offset:12
	s_cmp_lt_i32 s22, 5
	v_mov_b32_e32 v42, 3
	s_cbranch_scc1 .LBB40_51
; %bb.49:
	v_add3_u32 v43, v21, 0, 16
	v_mov_b32_e32 v42, 3
	s_mov_b32 s0, 4
.LBB40_50:                              ; =>This Inner Loop Header: Depth=1
	ds_read_b32 v44, v43
	v_mov_b32_e32 v45, s0
	s_add_i32 s0, s0, 1
	v_add_u32_e32 v43, 4, v43
	s_cmp_lg_u32 s22, s0
	s_waitcnt lgkmcnt(0)
	v_cmp_lt_f32_e64 vcc, |v41|, |v44|
	s_nop 1
	v_cndmask_b32_e32 v41, v41, v44, vcc
	v_cndmask_b32_e32 v42, v42, v45, vcc
	s_cbranch_scc1 .LBB40_50
.LBB40_51:
	s_waitcnt lgkmcnt(0)
	v_cmp_eq_f32_e32 vcc, 0, v41
	s_and_saveexec_b64 s[0:1], vcc
	s_xor_b64 s[0:1], exec, s[0:1]
; %bb.52:
	v_cmp_ne_u32_e32 vcc, 0, v250
	s_nop 1
	v_cndmask_b32_e32 v250, 4, v250, vcc
; %bb.53:
	s_andn2_saveexec_b64 s[0:1], s[0:1]
	s_cbranch_execz .LBB40_55
; %bb.54:
	v_div_scale_f32 v43, s[2:3], v41, v41, 1.0
	v_rcp_f32_e32 v44, v43
	v_div_scale_f32 v45, vcc, 1.0, v41, 1.0
	v_fma_f32 v46, -v43, v44, 1.0
	v_fmac_f32_e32 v44, v46, v44
	v_mul_f32_e32 v46, v45, v44
	v_fma_f32 v47, -v43, v46, v45
	v_fmac_f32_e32 v46, v47, v44
	v_fma_f32 v43, -v43, v46, v45
	v_div_fmas_f32 v43, v43, v44, v46
	v_div_fixup_f32 v41, v43, v41, 1.0
.LBB40_55:
	s_or_b64 exec, exec, s[0:1]
	v_cmp_ne_u32_e32 vcc, v255, v42
	s_and_saveexec_b64 s[0:1], vcc
	s_xor_b64 s[0:1], exec, s[0:1]
	s_cbranch_execz .LBB40_61
; %bb.56:
	v_cmp_eq_u32_e32 vcc, 3, v255
	s_and_saveexec_b64 s[2:3], vcc
	s_cbranch_execz .LBB40_60
; %bb.57:
	v_cmp_ne_u32_e32 vcc, 3, v42
	s_xor_b64 s[18:19], s[16:17], -1
	s_and_b64 s[20:21], s[18:19], vcc
	s_and_saveexec_b64 s[18:19], s[20:21]
	s_cbranch_execz .LBB40_59
; %bb.58:
	scratch_load_dwordx2 v[48:49], off, off offset:1792 ; 8-byte Folded Reload
	v_ashrrev_i32_e32 v43, 31, v42
	s_waitcnt vmcnt(0)
	v_lshl_add_u64 v[44:45], v[42:43], 2, v[48:49]
	global_load_dword v43, v[44:45], off
	global_load_dword v46, v[48:49], off offset:12
	s_waitcnt vmcnt(1)
	global_store_dword v[48:49], v43, off offset:12
	s_waitcnt vmcnt(1)
	global_store_dword v[44:45], v46, off
.LBB40_59:
	s_or_b64 exec, exec, s[18:19]
	v_mov_b32_e32 v251, v42
	v_mov_b32_e32 v255, v42
.LBB40_60:
	s_or_b64 exec, exec, s[2:3]
.LBB40_61:
	s_or_saveexec_b64 s[0:1], s[0:1]
	v_mov_b32_e32 v52, v86
	s_xor_b64 exec, exec, s[0:1]
	s_cbranch_execz .LBB40_63
; %bb.62:
	scratch_load_dwordx4 v[82:85], off, off ; 16-byte Folded Reload
	scratch_load_dwordx4 v[86:89], off, off offset:16 ; 16-byte Folded Reload
	scratch_load_dwordx4 v[90:93], off, off offset:32 ; 16-byte Folded Reload
	;; [unrolled: 1-line block ×7, first 2 shown]
	v_mov_b32_e32 v255, 3
	s_waitcnt vmcnt(4)
	v_mov_b64_e32 v[0:1], v[82:83]
	v_mov_b64_e32 v[4:5], v[86:87]
	s_waitcnt vmcnt(2)
	v_mov_b32_e32 v16, v98
	v_mov_b64_e32 v[2:3], v[84:85]
	v_mov_b64_e32 v[6:7], v[88:89]
	;; [unrolled: 1-line block ×6, first 2 shown]
	v_mov_b32_e32 v17, v99
	v_mov_b32_e32 v18, v100
	v_mov_b32_e32 v19, v101
	v_mov_b32_e32 v20, v102
	ds_write2_b32 v254, v4, v5 offset0:4 offset1:5
	ds_write2_b32 v254, v6, v7 offset0:6 offset1:7
	;; [unrolled: 1-line block ×8, first 2 shown]
	ds_write_b32 v254, v253 offset:80
.LBB40_63:
	s_or_b64 exec, exec, s[0:1]
	v_cmp_lt_i32_e32 vcc, 3, v255
	s_waitcnt lgkmcnt(0)
	s_barrier
	s_and_saveexec_b64 s[0:1], vcc
	s_cbranch_execz .LBB40_65
; %bb.64:
	ds_read2_b32 v[0:1], v254 offset0:4 offset1:5
	ds_read2_b32 v[2:3], v254 offset0:6 offset1:7
	ds_read2_b32 v[22:23], v254 offset0:8 offset1:9
	v_mul_f32_e32 v24, v63, v41
	ds_read2_b32 v[26:27], v254 offset0:10 offset1:11
	scratch_load_dwordx4 v[28:31], off, off ; 16-byte Folded Reload
	scratch_load_dwordx4 v[32:35], off, off offset:16 ; 16-byte Folded Reload
	scratch_load_dwordx4 v[36:39], off, off offset:32 ; 16-byte Folded Reload
	;; [unrolled: 1-line block ×7, first 2 shown]
	v_mov_b32_e32 v135, v24
	s_waitcnt vmcnt(3)
	v_mov_b64_e32 v[4:5], v[32:33]
	v_mov_b64_e32 v[6:7], v[34:35]
	s_waitcnt lgkmcnt(3)
	v_pk_fma_f32 v[136:137], v[24:25], v[0:1], v[4:5] op_sel_hi:[0,1,1] neg_lo:[1,0,0] neg_hi:[1,0,0]
	s_waitcnt lgkmcnt(2)
	v_pk_fma_f32 v[78:79], v[24:25], v[2:3], v[6:7] op_sel_hi:[0,1,1] neg_lo:[1,0,0] neg_hi:[1,0,0]
	ds_read2_b32 v[0:1], v254 offset0:12 offset1:13
	ds_read2_b32 v[2:3], v254 offset0:14 offset1:15
	;; [unrolled: 1-line block ×4, first 2 shown]
	scratch_load_dwordx4 v[80:83], off, off offset:2312 ; 16-byte Folded Reload
	scratch_load_dwordx4 v[84:87], off, off offset:2328 ; 16-byte Folded Reload
	;; [unrolled: 1-line block ×8, first 2 shown]
	v_mov_b64_e32 v[12:13], v[40:41]
	v_mov_b64_e32 v[14:15], v[42:43]
	;; [unrolled: 1-line block ×6, first 2 shown]
	s_waitcnt lgkmcnt(3)
	v_pk_fma_f32 v[130:131], v[24:25], v[0:1], v[12:13] op_sel_hi:[0,1,1] neg_lo:[1,0,0] neg_hi:[1,0,0]
	s_waitcnt lgkmcnt(2)
	v_pk_fma_f32 v[116:117], v[24:25], v[2:3], v[14:15] op_sel_hi:[0,1,1] neg_lo:[1,0,0] neg_hi:[1,0,0]
	s_waitcnt lgkmcnt(1)
	v_pk_fma_f32 v[230:231], v[24:25], v[4:5], v[16:17] op_sel_hi:[0,1,1] neg_lo:[1,0,0] neg_hi:[1,0,0]
	v_mov_b32_e32 v3, v24
	v_mov_b32_e32 v4, v136
	v_mov_b32_e32 v5, v137
	s_waitcnt vmcnt(10)
	v_pk_fma_f32 v[50:51], v[24:25], v[22:23], v[8:9] op_sel_hi:[0,1,1] neg_lo:[1,0,0] neg_hi:[1,0,0]
	v_pk_fma_f32 v[176:177], v[24:25], v[26:27], v[10:11] op_sel_hi:[0,1,1] neg_lo:[1,0,0] neg_hi:[1,0,0]
	s_waitcnt lgkmcnt(0)
	v_pk_fma_f32 v[40:41], v[24:25], v[6:7], v[18:19] op_sel_hi:[0,1,1] neg_lo:[1,0,0] neg_hi:[1,0,0]
	s_waitcnt vmcnt(7)
	v_mov_b32_e32 v83, v24
	v_mov_b32_e32 v76, v136
	;; [unrolled: 1-line block ×23, first 2 shown]
	s_waitcnt vmcnt(0)
	v_mov_b32_e32 v108, v78
	v_mov_b32_e32 v109, v79
	;; [unrolled: 1-line block ×37, first 2 shown]
	scratch_store_dwordx4 off, v[0:3], off offset:1800 ; 16-byte Folded Spill
	s_nop 0
	scratch_store_dwordx4 off, v[4:7], off offset:1816 ; 16-byte Folded Spill
	scratch_store_dwordx4 off, v[8:11], off offset:1832 ; 16-byte Folded Spill
	;; [unrolled: 1-line block ×7, first 2 shown]
	v_mov_b32_e32 v6, v78
	v_mov_b32_e32 v7, v79
	;; [unrolled: 1-line block ×52, first 2 shown]
	scratch_store_dwordx4 off, v[0:3], off offset:1536 ; 16-byte Folded Spill
	s_nop 0
	scratch_store_dwordx4 off, v[4:7], off offset:1552 ; 16-byte Folded Spill
	scratch_store_dwordx4 off, v[8:11], off offset:1568 ; 16-byte Folded Spill
	;; [unrolled: 1-line block ×7, first 2 shown]
	v_mov_b32_e32 v8, v50
	v_mov_b32_e32 v9, v51
	;; [unrolled: 1-line block ×3, first 2 shown]
	scratch_store_dwordx4 off, v[0:3], off offset:1280 ; 16-byte Folded Spill
	s_nop 0
	scratch_store_dwordx4 off, v[4:7], off offset:1296 ; 16-byte Folded Spill
	scratch_store_dwordx4 off, v[8:11], off offset:1312 ; 16-byte Folded Spill
	;; [unrolled: 1-line block ×7, first 2 shown]
	v_mov_b32_e32 v4, v136
	v_mov_b32_e32 v5, v137
	;; [unrolled: 1-line block ×8, first 2 shown]
	scratch_store_dwordx4 off, v[0:3], off offset:1024 ; 16-byte Folded Spill
	s_nop 0
	scratch_store_dwordx4 off, v[4:7], off offset:1040 ; 16-byte Folded Spill
	scratch_store_dwordx4 off, v[8:11], off offset:1056 ; 16-byte Folded Spill
	;; [unrolled: 1-line block ×7, first 2 shown]
	v_mov_b32_e32 v4, v136
	v_mov_b32_e32 v5, v137
	;; [unrolled: 1-line block ×10, first 2 shown]
	scratch_store_dwordx4 off, v[0:3], off offset:896 ; 16-byte Folded Spill
	s_nop 0
	scratch_store_dwordx4 off, v[4:7], off offset:912 ; 16-byte Folded Spill
	scratch_store_dwordx4 off, v[8:11], off offset:928 ; 16-byte Folded Spill
	;; [unrolled: 1-line block ×7, first 2 shown]
	ds_read_b32 v0, v254 offset:80
	v_mov_b32_e32 v14, v116
	v_mov_b32_e32 v15, v117
	;; [unrolled: 1-line block ×18, first 2 shown]
	scratch_store_dwordx4 off, v[52:55], off offset:768 ; 16-byte Folded Spill
	s_nop 0
	scratch_store_dwordx4 off, v[56:59], off offset:784 ; 16-byte Folded Spill
	scratch_store_dwordx4 off, v[60:63], off offset:800 ; 16-byte Folded Spill
	;; [unrolled: 1-line block ×7, first 2 shown]
	v_mov_b32_e32 v105, v24
	v_mov_b32_e32 v153, v24
	;; [unrolled: 1-line block ×4, first 2 shown]
	s_waitcnt lgkmcnt(0)
	v_fma_f32 v20, -v24, v0, v253
	v_mov_b32_e32 v52, v50
	v_mov_b32_e32 v253, v20
	v_mov_b32_e32 v22, v80
	v_mov_b32_e32 v23, v81
	v_mov_b32_e32 v24, v82
	v_mov_b32_e32 v0, v80
	scratch_store_dwordx4 off, v[80:83], off offset:2056 ; 16-byte Folded Spill
	s_nop 0
	scratch_store_dwordx4 off, v[84:87], off offset:2072 ; 16-byte Folded Spill
	scratch_store_dwordx4 off, v[88:91], off offset:2088 ; 16-byte Folded Spill
	;; [unrolled: 1-line block ×7, first 2 shown]
	v_mov_b32_e32 v6, v78
	v_mov_b32_e32 v7, v79
	v_mov_b64_e32 v[94:95], v[14:15]
	v_mov_b32_e32 v100, v20
	v_mov_b64_e32 v[92:93], v[12:13]
	v_mov_b64_e32 v[90:91], v[10:11]
	;; [unrolled: 1-line block ×7, first 2 shown]
	v_mov_b32_e32 v99, v19
	v_mov_b32_e32 v98, v18
	v_mov_b32_e32 v97, v17
	v_mov_b32_e32 v96, v16
	v_mov_b32_e32 v28, v78
	v_mov_b32_e32 v29, v79
	scratch_store_dwordx4 off, v[80:83], off ; 16-byte Folded Spill
	s_nop 0
	scratch_store_dwordx4 off, v[84:87], off offset:16 ; 16-byte Folded Spill
	scratch_store_dwordx4 off, v[88:91], off offset:32 ; 16-byte Folded Spill
	scratch_store_dwordx4 off, v[92:95], off offset:48 ; 16-byte Folded Spill
	scratch_store_dwordx4 off, v[96:99], off offset:64 ; 16-byte Folded Spill
	scratch_store_dwordx4 off, v[100:103], off offset:80 ; 16-byte Folded Spill
	scratch_store_dwordx4 off, v[104:107], off offset:96 ; 16-byte Folded Spill
	scratch_store_dwordx4 off, v[108:111], off offset:112 ; 16-byte Folded Spill
	scratch_store_dwordx4 off, v[132:135], off offset:1928 ; 16-byte Folded Spill
	s_nop 0
	scratch_store_dwordx4 off, v[136:139], off offset:1944 ; 16-byte Folded Spill
	scratch_store_dwordx4 off, v[140:143], off offset:1960 ; 16-byte Folded Spill
	;; [unrolled: 1-line block ×7, first 2 shown]
	v_mov_b32_e32 v132, v78
	scratch_store_dwordx4 off, v[72:75], off offset:1664 ; 16-byte Folded Spill
	s_nop 0
	scratch_store_dwordx4 off, v[76:79], off offset:1680 ; 16-byte Folded Spill
	scratch_store_dwordx4 off, v[80:83], off offset:1696 ; 16-byte Folded Spill
	;; [unrolled: 1-line block ×7, first 2 shown]
	v_mov_b32_e32 v78, v176
	v_mov_b32_e32 v76, v116
	scratch_store_dwordx4 off, v[42:45], off offset:1408 ; 16-byte Folded Spill
	s_nop 0
	scratch_store_dwordx4 off, v[46:49], off offset:1424 ; 16-byte Folded Spill
	scratch_store_dwordx4 off, v[50:53], off offset:1440 ; 16-byte Folded Spill
	;; [unrolled: 1-line block ×8, first 2 shown]
	s_nop 0
	scratch_store_dwordx4 off, v[170:173], off offset:1168 ; 16-byte Folded Spill
	scratch_store_dwordx4 off, v[174:177], off offset:1184 ; 16-byte Folded Spill
	scratch_store_dwordx4 off, v[178:181], off offset:1200 ; 16-byte Folded Spill
	scratch_store_dwordx4 off, v[182:185], off offset:1216 ; 16-byte Folded Spill
	scratch_store_dwordx4 off, v[186:189], off offset:1232 ; 16-byte Folded Spill
	scratch_store_dwordx4 off, v[190:193], off offset:1248 ; 16-byte Folded Spill
	scratch_store_dwordx4 off, v[194:197], off offset:1264 ; 16-byte Folded Spill
	v_mov_b32_e32 v62, v130
	v_mov_b32_e32 v67, v131
	;; [unrolled: 1-line block ×5, first 2 shown]
	scratch_store_dwordx4 off, v[102:105], off offset:640 ; 16-byte Folded Spill
	s_nop 0
	scratch_store_dwordx4 off, v[106:109], off offset:656 ; 16-byte Folded Spill
	scratch_store_dwordx4 off, v[110:113], off offset:672 ; 16-byte Folded Spill
	scratch_store_dwordx4 off, v[114:117], off offset:688 ; 16-byte Folded Spill
	scratch_store_dwordx4 off, v[118:121], off offset:704 ; 16-byte Folded Spill
	scratch_store_dwordx4 off, v[122:125], off offset:720 ; 16-byte Folded Spill
	scratch_store_dwordx4 off, v[126:129], off offset:736 ; 16-byte Folded Spill
	scratch_store_dwordx4 off, v[130:133], off offset:752 ; 16-byte Folded Spill
	scratch_store_dwordx4 off, v[26:29], off offset:384 ; 16-byte Folded Spill
	s_nop 0
	scratch_store_dwordx4 off, v[30:33], off offset:400 ; 16-byte Folded Spill
	scratch_store_dwordx4 off, v[34:37], off offset:416 ; 16-byte Folded Spill
	scratch_store_dwordx4 off, v[38:41], off offset:432 ; 16-byte Folded Spill
	scratch_store_dwordx4 off, v[42:45], off offset:448 ; 16-byte Folded Spill
	scratch_store_dwordx4 off, v[46:49], off offset:464 ; 16-byte Folded Spill
	scratch_store_dwordx4 off, v[50:53], off offset:480 ; 16-byte Folded Spill
	scratch_store_dwordx4 off, v[54:57], off offset:496 ; 16-byte Folded Spill
	;; [unrolled: 9-line block ×4, first 2 shown]
	v_mov_b32_e32 v79, v177
	v_mov_b32_e32 v42, v40
	scratch_store_dwordx4 off, v[24:27], off offset:128 ; 16-byte Folded Spill
	s_nop 0
	scratch_store_dwordx4 off, v[28:31], off offset:144 ; 16-byte Folded Spill
	scratch_store_dwordx4 off, v[32:35], off offset:160 ; 16-byte Folded Spill
	;; [unrolled: 1-line block ×7, first 2 shown]
	v_mov_b32_e32 v77, v117
.LBB40_65:
	s_or_b64 exec, exec, s[0:1]
	v_lshl_add_u32 v41, v255, 2, v254
	s_waitcnt vmcnt(63) expcnt(7) lgkmcnt(15)
	s_barrier
	ds_write_b32 v41, v138
	s_waitcnt lgkmcnt(0)
	s_barrier
	ds_read_b32 v41, v254 offset:16
	s_cmp_lt_i32 s22, 6
	v_mov_b32_e32 v42, 4
	s_cbranch_scc1 .LBB40_357
; %bb.66:
	v_add3_u32 v43, v21, 0, 20
	v_mov_b32_e32 v42, 4
	s_mov_b32 s0, 5
	v_mov_b32_e32 v74, v52
	v_mov_b32_e32 v75, v133
	;; [unrolled: 1-line block ×4, first 2 shown]
.LBB40_67:                              ; =>This Inner Loop Header: Depth=1
	ds_read_b32 v44, v43
	v_mov_b32_e32 v45, s0
	s_add_i32 s0, s0, 1
	v_add_u32_e32 v43, 4, v43
	s_cmp_lg_u32 s22, s0
	s_waitcnt lgkmcnt(0)
	v_cmp_lt_f32_e64 vcc, |v41|, |v44|
	s_nop 1
	v_cndmask_b32_e32 v41, v41, v44, vcc
	v_cndmask_b32_e32 v42, v42, v45, vcc
	s_cbranch_scc1 .LBB40_67
; %bb.68:
	v_cmp_eq_f32_e32 vcc, 0, v41
	s_and_saveexec_b64 s[0:1], vcc
	s_xor_b64 s[0:1], exec, s[0:1]
.LBB40_69:
	v_cmp_ne_u32_e32 vcc, 0, v250
	s_nop 1
	v_cndmask_b32_e32 v250, 5, v250, vcc
.LBB40_70:
	s_andn2_saveexec_b64 s[0:1], s[0:1]
	s_cbranch_execz .LBB40_72
; %bb.71:
	v_div_scale_f32 v43, s[2:3], v41, v41, 1.0
	v_rcp_f32_e32 v44, v43
	v_div_scale_f32 v45, vcc, 1.0, v41, 1.0
	v_fma_f32 v46, -v43, v44, 1.0
	v_fmac_f32_e32 v44, v46, v44
	v_mul_f32_e32 v46, v45, v44
	v_fma_f32 v47, -v43, v46, v45
	v_fmac_f32_e32 v46, v47, v44
	v_fma_f32 v43, -v43, v46, v45
	v_div_fmas_f32 v43, v43, v44, v46
	v_div_fixup_f32 v41, v43, v41, 1.0
.LBB40_72:
	s_or_b64 exec, exec, s[0:1]
	v_cmp_ne_u32_e32 vcc, v255, v42
	s_and_saveexec_b64 s[0:1], vcc
	s_xor_b64 s[0:1], exec, s[0:1]
	s_cbranch_execz .LBB40_78
; %bb.73:
	v_cmp_eq_u32_e32 vcc, 4, v255
	s_and_saveexec_b64 s[2:3], vcc
	s_cbranch_execz .LBB40_77
; %bb.74:
	v_cmp_ne_u32_e32 vcc, 4, v42
	s_xor_b64 s[18:19], s[16:17], -1
	s_and_b64 s[20:21], s[18:19], vcc
	s_and_saveexec_b64 s[18:19], s[20:21]
	s_cbranch_execz .LBB40_76
; %bb.75:
	scratch_load_dwordx2 v[48:49], off, off offset:1792 ; 8-byte Folded Reload
	v_ashrrev_i32_e32 v43, 31, v42
	s_waitcnt vmcnt(0)
	v_lshl_add_u64 v[44:45], v[42:43], 2, v[48:49]
	global_load_dword v43, v[44:45], off
	global_load_dword v46, v[48:49], off offset:16
	s_waitcnt vmcnt(1)
	global_store_dword v[48:49], v43, off offset:16
	s_waitcnt vmcnt(1)
	global_store_dword v[44:45], v46, off
.LBB40_76:
	s_or_b64 exec, exec, s[18:19]
	v_mov_b32_e32 v251, v42
	v_mov_b32_e32 v255, v42
.LBB40_77:
	s_or_b64 exec, exec, s[2:3]
.LBB40_78:
	s_andn2_saveexec_b64 s[0:1], s[0:1]
	s_cbranch_execz .LBB40_80
; %bb.79:
	scratch_load_dwordx4 v[82:85], off, off ; 16-byte Folded Reload
	scratch_load_dwordx4 v[86:89], off, off offset:16 ; 16-byte Folded Reload
	scratch_load_dwordx4 v[90:93], off, off offset:32 ; 16-byte Folded Reload
	;; [unrolled: 1-line block ×7, first 2 shown]
	v_mov_b32_e32 v71, v137
	v_mov_b32_e32 v75, v133
	;; [unrolled: 1-line block ×4, first 2 shown]
	s_waitcnt vmcnt(4)
	v_mov_b64_e32 v[0:1], v[82:83]
	v_mov_b64_e32 v[2:3], v[84:85]
	;; [unrolled: 1-line block ×8, first 2 shown]
	s_waitcnt vmcnt(2)
	v_mov_b32_e32 v16, v98
	v_mov_b32_e32 v82, v132
	;; [unrolled: 1-line block ×6, first 2 shown]
	ds_write2_b32 v254, v5, v6 offset0:5 offset1:6
	ds_write2_b32 v254, v7, v8 offset0:7 offset1:8
	;; [unrolled: 1-line block ×8, first 2 shown]
.LBB40_80:
	s_or_b64 exec, exec, s[0:1]
	v_cmp_lt_i32_e32 vcc, 4, v255
	s_waitcnt lgkmcnt(0)
	s_barrier
	s_and_saveexec_b64 s[0:1], vcc
	s_cbranch_execz .LBB40_82
; %bb.81:
	scratch_load_dwordx4 v[74:77], off, off offset:2056 ; 16-byte Folded Reload
	scratch_load_dwordx4 v[78:81], off, off offset:2072 ; 16-byte Folded Reload
	;; [unrolled: 1-line block ×8, first 2 shown]
	s_waitcnt vmcnt(6)
	v_mul_f32_e32 v78, v138, v41
	ds_read2_b32 v[0:1], v254 offset0:5 offset1:6
	scratch_load_dwordx4 v[22:25], off, off ; 16-byte Folded Reload
	scratch_load_dwordx4 v[26:29], off, off offset:16 ; 16-byte Folded Reload
	scratch_load_dwordx4 v[30:33], off, off offset:32 ; 16-byte Folded Reload
	;; [unrolled: 1-line block ×7, first 2 shown]
	v_mov_b32_e32 v122, v78
	v_mov_b32_e32 v154, v78
	;; [unrolled: 1-line block ×10, first 2 shown]
	s_waitcnt vmcnt(2)
	v_mov_b32_e32 v5, v27
	v_mov_b32_e32 v6, v28
	;; [unrolled: 1-line block ×3, first 2 shown]
	ds_read2_b32 v[4:5], v254 offset0:7 offset1:8
	ds_read2_b32 v[22:23], v254 offset0:9 offset1:10
	;; [unrolled: 1-line block ×3, first 2 shown]
	v_mov_b32_e32 v7, v29
	v_mov_b32_e32 v8, v30
	;; [unrolled: 1-line block ×15, first 2 shown]
	s_waitcnt lgkmcnt(3)
	v_pk_fma_f32 v[42:43], v[78:79], v[0:1], v[2:3] op_sel_hi:[0,1,1] neg_lo:[1,0,0] neg_hi:[1,0,0]
	v_mov_b32_e32 v0, v7
	v_mov_b32_e32 v1, v8
	s_waitcnt lgkmcnt(2)
	v_pk_fma_f32 v[44:45], v[78:79], v[4:5], v[0:1] op_sel_hi:[0,1,1] neg_lo:[1,0,0] neg_hi:[1,0,0]
	v_mov_b32_e32 v0, v9
	v_mov_b32_e32 v1, v10
	s_waitcnt vmcnt(1) lgkmcnt(1)
	v_pk_fma_f32 v[46:47], v[78:79], v[22:23], v[0:1] op_sel_hi:[0,1,1] neg_lo:[1,0,0] neg_hi:[1,0,0]
	v_mov_b32_e32 v0, v11
	v_mov_b32_e32 v1, v12
	s_waitcnt lgkmcnt(0)
	v_pk_fma_f32 v[48:49], v[78:79], v[24:25], v[0:1] op_sel_hi:[0,1,1] neg_lo:[1,0,0] neg_hi:[1,0,0]
	ds_read2_b32 v[0:1], v254 offset0:13 offset1:14
	ds_read2_b32 v[4:5], v254 offset0:15 offset1:16
	ds_read2_b32 v[6:7], v254 offset0:17 offset1:18
	ds_read2_b32 v[8:9], v254 offset0:19 offset1:20
	v_mov_b32_e32 v2, v13
	v_mov_b32_e32 v3, v14
	;; [unrolled: 1-line block ×3, first 2 shown]
	s_waitcnt vmcnt(0) lgkmcnt(3)
	v_pk_fma_f32 v[50:51], v[78:79], v[0:1], v[2:3] op_sel_hi:[0,1,1] neg_lo:[1,0,0] neg_hi:[1,0,0]
	v_mov_b32_e32 v0, v15
	v_mov_b32_e32 v1, v16
	s_waitcnt lgkmcnt(2)
	v_pk_fma_f32 v[52:53], v[78:79], v[4:5], v[0:1] op_sel_hi:[0,1,1] neg_lo:[1,0,0] neg_hi:[1,0,0]
	v_mov_b32_e32 v0, v17
	v_mov_b32_e32 v1, v18
	s_waitcnt lgkmcnt(1)
	;; [unrolled: 4-line block ×3, first 2 shown]
	v_pk_fma_f32 v[252:253], v[78:79], v[8:9], v[0:1] op_sel_hi:[0,1,1] neg_lo:[1,0,0] neg_hi:[1,0,0]
	v_mov_b32_e32 v0, v74
	v_mov_b32_e32 v1, v75
	;; [unrolled: 1-line block ×7, first 2 shown]
	scratch_store_dwordx4 off, v[0:3], off offset:1664 ; 16-byte Folded Spill
	s_nop 0
	scratch_store_dwordx4 off, v[4:7], off offset:1680 ; 16-byte Folded Spill
	scratch_store_dwordx4 off, v[8:11], off offset:1696 ; 16-byte Folded Spill
	;; [unrolled: 1-line block ×7, first 2 shown]
	v_mov_b32_e32 v7, v44
	v_mov_b32_e32 v79, v42
	v_mov_b32_e32 v155, v42
	v_mov_b32_e32 v32, v47
	v_mov_b32_e32 v33, v48
	v_mov_b32_e32 v34, v49
	v_mov_b32_e32 v35, v50
	v_mov_b32_e32 v36, v51
	v_mov_b32_e32 v37, v52
	v_mov_b32_e32 v38, v53
	v_mov_b32_e32 v39, v72
	v_mov_b32_e32 v40, v73
	v_mov_b32_e32 v71, v42
	v_mov_b32_e32 v124, v43
	v_mov_b32_e32 v125, v44
	v_mov_b32_e32 v126, v45
	v_mov_b32_e32 v127, v46
	v_mov_b32_e32 v128, v47
	v_mov_b32_e32 v129, v48
	v_mov_b32_e32 v130, v49
	v_mov_b32_e32 v156, v43
	v_mov_b32_e32 v157, v44
	v_mov_b32_e32 v158, v45
	v_mov_b32_e32 v159, v46
	v_mov_b32_e32 v160, v47
	v_mov_b32_e32 v161, v48
	v_mov_b32_e32 v162, v49
	v_mov_b32_e32 v163, v50
	v_mov_b32_e32 v164, v51
	v_mov_b32_e32 v165, v52
	v_mov_b32_e32 v135, v44
	v_mov_b32_e32 v62, v49
	v_mov_b32_e32 v67, v50
	scratch_store_dwordx4 off, v[0:3], off offset:1536 ; 16-byte Folded Spill
	s_nop 0
	scratch_store_dwordx4 off, v[4:7], off offset:1552 ; 16-byte Folded Spill
	scratch_store_dwordx4 off, v[8:11], off offset:1568 ; 16-byte Folded Spill
	scratch_store_dwordx4 off, v[12:15], off offset:1584 ; 16-byte Folded Spill
	scratch_store_dwordx4 off, v[16:19], off offset:1600 ; 16-byte Folded Spill
	scratch_store_dwordx4 off, v[20:23], off offset:1616 ; 16-byte Folded Spill
	scratch_store_dwordx4 off, v[24:27], off offset:1632 ; 16-byte Folded Spill
	scratch_store_dwordx4 off, v[28:31], off offset:1648 ; 16-byte Folded Spill
	v_mov_b32_e32 v8, v45
	scratch_store_dwordx4 off, v[0:3], off offset:1408 ; 16-byte Folded Spill
	s_nop 0
	scratch_store_dwordx4 off, v[4:7], off offset:1424 ; 16-byte Folded Spill
	scratch_store_dwordx4 off, v[8:11], off offset:1440 ; 16-byte Folded Spill
	scratch_store_dwordx4 off, v[12:15], off offset:1456 ; 16-byte Folded Spill
	scratch_store_dwordx4 off, v[16:19], off offset:1472 ; 16-byte Folded Spill
	scratch_store_dwordx4 off, v[20:23], off offset:1488 ; 16-byte Folded Spill
	scratch_store_dwordx4 off, v[24:27], off offset:1504 ; 16-byte Folded Spill
	scratch_store_dwordx4 off, v[28:31], off offset:1520 ; 16-byte Folded Spill
	v_mov_b32_e32 v9, v46
	scratch_store_dwordx4 off, v[0:3], off offset:1280 ; 16-byte Folded Spill
	s_nop 0
	scratch_store_dwordx4 off, v[4:7], off offset:1296 ; 16-byte Folded Spill
	scratch_store_dwordx4 off, v[8:11], off offset:1312 ; 16-byte Folded Spill
	scratch_store_dwordx4 off, v[12:15], off offset:1328 ; 16-byte Folded Spill
	scratch_store_dwordx4 off, v[16:19], off offset:1344 ; 16-byte Folded Spill
	scratch_store_dwordx4 off, v[20:23], off offset:1360 ; 16-byte Folded Spill
	scratch_store_dwordx4 off, v[24:27], off offset:1376 ; 16-byte Folded Spill
	scratch_store_dwordx4 off, v[28:31], off offset:1392 ; 16-byte Folded Spill
	v_mov_b32_e32 v10, v47
	scratch_store_dwordx4 off, v[0:3], off offset:1152 ; 16-byte Folded Spill
	s_nop 0
	scratch_store_dwordx4 off, v[4:7], off offset:1168 ; 16-byte Folded Spill
	scratch_store_dwordx4 off, v[8:11], off offset:1184 ; 16-byte Folded Spill
	scratch_store_dwordx4 off, v[12:15], off offset:1200 ; 16-byte Folded Spill
	scratch_store_dwordx4 off, v[16:19], off offset:1216 ; 16-byte Folded Spill
	scratch_store_dwordx4 off, v[20:23], off offset:1232 ; 16-byte Folded Spill
	scratch_store_dwordx4 off, v[24:27], off offset:1248 ; 16-byte Folded Spill
	scratch_store_dwordx4 off, v[28:31], off offset:1264 ; 16-byte Folded Spill
	v_mov_b32_e32 v5, v42
	v_mov_b32_e32 v6, v43
	v_mov_b32_e32 v7, v44
	;; [unrolled: 1-line block ×5, first 2 shown]
	scratch_store_dwordx4 off, v[0:3], off offset:1024 ; 16-byte Folded Spill
	s_nop 0
	scratch_store_dwordx4 off, v[4:7], off offset:1040 ; 16-byte Folded Spill
	scratch_store_dwordx4 off, v[8:11], off offset:1056 ; 16-byte Folded Spill
	;; [unrolled: 1-line block ×7, first 2 shown]
	v_mov_b32_e32 v5, v42
	v_mov_b32_e32 v6, v43
	v_mov_b32_e32 v7, v44
	v_mov_b32_e32 v8, v45
	v_mov_b32_e32 v9, v46
	v_mov_b32_e32 v10, v47
	v_mov_b32_e32 v12, v49
	v_mov_b32_e32 v13, v50
	scratch_store_dwordx4 off, v[0:3], off offset:896 ; 16-byte Folded Spill
	s_nop 0
	scratch_store_dwordx4 off, v[4:7], off offset:912 ; 16-byte Folded Spill
	scratch_store_dwordx4 off, v[8:11], off offset:928 ; 16-byte Folded Spill
	;; [unrolled: 1-line block ×7, first 2 shown]
	v_mov_b32_e32 v5, v42
	v_mov_b32_e32 v6, v43
	;; [unrolled: 1-line block ×9, first 2 shown]
	scratch_store_dwordx4 off, v[0:3], off offset:640 ; 16-byte Folded Spill
	s_nop 0
	scratch_store_dwordx4 off, v[4:7], off offset:656 ; 16-byte Folded Spill
	scratch_store_dwordx4 off, v[8:11], off offset:672 ; 16-byte Folded Spill
	;; [unrolled: 1-line block ×7, first 2 shown]
	v_mov_b32_e32 v5, v42
	v_mov_b32_e32 v6, v43
	;; [unrolled: 1-line block ×11, first 2 shown]
	scratch_store_dwordx4 off, v[0:3], off offset:512 ; 16-byte Folded Spill
	s_nop 0
	scratch_store_dwordx4 off, v[4:7], off offset:528 ; 16-byte Folded Spill
	scratch_store_dwordx4 off, v[8:11], off offset:544 ; 16-byte Folded Spill
	;; [unrolled: 1-line block ×7, first 2 shown]
	v_mov_b32_e32 v5, v42
	v_mov_b32_e32 v6, v43
	v_mov_b32_e32 v7, v44
	v_mov_b32_e32 v8, v45
	v_mov_b32_e32 v9, v46
	v_mov_b32_e32 v10, v47
	v_mov_b32_e32 v11, v48
	v_mov_b32_e32 v12, v49
	v_mov_b32_e32 v13, v50
	v_mov_b32_e32 v14, v51
	v_mov_b32_e32 v15, v52
	v_mov_b32_e32 v17, v72
	scratch_store_dwordx4 off, v[0:3], off offset:768 ; 16-byte Folded Spill
	s_nop 0
	scratch_store_dwordx4 off, v[4:7], off offset:784 ; 16-byte Folded Spill
	scratch_store_dwordx4 off, v[8:11], off offset:800 ; 16-byte Folded Spill
	scratch_store_dwordx4 off, v[12:15], off offset:816 ; 16-byte Folded Spill
	scratch_store_dwordx4 off, v[16:19], off offset:832 ; 16-byte Folded Spill
	scratch_store_dwordx4 off, v[20:23], off offset:848 ; 16-byte Folded Spill
	scratch_store_dwordx4 off, v[24:27], off offset:864 ; 16-byte Folded Spill
	scratch_store_dwordx4 off, v[28:31], off offset:880 ; 16-byte Folded Spill
	v_mov_b32_e32 v22, v74
	v_mov_b32_e32 v23, v75
	;; [unrolled: 1-line block ×26, first 2 shown]
	scratch_store_dwordx4 off, v[0:3], off  ; 16-byte Folded Spill
	s_nop 0
	scratch_store_dwordx4 off, v[4:7], off offset:16 ; 16-byte Folded Spill
	scratch_store_dwordx4 off, v[8:11], off offset:32 ; 16-byte Folded Spill
	;; [unrolled: 1-line block ×8, first 2 shown]
	s_nop 0
	scratch_store_dwordx4 off, v[78:81], off offset:1816 ; 16-byte Folded Spill
	scratch_store_dwordx4 off, v[82:85], off offset:1832 ; 16-byte Folded Spill
	;; [unrolled: 1-line block ×8, first 2 shown]
	s_nop 0
	scratch_store_dwordx4 off, v[78:81], off offset:1944 ; 16-byte Folded Spill
	scratch_store_dwordx4 off, v[82:85], off offset:1960 ; 16-byte Folded Spill
	;; [unrolled: 1-line block ×7, first 2 shown]
	v_mov_b32_e32 v82, v43
	v_mov_b32_e32 v74, v45
	;; [unrolled: 1-line block ×7, first 2 shown]
	scratch_store_dwordx4 off, v[26:29], off offset:384 ; 16-byte Folded Spill
	s_nop 0
	scratch_store_dwordx4 off, v[30:33], off offset:400 ; 16-byte Folded Spill
	scratch_store_dwordx4 off, v[34:37], off offset:416 ; 16-byte Folded Spill
	scratch_store_dwordx4 off, v[38:41], off offset:432 ; 16-byte Folded Spill
	scratch_store_dwordx4 off, v[42:45], off offset:448 ; 16-byte Folded Spill
	scratch_store_dwordx4 off, v[46:49], off offset:464 ; 16-byte Folded Spill
	scratch_store_dwordx4 off, v[50:53], off offset:480 ; 16-byte Folded Spill
	scratch_store_dwordx4 off, v[54:57], off offset:496 ; 16-byte Folded Spill
	v_mov_b32_e32 v41, v72
	scratch_store_dwordx4 off, v[24:27], off offset:256 ; 16-byte Folded Spill
	s_nop 0
	scratch_store_dwordx4 off, v[28:31], off offset:272 ; 16-byte Folded Spill
	scratch_store_dwordx4 off, v[32:35], off offset:288 ; 16-byte Folded Spill
	;; [unrolled: 1-line block ×7, first 2 shown]
	v_mov_b32_e32 v42, v73
	scratch_store_dwordx4 off, v[24:27], off offset:128 ; 16-byte Folded Spill
	s_nop 0
	scratch_store_dwordx4 off, v[28:31], off offset:144 ; 16-byte Folded Spill
	scratch_store_dwordx4 off, v[32:35], off offset:160 ; 16-byte Folded Spill
	;; [unrolled: 1-line block ×7, first 2 shown]
.LBB40_82:
	s_or_b64 exec, exec, s[0:1]
	v_lshl_add_u32 v41, v255, 2, v254
	s_waitcnt vmcnt(63) expcnt(7) lgkmcnt(15)
	s_barrier
	ds_write_b32 v41, v71
	s_waitcnt lgkmcnt(0)
	s_barrier
	ds_read_b32 v41, v254 offset:20
	s_cmp_lt_i32 s22, 7
	v_mov_b32_e32 v42, 5
	s_cbranch_scc1 .LBB40_85
; %bb.83:
	v_add3_u32 v43, v21, 0, 24
	v_mov_b32_e32 v42, 5
	s_mov_b32 s0, 6
.LBB40_84:                              ; =>This Inner Loop Header: Depth=1
	ds_read_b32 v44, v43
	v_mov_b32_e32 v45, s0
	s_add_i32 s0, s0, 1
	v_add_u32_e32 v43, 4, v43
	s_cmp_lg_u32 s22, s0
	s_waitcnt lgkmcnt(0)
	v_cmp_lt_f32_e64 vcc, |v41|, |v44|
	s_nop 1
	v_cndmask_b32_e32 v41, v41, v44, vcc
	v_cndmask_b32_e32 v42, v42, v45, vcc
	s_cbranch_scc1 .LBB40_84
.LBB40_85:
	s_waitcnt lgkmcnt(0)
	v_cmp_eq_f32_e32 vcc, 0, v41
	s_and_saveexec_b64 s[0:1], vcc
	s_xor_b64 s[0:1], exec, s[0:1]
; %bb.86:
	v_cmp_ne_u32_e32 vcc, 0, v250
	s_nop 1
	v_cndmask_b32_e32 v250, 6, v250, vcc
; %bb.87:
	s_andn2_saveexec_b64 s[0:1], s[0:1]
	s_cbranch_execz .LBB40_89
; %bb.88:
	v_div_scale_f32 v43, s[2:3], v41, v41, 1.0
	v_rcp_f32_e32 v44, v43
	v_div_scale_f32 v45, vcc, 1.0, v41, 1.0
	v_fma_f32 v46, -v43, v44, 1.0
	v_fmac_f32_e32 v44, v46, v44
	v_mul_f32_e32 v46, v45, v44
	v_fma_f32 v47, -v43, v46, v45
	v_fmac_f32_e32 v46, v47, v44
	v_fma_f32 v43, -v43, v46, v45
	v_div_fmas_f32 v43, v43, v44, v46
	v_div_fixup_f32 v41, v43, v41, 1.0
.LBB40_89:
	s_or_b64 exec, exec, s[0:1]
	v_cmp_ne_u32_e32 vcc, v255, v42
	s_and_saveexec_b64 s[0:1], vcc
	s_xor_b64 s[0:1], exec, s[0:1]
	s_cbranch_execz .LBB40_95
; %bb.90:
	v_cmp_eq_u32_e32 vcc, 5, v255
	s_and_saveexec_b64 s[2:3], vcc
	s_cbranch_execz .LBB40_94
; %bb.91:
	v_cmp_ne_u32_e32 vcc, 5, v42
	s_xor_b64 s[18:19], s[16:17], -1
	s_and_b64 s[20:21], s[18:19], vcc
	s_and_saveexec_b64 s[18:19], s[20:21]
	s_cbranch_execz .LBB40_93
; %bb.92:
	scratch_load_dwordx2 v[48:49], off, off offset:1792 ; 8-byte Folded Reload
	v_ashrrev_i32_e32 v43, 31, v42
	s_waitcnt vmcnt(0)
	v_lshl_add_u64 v[44:45], v[42:43], 2, v[48:49]
	global_load_dword v43, v[44:45], off
	global_load_dword v46, v[48:49], off offset:20
	s_waitcnt vmcnt(1)
	global_store_dword v[48:49], v43, off offset:20
	s_waitcnt vmcnt(1)
	global_store_dword v[44:45], v46, off
.LBB40_93:
	s_or_b64 exec, exec, s[18:19]
	v_mov_b32_e32 v251, v42
	v_mov_b32_e32 v255, v42
.LBB40_94:
	s_or_b64 exec, exec, s[2:3]
.LBB40_95:
	s_andn2_saveexec_b64 s[0:1], s[0:1]
	s_cbranch_execz .LBB40_97
; %bb.96:
	v_mov_b32_e32 v42, v82
	scratch_load_dwordx4 v[82:85], off, off ; 16-byte Folded Reload
	scratch_load_dwordx4 v[86:89], off, off offset:16 ; 16-byte Folded Reload
	scratch_load_dwordx4 v[90:93], off, off offset:32 ; 16-byte Folded Reload
	;; [unrolled: 1-line block ×7, first 2 shown]
	v_mov_b32_e32 v255, 5
	s_waitcnt vmcnt(4)
	v_mov_b64_e32 v[0:1], v[82:83]
	v_mov_b64_e32 v[2:3], v[84:85]
	;; [unrolled: 1-line block ×8, first 2 shown]
	s_waitcnt vmcnt(2)
	v_mov_b32_e32 v16, v98
	v_mov_b32_e32 v82, v42
	;; [unrolled: 1-line block ×6, first 2 shown]
	ds_write2_b32 v254, v6, v7 offset0:6 offset1:7
	ds_write2_b32 v254, v8, v9 offset0:8 offset1:9
	;; [unrolled: 1-line block ×7, first 2 shown]
	ds_write_b32 v254, v253 offset:80
.LBB40_97:
	s_or_b64 exec, exec, s[0:1]
	v_cmp_lt_i32_e32 vcc, 5, v255
	s_waitcnt lgkmcnt(0)
	s_barrier
	s_and_saveexec_b64 s[0:1], vcc
	s_cbranch_execz .LBB40_99
; %bb.98:
	ds_read2_b32 v[0:1], v254 offset0:6 offset1:7
	ds_read2_b32 v[2:3], v254 offset0:8 offset1:9
	;; [unrolled: 1-line block ×3, first 2 shown]
	v_mul_f32_e32 v22, v71, v41
	ds_read2_b32 v[24:25], v254 offset0:12 offset1:13
	scratch_load_dwordx4 v[26:29], off, off ; 16-byte Folded Reload
	scratch_load_dwordx4 v[30:33], off, off offset:16 ; 16-byte Folded Reload
	scratch_load_dwordx4 v[34:37], off, off offset:32 ; 16-byte Folded Reload
	;; [unrolled: 1-line block ×7, first 2 shown]
	v_mov_b32_e32 v77, v22
	s_waitcnt vmcnt(3)
	v_mov_b64_e32 v[6:7], v[32:33]
	v_mov_b64_e32 v[8:9], v[34:35]
	;; [unrolled: 1-line block ×3, first 2 shown]
	s_waitcnt lgkmcnt(3)
	v_pk_fma_f32 v[78:79], v[22:23], v[0:1], v[6:7] op_sel_hi:[0,1,1] neg_lo:[1,0,0] neg_hi:[1,0,0]
	s_waitcnt vmcnt(1) lgkmcnt(2)
	v_pk_fma_f32 v[50:51], v[22:23], v[2:3], v[8:9] op_sel_hi:[0,1,1] neg_lo:[1,0,0] neg_hi:[1,0,0]
	s_waitcnt lgkmcnt(1)
	v_pk_fma_f32 v[142:143], v[22:23], v[4:5], v[10:11] op_sel_hi:[0,1,1] neg_lo:[1,0,0] neg_hi:[1,0,0]
	ds_read2_b32 v[0:1], v254 offset0:14 offset1:15
	ds_read2_b32 v[2:3], v254 offset0:16 offset1:17
	;; [unrolled: 1-line block ×3, first 2 shown]
	ds_read_b32 v6, v254 offset:80
	scratch_load_dwordx4 v[80:83], off, off offset:1928 ; 16-byte Folded Reload
	scratch_load_dwordx4 v[84:87], off, off offset:1944 ; 16-byte Folded Reload
	scratch_load_dwordx4 v[88:91], off, off offset:1960 ; 16-byte Folded Reload
	scratch_load_dwordx4 v[92:95], off, off offset:1976 ; 16-byte Folded Reload
	scratch_load_dwordx4 v[96:99], off, off offset:1992 ; 16-byte Folded Reload
	scratch_load_dwordx4 v[100:103], off, off offset:2008 ; 16-byte Folded Reload
	scratch_load_dwordx4 v[104:107], off, off offset:2024 ; 16-byte Folded Reload
	scratch_load_dwordx4 v[108:111], off, off offset:2040 ; 16-byte Folded Reload
	v_mov_b64_e32 v[12:13], v[38:39]
	v_mov_b64_e32 v[14:15], v[40:41]
	v_mov_b64_e32 v[16:17], v[42:43]
	v_mov_b64_e32 v[18:19], v[44:45]
	s_waitcnt lgkmcnt(4)
	v_pk_fma_f32 v[130:131], v[22:23], v[24:25], v[12:13] op_sel_hi:[0,1,1] neg_lo:[1,0,0] neg_hi:[1,0,0]
	s_waitcnt lgkmcnt(3)
	v_pk_fma_f32 v[116:117], v[22:23], v[0:1], v[14:15] op_sel_hi:[0,1,1] neg_lo:[1,0,0] neg_hi:[1,0,0]
	v_mov_b32_e32 v13, v22
	v_mov_b32_e32 v14, v78
	;; [unrolled: 1-line block ×3, first 2 shown]
	s_waitcnt lgkmcnt(2)
	v_pk_fma_f32 v[216:217], v[22:23], v[2:3], v[16:17] op_sel_hi:[0,1,1] neg_lo:[1,0,0] neg_hi:[1,0,0]
	s_waitcnt lgkmcnt(1)
	v_pk_fma_f32 v[40:41], v[22:23], v[4:5], v[18:19] op_sel_hi:[0,1,1] neg_lo:[1,0,0] neg_hi:[1,0,0]
	s_waitcnt vmcnt(6)
	v_mov_b32_e32 v85, v22
	v_mov_b32_e32 v48, v78
	;; [unrolled: 1-line block ×21, first 2 shown]
	s_waitcnt vmcnt(0)
	v_mov_b32_e32 v108, v78
	v_mov_b32_e32 v109, v79
	;; [unrolled: 1-line block ×29, first 2 shown]
	scratch_store_dwordx4 off, v[8:11], off offset:1536 ; 16-byte Folded Spill
	s_nop 0
	scratch_store_dwordx4 off, v[12:15], off offset:1552 ; 16-byte Folded Spill
	scratch_store_dwordx4 off, v[16:19], off offset:1568 ; 16-byte Folded Spill
	;; [unrolled: 1-line block ×7, first 2 shown]
	v_mov_b32_e32 v8, v80
	v_mov_b32_e32 v9, v81
	;; [unrolled: 1-line block ×47, first 2 shown]
	scratch_store_dwordx4 off, v[8:11], off offset:1280 ; 16-byte Folded Spill
	s_nop 0
	scratch_store_dwordx4 off, v[12:15], off offset:1296 ; 16-byte Folded Spill
	scratch_store_dwordx4 off, v[16:19], off offset:1312 ; 16-byte Folded Spill
	;; [unrolled: 1-line block ×7, first 2 shown]
	v_mov_b32_e32 v8, v80
	v_mov_b32_e32 v9, v81
	;; [unrolled: 1-line block ×12, first 2 shown]
	scratch_store_dwordx4 off, v[8:11], off offset:1024 ; 16-byte Folded Spill
	s_nop 0
	scratch_store_dwordx4 off, v[12:15], off offset:1040 ; 16-byte Folded Spill
	scratch_store_dwordx4 off, v[16:19], off offset:1056 ; 16-byte Folded Spill
	;; [unrolled: 1-line block ×7, first 2 shown]
	v_mov_b32_e32 v24, v80
	v_mov_b32_e32 v25, v81
	;; [unrolled: 1-line block ×22, first 2 shown]
	scratch_store_dwordx4 off, v[24:27], off offset:896 ; 16-byte Folded Spill
	s_nop 0
	scratch_store_dwordx4 off, v[28:31], off offset:912 ; 16-byte Folded Spill
	scratch_store_dwordx4 off, v[32:35], off offset:928 ; 16-byte Folded Spill
	;; [unrolled: 1-line block ×7, first 2 shown]
	v_mov_b32_e32 v57, v22
	v_mov_b32_e32 v107, v22
	v_mov_b32_e32 v52, v80
	v_mov_b32_e32 v53, v81
	v_mov_b32_e32 v54, v82
	v_mov_b32_e32 v55, v83
	v_mov_b32_e32 v123, v22
	v_mov_b32_e32 v155, v22
	v_mov_b32_e32 v205, v22
	v_mov_b32_e32 v27, v22
	s_waitcnt lgkmcnt(0)
	v_fma_f32 v20, -v22, v6, v253
	v_mov_b32_e32 v5, v22
	v_mov_b32_e32 v26, v84
	;; [unrolled: 1-line block ×13, first 2 shown]
	scratch_store_dwordx4 off, v[52:55], off offset:768 ; 16-byte Folded Spill
	s_nop 0
	scratch_store_dwordx4 off, v[56:59], off offset:784 ; 16-byte Folded Spill
	scratch_store_dwordx4 off, v[60:63], off offset:800 ; 16-byte Folded Spill
	;; [unrolled: 1-line block ×7, first 2 shown]
	v_mov_b32_e32 v110, v50
	v_mov_b32_e32 v111, v51
	v_mov_b32_e32 v8, v50
	v_mov_b32_e32 v9, v51
	v_mov_b32_e32 v18, v40
	v_mov_b32_e32 v19, v41
	v_mov_b32_e32 v158, v50
	v_mov_b32_e32 v159, v51
	v_mov_b32_e32 v208, v50
	v_mov_b32_e32 v209, v51
	v_mov_b32_e32 v30, v50
	v_mov_b32_e32 v31, v51
	v_mov_b32_e32 v252, v41
	v_mov_b32_e32 v22, v80
	v_mov_b32_e32 v23, v81
	v_mov_b32_e32 v24, v82
	v_mov_b32_e32 v25, v83
	v_mov_b32_e32 v0, v80
	v_mov_b32_e32 v1, v81
	v_mov_b32_e32 v2, v82
	v_mov_b32_e32 v3, v83
	scratch_store_dwordx4 off, v[80:83], off offset:1800 ; 16-byte Folded Spill
	s_nop 0
	scratch_store_dwordx4 off, v[84:87], off offset:1816 ; 16-byte Folded Spill
	scratch_store_dwordx4 off, v[88:91], off offset:1832 ; 16-byte Folded Spill
	;; [unrolled: 1-line block ×7, first 2 shown]
	v_mov_b32_e32 v6, v78
	v_mov_b32_e32 v7, v79
	v_mov_b64_e32 v[94:95], v[14:15]
	v_mov_b32_e32 v100, v20
	v_mov_b64_e32 v[92:93], v[12:13]
	v_mov_b64_e32 v[90:91], v[10:11]
	;; [unrolled: 1-line block ×7, first 2 shown]
	v_mov_b32_e32 v99, v19
	v_mov_b32_e32 v98, v18
	;; [unrolled: 1-line block ×7, first 2 shown]
	scratch_store_dwordx4 off, v[80:83], off ; 16-byte Folded Spill
	s_nop 0
	scratch_store_dwordx4 off, v[84:87], off offset:16 ; 16-byte Folded Spill
	scratch_store_dwordx4 off, v[88:91], off offset:32 ; 16-byte Folded Spill
	;; [unrolled: 1-line block ×8, first 2 shown]
	s_nop 0
	scratch_store_dwordx4 off, v[76:79], off offset:1680 ; 16-byte Folded Spill
	scratch_store_dwordx4 off, v[80:83], off offset:1696 ; 16-byte Folded Spill
	;; [unrolled: 1-line block ×8, first 2 shown]
	s_nop 0
	scratch_store_dwordx4 off, v[46:49], off offset:1424 ; 16-byte Folded Spill
	scratch_store_dwordx4 off, v[50:53], off offset:1440 ; 16-byte Folded Spill
	;; [unrolled: 1-line block ×7, first 2 shown]
	v_mov_b32_e32 v78, v142
	scratch_store_dwordx4 off, v[132:135], off offset:1152 ; 16-byte Folded Spill
	s_nop 0
	scratch_store_dwordx4 off, v[136:139], off offset:1168 ; 16-byte Folded Spill
	scratch_store_dwordx4 off, v[140:143], off offset:1184 ; 16-byte Folded Spill
	scratch_store_dwordx4 off, v[144:147], off offset:1200 ; 16-byte Folded Spill
	scratch_store_dwordx4 off, v[148:151], off offset:1216 ; 16-byte Folded Spill
	scratch_store_dwordx4 off, v[152:155], off offset:1232 ; 16-byte Folded Spill
	scratch_store_dwordx4 off, v[156:159], off offset:1248 ; 16-byte Folded Spill
	scratch_store_dwordx4 off, v[160:163], off offset:1264 ; 16-byte Folded Spill
	v_mov_b32_e32 v42, v216
	v_mov_b32_e32 v62, v130
	;; [unrolled: 1-line block ×6, first 2 shown]
	scratch_store_dwordx4 off, v[102:105], off offset:640 ; 16-byte Folded Spill
	s_nop 0
	scratch_store_dwordx4 off, v[106:109], off offset:656 ; 16-byte Folded Spill
	scratch_store_dwordx4 off, v[110:113], off offset:672 ; 16-byte Folded Spill
	;; [unrolled: 1-line block ×7, first 2 shown]
	v_mov_b32_e32 v75, v51
	v_mov_b32_e32 v74, v50
	scratch_store_dwordx4 off, v[26:29], off offset:384 ; 16-byte Folded Spill
	s_nop 0
	scratch_store_dwordx4 off, v[30:33], off offset:400 ; 16-byte Folded Spill
	scratch_store_dwordx4 off, v[34:37], off offset:416 ; 16-byte Folded Spill
	;; [unrolled: 1-line block ×8, first 2 shown]
	s_nop 0
	scratch_store_dwordx4 off, v[204:207], off offset:528 ; 16-byte Folded Spill
	scratch_store_dwordx4 off, v[208:211], off offset:544 ; 16-byte Folded Spill
	;; [unrolled: 1-line block ×7, first 2 shown]
	v_mov_b32_e32 v79, v143
	v_mov_b32_e32 v42, v40
	;; [unrolled: 1-line block ×4, first 2 shown]
	scratch_store_dwordx4 off, v[54:57], off offset:256 ; 16-byte Folded Spill
	s_nop 0
	scratch_store_dwordx4 off, v[58:61], off offset:272 ; 16-byte Folded Spill
	scratch_store_dwordx4 off, v[62:65], off offset:288 ; 16-byte Folded Spill
	;; [unrolled: 1-line block ×8, first 2 shown]
	s_nop 0
	scratch_store_dwordx4 off, v[28:31], off offset:144 ; 16-byte Folded Spill
	scratch_store_dwordx4 off, v[32:35], off offset:160 ; 16-byte Folded Spill
	;; [unrolled: 1-line block ×7, first 2 shown]
.LBB40_99:
	s_or_b64 exec, exec, s[0:1]
	v_lshl_add_u32 v41, v255, 2, v254
	s_waitcnt vmcnt(63) expcnt(7) lgkmcnt(15)
	s_barrier
	ds_write_b32 v41, v82
	s_waitcnt lgkmcnt(0)
	s_barrier
	ds_read_b32 v41, v254 offset:24
	s_cmp_lt_i32 s22, 8
	v_mov_b32_e32 v42, 6
	s_cbranch_scc1 .LBB40_102
; %bb.100:
	v_add3_u32 v43, v21, 0, 28
	v_mov_b32_e32 v42, 6
	s_mov_b32 s0, 7
.LBB40_101:                             ; =>This Inner Loop Header: Depth=1
	ds_read_b32 v44, v43
	v_mov_b32_e32 v45, s0
	s_add_i32 s0, s0, 1
	v_add_u32_e32 v43, 4, v43
	s_cmp_lg_u32 s22, s0
	s_waitcnt lgkmcnt(0)
	v_cmp_lt_f32_e64 vcc, |v41|, |v44|
	s_nop 1
	v_cndmask_b32_e32 v41, v41, v44, vcc
	v_cndmask_b32_e32 v42, v42, v45, vcc
	s_cbranch_scc1 .LBB40_101
.LBB40_102:
	s_waitcnt lgkmcnt(0)
	v_cmp_eq_f32_e32 vcc, 0, v41
	s_and_saveexec_b64 s[0:1], vcc
	s_xor_b64 s[0:1], exec, s[0:1]
; %bb.103:
	v_cmp_ne_u32_e32 vcc, 0, v250
	s_nop 1
	v_cndmask_b32_e32 v250, 7, v250, vcc
; %bb.104:
	s_andn2_saveexec_b64 s[0:1], s[0:1]
	s_cbranch_execz .LBB40_106
; %bb.105:
	v_div_scale_f32 v43, s[2:3], v41, v41, 1.0
	v_rcp_f32_e32 v44, v43
	v_div_scale_f32 v45, vcc, 1.0, v41, 1.0
	v_fma_f32 v46, -v43, v44, 1.0
	v_fmac_f32_e32 v44, v46, v44
	v_mul_f32_e32 v46, v45, v44
	v_fma_f32 v47, -v43, v46, v45
	v_fmac_f32_e32 v46, v47, v44
	v_fma_f32 v43, -v43, v46, v45
	v_div_fmas_f32 v43, v43, v44, v46
	v_div_fixup_f32 v41, v43, v41, 1.0
.LBB40_106:
	s_or_b64 exec, exec, s[0:1]
	v_cmp_ne_u32_e32 vcc, v255, v42
	s_and_saveexec_b64 s[0:1], vcc
	s_xor_b64 s[0:1], exec, s[0:1]
	s_cbranch_execz .LBB40_112
; %bb.107:
	v_cmp_eq_u32_e32 vcc, 6, v255
	s_and_saveexec_b64 s[2:3], vcc
	s_cbranch_execz .LBB40_111
; %bb.108:
	v_cmp_ne_u32_e32 vcc, 6, v42
	s_xor_b64 s[18:19], s[16:17], -1
	s_and_b64 s[20:21], s[18:19], vcc
	s_and_saveexec_b64 s[18:19], s[20:21]
	s_cbranch_execz .LBB40_110
; %bb.109:
	scratch_load_dwordx2 v[48:49], off, off offset:1792 ; 8-byte Folded Reload
	v_ashrrev_i32_e32 v43, 31, v42
	s_waitcnt vmcnt(0)
	v_lshl_add_u64 v[44:45], v[42:43], 2, v[48:49]
	global_load_dword v43, v[44:45], off
	global_load_dword v46, v[48:49], off offset:24
	s_waitcnt vmcnt(1)
	global_store_dword v[48:49], v43, off offset:24
	s_waitcnt vmcnt(1)
	global_store_dword v[44:45], v46, off
.LBB40_110:
	s_or_b64 exec, exec, s[18:19]
	v_mov_b32_e32 v251, v42
	v_mov_b32_e32 v255, v42
.LBB40_111:
	s_or_b64 exec, exec, s[2:3]
.LBB40_112:
	s_andn2_saveexec_b64 s[0:1], s[0:1]
	s_cbranch_execz .LBB40_114
; %bb.113:
	v_mov_b32_e32 v42, v82
	scratch_load_dwordx4 v[82:85], off, off ; 16-byte Folded Reload
	scratch_load_dwordx4 v[86:89], off, off offset:16 ; 16-byte Folded Reload
	scratch_load_dwordx4 v[90:93], off, off offset:32 ; 16-byte Folded Reload
	;; [unrolled: 1-line block ×7, first 2 shown]
	v_mov_b32_e32 v255, 6
	s_waitcnt vmcnt(4)
	v_mov_b64_e32 v[0:1], v[82:83]
	v_mov_b64_e32 v[2:3], v[84:85]
	;; [unrolled: 1-line block ×8, first 2 shown]
	s_waitcnt vmcnt(2)
	v_mov_b32_e32 v16, v98
	v_mov_b32_e32 v82, v42
	;; [unrolled: 1-line block ×6, first 2 shown]
	ds_write2_b32 v254, v7, v8 offset0:7 offset1:8
	ds_write2_b32 v254, v9, v10 offset0:9 offset1:10
	;; [unrolled: 1-line block ×7, first 2 shown]
.LBB40_114:
	s_or_b64 exec, exec, s[0:1]
	v_cmp_lt_i32_e32 vcc, 6, v255
	s_waitcnt lgkmcnt(0)
	s_barrier
	s_and_saveexec_b64 s[0:1], vcc
	s_cbranch_execz .LBB40_116
; %bb.115:
	v_mov_b32_e32 v6, v82
	scratch_load_dwordx4 v[72:75], off, off offset:1800 ; 16-byte Folded Reload
	scratch_load_dwordx4 v[76:79], off, off offset:1816 ; 16-byte Folded Reload
	;; [unrolled: 1-line block ×8, first 2 shown]
	s_waitcnt vmcnt(6)
	v_mul_f32_e32 v78, v6, v41
	ds_read2_b32 v[0:1], v254 offset0:7 offset1:8
	scratch_load_dwordx4 v[22:25], off, off ; 16-byte Folded Reload
	scratch_load_dwordx4 v[26:29], off, off offset:16 ; 16-byte Folded Reload
	scratch_load_dwordx4 v[30:33], off, off offset:32 ; 16-byte Folded Reload
	scratch_load_dwordx4 v[34:37], off, off offset:48 ; 16-byte Folded Reload
	scratch_load_dwordx4 v[38:41], off, off offset:64 ; 16-byte Folded Reload
	scratch_load_dwordx4 v[42:45], off, off offset:80 ; 16-byte Folded Reload
	scratch_load_dwordx4 v[46:49], off, off offset:96 ; 16-byte Folded Reload
	scratch_load_dwordx4 v[50:53], off, off offset:112 ; 16-byte Folded Reload
	v_mov_b32_e32 v124, v78
	v_mov_b32_e32 v156, v78
	;; [unrolled: 1-line block ×9, first 2 shown]
	s_waitcnt vmcnt(3)
	v_mov_b32_e32 v7, v29
	v_mov_b32_e32 v8, v30
	;; [unrolled: 1-line block ×3, first 2 shown]
	ds_read2_b32 v[4:5], v254 offset0:9 offset1:10
	ds_read2_b32 v[6:7], v254 offset0:11 offset1:12
	;; [unrolled: 1-line block ×3, first 2 shown]
	v_mov_b32_e32 v9, v31
	v_mov_b32_e32 v10, v32
	s_waitcnt vmcnt(2)
	v_mov_b32_e32 v19, v41
	v_mov_b32_e32 v3, v8
	;; [unrolled: 1-line block ×5, first 2 shown]
	s_waitcnt lgkmcnt(3)
	v_pk_fma_f32 v[42:43], v[78:79], v[0:1], v[2:3] op_sel_hi:[0,1,1] neg_lo:[1,0,0] neg_hi:[1,0,0]
	v_mov_b32_e32 v0, v9
	v_mov_b32_e32 v1, v10
	;; [unrolled: 1-line block ×4, first 2 shown]
	s_waitcnt lgkmcnt(2)
	v_pk_fma_f32 v[44:45], v[78:79], v[4:5], v[0:1] op_sel_hi:[0,1,1] neg_lo:[1,0,0] neg_hi:[1,0,0]
	v_mov_b32_e32 v0, v11
	v_mov_b32_e32 v1, v12
	s_waitcnt vmcnt(1) lgkmcnt(1)
	v_pk_fma_f32 v[46:47], v[78:79], v[6:7], v[0:1] op_sel_hi:[0,1,1] neg_lo:[1,0,0] neg_hi:[1,0,0]
	v_mov_b32_e32 v0, v13
	v_mov_b32_e32 v1, v14
	s_waitcnt lgkmcnt(0)
	v_pk_fma_f32 v[48:49], v[78:79], v[22:23], v[0:1] op_sel_hi:[0,1,1] neg_lo:[1,0,0] neg_hi:[1,0,0]
	ds_read2_b32 v[0:1], v254 offset0:15 offset1:16
	ds_read2_b32 v[4:5], v254 offset0:17 offset1:18
	;; [unrolled: 1-line block ×3, first 2 shown]
	v_mov_b32_e32 v15, v37
	v_mov_b32_e32 v16, v38
	;; [unrolled: 1-line block ×6, first 2 shown]
	s_waitcnt vmcnt(0) lgkmcnt(2)
	v_pk_fma_f32 v[50:51], v[78:79], v[0:1], v[2:3] op_sel_hi:[0,1,1] neg_lo:[1,0,0] neg_hi:[1,0,0]
	v_mov_b32_e32 v0, v17
	v_mov_b32_e32 v1, v18
	s_waitcnt lgkmcnt(1)
	v_pk_fma_f32 v[52:53], v[78:79], v[4:5], v[0:1] op_sel_hi:[0,1,1] neg_lo:[1,0,0] neg_hi:[1,0,0]
	v_mov_b32_e32 v0, v19
	v_mov_b32_e32 v1, v20
	s_waitcnt lgkmcnt(0)
	v_pk_fma_f32 v[252:253], v[78:79], v[6:7], v[0:1] op_sel_hi:[0,1,1] neg_lo:[1,0,0] neg_hi:[1,0,0]
	v_mov_b32_e32 v0, v72
	v_mov_b32_e32 v1, v73
	;; [unrolled: 1-line block ×9, first 2 shown]
	scratch_store_dwordx4 off, v[0:3], off offset:1408 ; 16-byte Folded Spill
	s_nop 0
	scratch_store_dwordx4 off, v[4:7], off offset:1424 ; 16-byte Folded Spill
	scratch_store_dwordx4 off, v[8:11], off offset:1440 ; 16-byte Folded Spill
	;; [unrolled: 1-line block ×7, first 2 shown]
	v_mov_b32_e32 v7, v42
	v_mov_b32_e32 v9, v44
	;; [unrolled: 1-line block ×35, first 2 shown]
	scratch_store_dwordx4 off, v[0:3], off offset:1280 ; 16-byte Folded Spill
	s_nop 0
	scratch_store_dwordx4 off, v[4:7], off offset:1296 ; 16-byte Folded Spill
	scratch_store_dwordx4 off, v[8:11], off offset:1312 ; 16-byte Folded Spill
	;; [unrolled: 1-line block ×7, first 2 shown]
	v_mov_b32_e32 v7, v42
	v_mov_b32_e32 v8, v43
	v_mov_b32_e32 v10, v45
	scratch_store_dwordx4 off, v[0:3], off offset:1152 ; 16-byte Folded Spill
	s_nop 0
	scratch_store_dwordx4 off, v[4:7], off offset:1168 ; 16-byte Folded Spill
	scratch_store_dwordx4 off, v[8:11], off offset:1184 ; 16-byte Folded Spill
	;; [unrolled: 1-line block ×7, first 2 shown]
	v_mov_b32_e32 v7, v42
	v_mov_b32_e32 v8, v43
	v_mov_b32_e32 v9, v44
	v_mov_b32_e32 v11, v46
	scratch_store_dwordx4 off, v[0:3], off offset:1024 ; 16-byte Folded Spill
	s_nop 0
	scratch_store_dwordx4 off, v[4:7], off offset:1040 ; 16-byte Folded Spill
	scratch_store_dwordx4 off, v[8:11], off offset:1056 ; 16-byte Folded Spill
	;; [unrolled: 1-line block ×7, first 2 shown]
	v_mov_b32_e32 v7, v42
	v_mov_b32_e32 v8, v43
	;; [unrolled: 1-line block ×6, first 2 shown]
	scratch_store_dwordx4 off, v[0:3], off offset:896 ; 16-byte Folded Spill
	s_nop 0
	scratch_store_dwordx4 off, v[4:7], off offset:912 ; 16-byte Folded Spill
	scratch_store_dwordx4 off, v[8:11], off offset:928 ; 16-byte Folded Spill
	;; [unrolled: 1-line block ×7, first 2 shown]
	v_mov_b32_e32 v7, v42
	v_mov_b32_e32 v8, v43
	;; [unrolled: 1-line block ×7, first 2 shown]
	scratch_store_dwordx4 off, v[0:3], off offset:640 ; 16-byte Folded Spill
	s_nop 0
	scratch_store_dwordx4 off, v[4:7], off offset:656 ; 16-byte Folded Spill
	scratch_store_dwordx4 off, v[8:11], off offset:672 ; 16-byte Folded Spill
	;; [unrolled: 1-line block ×7, first 2 shown]
	v_mov_b32_e32 v7, v42
	v_mov_b32_e32 v8, v43
	;; [unrolled: 1-line block ×9, first 2 shown]
	scratch_store_dwordx4 off, v[0:3], off offset:512 ; 16-byte Folded Spill
	s_nop 0
	scratch_store_dwordx4 off, v[4:7], off offset:528 ; 16-byte Folded Spill
	scratch_store_dwordx4 off, v[8:11], off offset:544 ; 16-byte Folded Spill
	;; [unrolled: 1-line block ×7, first 2 shown]
	v_mov_b32_e32 v7, v42
	v_mov_b32_e32 v8, v43
	;; [unrolled: 1-line block ×10, first 2 shown]
	scratch_store_dwordx4 off, v[0:3], off offset:768 ; 16-byte Folded Spill
	s_nop 0
	scratch_store_dwordx4 off, v[4:7], off offset:784 ; 16-byte Folded Spill
	scratch_store_dwordx4 off, v[8:11], off offset:800 ; 16-byte Folded Spill
	;; [unrolled: 1-line block ×7, first 2 shown]
	v_mov_b32_e32 v22, v72
	v_mov_b32_e32 v23, v73
	;; [unrolled: 1-line block ×24, first 2 shown]
	scratch_store_dwordx4 off, v[0:3], off  ; 16-byte Folded Spill
	s_nop 0
	scratch_store_dwordx4 off, v[4:7], off offset:16 ; 16-byte Folded Spill
	scratch_store_dwordx4 off, v[8:11], off offset:32 ; 16-byte Folded Spill
	;; [unrolled: 1-line block ×8, first 2 shown]
	s_nop 0
	scratch_store_dwordx4 off, v[76:79], off offset:1552 ; 16-byte Folded Spill
	scratch_store_dwordx4 off, v[80:83], off offset:1568 ; 16-byte Folded Spill
	;; [unrolled: 1-line block ×8, first 2 shown]
	s_nop 0
	scratch_store_dwordx4 off, v[76:79], off offset:1680 ; 16-byte Folded Spill
	scratch_store_dwordx4 off, v[80:83], off offset:1696 ; 16-byte Folded Spill
	;; [unrolled: 1-line block ×7, first 2 shown]
	v_mov_b32_e32 v74, v43
	v_mov_b32_e32 v75, v44
	;; [unrolled: 1-line block ×6, first 2 shown]
	scratch_store_dwordx4 off, v[26:29], off offset:384 ; 16-byte Folded Spill
	s_nop 0
	scratch_store_dwordx4 off, v[30:33], off offset:400 ; 16-byte Folded Spill
	scratch_store_dwordx4 off, v[34:37], off offset:416 ; 16-byte Folded Spill
	;; [unrolled: 1-line block ×7, first 2 shown]
	v_mov_b32_e32 v41, v52
	scratch_store_dwordx4 off, v[24:27], off offset:256 ; 16-byte Folded Spill
	s_nop 0
	scratch_store_dwordx4 off, v[28:31], off offset:272 ; 16-byte Folded Spill
	scratch_store_dwordx4 off, v[32:35], off offset:288 ; 16-byte Folded Spill
	;; [unrolled: 1-line block ×7, first 2 shown]
	v_mov_b32_e32 v42, v53
	scratch_store_dwordx4 off, v[24:27], off offset:128 ; 16-byte Folded Spill
	s_nop 0
	scratch_store_dwordx4 off, v[28:31], off offset:144 ; 16-byte Folded Spill
	scratch_store_dwordx4 off, v[32:35], off offset:160 ; 16-byte Folded Spill
	;; [unrolled: 1-line block ×7, first 2 shown]
.LBB40_116:
	s_or_b64 exec, exec, s[0:1]
	v_lshl_add_u32 v41, v255, 2, v254
	s_waitcnt vmcnt(63) expcnt(7) lgkmcnt(15)
	s_barrier
	ds_write_b32 v41, v135
	s_waitcnt lgkmcnt(0)
	s_barrier
	ds_read_b32 v41, v254 offset:28
	s_cmp_lt_i32 s22, 9
	v_mov_b32_e32 v42, 7
	s_cbranch_scc1 .LBB40_119
; %bb.117:
	v_add3_u32 v43, v21, 0, 32
	v_mov_b32_e32 v42, 7
	s_mov_b32 s0, 8
.LBB40_118:                             ; =>This Inner Loop Header: Depth=1
	ds_read_b32 v44, v43
	v_mov_b32_e32 v45, s0
	s_add_i32 s0, s0, 1
	v_add_u32_e32 v43, 4, v43
	s_cmp_lg_u32 s22, s0
	s_waitcnt lgkmcnt(0)
	v_cmp_lt_f32_e64 vcc, |v41|, |v44|
	s_nop 1
	v_cndmask_b32_e32 v41, v41, v44, vcc
	v_cndmask_b32_e32 v42, v42, v45, vcc
	s_cbranch_scc1 .LBB40_118
.LBB40_119:
	s_waitcnt lgkmcnt(0)
	v_cmp_eq_f32_e32 vcc, 0, v41
	s_and_saveexec_b64 s[0:1], vcc
	s_xor_b64 s[0:1], exec, s[0:1]
; %bb.120:
	v_cmp_ne_u32_e32 vcc, 0, v250
	s_nop 1
	v_cndmask_b32_e32 v250, 8, v250, vcc
; %bb.121:
	s_andn2_saveexec_b64 s[0:1], s[0:1]
	s_cbranch_execz .LBB40_123
; %bb.122:
	v_div_scale_f32 v43, s[2:3], v41, v41, 1.0
	v_rcp_f32_e32 v44, v43
	v_div_scale_f32 v45, vcc, 1.0, v41, 1.0
	v_fma_f32 v46, -v43, v44, 1.0
	v_fmac_f32_e32 v44, v46, v44
	v_mul_f32_e32 v46, v45, v44
	v_fma_f32 v47, -v43, v46, v45
	v_fmac_f32_e32 v46, v47, v44
	v_fma_f32 v43, -v43, v46, v45
	v_div_fmas_f32 v43, v43, v44, v46
	v_div_fixup_f32 v41, v43, v41, 1.0
.LBB40_123:
	s_or_b64 exec, exec, s[0:1]
	v_cmp_ne_u32_e32 vcc, v255, v42
	s_and_saveexec_b64 s[0:1], vcc
	s_xor_b64 s[0:1], exec, s[0:1]
	s_cbranch_execz .LBB40_129
; %bb.124:
	v_cmp_eq_u32_e32 vcc, 7, v255
	s_and_saveexec_b64 s[2:3], vcc
	s_cbranch_execz .LBB40_128
; %bb.125:
	v_cmp_ne_u32_e32 vcc, 7, v42
	s_xor_b64 s[18:19], s[16:17], -1
	s_and_b64 s[20:21], s[18:19], vcc
	s_and_saveexec_b64 s[18:19], s[20:21]
	s_cbranch_execz .LBB40_127
; %bb.126:
	scratch_load_dwordx2 v[48:49], off, off offset:1792 ; 8-byte Folded Reload
	v_ashrrev_i32_e32 v43, 31, v42
	s_waitcnt vmcnt(0)
	v_lshl_add_u64 v[44:45], v[42:43], 2, v[48:49]
	global_load_dword v43, v[44:45], off
	global_load_dword v46, v[48:49], off offset:28
	s_waitcnt vmcnt(1)
	global_store_dword v[48:49], v43, off offset:28
	s_waitcnt vmcnt(1)
	global_store_dword v[44:45], v46, off
.LBB40_127:
	s_or_b64 exec, exec, s[18:19]
	v_mov_b32_e32 v251, v42
	v_mov_b32_e32 v255, v42
.LBB40_128:
	s_or_b64 exec, exec, s[2:3]
.LBB40_129:
	s_andn2_saveexec_b64 s[0:1], s[0:1]
	s_cbranch_execz .LBB40_131
; %bb.130:
	scratch_load_dwordx4 v[82:85], off, off ; 16-byte Folded Reload
	scratch_load_dwordx4 v[86:89], off, off offset:16 ; 16-byte Folded Reload
	scratch_load_dwordx4 v[90:93], off, off offset:32 ; 16-byte Folded Reload
	;; [unrolled: 1-line block ×7, first 2 shown]
	v_mov_b32_e32 v255, 7
	s_waitcnt vmcnt(4)
	v_mov_b64_e32 v[0:1], v[82:83]
	v_mov_b64_e32 v[8:9], v[90:91]
	s_waitcnt vmcnt(2)
	v_mov_b32_e32 v16, v98
	v_mov_b64_e32 v[2:3], v[84:85]
	v_mov_b64_e32 v[4:5], v[86:87]
	;; [unrolled: 1-line block ×6, first 2 shown]
	v_mov_b32_e32 v17, v99
	v_mov_b32_e32 v18, v100
	;; [unrolled: 1-line block ×4, first 2 shown]
	ds_write2_b32 v254, v8, v9 offset0:8 offset1:9
	ds_write2_b32 v254, v10, v11 offset0:10 offset1:11
	;; [unrolled: 1-line block ×6, first 2 shown]
	ds_write_b32 v254, v253 offset:80
.LBB40_131:
	s_or_b64 exec, exec, s[0:1]
	v_cmp_lt_i32_e32 vcc, 7, v255
	s_waitcnt lgkmcnt(0)
	s_barrier
	s_and_saveexec_b64 s[0:1], vcc
	s_cbranch_execz .LBB40_133
; %bb.132:
	ds_read2_b32 v[0:1], v254 offset0:8 offset1:9
	ds_read2_b32 v[2:3], v254 offset0:10 offset1:11
	v_mul_f32_e32 v4, v135, v41
	ds_read2_b32 v[6:7], v254 offset0:12 offset1:13
	ds_read2_b32 v[22:23], v254 offset0:14 offset1:15
	scratch_load_dwordx4 v[24:27], off, off ; 16-byte Folded Reload
	scratch_load_dwordx4 v[28:31], off, off offset:16 ; 16-byte Folded Reload
	scratch_load_dwordx4 v[32:35], off, off offset:32 ; 16-byte Folded Reload
	scratch_load_dwordx4 v[36:39], off, off offset:48 ; 16-byte Folded Reload
	scratch_load_dwordx4 v[40:43], off, off offset:64 ; 16-byte Folded Reload
	scratch_load_dwordx4 v[44:47], off, off offset:80 ; 16-byte Folded Reload
	scratch_load_dwordx4 v[48:51], off, off offset:96 ; 16-byte Folded Reload
	scratch_load_dwordx4 v[52:55], off, off offset:112 ; 16-byte Folded Reload
	v_mov_b32_e32 v101, v4
	s_waitcnt vmcnt(1)
	v_mov_b32_e32 v49, v4
	v_mov_b32_e32 v173, v4
	;; [unrolled: 1-line block ×6, first 2 shown]
	v_mov_b64_e32 v[8:9], v[32:33]
	v_mov_b64_e32 v[10:11], v[34:35]
	;; [unrolled: 1-line block ×4, first 2 shown]
	s_waitcnt lgkmcnt(3)
	v_pk_fma_f32 v[50:51], v[4:5], v[0:1], v[8:9] op_sel_hi:[0,1,1] neg_lo:[1,0,0] neg_hi:[1,0,0]
	s_waitcnt lgkmcnt(2)
	v_pk_fma_f32 v[176:177], v[4:5], v[2:3], v[10:11] op_sel_hi:[0,1,1] neg_lo:[1,0,0] neg_hi:[1,0,0]
	ds_read2_b32 v[0:1], v254 offset0:16 offset1:17
	ds_read2_b32 v[2:3], v254 offset0:18 offset1:19
	s_waitcnt lgkmcnt(3)
	v_pk_fma_f32 v[130:131], v[4:5], v[6:7], v[12:13] op_sel_hi:[0,1,1] neg_lo:[1,0,0] neg_hi:[1,0,0]
	s_waitcnt lgkmcnt(2)
	v_pk_fma_f32 v[116:117], v[4:5], v[22:23], v[14:15] op_sel_hi:[0,1,1] neg_lo:[1,0,0] neg_hi:[1,0,0]
	ds_read_b32 v5, v254 offset:80
	scratch_load_dwordx4 v[132:135], off, off offset:1664 ; 16-byte Folded Reload
	scratch_load_dwordx4 v[136:139], off, off offset:1680 ; 16-byte Folded Reload
	;; [unrolled: 1-line block ×8, first 2 shown]
	v_mov_b64_e32 v[16:17], v[40:41]
	v_mov_b64_e32 v[18:19], v[42:43]
	v_mov_b32_e32 v13, v4
	v_mov_b32_e32 v14, v50
	;; [unrolled: 1-line block ×3, first 2 shown]
	s_waitcnt lgkmcnt(0)
	v_pk_fma_f32 v[216:217], v[4:5], v[0:1], v[16:17] op_sel_hi:[0,1,1] neg_lo:[1,0,0] neg_hi:[1,0,0]
	v_pk_fma_f32 v[40:41], v[4:5], v[2:3], v[18:19] op_sel_hi:[0,1,1] neg_lo:[1,0,0] neg_hi:[1,0,0]
	s_waitcnt vmcnt(1)
	v_mov_b32_e32 v157, v4
	v_fma_f32 v92, -v4, v5, v253
	v_mov_b32_e32 v88, v216
	v_mov_b32_e32 v80, v50
	v_mov_b32_e32 v81, v51
	v_mov_b32_e32 v82, v176
	v_mov_b32_e32 v83, v177
	v_mov_b32_e32 v84, v130
	v_mov_b32_e32 v85, v131
	v_mov_b32_e32 v86, v116
	v_mov_b32_e32 v87, v117
	v_mov_b32_e32 v89, v217
	v_mov_b32_e32 v90, v40
	v_mov_b32_e32 v91, v41
	v_mov_b32_e32 v110, v50
	v_mov_b32_e32 v111, v51
	v_mov_b32_e32 v112, v176
	v_mov_b32_e32 v113, v177
	v_mov_b32_e32 v114, v130
	v_mov_b32_e32 v115, v131
	v_mov_b32_e32 v174, v50
	v_mov_b32_e32 v175, v51
	v_mov_b32_e32 v126, v50
	v_mov_b32_e32 v127, v51
	v_mov_b32_e32 v158, v50
	v_mov_b32_e32 v159, v51
	v_mov_b32_e32 v164, v116
	v_mov_b32_e32 v165, v117
	v_mov_b32_e32 v208, v50
	v_mov_b32_e32 v209, v51
	v_mov_b32_e32 v214, v116
	v_mov_b32_e32 v215, v117
	v_mov_b32_e32 v128, v176
	v_mov_b32_e32 v129, v177
	v_mov_b32_e32 v210, v176
	v_mov_b32_e32 v211, v177
	v_mov_b32_e32 v212, v130
	v_mov_b32_e32 v213, v131
	v_mov_b32_e32 v38, v216
	v_mov_b32_e32 v39, v217
	s_waitcnt vmcnt(0)
	v_mov_b32_e32 v160, v176
	v_mov_b32_e32 v161, v177
	;; [unrolled: 1-line block ×20, first 2 shown]
	scratch_store_dwordx4 off, v[6:9], off offset:1280 ; 16-byte Folded Spill
	s_nop 0
	scratch_store_dwordx4 off, v[10:13], off offset:1296 ; 16-byte Folded Spill
	scratch_store_dwordx4 off, v[14:17], off offset:1312 ; 16-byte Folded Spill
	scratch_store_dwordx4 off, v[18:21], off offset:1328 ; 16-byte Folded Spill
	scratch_store_dwordx4 off, v[22:25], off offset:1344 ; 16-byte Folded Spill
	scratch_store_dwordx4 off, v[26:29], off offset:1360 ; 16-byte Folded Spill
	scratch_store_dwordx4 off, v[30:33], off offset:1376 ; 16-byte Folded Spill
	scratch_store_dwordx4 off, v[34:37], off offset:1392 ; 16-byte Folded Spill
	v_mov_b32_e32 v8, v96
	v_mov_b32_e32 v9, v97
	;; [unrolled: 1-line block ×50, first 2 shown]
	scratch_store_dwordx4 off, v[6:9], off offset:1024 ; 16-byte Folded Spill
	s_nop 0
	scratch_store_dwordx4 off, v[10:13], off offset:1040 ; 16-byte Folded Spill
	scratch_store_dwordx4 off, v[14:17], off offset:1056 ; 16-byte Folded Spill
	;; [unrolled: 1-line block ×7, first 2 shown]
	v_mov_b32_e32 v8, v96
	v_mov_b32_e32 v9, v97
	;; [unrolled: 1-line block ×24, first 2 shown]
	scratch_store_dwordx4 off, v[6:9], off offset:896 ; 16-byte Folded Spill
	s_nop 0
	scratch_store_dwordx4 off, v[10:13], off offset:912 ; 16-byte Folded Spill
	scratch_store_dwordx4 off, v[14:17], off offset:928 ; 16-byte Folded Spill
	;; [unrolled: 1-line block ×7, first 2 shown]
	v_mov_b32_e32 v29, v4
	v_mov_b32_e32 v7, v4
	;; [unrolled: 1-line block ×20, first 2 shown]
	scratch_store_dwordx4 off, v[0:3], off offset:768 ; 16-byte Folded Spill
	s_nop 0
	scratch_store_dwordx4 off, v[4:7], off offset:784 ; 16-byte Folded Spill
	scratch_store_dwordx4 off, v[8:11], off offset:800 ; 16-byte Folded Spill
	;; [unrolled: 1-line block ×7, first 2 shown]
	v_mov_b64_e32 v[0:1], v[72:73]
	v_mov_b32_e32 v16, v88
	v_mov_b32_e32 v22, v94
	;; [unrolled: 1-line block ×10, first 2 shown]
	v_mov_b64_e32 v[2:3], v[74:75]
	v_mov_b64_e32 v[4:5], v[76:77]
	;; [unrolled: 1-line block ×7, first 2 shown]
	v_mov_b32_e32 v17, v89
	v_mov_b32_e32 v18, v90
	;; [unrolled: 1-line block ×4, first 2 shown]
	scratch_store_dwordx4 off, v[94:97], off offset:1536 ; 16-byte Folded Spill
	s_nop 0
	scratch_store_dwordx4 off, v[98:101], off offset:1552 ; 16-byte Folded Spill
	scratch_store_dwordx4 off, v[102:105], off offset:1568 ; 16-byte Folded Spill
	;; [unrolled: 1-line block ×7, first 2 shown]
	v_mov_b32_e32 v78, v176
	scratch_store_dwordx4 off, v[0:3], off  ; 16-byte Folded Spill
	s_nop 0
	scratch_store_dwordx4 off, v[4:7], off offset:16 ; 16-byte Folded Spill
	scratch_store_dwordx4 off, v[8:11], off offset:32 ; 16-byte Folded Spill
	;; [unrolled: 1-line block ×8, first 2 shown]
	s_nop 0
	scratch_store_dwordx4 off, v[46:49], off offset:1424 ; 16-byte Folded Spill
	scratch_store_dwordx4 off, v[50:53], off offset:1440 ; 16-byte Folded Spill
	;; [unrolled: 1-line block ×7, first 2 shown]
	v_mov_b32_e32 v42, v216
	scratch_store_dwordx4 off, v[166:169], off offset:1152 ; 16-byte Folded Spill
	s_nop 0
	scratch_store_dwordx4 off, v[170:173], off offset:1168 ; 16-byte Folded Spill
	scratch_store_dwordx4 off, v[174:177], off offset:1184 ; 16-byte Folded Spill
	;; [unrolled: 1-line block ×7, first 2 shown]
	v_mov_b32_e32 v62, v130
	v_mov_b32_e32 v67, v131
	;; [unrolled: 1-line block ×3, first 2 shown]
	scratch_store_dwordx4 off, v[102:105], off offset:640 ; 16-byte Folded Spill
	s_nop 0
	scratch_store_dwordx4 off, v[106:109], off offset:656 ; 16-byte Folded Spill
	scratch_store_dwordx4 off, v[110:113], off offset:672 ; 16-byte Folded Spill
	;; [unrolled: 1-line block ×7, first 2 shown]
	v_mov_b32_e32 v75, v51
	v_mov_b32_e32 v74, v50
	scratch_store_dwordx4 off, v[26:29], off offset:384 ; 16-byte Folded Spill
	s_nop 0
	scratch_store_dwordx4 off, v[30:33], off offset:400 ; 16-byte Folded Spill
	scratch_store_dwordx4 off, v[34:37], off offset:416 ; 16-byte Folded Spill
	;; [unrolled: 1-line block ×8, first 2 shown]
	s_nop 0
	scratch_store_dwordx4 off, v[204:207], off offset:528 ; 16-byte Folded Spill
	scratch_store_dwordx4 off, v[208:211], off offset:544 ; 16-byte Folded Spill
	;; [unrolled: 1-line block ×7, first 2 shown]
	v_mov_b32_e32 v79, v177
	v_mov_b32_e32 v77, v117
	;; [unrolled: 1-line block ×4, first 2 shown]
	scratch_store_dwordx4 off, v[54:57], off offset:256 ; 16-byte Folded Spill
	s_nop 0
	scratch_store_dwordx4 off, v[58:61], off offset:272 ; 16-byte Folded Spill
	scratch_store_dwordx4 off, v[62:65], off offset:288 ; 16-byte Folded Spill
	;; [unrolled: 1-line block ×8, first 2 shown]
	s_nop 0
	scratch_store_dwordx4 off, v[28:31], off offset:144 ; 16-byte Folded Spill
	scratch_store_dwordx4 off, v[32:35], off offset:160 ; 16-byte Folded Spill
	;; [unrolled: 1-line block ×7, first 2 shown]
.LBB40_133:
	s_or_b64 exec, exec, s[0:1]
	v_lshl_add_u32 v41, v255, 2, v254
	s_waitcnt vmcnt(63) expcnt(7) lgkmcnt(15)
	s_barrier
	ds_write_b32 v41, v74
	s_waitcnt lgkmcnt(0)
	s_barrier
	ds_read_b32 v41, v254 offset:32
	s_cmp_lt_i32 s22, 10
	v_mov_b32_e32 v42, 8
	s_cbranch_scc1 .LBB40_136
; %bb.134:
	v_add3_u32 v43, v21, 0, 36
	v_mov_b32_e32 v42, 8
	s_mov_b32 s0, 9
.LBB40_135:                             ; =>This Inner Loop Header: Depth=1
	ds_read_b32 v44, v43
	v_mov_b32_e32 v45, s0
	s_add_i32 s0, s0, 1
	v_add_u32_e32 v43, 4, v43
	s_cmp_lg_u32 s22, s0
	s_waitcnt lgkmcnt(0)
	v_cmp_lt_f32_e64 vcc, |v41|, |v44|
	s_nop 1
	v_cndmask_b32_e32 v41, v41, v44, vcc
	v_cndmask_b32_e32 v42, v42, v45, vcc
	s_cbranch_scc1 .LBB40_135
.LBB40_136:
	s_waitcnt lgkmcnt(0)
	v_cmp_eq_f32_e32 vcc, 0, v41
	s_and_saveexec_b64 s[0:1], vcc
	s_xor_b64 s[0:1], exec, s[0:1]
; %bb.137:
	v_cmp_ne_u32_e32 vcc, 0, v250
	s_nop 1
	v_cndmask_b32_e32 v250, 9, v250, vcc
; %bb.138:
	s_andn2_saveexec_b64 s[0:1], s[0:1]
	s_cbranch_execz .LBB40_140
; %bb.139:
	v_div_scale_f32 v43, s[2:3], v41, v41, 1.0
	v_rcp_f32_e32 v44, v43
	v_div_scale_f32 v45, vcc, 1.0, v41, 1.0
	v_fma_f32 v46, -v43, v44, 1.0
	v_fmac_f32_e32 v44, v46, v44
	v_mul_f32_e32 v46, v45, v44
	v_fma_f32 v47, -v43, v46, v45
	v_fmac_f32_e32 v46, v47, v44
	v_fma_f32 v43, -v43, v46, v45
	v_div_fmas_f32 v43, v43, v44, v46
	v_div_fixup_f32 v41, v43, v41, 1.0
.LBB40_140:
	s_or_b64 exec, exec, s[0:1]
	v_cmp_ne_u32_e32 vcc, v255, v42
	s_and_saveexec_b64 s[0:1], vcc
	s_xor_b64 s[0:1], exec, s[0:1]
	s_cbranch_execz .LBB40_146
; %bb.141:
	v_cmp_eq_u32_e32 vcc, 8, v255
	s_and_saveexec_b64 s[2:3], vcc
	s_cbranch_execz .LBB40_145
; %bb.142:
	v_cmp_ne_u32_e32 vcc, 8, v42
	s_xor_b64 s[18:19], s[16:17], -1
	s_and_b64 s[20:21], s[18:19], vcc
	s_and_saveexec_b64 s[18:19], s[20:21]
	s_cbranch_execz .LBB40_144
; %bb.143:
	scratch_load_dwordx2 v[48:49], off, off offset:1792 ; 8-byte Folded Reload
	v_ashrrev_i32_e32 v43, 31, v42
	s_waitcnt vmcnt(0)
	v_lshl_add_u64 v[44:45], v[42:43], 2, v[48:49]
	global_load_dword v43, v[44:45], off
	global_load_dword v46, v[48:49], off offset:32
	s_waitcnt vmcnt(1)
	global_store_dword v[48:49], v43, off offset:32
	s_waitcnt vmcnt(1)
	global_store_dword v[44:45], v46, off
.LBB40_144:
	s_or_b64 exec, exec, s[18:19]
	v_mov_b32_e32 v251, v42
	v_mov_b32_e32 v255, v42
.LBB40_145:
	s_or_b64 exec, exec, s[2:3]
.LBB40_146:
	s_andn2_saveexec_b64 s[0:1], s[0:1]
	s_cbranch_execz .LBB40_148
; %bb.147:
	scratch_load_dwordx4 v[82:85], off, off ; 16-byte Folded Reload
	scratch_load_dwordx4 v[86:89], off, off offset:16 ; 16-byte Folded Reload
	scratch_load_dwordx4 v[90:93], off, off offset:32 ; 16-byte Folded Reload
	;; [unrolled: 1-line block ×7, first 2 shown]
	v_mov_b32_e32 v255, 8
	s_waitcnt vmcnt(4)
	v_mov_b64_e32 v[0:1], v[82:83]
	v_mov_b64_e32 v[8:9], v[90:91]
	;; [unrolled: 1-line block ×3, first 2 shown]
	s_waitcnt vmcnt(2)
	v_mov_b32_e32 v16, v98
	v_mov_b64_e32 v[2:3], v[84:85]
	v_mov_b64_e32 v[4:5], v[86:87]
	;; [unrolled: 1-line block ×5, first 2 shown]
	v_mov_b32_e32 v17, v99
	v_mov_b32_e32 v18, v100
	;; [unrolled: 1-line block ×4, first 2 shown]
	ds_write2_b32 v254, v9, v10 offset0:9 offset1:10
	ds_write2_b32 v254, v11, v12 offset0:11 offset1:12
	;; [unrolled: 1-line block ×6, first 2 shown]
.LBB40_148:
	s_or_b64 exec, exec, s[0:1]
	v_cmp_lt_i32_e32 vcc, 8, v255
	s_waitcnt lgkmcnt(0)
	s_barrier
	s_and_saveexec_b64 s[0:1], vcc
	s_cbranch_execz .LBB40_150
; %bb.149:
	v_mov_b32_e32 v8, v74
	scratch_load_dwordx4 v[72:75], off, off offset:1536 ; 16-byte Folded Reload
	scratch_load_dwordx4 v[76:79], off, off offset:1552 ; 16-byte Folded Reload
	;; [unrolled: 1-line block ×8, first 2 shown]
	s_waitcnt vmcnt(5)
	v_mul_f32_e32 v80, v8, v41
	ds_read2_b32 v[0:1], v254 offset0:9 offset1:10
	scratch_load_dwordx4 v[22:25], off, off ; 16-byte Folded Reload
	scratch_load_dwordx4 v[26:29], off, off offset:16 ; 16-byte Folded Reload
	scratch_load_dwordx4 v[30:33], off, off offset:32 ; 16-byte Folded Reload
	;; [unrolled: 1-line block ×7, first 2 shown]
	v_mov_b32_e32 v126, v80
	v_mov_b32_e32 v158, v80
	;; [unrolled: 1-line block ×10, first 2 shown]
	s_waitcnt vmcnt(2)
	v_mov_b32_e32 v9, v31
	v_mov_b32_e32 v10, v32
	v_mov_b32_e32 v2, v9
	ds_read2_b32 v[4:5], v254 offset0:11 offset1:12
	ds_read2_b32 v[6:7], v254 offset0:13 offset1:14
	;; [unrolled: 1-line block ×3, first 2 shown]
	v_mov_b32_e32 v11, v33
	v_mov_b32_e32 v12, v34
	;; [unrolled: 1-line block ×11, first 2 shown]
	s_waitcnt lgkmcnt(3)
	v_pk_fma_f32 v[42:43], v[80:81], v[0:1], v[2:3] op_sel_hi:[0,1,1] neg_lo:[1,0,0] neg_hi:[1,0,0]
	v_mov_b32_e32 v0, v11
	v_mov_b32_e32 v1, v12
	ds_read2_b32 v[2:3], v254 offset0:17 offset1:18
	s_waitcnt lgkmcnt(3)
	v_pk_fma_f32 v[44:45], v[80:81], v[4:5], v[0:1] op_sel_hi:[0,1,1] neg_lo:[1,0,0] neg_hi:[1,0,0]
	ds_read2_b32 v[4:5], v254 offset0:19 offset1:20
	v_mov_b32_e32 v0, v13
	v_mov_b32_e32 v1, v14
	s_waitcnt vmcnt(1) lgkmcnt(3)
	v_pk_fma_f32 v[46:47], v[80:81], v[6:7], v[0:1] op_sel_hi:[0,1,1] neg_lo:[1,0,0] neg_hi:[1,0,0]
	v_mov_b32_e32 v0, v15
	v_mov_b32_e32 v1, v16
	s_waitcnt lgkmcnt(2)
	v_pk_fma_f32 v[48:49], v[80:81], v[8:9], v[0:1] op_sel_hi:[0,1,1] neg_lo:[1,0,0] neg_hi:[1,0,0]
	v_mov_b32_e32 v0, v17
	v_mov_b32_e32 v1, v18
	s_waitcnt vmcnt(0) lgkmcnt(1)
	v_pk_fma_f32 v[50:51], v[80:81], v[2:3], v[0:1] op_sel_hi:[0,1,1] neg_lo:[1,0,0] neg_hi:[1,0,0]
	v_mov_b32_e32 v0, v19
	v_mov_b32_e32 v1, v20
	s_waitcnt lgkmcnt(0)
	v_pk_fma_f32 v[252:253], v[80:81], v[4:5], v[0:1] op_sel_hi:[0,1,1] neg_lo:[1,0,0] neg_hi:[1,0,0]
	v_mov_b32_e32 v0, v72
	v_mov_b32_e32 v1, v73
	;; [unrolled: 1-line block ×11, first 2 shown]
	scratch_store_dwordx4 off, v[0:3], off offset:1152 ; 16-byte Folded Spill
	s_nop 0
	scratch_store_dwordx4 off, v[4:7], off offset:1168 ; 16-byte Folded Spill
	scratch_store_dwordx4 off, v[8:11], off offset:1184 ; 16-byte Folded Spill
	;; [unrolled: 1-line block ×7, first 2 shown]
	v_mov_b32_e32 v9, v42
	v_mov_b32_e32 v11, v44
	;; [unrolled: 1-line block ×33, first 2 shown]
	scratch_store_dwordx4 off, v[0:3], off offset:1024 ; 16-byte Folded Spill
	s_nop 0
	scratch_store_dwordx4 off, v[4:7], off offset:1040 ; 16-byte Folded Spill
	scratch_store_dwordx4 off, v[8:11], off offset:1056 ; 16-byte Folded Spill
	;; [unrolled: 1-line block ×7, first 2 shown]
	v_mov_b32_e32 v9, v42
	v_mov_b32_e32 v10, v43
	;; [unrolled: 1-line block ×4, first 2 shown]
	scratch_store_dwordx4 off, v[0:3], off offset:896 ; 16-byte Folded Spill
	s_nop 0
	scratch_store_dwordx4 off, v[4:7], off offset:912 ; 16-byte Folded Spill
	scratch_store_dwordx4 off, v[8:11], off offset:928 ; 16-byte Folded Spill
	;; [unrolled: 1-line block ×7, first 2 shown]
	v_mov_b32_e32 v9, v42
	v_mov_b32_e32 v10, v43
	;; [unrolled: 1-line block ×5, first 2 shown]
	scratch_store_dwordx4 off, v[0:3], off offset:640 ; 16-byte Folded Spill
	s_nop 0
	scratch_store_dwordx4 off, v[4:7], off offset:656 ; 16-byte Folded Spill
	scratch_store_dwordx4 off, v[8:11], off offset:672 ; 16-byte Folded Spill
	;; [unrolled: 1-line block ×7, first 2 shown]
	v_mov_b32_e32 v9, v42
	v_mov_b32_e32 v10, v43
	;; [unrolled: 1-line block ×7, first 2 shown]
	scratch_store_dwordx4 off, v[0:3], off offset:512 ; 16-byte Folded Spill
	s_nop 0
	scratch_store_dwordx4 off, v[4:7], off offset:528 ; 16-byte Folded Spill
	scratch_store_dwordx4 off, v[8:11], off offset:544 ; 16-byte Folded Spill
	;; [unrolled: 1-line block ×7, first 2 shown]
	v_mov_b32_e32 v9, v42
	v_mov_b32_e32 v10, v43
	;; [unrolled: 1-line block ×8, first 2 shown]
	scratch_store_dwordx4 off, v[0:3], off offset:768 ; 16-byte Folded Spill
	s_nop 0
	scratch_store_dwordx4 off, v[4:7], off offset:784 ; 16-byte Folded Spill
	scratch_store_dwordx4 off, v[8:11], off offset:800 ; 16-byte Folded Spill
	;; [unrolled: 1-line block ×7, first 2 shown]
	v_mov_b32_e32 v22, v72
	v_mov_b32_e32 v23, v73
	;; [unrolled: 1-line block ×21, first 2 shown]
	scratch_store_dwordx4 off, v[0:3], off  ; 16-byte Folded Spill
	s_nop 0
	scratch_store_dwordx4 off, v[4:7], off offset:16 ; 16-byte Folded Spill
	scratch_store_dwordx4 off, v[8:11], off offset:32 ; 16-byte Folded Spill
	;; [unrolled: 1-line block ×8, first 2 shown]
	s_nop 0
	scratch_store_dwordx4 off, v[76:79], off offset:1296 ; 16-byte Folded Spill
	scratch_store_dwordx4 off, v[80:83], off offset:1312 ; 16-byte Folded Spill
	;; [unrolled: 1-line block ×8, first 2 shown]
	s_nop 0
	scratch_store_dwordx4 off, v[76:79], off offset:1424 ; 16-byte Folded Spill
	scratch_store_dwordx4 off, v[80:83], off offset:1440 ; 16-byte Folded Spill
	scratch_store_dwordx4 off, v[84:87], off offset:1456 ; 16-byte Folded Spill
	scratch_store_dwordx4 off, v[88:91], off offset:1472 ; 16-byte Folded Spill
	scratch_store_dwordx4 off, v[92:95], off offset:1488 ; 16-byte Folded Spill
	scratch_store_dwordx4 off, v[96:99], off offset:1504 ; 16-byte Folded Spill
	scratch_store_dwordx4 off, v[100:103], off offset:1520 ; 16-byte Folded Spill
	v_mov_b32_e32 v75, v42
	v_mov_b32_e32 v42, v49
	;; [unrolled: 1-line block ×6, first 2 shown]
	scratch_store_dwordx4 off, v[26:29], off offset:384 ; 16-byte Folded Spill
	s_nop 0
	scratch_store_dwordx4 off, v[30:33], off offset:400 ; 16-byte Folded Spill
	scratch_store_dwordx4 off, v[34:37], off offset:416 ; 16-byte Folded Spill
	;; [unrolled: 1-line block ×7, first 2 shown]
	v_mov_b32_e32 v41, v50
	scratch_store_dwordx4 off, v[24:27], off offset:256 ; 16-byte Folded Spill
	s_nop 0
	scratch_store_dwordx4 off, v[28:31], off offset:272 ; 16-byte Folded Spill
	scratch_store_dwordx4 off, v[32:35], off offset:288 ; 16-byte Folded Spill
	;; [unrolled: 1-line block ×7, first 2 shown]
	v_mov_b32_e32 v42, v51
	scratch_store_dwordx4 off, v[24:27], off offset:128 ; 16-byte Folded Spill
	s_nop 0
	scratch_store_dwordx4 off, v[28:31], off offset:144 ; 16-byte Folded Spill
	scratch_store_dwordx4 off, v[32:35], off offset:160 ; 16-byte Folded Spill
	;; [unrolled: 1-line block ×7, first 2 shown]
.LBB40_150:
	s_or_b64 exec, exec, s[0:1]
	v_lshl_add_u32 v41, v255, 2, v254
	s_waitcnt vmcnt(63) expcnt(7) lgkmcnt(15)
	s_barrier
	ds_write_b32 v41, v75
	s_waitcnt lgkmcnt(0)
	s_barrier
	ds_read_b32 v41, v254 offset:36
	s_cmp_lt_i32 s22, 11
	v_mov_b32_e32 v42, 9
	s_cbranch_scc1 .LBB40_153
; %bb.151:
	v_add3_u32 v43, v21, 0, 40
	v_mov_b32_e32 v42, 9
	s_mov_b32 s0, 10
.LBB40_152:                             ; =>This Inner Loop Header: Depth=1
	ds_read_b32 v44, v43
	v_mov_b32_e32 v45, s0
	s_add_i32 s0, s0, 1
	v_add_u32_e32 v43, 4, v43
	s_cmp_lg_u32 s22, s0
	s_waitcnt lgkmcnt(0)
	v_cmp_lt_f32_e64 vcc, |v41|, |v44|
	s_nop 1
	v_cndmask_b32_e32 v41, v41, v44, vcc
	v_cndmask_b32_e32 v42, v42, v45, vcc
	s_cbranch_scc1 .LBB40_152
.LBB40_153:
	s_waitcnt lgkmcnt(0)
	v_cmp_eq_f32_e32 vcc, 0, v41
	s_and_saveexec_b64 s[0:1], vcc
	s_xor_b64 s[0:1], exec, s[0:1]
; %bb.154:
	v_cmp_ne_u32_e32 vcc, 0, v250
	s_nop 1
	v_cndmask_b32_e32 v250, 10, v250, vcc
; %bb.155:
	s_andn2_saveexec_b64 s[0:1], s[0:1]
	s_cbranch_execz .LBB40_157
; %bb.156:
	v_div_scale_f32 v43, s[2:3], v41, v41, 1.0
	v_rcp_f32_e32 v44, v43
	v_div_scale_f32 v45, vcc, 1.0, v41, 1.0
	v_fma_f32 v46, -v43, v44, 1.0
	v_fmac_f32_e32 v44, v46, v44
	v_mul_f32_e32 v46, v45, v44
	v_fma_f32 v47, -v43, v46, v45
	v_fmac_f32_e32 v46, v47, v44
	v_fma_f32 v43, -v43, v46, v45
	v_div_fmas_f32 v43, v43, v44, v46
	v_div_fixup_f32 v41, v43, v41, 1.0
.LBB40_157:
	s_or_b64 exec, exec, s[0:1]
	v_cmp_ne_u32_e32 vcc, v255, v42
	s_and_saveexec_b64 s[0:1], vcc
	s_xor_b64 s[0:1], exec, s[0:1]
	s_cbranch_execz .LBB40_163
; %bb.158:
	v_cmp_eq_u32_e32 vcc, 9, v255
	s_and_saveexec_b64 s[2:3], vcc
	s_cbranch_execz .LBB40_162
; %bb.159:
	v_cmp_ne_u32_e32 vcc, 9, v42
	s_xor_b64 s[18:19], s[16:17], -1
	s_and_b64 s[20:21], s[18:19], vcc
	s_and_saveexec_b64 s[18:19], s[20:21]
	s_cbranch_execz .LBB40_161
; %bb.160:
	scratch_load_dwordx2 v[48:49], off, off offset:1792 ; 8-byte Folded Reload
	v_ashrrev_i32_e32 v43, 31, v42
	s_waitcnt vmcnt(0)
	v_lshl_add_u64 v[44:45], v[42:43], 2, v[48:49]
	global_load_dword v43, v[44:45], off
	global_load_dword v46, v[48:49], off offset:36
	s_waitcnt vmcnt(1)
	global_store_dword v[48:49], v43, off offset:36
	s_waitcnt vmcnt(1)
	global_store_dword v[44:45], v46, off
.LBB40_161:
	s_or_b64 exec, exec, s[18:19]
	v_mov_b32_e32 v251, v42
	v_mov_b32_e32 v255, v42
.LBB40_162:
	s_or_b64 exec, exec, s[2:3]
.LBB40_163:
	s_andn2_saveexec_b64 s[0:1], s[0:1]
	s_cbranch_execz .LBB40_165
; %bb.164:
	scratch_load_dwordx4 v[82:85], off, off ; 16-byte Folded Reload
	scratch_load_dwordx4 v[86:89], off, off offset:16 ; 16-byte Folded Reload
	scratch_load_dwordx4 v[90:93], off, off offset:32 ; 16-byte Folded Reload
	;; [unrolled: 1-line block ×7, first 2 shown]
	v_mov_b32_e32 v255, 9
	s_waitcnt vmcnt(4)
	v_mov_b64_e32 v[0:1], v[82:83]
	v_mov_b64_e32 v[10:11], v[92:93]
	s_waitcnt vmcnt(2)
	v_mov_b32_e32 v16, v98
	v_mov_b64_e32 v[2:3], v[84:85]
	v_mov_b64_e32 v[4:5], v[86:87]
	;; [unrolled: 1-line block ×6, first 2 shown]
	v_mov_b32_e32 v17, v99
	v_mov_b32_e32 v18, v100
	;; [unrolled: 1-line block ×4, first 2 shown]
	ds_write2_b32 v254, v10, v11 offset0:10 offset1:11
	ds_write2_b32 v254, v12, v13 offset0:12 offset1:13
	ds_write2_b32 v254, v14, v15 offset0:14 offset1:15
	ds_write2_b32 v254, v16, v17 offset0:16 offset1:17
	ds_write2_b32 v254, v18, v19 offset0:18 offset1:19
	ds_write_b32 v254, v253 offset:80
.LBB40_165:
	s_or_b64 exec, exec, s[0:1]
	v_cmp_lt_i32_e32 vcc, 9, v255
	s_waitcnt lgkmcnt(0)
	s_barrier
	s_and_saveexec_b64 s[0:1], vcc
	s_cbranch_execz .LBB40_167
; %bb.166:
	ds_read2_b32 v[0:1], v254 offset0:10 offset1:11
	v_mul_f32_e32 v2, v75, v41
	ds_read2_b32 v[4:5], v254 offset0:12 offset1:13
	ds_read2_b32 v[6:7], v254 offset0:14 offset1:15
	;; [unrolled: 1-line block ×3, first 2 shown]
	scratch_load_dwordx4 v[22:25], off, off ; 16-byte Folded Reload
	scratch_load_dwordx4 v[26:29], off, off offset:16 ; 16-byte Folded Reload
	scratch_load_dwordx4 v[30:33], off, off offset:32 ; 16-byte Folded Reload
	;; [unrolled: 1-line block ×7, first 2 shown]
	v_mov_b32_e32 v61, v2
	s_waitcnt vmcnt(0)
	v_mov_b32_e32 v51, v2
	v_mov_b32_e32 v175, v2
	;; [unrolled: 1-line block ×5, first 2 shown]
	v_mov_b64_e32 v[10:11], v[32:33]
	v_mov_b64_e32 v[12:13], v[34:35]
	v_mov_b64_e32 v[14:15], v[36:37]
	v_mov_b64_e32 v[16:17], v[38:39]
	s_waitcnt lgkmcnt(3)
	v_pk_fma_f32 v[176:177], v[2:3], v[0:1], v[10:11] op_sel_hi:[0,1,1] neg_lo:[1,0,0] neg_hi:[1,0,0]
	ds_read2_b32 v[0:1], v254 offset0:18 offset1:19
	s_waitcnt lgkmcnt(3)
	v_pk_fma_f32 v[130:131], v[2:3], v[4:5], v[12:13] op_sel_hi:[0,1,1] neg_lo:[1,0,0] neg_hi:[1,0,0]
	s_waitcnt lgkmcnt(2)
	v_pk_fma_f32 v[108:109], v[2:3], v[6:7], v[14:15] op_sel_hi:[0,1,1] neg_lo:[1,0,0] neg_hi:[1,0,0]
	;; [unrolled: 2-line block ×3, first 2 shown]
	ds_read_b32 v3, v254 offset:80
	scratch_load_dwordx4 v[132:135], off, off offset:1408 ; 16-byte Folded Reload
	scratch_load_dwordx4 v[136:139], off, off offset:1424 ; 16-byte Folded Reload
	;; [unrolled: 1-line block ×8, first 2 shown]
	v_mov_b64_e32 v[18:19], v[40:41]
	v_mov_b32_e32 v13, v2
	v_mov_b32_e32 v14, v176
	;; [unrolled: 1-line block ×3, first 2 shown]
	s_waitcnt lgkmcnt(0)
	v_pk_fma_f32 v[40:41], v[2:3], v[0:1], v[18:19] op_sel_hi:[0,1,1] neg_lo:[1,0,0] neg_hi:[1,0,0]
	v_mov_b32_e32 v62, v176
	v_mov_b32_e32 v63, v177
	;; [unrolled: 1-line block ×8, first 2 shown]
	s_waitcnt vmcnt(1)
	v_mov_b32_e32 v159, v2
	v_mov_b32_e32 v104, v176
	;; [unrolled: 1-line block ×17, first 2 shown]
	s_waitcnt vmcnt(0)
	v_mov_b32_e32 v160, v176
	v_mov_b32_e32 v161, v177
	;; [unrolled: 1-line block ×25, first 2 shown]
	scratch_store_dwordx4 off, v[4:7], off offset:1024 ; 16-byte Folded Spill
	s_nop 0
	scratch_store_dwordx4 off, v[8:11], off offset:1040 ; 16-byte Folded Spill
	scratch_store_dwordx4 off, v[12:15], off offset:1056 ; 16-byte Folded Spill
	scratch_store_dwordx4 off, v[16:19], off offset:1072 ; 16-byte Folded Spill
	scratch_store_dwordx4 off, v[20:23], off offset:1088 ; 16-byte Folded Spill
	scratch_store_dwordx4 off, v[24:27], off offset:1104 ; 16-byte Folded Spill
	scratch_store_dwordx4 off, v[28:31], off offset:1120 ; 16-byte Folded Spill
	scratch_store_dwordx4 off, v[32:35], off offset:1136 ; 16-byte Folded Spill
	v_mov_b32_e32 v10, v48
	v_mov_b32_e32 v11, v49
	;; [unrolled: 1-line block ×46, first 2 shown]
	scratch_store_dwordx4 off, v[4:7], off offset:896 ; 16-byte Folded Spill
	s_nop 0
	scratch_store_dwordx4 off, v[8:11], off offset:912 ; 16-byte Folded Spill
	scratch_store_dwordx4 off, v[12:15], off offset:928 ; 16-byte Folded Spill
	;; [unrolled: 1-line block ×8, first 2 shown]
	s_nop 0
	scratch_store_dwordx4 off, v[56:59], off offset:784 ; 16-byte Folded Spill
	scratch_store_dwordx4 off, v[60:63], off offset:800 ; 16-byte Folded Spill
	;; [unrolled: 1-line block ×7, first 2 shown]
	v_mov_b32_e32 v153, v45
	v_mov_b32_e32 v154, v46
	;; [unrolled: 1-line block ×16, first 2 shown]
	v_fma_f32 v20, -v2, v3, v253
	v_mov_b32_e32 v9, v2
	v_mov_b32_e32 v22, v42
	;; [unrolled: 1-line block ×28, first 2 shown]
	scratch_store_dwordx4 off, v[42:45], off offset:1280 ; 16-byte Folded Spill
	s_nop 0
	scratch_store_dwordx4 off, v[46:49], off offset:1296 ; 16-byte Folded Spill
	scratch_store_dwordx4 off, v[50:53], off offset:1312 ; 16-byte Folded Spill
	;; [unrolled: 1-line block ×7, first 2 shown]
	v_mov_b32_e32 v19, v41
	v_mov_b64_e32 v[86:87], v[14:15]
	v_mov_b32_e32 v92, v20
	v_mov_b64_e32 v[84:85], v[12:13]
	v_mov_b64_e32 v[82:83], v[10:11]
	;; [unrolled: 1-line block ×7, first 2 shown]
	v_mov_b32_e32 v91, v19
	v_mov_b32_e32 v90, v18
	;; [unrolled: 1-line block ×4, first 2 shown]
	scratch_store_dwordx4 off, v[72:75], off ; 16-byte Folded Spill
	s_nop 0
	scratch_store_dwordx4 off, v[76:79], off offset:16 ; 16-byte Folded Spill
	scratch_store_dwordx4 off, v[80:83], off offset:32 ; 16-byte Folded Spill
	;; [unrolled: 1-line block ×7, first 2 shown]
	v_mov_b32_e32 v32, v176
	v_mov_b32_e32 v33, v177
	;; [unrolled: 1-line block ×6, first 2 shown]
	scratch_store_dwordx4 off, v[166:169], off offset:1152 ; 16-byte Folded Spill
	s_nop 0
	scratch_store_dwordx4 off, v[170:173], off offset:1168 ; 16-byte Folded Spill
	scratch_store_dwordx4 off, v[174:177], off offset:1184 ; 16-byte Folded Spill
	;; [unrolled: 1-line block ×7, first 2 shown]
	v_mov_b32_e32 v76, v108
	v_mov_b32_e32 v62, v130
	;; [unrolled: 1-line block ×4, first 2 shown]
	scratch_store_dwordx4 off, v[94:97], off offset:640 ; 16-byte Folded Spill
	s_nop 0
	scratch_store_dwordx4 off, v[98:101], off offset:656 ; 16-byte Folded Spill
	scratch_store_dwordx4 off, v[102:105], off offset:672 ; 16-byte Folded Spill
	scratch_store_dwordx4 off, v[106:109], off offset:688 ; 16-byte Folded Spill
	scratch_store_dwordx4 off, v[110:113], off offset:704 ; 16-byte Folded Spill
	scratch_store_dwordx4 off, v[114:117], off offset:720 ; 16-byte Folded Spill
	scratch_store_dwordx4 off, v[118:121], off offset:736 ; 16-byte Folded Spill
	scratch_store_dwordx4 off, v[122:125], off offset:752 ; 16-byte Folded Spill
	scratch_store_dwordx4 off, v[26:29], off offset:384 ; 16-byte Folded Spill
	s_nop 0
	scratch_store_dwordx4 off, v[30:33], off offset:400 ; 16-byte Folded Spill
	scratch_store_dwordx4 off, v[34:37], off offset:416 ; 16-byte Folded Spill
	scratch_store_dwordx4 off, v[38:41], off offset:432 ; 16-byte Folded Spill
	scratch_store_dwordx4 off, v[42:45], off offset:448 ; 16-byte Folded Spill
	scratch_store_dwordx4 off, v[46:49], off offset:464 ; 16-byte Folded Spill
	scratch_store_dwordx4 off, v[50:53], off offset:480 ; 16-byte Folded Spill
	scratch_store_dwordx4 off, v[54:57], off offset:496 ; 16-byte Folded Spill
	;; [unrolled: 9-line block ×3, first 2 shown]
	v_mov_b32_e32 v79, v177
	v_mov_b32_e32 v42, v40
	;; [unrolled: 1-line block ×4, first 2 shown]
	scratch_store_dwordx4 off, v[54:57], off offset:256 ; 16-byte Folded Spill
	s_nop 0
	scratch_store_dwordx4 off, v[58:61], off offset:272 ; 16-byte Folded Spill
	scratch_store_dwordx4 off, v[62:65], off offset:288 ; 16-byte Folded Spill
	;; [unrolled: 1-line block ×8, first 2 shown]
	s_nop 0
	scratch_store_dwordx4 off, v[28:31], off offset:144 ; 16-byte Folded Spill
	scratch_store_dwordx4 off, v[32:35], off offset:160 ; 16-byte Folded Spill
	;; [unrolled: 1-line block ×7, first 2 shown]
.LBB40_167:
	s_or_b64 exec, exec, s[0:1]
	v_lshl_add_u32 v41, v255, 2, v254
	s_waitcnt vmcnt(63) expcnt(7) lgkmcnt(15)
	s_barrier
	ds_write_b32 v41, v78
	s_waitcnt lgkmcnt(0)
	s_barrier
	ds_read_b32 v41, v254 offset:40
	s_cmp_lt_i32 s22, 12
	v_mov_b32_e32 v42, 10
	s_cbranch_scc1 .LBB40_170
; %bb.168:
	v_add3_u32 v43, v21, 0, 44
	v_mov_b32_e32 v42, 10
	s_mov_b32 s0, 11
.LBB40_169:                             ; =>This Inner Loop Header: Depth=1
	ds_read_b32 v44, v43
	v_mov_b32_e32 v45, s0
	s_add_i32 s0, s0, 1
	v_add_u32_e32 v43, 4, v43
	s_cmp_lg_u32 s22, s0
	s_waitcnt lgkmcnt(0)
	v_cmp_lt_f32_e64 vcc, |v41|, |v44|
	s_nop 1
	v_cndmask_b32_e32 v41, v41, v44, vcc
	v_cndmask_b32_e32 v42, v42, v45, vcc
	s_cbranch_scc1 .LBB40_169
.LBB40_170:
	s_waitcnt lgkmcnt(0)
	v_cmp_eq_f32_e32 vcc, 0, v41
	s_and_saveexec_b64 s[0:1], vcc
	s_xor_b64 s[0:1], exec, s[0:1]
; %bb.171:
	v_cmp_ne_u32_e32 vcc, 0, v250
	s_nop 1
	v_cndmask_b32_e32 v250, 11, v250, vcc
; %bb.172:
	s_andn2_saveexec_b64 s[0:1], s[0:1]
	s_cbranch_execz .LBB40_174
; %bb.173:
	v_div_scale_f32 v43, s[2:3], v41, v41, 1.0
	v_rcp_f32_e32 v44, v43
	v_div_scale_f32 v45, vcc, 1.0, v41, 1.0
	v_fma_f32 v46, -v43, v44, 1.0
	v_fmac_f32_e32 v44, v46, v44
	v_mul_f32_e32 v46, v45, v44
	v_fma_f32 v47, -v43, v46, v45
	v_fmac_f32_e32 v46, v47, v44
	v_fma_f32 v43, -v43, v46, v45
	v_div_fmas_f32 v43, v43, v44, v46
	v_div_fixup_f32 v41, v43, v41, 1.0
.LBB40_174:
	s_or_b64 exec, exec, s[0:1]
	v_cmp_ne_u32_e32 vcc, v255, v42
	s_and_saveexec_b64 s[0:1], vcc
	s_xor_b64 s[0:1], exec, s[0:1]
	s_cbranch_execz .LBB40_180
; %bb.175:
	v_cmp_eq_u32_e32 vcc, 10, v255
	s_and_saveexec_b64 s[2:3], vcc
	s_cbranch_execz .LBB40_179
; %bb.176:
	v_cmp_ne_u32_e32 vcc, 10, v42
	s_xor_b64 s[18:19], s[16:17], -1
	s_and_b64 s[20:21], s[18:19], vcc
	s_and_saveexec_b64 s[18:19], s[20:21]
	s_cbranch_execz .LBB40_178
; %bb.177:
	scratch_load_dwordx2 v[48:49], off, off offset:1792 ; 8-byte Folded Reload
	v_ashrrev_i32_e32 v43, 31, v42
	s_waitcnt vmcnt(0)
	v_lshl_add_u64 v[44:45], v[42:43], 2, v[48:49]
	global_load_dword v43, v[44:45], off
	global_load_dword v46, v[48:49], off offset:40
	s_waitcnt vmcnt(1)
	global_store_dword v[48:49], v43, off offset:40
	s_waitcnt vmcnt(1)
	global_store_dword v[44:45], v46, off
.LBB40_178:
	s_or_b64 exec, exec, s[18:19]
	v_mov_b32_e32 v251, v42
	v_mov_b32_e32 v255, v42
.LBB40_179:
	s_or_b64 exec, exec, s[2:3]
.LBB40_180:
	s_andn2_saveexec_b64 s[0:1], s[0:1]
	s_cbranch_execz .LBB40_182
; %bb.181:
	scratch_load_dwordx4 v[82:85], off, off ; 16-byte Folded Reload
	scratch_load_dwordx4 v[86:89], off, off offset:16 ; 16-byte Folded Reload
	scratch_load_dwordx4 v[90:93], off, off offset:32 ; 16-byte Folded Reload
	;; [unrolled: 1-line block ×7, first 2 shown]
	v_mov_b32_e32 v255, 10
	s_waitcnt vmcnt(4)
	v_mov_b64_e32 v[0:1], v[82:83]
	v_mov_b64_e32 v[10:11], v[92:93]
	;; [unrolled: 1-line block ×3, first 2 shown]
	s_waitcnt vmcnt(2)
	v_mov_b32_e32 v16, v98
	v_mov_b64_e32 v[2:3], v[84:85]
	v_mov_b64_e32 v[4:5], v[86:87]
	;; [unrolled: 1-line block ×5, first 2 shown]
	v_mov_b32_e32 v17, v99
	v_mov_b32_e32 v18, v100
	;; [unrolled: 1-line block ×4, first 2 shown]
	ds_write2_b32 v254, v11, v12 offset0:11 offset1:12
	ds_write2_b32 v254, v13, v14 offset0:13 offset1:14
	;; [unrolled: 1-line block ×5, first 2 shown]
.LBB40_182:
	s_or_b64 exec, exec, s[0:1]
	v_cmp_lt_i32_e32 vcc, 10, v255
	s_waitcnt lgkmcnt(0)
	s_barrier
	s_and_saveexec_b64 s[0:1], vcc
	s_cbranch_execz .LBB40_184
; %bb.183:
	scratch_load_dwordx4 v[214:217], off, off offset:1280 ; 16-byte Folded Reload
	scratch_load_dwordx4 v[218:221], off, off offset:1296 ; 16-byte Folded Reload
	;; [unrolled: 1-line block ×8, first 2 shown]
	s_waitcnt vmcnt(5)
	v_mul_f32_e32 v224, v78, v41
	ds_read2_b32 v[0:1], v254 offset0:11 offset1:12
	scratch_load_dwordx4 v[22:25], off, off ; 16-byte Folded Reload
	scratch_load_dwordx4 v[26:29], off, off offset:16 ; 16-byte Folded Reload
	scratch_load_dwordx4 v[30:33], off, off offset:32 ; 16-byte Folded Reload
	;; [unrolled: 1-line block ×7, first 2 shown]
	ds_read2_b32 v[4:5], v254 offset0:13 offset1:14
	ds_read2_b32 v[6:7], v254 offset0:15 offset1:16
	;; [unrolled: 1-line block ×3, first 2 shown]
	v_mov_b32_e32 v10, v224
	v_mov_b32_e32 v128, v224
	;; [unrolled: 1-line block ×3, first 2 shown]
	s_waitcnt vmcnt(5)
	v_mov_b32_e32 v32, v224
	v_mov_b32_e32 v118, v214
	;; [unrolled: 1-line block ×9, first 2 shown]
	s_waitcnt vmcnt(2)
	v_mov_b32_e32 v11, v33
	v_mov_b32_e32 v12, v34
	;; [unrolled: 1-line block ×12, first 2 shown]
	s_waitcnt lgkmcnt(3)
	v_pk_fma_f32 v[42:43], v[224:225], v[0:1], v[2:3] op_sel_hi:[0,1,1] neg_lo:[1,0,0] neg_hi:[1,0,0]
	ds_read2_b32 v[2:3], v254 offset0:19 offset1:20
	v_mov_b32_e32 v0, v13
	v_mov_b32_e32 v1, v14
	s_waitcnt lgkmcnt(3)
	v_pk_fma_f32 v[44:45], v[224:225], v[4:5], v[0:1] op_sel_hi:[0,1,1] neg_lo:[1,0,0] neg_hi:[1,0,0]
	v_mov_b32_e32 v0, v15
	v_mov_b32_e32 v1, v16
	s_waitcnt vmcnt(1) lgkmcnt(2)
	v_pk_fma_f32 v[46:47], v[224:225], v[6:7], v[0:1] op_sel_hi:[0,1,1] neg_lo:[1,0,0] neg_hi:[1,0,0]
	v_mov_b32_e32 v0, v17
	v_mov_b32_e32 v1, v18
	s_waitcnt lgkmcnt(1)
	v_pk_fma_f32 v[48:49], v[224:225], v[8:9], v[0:1] op_sel_hi:[0,1,1] neg_lo:[1,0,0] neg_hi:[1,0,0]
	v_mov_b32_e32 v0, v19
	v_mov_b32_e32 v1, v20
	s_waitcnt lgkmcnt(0)
	v_pk_fma_f32 v[252:253], v[224:225], v[2:3], v[0:1] op_sel_hi:[0,1,1] neg_lo:[1,0,0] neg_hi:[1,0,0]
	v_mov_b32_e32 v0, v214
	v_mov_b32_e32 v1, v215
	;; [unrolled: 1-line block ×13, first 2 shown]
	scratch_store_dwordx4 off, v[0:3], off offset:896 ; 16-byte Folded Spill
	s_nop 0
	scratch_store_dwordx4 off, v[4:7], off offset:912 ; 16-byte Folded Spill
	scratch_store_dwordx4 off, v[8:11], off offset:928 ; 16-byte Folded Spill
	;; [unrolled: 1-line block ×7, first 2 shown]
	v_mov_b32_e32 v11, v42
	v_mov_b32_e32 v12, v43
	v_mov_b32_e32 v14, v45
	v_mov_b32_e32 v225, v42
	v_mov_b32_e32 v126, v222
	v_mov_b32_e32 v127, v223
	v_mov_b32_e32 v150, v214
	v_mov_b32_e32 v151, v215
	v_mov_b32_e32 v152, v216
	v_mov_b32_e32 v153, v217
	v_mov_b32_e32 v154, v218
	v_mov_b32_e32 v155, v219
	v_mov_b32_e32 v156, v220
	v_mov_b32_e32 v157, v221
	v_mov_b32_e32 v158, v222
	v_mov_b32_e32 v159, v223
	v_mov_b32_e32 v129, v42
	v_mov_b32_e32 v161, v42
	v_mov_b32_e32 v33, v42
	v_mov_b32_e32 v34, v43
	v_mov_b32_e32 v35, v44
	v_mov_b32_e32 v36, v45
	v_mov_b32_e32 v37, v46
	v_mov_b32_e32 v38, v47
	v_mov_b32_e32 v39, v48
	v_mov_b32_e32 v40, v49
	v_mov_b32_e32 v79, v42
	v_mov_b32_e32 v130, v43
	v_mov_b32_e32 v162, v43
	v_mov_b32_e32 v163, v44
	v_mov_b32_e32 v164, v45
	v_mov_b32_e32 v165, v46
	v_mov_b32_e32 v62, v43
	v_mov_b32_e32 v67, v44
	v_mov_b32_e32 v76, v45
	v_mov_b32_e32 v77, v46
	scratch_store_dwordx4 off, v[0:3], off offset:640 ; 16-byte Folded Spill
	s_nop 0
	scratch_store_dwordx4 off, v[4:7], off offset:656 ; 16-byte Folded Spill
	scratch_store_dwordx4 off, v[8:11], off offset:672 ; 16-byte Folded Spill
	;; [unrolled: 1-line block ×7, first 2 shown]
	v_mov_b32_e32 v11, v42
	v_mov_b32_e32 v12, v43
	;; [unrolled: 1-line block ×5, first 2 shown]
	scratch_store_dwordx4 off, v[0:3], off offset:512 ; 16-byte Folded Spill
	s_nop 0
	scratch_store_dwordx4 off, v[4:7], off offset:528 ; 16-byte Folded Spill
	scratch_store_dwordx4 off, v[8:11], off offset:544 ; 16-byte Folded Spill
	;; [unrolled: 1-line block ×7, first 2 shown]
	v_mov_b32_e32 v11, v42
	v_mov_b32_e32 v12, v43
	;; [unrolled: 1-line block ×6, first 2 shown]
	scratch_store_dwordx4 off, v[0:3], off offset:768 ; 16-byte Folded Spill
	s_nop 0
	scratch_store_dwordx4 off, v[4:7], off offset:784 ; 16-byte Folded Spill
	scratch_store_dwordx4 off, v[8:11], off offset:800 ; 16-byte Folded Spill
	;; [unrolled: 1-line block ×7, first 2 shown]
	v_mov_b32_e32 v22, v214
	v_mov_b32_e32 v23, v215
	;; [unrolled: 1-line block ×20, first 2 shown]
	scratch_store_dwordx4 off, v[0:3], off  ; 16-byte Folded Spill
	s_nop 0
	scratch_store_dwordx4 off, v[4:7], off offset:16 ; 16-byte Folded Spill
	scratch_store_dwordx4 off, v[8:11], off offset:32 ; 16-byte Folded Spill
	scratch_store_dwordx4 off, v[12:15], off offset:48 ; 16-byte Folded Spill
	scratch_store_dwordx4 off, v[16:19], off offset:64 ; 16-byte Folded Spill
	scratch_store_dwordx4 off, v[20:23], off offset:80 ; 16-byte Folded Spill
	scratch_store_dwordx4 off, v[24:27], off offset:96 ; 16-byte Folded Spill
	scratch_store_dwordx4 off, v[28:31], off offset:112 ; 16-byte Folded Spill
	scratch_store_dwordx4 off, v[214:217], off offset:1024 ; 16-byte Folded Spill
	s_nop 0
	scratch_store_dwordx4 off, v[218:221], off offset:1040 ; 16-byte Folded Spill
	scratch_store_dwordx4 off, v[222:225], off offset:1056 ; 16-byte Folded Spill
	scratch_store_dwordx4 off, v[226:229], off offset:1072 ; 16-byte Folded Spill
	scratch_store_dwordx4 off, v[230:233], off offset:1088 ; 16-byte Folded Spill
	scratch_store_dwordx4 off, v[234:237], off offset:1104 ; 16-byte Folded Spill
	scratch_store_dwordx4 off, v[238:241], off offset:1120 ; 16-byte Folded Spill
	scratch_store_dwordx4 off, v[242:245], off offset:1136 ; 16-byte Folded Spill
	scratch_store_dwordx4 off, v[214:217], off offset:1152 ; 16-byte Folded Spill
	;; [unrolled: 9-line block ×3, first 2 shown]
	s_nop 0
	scratch_store_dwordx4 off, v[30:33], off offset:400 ; 16-byte Folded Spill
	scratch_store_dwordx4 off, v[34:37], off offset:416 ; 16-byte Folded Spill
	;; [unrolled: 1-line block ×5, first 2 shown]
	s_waitcnt vmcnt(62)
	scratch_store_dwordx4 off, v[50:53], off offset:480 ; 16-byte Folded Spill
	scratch_store_dwordx4 off, v[54:57], off offset:496 ; 16-byte Folded Spill
	v_mov_b32_e32 v41, v48
	scratch_store_dwordx4 off, v[24:27], off offset:256 ; 16-byte Folded Spill
	s_nop 0
	scratch_store_dwordx4 off, v[28:31], off offset:272 ; 16-byte Folded Spill
	scratch_store_dwordx4 off, v[32:35], off offset:288 ; 16-byte Folded Spill
	scratch_store_dwordx4 off, v[36:39], off offset:304 ; 16-byte Folded Spill
	scratch_store_dwordx4 off, v[40:43], off offset:320 ; 16-byte Folded Spill
	scratch_store_dwordx4 off, v[44:47], off offset:336 ; 16-byte Folded Spill
	scratch_store_dwordx4 off, v[48:51], off offset:352 ; 16-byte Folded Spill
	scratch_store_dwordx4 off, v[52:55], off offset:368 ; 16-byte Folded Spill
	v_mov_b32_e32 v42, v49
	scratch_store_dwordx4 off, v[24:27], off offset:128 ; 16-byte Folded Spill
	s_nop 0
	scratch_store_dwordx4 off, v[28:31], off offset:144 ; 16-byte Folded Spill
	scratch_store_dwordx4 off, v[32:35], off offset:160 ; 16-byte Folded Spill
	;; [unrolled: 1-line block ×7, first 2 shown]
.LBB40_184:
	s_or_b64 exec, exec, s[0:1]
	v_lshl_add_u32 v41, v255, 2, v254
	s_waitcnt vmcnt(63) expcnt(7) lgkmcnt(15)
	s_barrier
	ds_write_b32 v41, v79
	s_waitcnt lgkmcnt(0)
	s_barrier
	ds_read_b32 v41, v254 offset:44
	s_cmp_lt_i32 s22, 13
	v_mov_b32_e32 v42, 11
	s_cbranch_scc1 .LBB40_187
; %bb.185:
	v_add3_u32 v43, v21, 0, 48
	v_mov_b32_e32 v42, 11
	s_mov_b32 s0, 12
.LBB40_186:                             ; =>This Inner Loop Header: Depth=1
	ds_read_b32 v44, v43
	v_mov_b32_e32 v45, s0
	s_add_i32 s0, s0, 1
	v_add_u32_e32 v43, 4, v43
	s_cmp_lg_u32 s22, s0
	s_waitcnt lgkmcnt(0)
	v_cmp_lt_f32_e64 vcc, |v41|, |v44|
	s_nop 1
	v_cndmask_b32_e32 v41, v41, v44, vcc
	v_cndmask_b32_e32 v42, v42, v45, vcc
	s_cbranch_scc1 .LBB40_186
.LBB40_187:
	s_waitcnt lgkmcnt(0)
	v_cmp_eq_f32_e32 vcc, 0, v41
	s_and_saveexec_b64 s[0:1], vcc
	s_xor_b64 s[0:1], exec, s[0:1]
; %bb.188:
	v_cmp_ne_u32_e32 vcc, 0, v250
	s_nop 1
	v_cndmask_b32_e32 v250, 12, v250, vcc
; %bb.189:
	s_andn2_saveexec_b64 s[0:1], s[0:1]
	s_cbranch_execz .LBB40_191
; %bb.190:
	v_div_scale_f32 v43, s[2:3], v41, v41, 1.0
	v_rcp_f32_e32 v44, v43
	v_div_scale_f32 v45, vcc, 1.0, v41, 1.0
	v_fma_f32 v46, -v43, v44, 1.0
	v_fmac_f32_e32 v44, v46, v44
	v_mul_f32_e32 v46, v45, v44
	v_fma_f32 v47, -v43, v46, v45
	v_fmac_f32_e32 v46, v47, v44
	v_fma_f32 v43, -v43, v46, v45
	v_div_fmas_f32 v43, v43, v44, v46
	v_div_fixup_f32 v41, v43, v41, 1.0
.LBB40_191:
	s_or_b64 exec, exec, s[0:1]
	v_cmp_ne_u32_e32 vcc, v255, v42
	s_and_saveexec_b64 s[0:1], vcc
	s_xor_b64 s[0:1], exec, s[0:1]
	s_cbranch_execz .LBB40_197
; %bb.192:
	v_cmp_eq_u32_e32 vcc, 11, v255
	s_and_saveexec_b64 s[2:3], vcc
	s_cbranch_execz .LBB40_196
; %bb.193:
	v_cmp_ne_u32_e32 vcc, 11, v42
	s_xor_b64 s[18:19], s[16:17], -1
	s_and_b64 s[20:21], s[18:19], vcc
	s_and_saveexec_b64 s[18:19], s[20:21]
	s_cbranch_execz .LBB40_195
; %bb.194:
	scratch_load_dwordx2 v[48:49], off, off offset:1792 ; 8-byte Folded Reload
	v_ashrrev_i32_e32 v43, 31, v42
	s_waitcnt vmcnt(0)
	v_lshl_add_u64 v[44:45], v[42:43], 2, v[48:49]
	global_load_dword v43, v[44:45], off
	global_load_dword v46, v[48:49], off offset:44
	s_waitcnt vmcnt(1)
	global_store_dword v[48:49], v43, off offset:44
	s_waitcnt vmcnt(1)
	global_store_dword v[44:45], v46, off
.LBB40_195:
	s_or_b64 exec, exec, s[18:19]
	v_mov_b32_e32 v251, v42
	v_mov_b32_e32 v255, v42
.LBB40_196:
	s_or_b64 exec, exec, s[2:3]
.LBB40_197:
	s_andn2_saveexec_b64 s[0:1], s[0:1]
	s_cbranch_execz .LBB40_199
; %bb.198:
	scratch_load_dwordx4 v[82:85], off, off ; 16-byte Folded Reload
	scratch_load_dwordx4 v[86:89], off, off offset:16 ; 16-byte Folded Reload
	scratch_load_dwordx4 v[90:93], off, off offset:32 ; 16-byte Folded Reload
	;; [unrolled: 1-line block ×7, first 2 shown]
	v_mov_b32_e32 v255, 11
	s_waitcnt vmcnt(4)
	v_mov_b64_e32 v[0:1], v[82:83]
	v_mov_b64_e32 v[12:13], v[94:95]
	s_waitcnt vmcnt(2)
	v_mov_b32_e32 v16, v98
	v_mov_b64_e32 v[2:3], v[84:85]
	v_mov_b64_e32 v[4:5], v[86:87]
	;; [unrolled: 1-line block ×6, first 2 shown]
	v_mov_b32_e32 v17, v99
	v_mov_b32_e32 v18, v100
	;; [unrolled: 1-line block ×4, first 2 shown]
	ds_write2_b32 v254, v12, v13 offset0:12 offset1:13
	ds_write2_b32 v254, v14, v15 offset0:14 offset1:15
	;; [unrolled: 1-line block ×4, first 2 shown]
	ds_write_b32 v254, v253 offset:80
.LBB40_199:
	s_or_b64 exec, exec, s[0:1]
	v_cmp_lt_i32_e32 vcc, 11, v255
	s_waitcnt lgkmcnt(0)
	s_barrier
	s_and_saveexec_b64 s[0:1], vcc
	s_cbranch_execz .LBB40_201
; %bb.200:
	ds_read2_b32 v[0:1], v254 offset0:12 offset1:13
	ds_read2_b32 v[2:3], v254 offset0:14 offset1:15
	;; [unrolled: 1-line block ×4, first 2 shown]
	v_mul_f32_e32 v8, v79, v41
	scratch_load_dwordx4 v[22:25], off, off ; 16-byte Folded Reload
	scratch_load_dwordx4 v[26:29], off, off offset:16 ; 16-byte Folded Reload
	scratch_load_dwordx4 v[30:33], off, off offset:32 ; 16-byte Folded Reload
	;; [unrolled: 1-line block ×7, first 2 shown]
	s_waitcnt vmcnt(5)
	v_mov_b32_e32 v33, v8
	v_mov_b32_e32 v129, v8
	;; [unrolled: 1-line block ×6, first 2 shown]
	s_waitcnt vmcnt(3)
	v_mov_b64_e32 v[12:13], v[34:35]
	s_waitcnt lgkmcnt(3)
	v_pk_fma_f32 v[130:131], v[8:9], v[0:1], v[12:13] op_sel_hi:[0,1,1] neg_lo:[1,0,0] neg_hi:[1,0,0]
	ds_read_b32 v0, v254 offset:80
	scratch_load_dwordx4 v[42:45], off, off offset:1152 ; 16-byte Folded Reload
	scratch_load_dwordx4 v[46:49], off, off offset:1168 ; 16-byte Folded Reload
	;; [unrolled: 1-line block ×8, first 2 shown]
	v_mov_b64_e32 v[18:19], v[40:41]
	v_mov_b64_e32 v[14:15], v[36:37]
	;; [unrolled: 1-line block ×3, first 2 shown]
	s_waitcnt lgkmcnt(1)
	v_pk_fma_f32 v[40:41], v[8:9], v[6:7], v[18:19] op_sel_hi:[0,1,1] neg_lo:[1,0,0] neg_hi:[1,0,0]
	s_waitcnt vmcnt(5)
	v_mov_b32_e32 v53, v8
	v_mov_b32_e32 v34, v130
	;; [unrolled: 1-line block ×3, first 2 shown]
	v_pk_fma_f32 v[108:109], v[8:9], v[2:3], v[14:15] op_sel_hi:[0,1,1] neg_lo:[1,0,0] neg_hi:[1,0,0]
	v_pk_fma_f32 v[148:149], v[8:9], v[4:5], v[16:17] op_sel_hi:[0,1,1] neg_lo:[1,0,0] neg_hi:[1,0,0]
	s_waitcnt vmcnt(2)
	v_mov_b32_e32 v65, v8
	s_waitcnt vmcnt(1)
	v_mov_b32_e32 v66, v130
	v_mov_b32_e32 v67, v131
	;; [unrolled: 1-line block ×4, first 2 shown]
	s_waitcnt vmcnt(0)
	v_mov_b32_e32 v70, v148
	v_mov_b32_e32 v71, v149
	s_waitcnt lgkmcnt(0)
	v_fma_f32 v20, -v8, v0, v253
	v_mov_b32_e32 v14, v108
	v_mov_b32_e32 v15, v109
	;; [unrolled: 1-line block ×39, first 2 shown]
	scratch_store_dwordx4 off, v[22:25], off offset:896 ; 16-byte Folded Spill
	s_nop 0
	scratch_store_dwordx4 off, v[26:29], off offset:912 ; 16-byte Folded Spill
	scratch_store_dwordx4 off, v[30:33], off offset:928 ; 16-byte Folded Spill
	;; [unrolled: 1-line block ×7, first 2 shown]
	v_mov_b32_e32 v36, v108
	v_mov_b32_e32 v37, v109
	;; [unrolled: 1-line block ×15, first 2 shown]
	scratch_store_dwordx4 off, v[54:57], off offset:768 ; 16-byte Folded Spill
	s_nop 0
	scratch_store_dwordx4 off, v[58:61], off offset:784 ; 16-byte Folded Spill
	scratch_store_dwordx4 off, v[62:65], off offset:800 ; 16-byte Folded Spill
	;; [unrolled: 1-line block ×7, first 2 shown]
	v_mov_b32_e32 v94, v42
	v_mov_b32_e32 v95, v43
	;; [unrolled: 1-line block ×44, first 2 shown]
	scratch_store_dwordx4 off, v[42:45], off offset:1024 ; 16-byte Folded Spill
	s_nop 0
	scratch_store_dwordx4 off, v[46:49], off offset:1040 ; 16-byte Folded Spill
	scratch_store_dwordx4 off, v[50:53], off offset:1056 ; 16-byte Folded Spill
	;; [unrolled: 1-line block ×7, first 2 shown]
	v_mov_b32_e32 v18, v40
	v_mov_b32_e32 v19, v41
	v_mov_b64_e32 v[86:87], v[14:15]
	v_mov_b32_e32 v92, v20
	v_mov_b64_e32 v[84:85], v[12:13]
	v_mov_b64_e32 v[82:83], v[10:11]
	;; [unrolled: 1-line block ×7, first 2 shown]
	v_mov_b32_e32 v91, v19
	v_mov_b32_e32 v90, v18
	;; [unrolled: 1-line block ×4, first 2 shown]
	scratch_store_dwordx4 off, v[72:75], off ; 16-byte Folded Spill
	s_nop 0
	scratch_store_dwordx4 off, v[76:79], off offset:16 ; 16-byte Folded Spill
	scratch_store_dwordx4 off, v[80:83], off offset:32 ; 16-byte Folded Spill
	;; [unrolled: 1-line block ×7, first 2 shown]
	v_mov_b32_e32 v76, v108
	v_mov_b32_e32 v62, v130
	;; [unrolled: 1-line block ×4, first 2 shown]
	scratch_store_dwordx4 off, v[94:97], off offset:640 ; 16-byte Folded Spill
	s_nop 0
	scratch_store_dwordx4 off, v[98:101], off offset:656 ; 16-byte Folded Spill
	scratch_store_dwordx4 off, v[102:105], off offset:672 ; 16-byte Folded Spill
	;; [unrolled: 1-line block ×7, first 2 shown]
	v_mov_b32_e32 v77, v109
	scratch_store_dwordx4 off, v[26:29], off offset:384 ; 16-byte Folded Spill
	s_nop 0
	scratch_store_dwordx4 off, v[30:33], off offset:400 ; 16-byte Folded Spill
	scratch_store_dwordx4 off, v[34:37], off offset:416 ; 16-byte Folded Spill
	scratch_store_dwordx4 off, v[38:41], off offset:432 ; 16-byte Folded Spill
	scratch_store_dwordx4 off, v[42:45], off offset:448 ; 16-byte Folded Spill
	scratch_store_dwordx4 off, v[46:49], off offset:464 ; 16-byte Folded Spill
	scratch_store_dwordx4 off, v[50:53], off offset:480 ; 16-byte Folded Spill
	scratch_store_dwordx4 off, v[54:57], off offset:496 ; 16-byte Folded Spill
	scratch_store_dwordx4 off, v[132:135], off offset:512 ; 16-byte Folded Spill
	s_nop 0
	scratch_store_dwordx4 off, v[136:139], off offset:528 ; 16-byte Folded Spill
	scratch_store_dwordx4 off, v[140:143], off offset:544 ; 16-byte Folded Spill
	scratch_store_dwordx4 off, v[144:147], off offset:560 ; 16-byte Folded Spill
	scratch_store_dwordx4 off, v[148:151], off offset:576 ; 16-byte Folded Spill
	scratch_store_dwordx4 off, v[152:155], off offset:592 ; 16-byte Folded Spill
	scratch_store_dwordx4 off, v[156:159], off offset:608 ; 16-byte Folded Spill
	scratch_store_dwordx4 off, v[160:163], off offset:624 ; 16-byte Folded Spill
	scratch_store_dwordx4 off, v[54:57], off offset:256 ; 16-byte Folded Spill
	s_nop 0
	scratch_store_dwordx4 off, v[58:61], off offset:272 ; 16-byte Folded Spill
	scratch_store_dwordx4 off, v[62:65], off offset:288 ; 16-byte Folded Spill
	scratch_store_dwordx4 off, v[66:69], off offset:304 ; 16-byte Folded Spill
	scratch_store_dwordx4 off, v[70:73], off offset:320 ; 16-byte Folded Spill
	scratch_store_dwordx4 off, v[74:77], off offset:336 ; 16-byte Folded Spill
	scratch_store_dwordx4 off, v[78:81], off offset:352 ; 16-byte Folded Spill
	scratch_store_dwordx4 off, v[82:85], off offset:368 ; 16-byte Folded Spill
	v_mov_b32_e32 v42, v40
	scratch_store_dwordx4 off, v[24:27], off offset:128 ; 16-byte Folded Spill
	s_nop 0
	scratch_store_dwordx4 off, v[28:31], off offset:144 ; 16-byte Folded Spill
	scratch_store_dwordx4 off, v[32:35], off offset:160 ; 16-byte Folded Spill
	;; [unrolled: 1-line block ×7, first 2 shown]
.LBB40_201:
	s_or_b64 exec, exec, s[0:1]
	v_lshl_add_u32 v41, v255, 2, v254
	s_waitcnt vmcnt(63) expcnt(7) lgkmcnt(15)
	s_barrier
	ds_write_b32 v41, v62
	s_waitcnt lgkmcnt(0)
	s_barrier
	ds_read_b32 v41, v254 offset:48
	s_cmp_lt_i32 s22, 14
	v_mov_b32_e32 v42, 12
	s_cbranch_scc1 .LBB40_358
; %bb.202:
	scratch_load_dwordx4 v[200:203], off, off offset:896 ; 16-byte Folded Reload
	scratch_load_dwordx4 v[204:207], off, off offset:912 ; 16-byte Folded Reload
	;; [unrolled: 1-line block ×8, first 2 shown]
	v_add3_u32 v43, v21, 0, 52
	v_mov_b32_e32 v42, 12
	s_mov_b32 s0, 13
.LBB40_203:                             ; =>This Inner Loop Header: Depth=1
	ds_read_b32 v44, v43
	v_mov_b32_e32 v45, s0
	s_add_i32 s0, s0, 1
	v_add_u32_e32 v43, 4, v43
	s_cmp_lg_u32 s22, s0
	s_waitcnt lgkmcnt(0)
	v_cmp_lt_f32_e64 vcc, |v41|, |v44|
	s_nop 1
	v_cndmask_b32_e32 v41, v41, v44, vcc
	v_cndmask_b32_e32 v42, v42, v45, vcc
	s_cbranch_scc1 .LBB40_203
; %bb.204:
	v_cmp_eq_f32_e32 vcc, 0, v41
	s_and_saveexec_b64 s[0:1], vcc
	s_xor_b64 s[0:1], exec, s[0:1]
.LBB40_205:
	v_cmp_ne_u32_e32 vcc, 0, v250
	s_nop 1
	v_cndmask_b32_e32 v250, 13, v250, vcc
.LBB40_206:
	s_andn2_saveexec_b64 s[0:1], s[0:1]
	s_cbranch_execz .LBB40_208
; %bb.207:
	v_div_scale_f32 v43, s[2:3], v41, v41, 1.0
	v_rcp_f32_e32 v44, v43
	v_div_scale_f32 v45, vcc, 1.0, v41, 1.0
	v_fma_f32 v46, -v43, v44, 1.0
	v_fmac_f32_e32 v44, v46, v44
	v_mul_f32_e32 v46, v45, v44
	v_fma_f32 v47, -v43, v46, v45
	v_fmac_f32_e32 v46, v47, v44
	v_fma_f32 v43, -v43, v46, v45
	v_div_fmas_f32 v43, v43, v44, v46
	v_div_fixup_f32 v41, v43, v41, 1.0
.LBB40_208:
	s_or_b64 exec, exec, s[0:1]
	v_cmp_ne_u32_e32 vcc, v255, v42
	s_and_saveexec_b64 s[0:1], vcc
	s_xor_b64 s[0:1], exec, s[0:1]
	s_cbranch_execz .LBB40_214
; %bb.209:
	v_cmp_eq_u32_e32 vcc, 12, v255
	s_and_saveexec_b64 s[2:3], vcc
	s_cbranch_execz .LBB40_213
; %bb.210:
	v_cmp_ne_u32_e32 vcc, 12, v42
	s_xor_b64 s[18:19], s[16:17], -1
	s_and_b64 s[20:21], s[18:19], vcc
	s_and_saveexec_b64 s[18:19], s[20:21]
	s_cbranch_execz .LBB40_212
; %bb.211:
	scratch_load_dwordx2 v[48:49], off, off offset:1792 ; 8-byte Folded Reload
	v_ashrrev_i32_e32 v43, 31, v42
	s_waitcnt vmcnt(0)
	v_lshl_add_u64 v[44:45], v[42:43], 2, v[48:49]
	global_load_dword v43, v[44:45], off
	global_load_dword v46, v[48:49], off offset:48
	s_waitcnt vmcnt(1)
	global_store_dword v[48:49], v43, off offset:48
	s_waitcnt vmcnt(1)
	global_store_dword v[44:45], v46, off
.LBB40_212:
	s_or_b64 exec, exec, s[18:19]
	v_mov_b32_e32 v251, v42
	v_mov_b32_e32 v255, v42
.LBB40_213:
	s_or_b64 exec, exec, s[2:3]
.LBB40_214:
	s_andn2_saveexec_b64 s[0:1], s[0:1]
	s_cbranch_execz .LBB40_216
; %bb.215:
	scratch_load_dwordx4 v[80:83], off, off ; 16-byte Folded Reload
	scratch_load_dwordx4 v[84:87], off, off offset:16 ; 16-byte Folded Reload
	scratch_load_dwordx4 v[88:91], off, off offset:32 ; 16-byte Folded Reload
	;; [unrolled: 1-line block ×7, first 2 shown]
	v_mov_b32_e32 v255, 12
	s_waitcnt vmcnt(4)
	v_mov_b64_e32 v[0:1], v[80:81]
	v_mov_b64_e32 v[12:13], v[92:93]
	;; [unrolled: 1-line block ×3, first 2 shown]
	s_waitcnt vmcnt(2)
	v_mov_b32_e32 v16, v96
	v_mov_b64_e32 v[2:3], v[82:83]
	v_mov_b64_e32 v[4:5], v[84:85]
	;; [unrolled: 1-line block ×5, first 2 shown]
	v_mov_b32_e32 v17, v97
	v_mov_b32_e32 v18, v98
	;; [unrolled: 1-line block ×4, first 2 shown]
	ds_write2_b32 v254, v13, v14 offset0:13 offset1:14
	ds_write2_b32 v254, v15, v16 offset0:15 offset1:16
	;; [unrolled: 1-line block ×4, first 2 shown]
.LBB40_216:
	s_or_b64 exec, exec, s[0:1]
	v_cmp_lt_i32_e32 vcc, 12, v255
	s_waitcnt lgkmcnt(0)
	s_barrier
	s_and_saveexec_b64 s[0:1], vcc
	s_cbranch_execz .LBB40_218
; %bb.217:
	scratch_load_dwordx4 v[118:121], off, off offset:1024 ; 16-byte Folded Reload
	scratch_load_dwordx4 v[122:125], off, off offset:1040 ; 16-byte Folded Reload
	;; [unrolled: 1-line block ×8, first 2 shown]
	s_waitcnt vmcnt(4)
	v_mul_f32_e32 v130, v62, v41
	ds_read2_b32 v[0:1], v254 offset0:13 offset1:14
	scratch_load_dwordx4 v[22:25], off, off ; 16-byte Folded Reload
	scratch_load_dwordx4 v[26:29], off, off offset:16 ; 16-byte Folded Reload
	scratch_load_dwordx4 v[30:33], off, off offset:32 ; 16-byte Folded Reload
	;; [unrolled: 1-line block ×7, first 2 shown]
	ds_read2_b32 v[4:5], v254 offset0:15 offset1:16
	ds_read2_b32 v[6:7], v254 offset0:17 offset1:18
	;; [unrolled: 1-line block ×3, first 2 shown]
	v_mov_b32_e32 v12, v130
	s_waitcnt vmcnt(4)
	v_mov_b32_e32 v34, v130
	v_mov_b32_e32 v162, v130
	;; [unrolled: 1-line block ×10, first 2 shown]
	s_waitcnt vmcnt(2)
	v_mov_b32_e32 v13, v35
	v_mov_b32_e32 v14, v36
	;; [unrolled: 1-line block ×10, first 2 shown]
	s_waitcnt lgkmcnt(3)
	v_pk_fma_f32 v[42:43], v[130:131], v[0:1], v[2:3] op_sel_hi:[0,1,1] neg_lo:[1,0,0] neg_hi:[1,0,0]
	v_mov_b32_e32 v0, v15
	v_mov_b32_e32 v1, v16
	s_waitcnt lgkmcnt(2)
	v_pk_fma_f32 v[44:45], v[130:131], v[4:5], v[0:1] op_sel_hi:[0,1,1] neg_lo:[1,0,0] neg_hi:[1,0,0]
	v_mov_b32_e32 v0, v17
	v_mov_b32_e32 v1, v18
	s_waitcnt vmcnt(1) lgkmcnt(1)
	v_pk_fma_f32 v[46:47], v[130:131], v[6:7], v[0:1] op_sel_hi:[0,1,1] neg_lo:[1,0,0] neg_hi:[1,0,0]
	v_mov_b32_e32 v0, v19
	v_mov_b32_e32 v1, v20
	s_waitcnt lgkmcnt(0)
	v_pk_fma_f32 v[252:253], v[130:131], v[8:9], v[0:1] op_sel_hi:[0,1,1] neg_lo:[1,0,0] neg_hi:[1,0,0]
	v_mov_b32_e32 v0, v118
	v_mov_b32_e32 v1, v119
	;; [unrolled: 1-line block ×12, first 2 shown]
	scratch_store_dwordx4 off, v[0:3], off offset:640 ; 16-byte Folded Spill
	s_nop 0
	scratch_store_dwordx4 off, v[4:7], off offset:656 ; 16-byte Folded Spill
	scratch_store_dwordx4 off, v[8:11], off offset:672 ; 16-byte Folded Spill
	;; [unrolled: 1-line block ×7, first 2 shown]
	v_mov_b32_e32 v13, v42
	v_mov_b32_e32 v15, v44
	;; [unrolled: 1-line block ×16, first 2 shown]
	v_mov_b64_e32 v[230:231], v[148:149]
	v_mov_b32_e32 v154, v122
	v_mov_b32_e32 v155, v123
	;; [unrolled: 1-line block ×8, first 2 shown]
	v_mov_b64_e32 v[228:229], v[146:147]
	v_mov_b64_e32 v[226:227], v[144:145]
	;; [unrolled: 1-line block ×15, first 2 shown]
	scratch_store_dwordx4 off, v[0:3], off offset:512 ; 16-byte Folded Spill
	s_nop 0
	scratch_store_dwordx4 off, v[4:7], off offset:528 ; 16-byte Folded Spill
	scratch_store_dwordx4 off, v[8:11], off offset:544 ; 16-byte Folded Spill
	;; [unrolled: 1-line block ×7, first 2 shown]
	v_mov_b32_e32 v13, v42
	v_mov_b32_e32 v14, v43
	;; [unrolled: 1-line block ×4, first 2 shown]
	scratch_store_dwordx4 off, v[0:3], off offset:768 ; 16-byte Folded Spill
	s_nop 0
	scratch_store_dwordx4 off, v[4:7], off offset:784 ; 16-byte Folded Spill
	scratch_store_dwordx4 off, v[8:11], off offset:800 ; 16-byte Folded Spill
	;; [unrolled: 1-line block ×7, first 2 shown]
	v_mov_b32_e32 v22, v118
	v_mov_b32_e32 v23, v119
	;; [unrolled: 1-line block ×18, first 2 shown]
	scratch_store_dwordx4 off, v[0:3], off  ; 16-byte Folded Spill
	s_nop 0
	scratch_store_dwordx4 off, v[4:7], off offset:16 ; 16-byte Folded Spill
	scratch_store_dwordx4 off, v[8:11], off offset:32 ; 16-byte Folded Spill
	;; [unrolled: 1-line block ×8, first 2 shown]
	s_nop 0
	scratch_store_dwordx4 off, v[30:33], off offset:400 ; 16-byte Folded Spill
	scratch_store_dwordx4 off, v[34:37], off offset:416 ; 16-byte Folded Spill
	;; [unrolled: 1-line block ×5, first 2 shown]
	s_waitcnt vmcnt(38)
	scratch_store_dwordx4 off, v[50:53], off offset:480 ; 16-byte Folded Spill
	scratch_store_dwordx4 off, v[54:57], off offset:496 ; 16-byte Folded Spill
	v_mov_b32_e32 v41, v46
	scratch_store_dwordx4 off, v[24:27], off offset:256 ; 16-byte Folded Spill
	s_nop 0
	scratch_store_dwordx4 off, v[28:31], off offset:272 ; 16-byte Folded Spill
	scratch_store_dwordx4 off, v[32:35], off offset:288 ; 16-byte Folded Spill
	;; [unrolled: 1-line block ×7, first 2 shown]
	v_mov_b32_e32 v42, v47
	scratch_store_dwordx4 off, v[24:27], off offset:128 ; 16-byte Folded Spill
	s_nop 0
	scratch_store_dwordx4 off, v[28:31], off offset:144 ; 16-byte Folded Spill
	scratch_store_dwordx4 off, v[32:35], off offset:160 ; 16-byte Folded Spill
	scratch_store_dwordx4 off, v[36:39], off offset:176 ; 16-byte Folded Spill
	scratch_store_dwordx4 off, v[40:43], off offset:192 ; 16-byte Folded Spill
	scratch_store_dwordx4 off, v[44:47], off offset:208 ; 16-byte Folded Spill
	scratch_store_dwordx4 off, v[48:51], off offset:224 ; 16-byte Folded Spill
	scratch_store_dwordx4 off, v[52:55], off offset:240 ; 16-byte Folded Spill
.LBB40_218:
	s_or_b64 exec, exec, s[0:1]
	v_lshl_add_u32 v41, v255, 2, v254
	s_barrier
	ds_write_b32 v41, v67
	s_waitcnt lgkmcnt(0)
	s_barrier
	ds_read_b32 v41, v254 offset:52
	s_cmp_lt_i32 s22, 15
	v_mov_b32_e32 v42, 13
	s_cbranch_scc1 .LBB40_221
; %bb.219:
	v_add3_u32 v43, v21, 0, 56
	v_mov_b32_e32 v42, 13
	s_mov_b32 s0, 14
.LBB40_220:                             ; =>This Inner Loop Header: Depth=1
	ds_read_b32 v44, v43
	v_mov_b32_e32 v45, s0
	s_add_i32 s0, s0, 1
	v_add_u32_e32 v43, 4, v43
	s_cmp_lg_u32 s22, s0
	s_waitcnt lgkmcnt(0)
	v_cmp_lt_f32_e64 vcc, |v41|, |v44|
	s_nop 1
	v_cndmask_b32_e32 v41, v41, v44, vcc
	v_cndmask_b32_e32 v42, v42, v45, vcc
	s_cbranch_scc1 .LBB40_220
.LBB40_221:
	s_waitcnt lgkmcnt(0)
	v_cmp_eq_f32_e32 vcc, 0, v41
	s_and_saveexec_b64 s[0:1], vcc
	s_xor_b64 s[0:1], exec, s[0:1]
; %bb.222:
	v_cmp_ne_u32_e32 vcc, 0, v250
	s_nop 1
	v_cndmask_b32_e32 v250, 14, v250, vcc
; %bb.223:
	s_andn2_saveexec_b64 s[0:1], s[0:1]
	s_cbranch_execz .LBB40_225
; %bb.224:
	v_div_scale_f32 v43, s[2:3], v41, v41, 1.0
	v_rcp_f32_e32 v44, v43
	v_div_scale_f32 v45, vcc, 1.0, v41, 1.0
	v_fma_f32 v46, -v43, v44, 1.0
	v_fmac_f32_e32 v44, v46, v44
	v_mul_f32_e32 v46, v45, v44
	v_fma_f32 v47, -v43, v46, v45
	v_fmac_f32_e32 v46, v47, v44
	v_fma_f32 v43, -v43, v46, v45
	v_div_fmas_f32 v43, v43, v44, v46
	v_div_fixup_f32 v41, v43, v41, 1.0
.LBB40_225:
	s_or_b64 exec, exec, s[0:1]
	v_cmp_ne_u32_e32 vcc, v255, v42
	s_and_saveexec_b64 s[0:1], vcc
	s_xor_b64 s[0:1], exec, s[0:1]
	s_cbranch_execz .LBB40_231
; %bb.226:
	v_cmp_eq_u32_e32 vcc, 13, v255
	s_and_saveexec_b64 s[2:3], vcc
	s_cbranch_execz .LBB40_230
; %bb.227:
	v_cmp_ne_u32_e32 vcc, 13, v42
	s_xor_b64 s[18:19], s[16:17], -1
	s_and_b64 s[20:21], s[18:19], vcc
	s_and_saveexec_b64 s[18:19], s[20:21]
	s_cbranch_execz .LBB40_229
; %bb.228:
	scratch_load_dwordx2 v[48:49], off, off offset:1792 ; 8-byte Folded Reload
	v_ashrrev_i32_e32 v43, 31, v42
	s_waitcnt vmcnt(0)
	v_lshl_add_u64 v[44:45], v[42:43], 2, v[48:49]
	global_load_dword v43, v[44:45], off
	global_load_dword v46, v[48:49], off offset:52
	s_waitcnt vmcnt(1)
	global_store_dword v[48:49], v43, off offset:52
	s_waitcnt vmcnt(1)
	global_store_dword v[44:45], v46, off
.LBB40_229:
	s_or_b64 exec, exec, s[18:19]
	v_mov_b32_e32 v251, v42
	v_mov_b32_e32 v255, v42
.LBB40_230:
	s_or_b64 exec, exec, s[2:3]
.LBB40_231:
	s_andn2_saveexec_b64 s[0:1], s[0:1]
	s_cbranch_execz .LBB40_233
; %bb.232:
	scratch_load_dwordx4 v[80:83], off, off ; 16-byte Folded Reload
	scratch_load_dwordx4 v[84:87], off, off offset:16 ; 16-byte Folded Reload
	scratch_load_dwordx4 v[88:91], off, off offset:32 ; 16-byte Folded Reload
	;; [unrolled: 1-line block ×7, first 2 shown]
	v_mov_b32_e32 v255, 13
	s_waitcnt vmcnt(4)
	v_mov_b64_e32 v[0:1], v[80:81]
	v_mov_b64_e32 v[14:15], v[94:95]
	s_waitcnt vmcnt(2)
	v_mov_b32_e32 v16, v96
	v_mov_b64_e32 v[2:3], v[82:83]
	v_mov_b64_e32 v[4:5], v[84:85]
	;; [unrolled: 1-line block ×6, first 2 shown]
	v_mov_b32_e32 v17, v97
	v_mov_b32_e32 v18, v98
	;; [unrolled: 1-line block ×4, first 2 shown]
	ds_write2_b32 v254, v14, v15 offset0:14 offset1:15
	ds_write2_b32 v254, v16, v17 offset0:16 offset1:17
	;; [unrolled: 1-line block ×3, first 2 shown]
	ds_write_b32 v254, v253 offset:80
.LBB40_233:
	s_or_b64 exec, exec, s[0:1]
	v_cmp_lt_i32_e32 vcc, 13, v255
	s_waitcnt lgkmcnt(0)
	s_barrier
	s_and_saveexec_b64 s[0:1], vcc
	s_cbranch_execz .LBB40_235
; %bb.234:
	ds_read2_b32 v[0:1], v254 offset0:14 offset1:15
	ds_read2_b32 v[2:3], v254 offset0:16 offset1:17
	ds_read2_b32 v[4:5], v254 offset0:18 offset1:19
	ds_read_b32 v6, v254 offset:80
	v_mul_f32_e32 v42, v67, v41
	scratch_load_dwordx4 v[44:47], off, off ; 16-byte Folded Reload
	scratch_load_dwordx4 v[48:51], off, off offset:16 ; 16-byte Folded Reload
	scratch_load_dwordx4 v[52:55], off, off offset:32 ; 16-byte Folded Reload
	;; [unrolled: 1-line block ×7, first 2 shown]
	v_mov_b32_e32 v7, v125
	v_mov_b32_e32 v8, v126
	s_waitcnt lgkmcnt(0)
	v_fma_f32 v20, -v42, v6, v253
	v_mov_b32_e32 v6, v124
	v_mov_b32_e32 v9, v127
	;; [unrolled: 1-line block ×17, first 2 shown]
	s_waitcnt vmcnt(9)
	v_mov_b32_e32 v104, v128
	v_mov_b32_e32 v105, v129
	;; [unrolled: 1-line block ×36, first 2 shown]
	s_waitcnt vmcnt(3)
	v_mov_b64_e32 v[14:15], v[58:59]
	v_mov_b64_e32 v[16:17], v[60:61]
	;; [unrolled: 1-line block ×3, first 2 shown]
	v_pk_fma_f32 v[108:109], v[42:43], v[0:1], v[14:15] op_sel_hi:[0,1,1] neg_lo:[1,0,0] neg_hi:[1,0,0]
	v_pk_fma_f32 v[148:149], v[42:43], v[2:3], v[16:17] op_sel_hi:[0,1,1] neg_lo:[1,0,0] neg_hi:[1,0,0]
	;; [unrolled: 1-line block ×3, first 2 shown]
	v_mov_b32_e32 v0, v118
	v_mov_b32_e32 v1, v119
	;; [unrolled: 1-line block ×10, first 2 shown]
	scratch_store_dwordx4 off, v[0:3], off offset:768 ; 16-byte Folded Spill
	s_nop 0
	scratch_store_dwordx4 off, v[4:7], off offset:784 ; 16-byte Folded Spill
	scratch_store_dwordx4 off, v[8:11], off offset:800 ; 16-byte Folded Spill
	;; [unrolled: 1-line block ×7, first 2 shown]
	v_mov_b32_e32 v14, v108
	v_mov_b32_e32 v15, v109
	;; [unrolled: 1-line block ×17, first 2 shown]
	v_mov_b64_e32 v[230:231], v[148:149]
	v_mov_b32_e32 v42, v148
	v_mov_b32_e32 v164, v108
	;; [unrolled: 1-line block ×7, first 2 shown]
	v_mov_b64_e32 v[228:229], v[146:147]
	v_mov_b64_e32 v[226:227], v[144:145]
	;; [unrolled: 1-line block ×15, first 2 shown]
	v_mov_b32_e32 v252, v41
	s_waitcnt vmcnt(8)
	v_mov_b64_e32 v[86:87], v[14:15]
	v_mov_b32_e32 v92, v20
	v_mov_b64_e32 v[84:85], v[12:13]
	v_mov_b64_e32 v[82:83], v[10:11]
	;; [unrolled: 1-line block ×7, first 2 shown]
	v_mov_b32_e32 v91, v19
	v_mov_b32_e32 v90, v18
	v_mov_b32_e32 v89, v17
	v_mov_b32_e32 v88, v16
	scratch_store_dwordx4 off, v[72:75], off ; 16-byte Folded Spill
	s_nop 0
	scratch_store_dwordx4 off, v[76:79], off offset:16 ; 16-byte Folded Spill
	scratch_store_dwordx4 off, v[80:83], off offset:32 ; 16-byte Folded Spill
	;; [unrolled: 1-line block ×7, first 2 shown]
	v_mov_b32_e32 v76, v108
	v_mov_b32_e32 v253, v20
	scratch_store_dwordx4 off, v[94:97], off offset:640 ; 16-byte Folded Spill
	s_nop 0
	scratch_store_dwordx4 off, v[98:101], off offset:656 ; 16-byte Folded Spill
	scratch_store_dwordx4 off, v[102:105], off offset:672 ; 16-byte Folded Spill
	scratch_store_dwordx4 off, v[106:109], off offset:688 ; 16-byte Folded Spill
	scratch_store_dwordx4 off, v[110:113], off offset:704 ; 16-byte Folded Spill
	scratch_store_dwordx4 off, v[114:117], off offset:720 ; 16-byte Folded Spill
	scratch_store_dwordx4 off, v[118:121], off offset:736 ; 16-byte Folded Spill
	scratch_store_dwordx4 off, v[122:125], off offset:752 ; 16-byte Folded Spill
	scratch_store_dwordx4 off, v[26:29], off offset:384 ; 16-byte Folded Spill
	s_nop 0
	scratch_store_dwordx4 off, v[30:33], off offset:400 ; 16-byte Folded Spill
	scratch_store_dwordx4 off, v[34:37], off offset:416 ; 16-byte Folded Spill
	scratch_store_dwordx4 off, v[38:41], off offset:432 ; 16-byte Folded Spill
	scratch_store_dwordx4 off, v[42:45], off offset:448 ; 16-byte Folded Spill
	scratch_store_dwordx4 off, v[46:49], off offset:464 ; 16-byte Folded Spill
	scratch_store_dwordx4 off, v[50:53], off offset:480 ; 16-byte Folded Spill
	scratch_store_dwordx4 off, v[54:57], off offset:496 ; 16-byte Folded Spill
	scratch_store_dwordx4 off, v[132:135], off offset:512 ; 16-byte Folded Spill
	s_nop 0
	scratch_store_dwordx4 off, v[136:139], off offset:528 ; 16-byte Folded Spill
	scratch_store_dwordx4 off, v[140:143], off offset:544 ; 16-byte Folded Spill
	scratch_store_dwordx4 off, v[144:147], off offset:560 ; 16-byte Folded Spill
	scratch_store_dwordx4 off, v[148:151], off offset:576 ; 16-byte Folded Spill
	scratch_store_dwordx4 off, v[152:155], off offset:592 ; 16-byte Folded Spill
	scratch_store_dwordx4 off, v[156:159], off offset:608 ; 16-byte Folded Spill
	scratch_store_dwordx4 off, v[160:163], off offset:624 ; 16-byte Folded Spill
	v_mov_b32_e32 v42, v40
	v_mov_b32_e32 v77, v109
	;; [unrolled: 1-line block ×3, first 2 shown]
	scratch_store_dwordx4 off, v[54:57], off offset:256 ; 16-byte Folded Spill
	s_nop 0
	scratch_store_dwordx4 off, v[58:61], off offset:272 ; 16-byte Folded Spill
	scratch_store_dwordx4 off, v[62:65], off offset:288 ; 16-byte Folded Spill
	;; [unrolled: 1-line block ×8, first 2 shown]
	s_nop 0
	scratch_store_dwordx4 off, v[28:31], off offset:144 ; 16-byte Folded Spill
	scratch_store_dwordx4 off, v[32:35], off offset:160 ; 16-byte Folded Spill
	;; [unrolled: 1-line block ×7, first 2 shown]
.LBB40_235:
	s_or_b64 exec, exec, s[0:1]
	v_lshl_add_u32 v41, v255, 2, v254
	s_barrier
	ds_write_b32 v41, v76
	s_waitcnt lgkmcnt(0)
	s_barrier
	ds_read_b32 v41, v254 offset:56
	s_cmp_lt_i32 s22, 16
	v_mov_b32_e32 v42, 14
	s_cbranch_scc1 .LBB40_359
; %bb.236:
	scratch_load_dwordx4 v[44:47], off, off offset:768 ; 16-byte Folded Reload
	scratch_load_dwordx4 v[48:51], off, off offset:784 ; 16-byte Folded Reload
	;; [unrolled: 1-line block ×8, first 2 shown]
	v_add3_u32 v43, v21, 0, 60
	v_mov_b32_e32 v42, 14
	s_mov_b32 s0, 15
	s_waitcnt vmcnt(4)
	v_mov_b64_e32 v[196:197], v[58:59]
	v_mov_b64_e32 v[194:195], v[56:57]
	;; [unrolled: 1-line block ×8, first 2 shown]
	s_waitcnt vmcnt(3)
	v_mov_b64_e32 v[198:199], v[60:61]
.LBB40_237:                             ; =>This Inner Loop Header: Depth=1
	ds_read_b32 v44, v43
	v_mov_b32_e32 v45, s0
	s_add_i32 s0, s0, 1
	v_add_u32_e32 v43, 4, v43
	s_cmp_lg_u32 s22, s0
	s_waitcnt lgkmcnt(0)
	v_cmp_lt_f32_e64 vcc, |v41|, |v44|
	s_nop 1
	v_cndmask_b32_e32 v41, v41, v44, vcc
	v_cndmask_b32_e32 v42, v42, v45, vcc
	s_cbranch_scc1 .LBB40_237
; %bb.238:
	v_cmp_eq_f32_e32 vcc, 0, v41
	s_and_saveexec_b64 s[0:1], vcc
	s_xor_b64 s[0:1], exec, s[0:1]
.LBB40_239:
	v_cmp_ne_u32_e32 vcc, 0, v250
	s_nop 1
	v_cndmask_b32_e32 v250, 15, v250, vcc
.LBB40_240:
	s_andn2_saveexec_b64 s[0:1], s[0:1]
	s_cbranch_execz .LBB40_242
; %bb.241:
	v_div_scale_f32 v43, s[2:3], v41, v41, 1.0
	v_rcp_f32_e32 v44, v43
	v_div_scale_f32 v45, vcc, 1.0, v41, 1.0
	v_fma_f32 v46, -v43, v44, 1.0
	v_fmac_f32_e32 v44, v46, v44
	v_mul_f32_e32 v46, v45, v44
	v_fma_f32 v47, -v43, v46, v45
	v_fmac_f32_e32 v46, v47, v44
	v_fma_f32 v43, -v43, v46, v45
	v_div_fmas_f32 v43, v43, v44, v46
	v_div_fixup_f32 v41, v43, v41, 1.0
.LBB40_242:
	s_or_b64 exec, exec, s[0:1]
	v_cmp_ne_u32_e32 vcc, v255, v42
	s_and_saveexec_b64 s[0:1], vcc
	s_xor_b64 s[0:1], exec, s[0:1]
	s_cbranch_execz .LBB40_248
; %bb.243:
	v_cmp_eq_u32_e32 vcc, 14, v255
	s_and_saveexec_b64 s[2:3], vcc
	s_cbranch_execz .LBB40_247
; %bb.244:
	v_cmp_ne_u32_e32 vcc, 14, v42
	s_xor_b64 s[18:19], s[16:17], -1
	s_and_b64 s[20:21], s[18:19], vcc
	s_and_saveexec_b64 s[18:19], s[20:21]
	s_cbranch_execz .LBB40_246
; %bb.245:
	scratch_load_dwordx2 v[48:49], off, off offset:1792 ; 8-byte Folded Reload
	v_ashrrev_i32_e32 v43, 31, v42
	s_waitcnt vmcnt(0)
	v_lshl_add_u64 v[44:45], v[42:43], 2, v[48:49]
	global_load_dword v43, v[44:45], off
	global_load_dword v46, v[48:49], off offset:56
	s_waitcnt vmcnt(1)
	global_store_dword v[48:49], v43, off offset:56
	s_waitcnt vmcnt(1)
	global_store_dword v[44:45], v46, off
.LBB40_246:
	s_or_b64 exec, exec, s[18:19]
	v_mov_b32_e32 v251, v42
	v_mov_b32_e32 v255, v42
.LBB40_247:
	s_or_b64 exec, exec, s[2:3]
.LBB40_248:
	s_andn2_saveexec_b64 s[0:1], s[0:1]
	s_cbranch_execz .LBB40_250
; %bb.249:
	scratch_load_dwordx4 v[78:81], off, off ; 16-byte Folded Reload
	scratch_load_dwordx4 v[82:85], off, off offset:16 ; 16-byte Folded Reload
	scratch_load_dwordx4 v[86:89], off, off offset:32 ; 16-byte Folded Reload
	;; [unrolled: 1-line block ×7, first 2 shown]
	v_mov_b32_e32 v255, 14
	s_waitcnt vmcnt(4)
	v_mov_b64_e32 v[0:1], v[78:79]
	v_mov_b64_e32 v[14:15], v[92:93]
	s_waitcnt vmcnt(2)
	v_mov_b32_e32 v16, v94
	v_mov_b64_e32 v[2:3], v[80:81]
	v_mov_b64_e32 v[4:5], v[82:83]
	v_mov_b64_e32 v[6:7], v[84:85]
	v_mov_b64_e32 v[8:9], v[86:87]
	v_mov_b64_e32 v[10:11], v[88:89]
	v_mov_b64_e32 v[12:13], v[90:91]
	v_mov_b32_e32 v17, v95
	v_mov_b32_e32 v18, v96
	v_mov_b32_e32 v19, v97
	v_mov_b32_e32 v20, v98
	ds_write2_b32 v254, v15, v16 offset0:15 offset1:16
	ds_write2_b32 v254, v17, v18 offset0:17 offset1:18
	;; [unrolled: 1-line block ×3, first 2 shown]
.LBB40_250:
	s_or_b64 exec, exec, s[0:1]
	v_cmp_lt_i32_e32 vcc, 14, v255
	s_waitcnt lgkmcnt(0)
	s_barrier
	s_and_saveexec_b64 s[0:1], vcc
	s_cbranch_execz .LBB40_252
; %bb.251:
	v_mul_f32_e32 v214, v76, v41
	ds_read2_b32 v[0:1], v254 offset0:15 offset1:16
	scratch_load_dwordx4 v[22:25], off, off ; 16-byte Folded Reload
	scratch_load_dwordx4 v[26:29], off, off offset:16 ; 16-byte Folded Reload
	scratch_load_dwordx4 v[30:33], off, off offset:32 ; 16-byte Folded Reload
	;; [unrolled: 1-line block ×7, first 2 shown]
	ds_read2_b32 v[4:5], v254 offset0:17 offset1:18
	ds_read2_b32 v[6:7], v254 offset0:19 offset1:20
	v_mov_b32_e32 v8, v208
	v_mov_b32_e32 v9, v209
	;; [unrolled: 1-line block ×7, first 2 shown]
	s_waitcnt vmcnt(5)
	v_mov_b32_e32 v32, v210
	v_mov_b32_e32 v33, v211
	s_waitcnt vmcnt(4)
	v_mov_b32_e32 v34, v212
	v_mov_b32_e32 v35, v213
	;; [unrolled: 1-line block ×18, first 2 shown]
	s_waitcnt vmcnt(2)
	v_mov_b32_e32 v15, v37
	v_mov_b32_e32 v16, v38
	;; [unrolled: 1-line block ×8, first 2 shown]
	s_waitcnt lgkmcnt(2)
	v_pk_fma_f32 v[42:43], v[214:215], v[0:1], v[2:3] op_sel_hi:[0,1,1] neg_lo:[1,0,0] neg_hi:[1,0,0]
	v_mov_b32_e32 v0, v17
	v_mov_b32_e32 v1, v18
	s_waitcnt lgkmcnt(1)
	v_pk_fma_f32 v[44:45], v[214:215], v[4:5], v[0:1] op_sel_hi:[0,1,1] neg_lo:[1,0,0] neg_hi:[1,0,0]
	v_mov_b32_e32 v0, v19
	v_mov_b32_e32 v1, v20
	;; [unrolled: 4-line block ×3, first 2 shown]
	v_mov_b32_e32 v2, v202
	v_mov_b32_e32 v3, v203
	;; [unrolled: 1-line block ×8, first 2 shown]
	scratch_store_dwordx4 off, v[0:3], off offset:512 ; 16-byte Folded Spill
	s_nop 0
	scratch_store_dwordx4 off, v[4:7], off offset:528 ; 16-byte Folded Spill
	scratch_store_dwordx4 off, v[8:11], off offset:544 ; 16-byte Folded Spill
	;; [unrolled: 1-line block ×7, first 2 shown]
	v_mov_b32_e32 v22, v200
	v_mov_b32_e32 v23, v201
	;; [unrolled: 1-line block ×21, first 2 shown]
	v_mov_b64_e32 v[150:151], v[200:201]
	v_mov_b32_e32 v77, v42
	v_mov_b32_e32 v42, v43
	;; [unrolled: 1-line block ×4, first 2 shown]
	v_mov_b64_e32 v[152:153], v[202:203]
	v_mov_b64_e32 v[154:155], v[204:205]
	;; [unrolled: 1-line block ×15, first 2 shown]
	scratch_store_dwordx4 off, v[0:3], off  ; 16-byte Folded Spill
	s_nop 0
	scratch_store_dwordx4 off, v[4:7], off offset:16 ; 16-byte Folded Spill
	scratch_store_dwordx4 off, v[8:11], off offset:32 ; 16-byte Folded Spill
	;; [unrolled: 1-line block ×8, first 2 shown]
	s_nop 0
	scratch_store_dwordx4 off, v[204:207], off offset:656 ; 16-byte Folded Spill
	scratch_store_dwordx4 off, v[208:211], off offset:672 ; 16-byte Folded Spill
	;; [unrolled: 1-line block ×8, first 2 shown]
	s_nop 0
	scratch_store_dwordx4 off, v[30:33], off offset:400 ; 16-byte Folded Spill
	scratch_store_dwordx4 off, v[34:37], off offset:416 ; 16-byte Folded Spill
	;; [unrolled: 1-line block ×4, first 2 shown]
	s_waitcnt vmcnt(30)
	scratch_store_dwordx4 off, v[46:49], off offset:464 ; 16-byte Folded Spill
	s_waitcnt vmcnt(30)
	scratch_store_dwordx4 off, v[50:53], off offset:480 ; 16-byte Folded Spill
	scratch_store_dwordx4 off, v[54:57], off offset:496 ; 16-byte Folded Spill
	v_mov_b32_e32 v41, v44
	scratch_store_dwordx4 off, v[24:27], off offset:256 ; 16-byte Folded Spill
	s_nop 0
	scratch_store_dwordx4 off, v[28:31], off offset:272 ; 16-byte Folded Spill
	scratch_store_dwordx4 off, v[32:35], off offset:288 ; 16-byte Folded Spill
	;; [unrolled: 1-line block ×7, first 2 shown]
	v_mov_b32_e32 v42, v45
	scratch_store_dwordx4 off, v[24:27], off offset:128 ; 16-byte Folded Spill
	s_nop 0
	scratch_store_dwordx4 off, v[28:31], off offset:144 ; 16-byte Folded Spill
	scratch_store_dwordx4 off, v[32:35], off offset:160 ; 16-byte Folded Spill
	;; [unrolled: 1-line block ×7, first 2 shown]
.LBB40_252:
	s_or_b64 exec, exec, s[0:1]
	v_lshl_add_u32 v41, v255, 2, v254
	s_barrier
	ds_write_b32 v41, v77
	s_waitcnt lgkmcnt(0)
	s_barrier
	ds_read_b32 v41, v254 offset:60
	s_cmp_lt_i32 s22, 17
	v_mov_b32_e32 v42, 15
	s_cbranch_scc1 .LBB40_255
; %bb.253:
	v_add3_u32 v21, v21, 0, 64
	v_mov_b32_e32 v42, 15
	s_mov_b32 s0, 16
.LBB40_254:                             ; =>This Inner Loop Header: Depth=1
	ds_read_b32 v43, v21
	v_mov_b32_e32 v44, s0
	s_add_i32 s0, s0, 1
	v_add_u32_e32 v21, 4, v21
	s_cmp_lg_u32 s22, s0
	s_waitcnt lgkmcnt(0)
	v_cmp_lt_f32_e64 vcc, |v41|, |v43|
	s_nop 1
	v_cndmask_b32_e32 v41, v41, v43, vcc
	v_cndmask_b32_e32 v42, v42, v44, vcc
	s_cbranch_scc1 .LBB40_254
.LBB40_255:
	s_waitcnt lgkmcnt(0)
	v_cmp_eq_f32_e32 vcc, 0, v41
	s_and_saveexec_b64 s[0:1], vcc
	s_xor_b64 s[0:1], exec, s[0:1]
; %bb.256:
	v_cmp_ne_u32_e32 vcc, 0, v250
	s_nop 1
	v_cndmask_b32_e32 v250, 16, v250, vcc
; %bb.257:
	s_andn2_saveexec_b64 s[0:1], s[0:1]
	s_cbranch_execz .LBB40_259
; %bb.258:
	v_div_scale_f32 v21, s[2:3], v41, v41, 1.0
	v_rcp_f32_e32 v43, v21
	v_div_scale_f32 v44, vcc, 1.0, v41, 1.0
	v_fma_f32 v45, -v21, v43, 1.0
	v_fmac_f32_e32 v43, v45, v43
	v_mul_f32_e32 v45, v44, v43
	v_fma_f32 v46, -v21, v45, v44
	v_fmac_f32_e32 v45, v46, v43
	v_fma_f32 v21, -v21, v45, v44
	v_div_fmas_f32 v21, v21, v43, v45
	v_div_fixup_f32 v41, v21, v41, 1.0
.LBB40_259:
	s_or_b64 exec, exec, s[0:1]
	v_cmp_ne_u32_e32 vcc, v255, v42
	s_and_saveexec_b64 s[0:1], vcc
	s_xor_b64 s[0:1], exec, s[0:1]
	s_cbranch_execz .LBB40_265
; %bb.260:
	v_cmp_eq_u32_e32 vcc, 15, v255
	s_and_saveexec_b64 s[2:3], vcc
	s_cbranch_execz .LBB40_264
; %bb.261:
	v_cmp_ne_u32_e32 vcc, 15, v42
	s_xor_b64 s[18:19], s[16:17], -1
	s_and_b64 s[20:21], s[18:19], vcc
	s_and_saveexec_b64 s[18:19], s[20:21]
	s_cbranch_execz .LBB40_263
; %bb.262:
	scratch_load_dwordx2 v[46:47], off, off offset:1792 ; 8-byte Folded Reload
	v_ashrrev_i32_e32 v43, 31, v42
	s_waitcnt vmcnt(0)
	v_lshl_add_u64 v[44:45], v[42:43], 2, v[46:47]
	global_load_dword v21, v[44:45], off
	global_load_dword v43, v[46:47], off offset:60
	s_waitcnt vmcnt(1)
	global_store_dword v[46:47], v21, off offset:60
	s_waitcnt vmcnt(1)
	global_store_dword v[44:45], v43, off
.LBB40_263:
	s_or_b64 exec, exec, s[18:19]
	v_mov_b32_e32 v251, v42
	v_mov_b32_e32 v255, v42
.LBB40_264:
	s_or_b64 exec, exec, s[2:3]
.LBB40_265:
	s_andn2_saveexec_b64 s[0:1], s[0:1]
	s_cbranch_execz .LBB40_267
; %bb.266:
	scratch_load_dwordx4 v[78:81], off, off ; 16-byte Folded Reload
	scratch_load_dwordx4 v[82:85], off, off offset:16 ; 16-byte Folded Reload
	scratch_load_dwordx4 v[86:89], off, off offset:32 ; 16-byte Folded Reload
	;; [unrolled: 1-line block ×7, first 2 shown]
	v_mov_b32_e32 v255, 15
	s_waitcnt vmcnt(2)
	v_mov_b32_e32 v16, v94
	v_mov_b32_e32 v17, v95
	;; [unrolled: 1-line block ×5, first 2 shown]
	ds_write2_b32 v254, v16, v17 offset0:16 offset1:17
	ds_write2_b32 v254, v18, v19 offset0:18 offset1:19
	ds_write_b32 v254, v253 offset:80
.LBB40_267:
	s_or_b64 exec, exec, s[0:1]
	v_cmp_lt_i32_e32 vcc, 15, v255
	s_waitcnt lgkmcnt(0)
	s_barrier
	s_and_saveexec_b64 s[0:1], vcc
	s_cbranch_execz .LBB40_269
; %bb.268:
	ds_read2_b32 v[0:1], v254 offset0:16 offset1:17
	ds_read2_b32 v[2:3], v254 offset0:18 offset1:19
	ds_read_b32 v4, v254 offset:80
	scratch_load_dwordx4 v[6:9], off, off   ; 16-byte Folded Reload
	scratch_load_dwordx4 v[10:13], off, off offset:16 ; 16-byte Folded Reload
	scratch_load_dwordx4 v[14:17], off, off offset:32 ; 16-byte Folded Reload
	;; [unrolled: 1-line block ×15, first 2 shown]
	v_mul_f32_e32 v42, v77, v41
	s_waitcnt vmcnt(4)
	v_mov_b32_e32 v165, v42
	s_waitcnt lgkmcnt(0)
	v_fma_f32 v20, -v42, v4, v253
	v_mov_b32_e32 v69, v42
	v_mov_b32_e32 v197, v42
	;; [unrolled: 1-line block ×8, first 2 shown]
	v_mov_b64_e32 v[16:17], v[22:23]
	v_mov_b64_e32 v[18:19], v[24:25]
	v_pk_fma_f32 v[70:71], v[42:43], v[0:1], v[16:17] op_sel_hi:[0,1,1] neg_lo:[1,0,0] neg_hi:[1,0,0]
	v_pk_fma_f32 v[40:41], v[42:43], v[2:3], v[18:19] op_sel_hi:[0,1,1] neg_lo:[1,0,0] neg_hi:[1,0,0]
	v_mov_b32_e32 v57, v153
	v_mov_b32_e32 v58, v154
	;; [unrolled: 1-line block ×32, first 2 shown]
	scratch_store_dwordx4 off, v[26:29], off offset:384 ; 16-byte Folded Spill
	s_nop 0
	scratch_store_dwordx4 off, v[30:33], off offset:400 ; 16-byte Folded Spill
	scratch_store_dwordx4 off, v[34:37], off offset:416 ; 16-byte Folded Spill
	scratch_store_dwordx4 off, v[38:41], off offset:432 ; 16-byte Folded Spill
	scratch_store_dwordx4 off, v[42:45], off offset:448 ; 16-byte Folded Spill
	scratch_store_dwordx4 off, v[46:49], off offset:464 ; 16-byte Folded Spill
	scratch_store_dwordx4 off, v[50:53], off offset:480 ; 16-byte Folded Spill
	scratch_store_dwordx4 off, v[54:57], off offset:496 ; 16-byte Folded Spill
	scratch_store_dwordx4 off, v[54:57], off offset:512 ; 16-byte Folded Spill
	s_nop 0
	scratch_store_dwordx4 off, v[58:61], off offset:528 ; 16-byte Folded Spill
	scratch_store_dwordx4 off, v[62:65], off offset:544 ; 16-byte Folded Spill
	scratch_store_dwordx4 off, v[66:69], off offset:560 ; 16-byte Folded Spill
	scratch_store_dwordx4 off, v[70:73], off offset:576 ; 16-byte Folded Spill
	scratch_store_dwordx4 off, v[74:77], off offset:592 ; 16-byte Folded Spill
	scratch_store_dwordx4 off, v[78:81], off offset:608 ; 16-byte Folded Spill
	scratch_store_dwordx4 off, v[82:85], off offset:624 ; 16-byte Folded Spill
	;; [unrolled: 9-line block ×3, first 2 shown]
	v_mov_b32_e32 v14, v164
	v_mov_b32_e32 v0, v150
	;; [unrolled: 1-line block ×15, first 2 shown]
	v_mov_b64_e32 v[86:87], v[14:15]
	v_mov_b32_e32 v92, v20
	v_mov_b32_e32 v182, v150
	;; [unrolled: 1-line block ×20, first 2 shown]
	v_mov_b64_e32 v[84:85], v[12:13]
	v_mov_b64_e32 v[82:83], v[10:11]
	;; [unrolled: 1-line block ×7, first 2 shown]
	v_mov_b32_e32 v91, v19
	v_mov_b32_e32 v90, v18
	;; [unrolled: 1-line block ×4, first 2 shown]
	scratch_store_dwordx4 off, v[72:75], off ; 16-byte Folded Spill
	s_nop 0
	scratch_store_dwordx4 off, v[76:79], off offset:16 ; 16-byte Folded Spill
	scratch_store_dwordx4 off, v[80:83], off offset:32 ; 16-byte Folded Spill
	;; [unrolled: 1-line block ×7, first 2 shown]
	v_mov_b32_e32 v252, v41
	v_mov_b32_e32 v42, v40
	scratch_store_dwordx4 off, v[24:27], off offset:128 ; 16-byte Folded Spill
	s_nop 0
	scratch_store_dwordx4 off, v[28:31], off offset:144 ; 16-byte Folded Spill
	scratch_store_dwordx4 off, v[32:35], off offset:160 ; 16-byte Folded Spill
	;; [unrolled: 1-line block ×7, first 2 shown]
.LBB40_269:
	s_or_b64 exec, exec, s[0:1]
	s_barrier
	scratch_load_dwordx4 v[72:75], off, off offset:384 ; 16-byte Folded Reload
	scratch_load_dwordx4 v[76:79], off, off offset:400 ; 16-byte Folded Reload
	;; [unrolled: 1-line block ×8, first 2 shown]
	v_lshl_add_u32 v21, v255, 2, v254
	s_cmp_lt_i32 s22, 18
	v_mov_b32_e32 v42, 16
	s_waitcnt vmcnt(3)
	ds_write_b32 v21, v88
	s_waitcnt lgkmcnt(0)
	s_barrier
	ds_read_b32 v21, v254 offset:64
	s_cbranch_scc1 .LBB40_272
; %bb.270:
	v_add_u32_e32 v41, 0x44, v254
	v_mov_b32_e32 v42, 16
	s_mov_b32 s0, 17
.LBB40_271:                             ; =>This Inner Loop Header: Depth=1
	ds_read_b32 v43, v41
	v_mov_b32_e32 v44, s0
	s_add_i32 s0, s0, 1
	v_add_u32_e32 v41, 4, v41
	s_cmp_lg_u32 s22, s0
	s_waitcnt lgkmcnt(0)
	v_cmp_lt_f32_e64 vcc, |v21|, |v43|
	s_nop 1
	v_cndmask_b32_e32 v21, v21, v43, vcc
	v_cndmask_b32_e32 v42, v42, v44, vcc
	s_cbranch_scc1 .LBB40_271
.LBB40_272:
	s_waitcnt lgkmcnt(0)
	v_cmp_eq_f32_e32 vcc, 0, v21
	s_and_saveexec_b64 s[0:1], vcc
	s_xor_b64 s[0:1], exec, s[0:1]
; %bb.273:
	v_cmp_ne_u32_e32 vcc, 0, v250
	s_nop 1
	v_cndmask_b32_e32 v250, 17, v250, vcc
; %bb.274:
	s_andn2_saveexec_b64 s[0:1], s[0:1]
	s_cbranch_execz .LBB40_276
; %bb.275:
	v_div_scale_f32 v41, s[2:3], v21, v21, 1.0
	v_rcp_f32_e32 v43, v41
	v_div_scale_f32 v44, vcc, 1.0, v21, 1.0
	v_fma_f32 v45, -v41, v43, 1.0
	v_fmac_f32_e32 v43, v45, v43
	v_mul_f32_e32 v45, v44, v43
	v_fma_f32 v46, -v41, v45, v44
	v_fmac_f32_e32 v45, v46, v43
	v_fma_f32 v41, -v41, v45, v44
	v_div_fmas_f32 v41, v41, v43, v45
	v_div_fixup_f32 v21, v41, v21, 1.0
.LBB40_276:
	s_or_b64 exec, exec, s[0:1]
	v_cmp_ne_u32_e32 vcc, v255, v42
	s_and_saveexec_b64 s[0:1], vcc
	s_xor_b64 s[0:1], exec, s[0:1]
	s_cbranch_execz .LBB40_282
; %bb.277:
	v_cmp_eq_u32_e32 vcc, 16, v255
	s_and_saveexec_b64 s[2:3], vcc
	s_cbranch_execz .LBB40_281
; %bb.278:
	v_cmp_ne_u32_e32 vcc, 16, v42
	s_xor_b64 s[18:19], s[16:17], -1
	s_and_b64 s[20:21], s[18:19], vcc
	s_and_saveexec_b64 s[18:19], s[20:21]
	s_cbranch_execz .LBB40_280
; %bb.279:
	scratch_load_dwordx2 v[46:47], off, off offset:1792 ; 8-byte Folded Reload
	v_ashrrev_i32_e32 v43, 31, v42
	s_waitcnt vmcnt(0)
	v_lshl_add_u64 v[44:45], v[42:43], 2, v[46:47]
	global_load_dword v41, v[44:45], off
	global_load_dword v43, v[46:47], off offset:64
	s_waitcnt vmcnt(1)
	global_store_dword v[46:47], v41, off offset:64
	s_waitcnt vmcnt(1)
	global_store_dword v[44:45], v43, off
.LBB40_280:
	s_or_b64 exec, exec, s[18:19]
	v_mov_b32_e32 v251, v42
	v_mov_b32_e32 v255, v42
.LBB40_281:
	s_or_b64 exec, exec, s[2:3]
.LBB40_282:
	s_andn2_saveexec_b64 s[0:1], s[0:1]
	s_cbranch_execz .LBB40_284
; %bb.283:
	scratch_load_dwordx4 v[72:75], off, off ; 16-byte Folded Reload
	scratch_load_dwordx4 v[76:79], off, off offset:16 ; 16-byte Folded Reload
	scratch_load_dwordx4 v[80:83], off, off offset:32 ; 16-byte Folded Reload
	;; [unrolled: 1-line block ×7, first 2 shown]
	v_mov_b32_e32 v255, 16
	s_waitcnt vmcnt(2)
	v_mov_b32_e32 v16, v88
	v_mov_b32_e32 v17, v89
	;; [unrolled: 1-line block ×5, first 2 shown]
	ds_write2_b32 v254, v17, v18 offset0:17 offset1:18
	ds_write2_b32 v254, v19, v20 offset0:19 offset1:20
.LBB40_284:
	s_or_b64 exec, exec, s[0:1]
	v_cmp_lt_i32_e32 vcc, 16, v255
	s_waitcnt lgkmcnt(0)
	s_barrier
	s_and_saveexec_b64 s[0:1], vcc
	s_cbranch_execz .LBB40_286
; %bb.285:
	ds_read2_b32 v[0:1], v254 offset0:17 offset1:18
	scratch_load_dwordx4 v[22:25], off, off offset:384 ; 16-byte Folded Reload
	scratch_load_dwordx4 v[26:29], off, off offset:400 ; 16-byte Folded Reload
	;; [unrolled: 1-line block ×8, first 2 shown]
	s_waitcnt vmcnt(4)
	v_mov_b32_e32 v34, v162
	v_mov_b32_e32 v35, v163
	;; [unrolled: 1-line block ×4, first 2 shown]
	s_waitcnt vmcnt(3)
	v_mul_f32_e32 v166, v38, v21
	scratch_load_dwordx4 v[2:5], off, off   ; 16-byte Folded Reload
	scratch_load_dwordx4 v[6:9], off, off offset:16 ; 16-byte Folded Reload
	scratch_load_dwordx4 v[10:13], off, off offset:32 ; 16-byte Folded Reload
	;; [unrolled: 1-line block ×7, first 2 shown]
	s_waitcnt vmcnt(7)
	ds_read2_b32 v[4:5], v254 offset0:19 offset1:20
	s_waitcnt vmcnt(2)
	v_mov_b32_e32 v23, v151
	v_mov_b32_e32 v24, v152
	;; [unrolled: 1-line block ×3, first 2 shown]
	s_waitcnt vmcnt(1)
	v_mov_b32_e32 v26, v154
	v_mov_b32_e32 v27, v155
	v_mov_b32_e32 v28, v156
	v_mov_b32_e32 v29, v157
	s_waitcnt vmcnt(0)
	v_mov_b32_e32 v30, v158
	v_mov_b32_e32 v31, v159
	v_mov_b32_e32 v6, v156
	v_mov_b32_e32 v7, v157
	v_mov_b32_e32 v8, v158
	v_mov_b32_e32 v9, v159
	v_mov_b32_e32 v10, v160
	v_mov_b32_e32 v11, v161
	v_mov_b32_e32 v12, v162
	v_mov_b32_e32 v13, v163
	v_mov_b32_e32 v14, v164
	v_mov_b32_e32 v15, v165
	v_mov_b32_e32 v16, v166
	v_mov_b32_e32 v32, v160
	v_mov_b32_e32 v33, v161
	v_mov_b32_e32 v38, v166
	v_mov_b32_e32 v17, v19
	v_mov_b32_e32 v18, v20
	v_mov_b32_e32 v19, v21
	v_mov_b32_e32 v20, v22
	v_mov_b32_e32 v2, v17
	v_mov_b32_e32 v3, v18
	s_waitcnt lgkmcnt(1)
	v_pk_fma_f32 v[42:43], v[166:167], v[0:1], v[2:3] op_sel_hi:[0,1,1] neg_lo:[1,0,0] neg_hi:[1,0,0]
	v_mov_b32_e32 v0, v19
	v_mov_b32_e32 v1, v20
	s_waitcnt lgkmcnt(0)
	v_pk_fma_f32 v[252:253], v[166:167], v[4:5], v[0:1] op_sel_hi:[0,1,1] neg_lo:[1,0,0] neg_hi:[1,0,0]
	v_mov_b32_e32 v22, v150
	v_mov_b32_e32 v0, v150
	;; [unrolled: 1-line block ×11, first 2 shown]
	scratch_store_dwordx4 off, v[0:3], off  ; 16-byte Folded Spill
	s_nop 0
	scratch_store_dwordx4 off, v[4:7], off offset:16 ; 16-byte Folded Spill
	scratch_store_dwordx4 off, v[8:11], off offset:32 ; 16-byte Folded Spill
	scratch_store_dwordx4 off, v[12:15], off offset:48 ; 16-byte Folded Spill
	scratch_store_dwordx4 off, v[16:19], off offset:64 ; 16-byte Folded Spill
	scratch_store_dwordx4 off, v[20:23], off offset:80 ; 16-byte Folded Spill
	scratch_store_dwordx4 off, v[24:27], off offset:96 ; 16-byte Folded Spill
	scratch_store_dwordx4 off, v[28:31], off offset:112 ; 16-byte Folded Spill
	v_mov_b32_e32 v167, v42
	v_mov_b64_e32 v[212:213], v[180:181]
	v_mov_b32_e32 v21, v42
	v_mov_b64_e32 v[210:211], v[178:179]
	v_mov_b64_e32 v[208:209], v[176:177]
	;; [unrolled: 1-line block ×15, first 2 shown]
	scratch_store_dwordx4 off, v[150:153], off offset:512 ; 16-byte Folded Spill
	s_nop 0
	scratch_store_dwordx4 off, v[154:157], off offset:528 ; 16-byte Folded Spill
	scratch_store_dwordx4 off, v[158:161], off offset:544 ; 16-byte Folded Spill
	;; [unrolled: 1-line block ×7, first 2 shown]
	v_mov_b32_e32 v39, v42
	v_mov_b32_e32 v40, v43
	;; [unrolled: 1-line block ×3, first 2 shown]
	scratch_store_dwordx4 off, v[4:7], off offset:256 ; 16-byte Folded Spill
	s_nop 0
	scratch_store_dwordx4 off, v[8:11], off offset:272 ; 16-byte Folded Spill
	scratch_store_dwordx4 off, v[12:15], off offset:288 ; 16-byte Folded Spill
	;; [unrolled: 1-line block ×8, first 2 shown]
	s_nop 0
	scratch_store_dwordx4 off, v[28:31], off offset:144 ; 16-byte Folded Spill
	scratch_store_dwordx4 off, v[32:35], off offset:160 ; 16-byte Folded Spill
	;; [unrolled: 1-line block ×7, first 2 shown]
.LBB40_286:
	s_or_b64 exec, exec, s[0:1]
	s_barrier
	scratch_load_dwordx4 v[72:75], off, off offset:256 ; 16-byte Folded Reload
	scratch_load_dwordx4 v[76:79], off, off offset:272 ; 16-byte Folded Reload
	;; [unrolled: 1-line block ×8, first 2 shown]
	v_lshl_add_u32 v21, v255, 2, v254
	s_cmp_lt_i32 s22, 19
	v_mov_b32_e32 v42, 17
	s_waitcnt vmcnt(3)
	ds_write_b32 v21, v89
	s_waitcnt lgkmcnt(0)
	s_barrier
	ds_read_b32 v21, v254 offset:68
	s_cbranch_scc1 .LBB40_289
; %bb.287:
	v_add_u32_e32 v41, 0x48, v254
	v_mov_b32_e32 v42, 17
	s_mov_b32 s0, 18
.LBB40_288:                             ; =>This Inner Loop Header: Depth=1
	ds_read_b32 v43, v41
	v_mov_b32_e32 v44, s0
	s_add_i32 s0, s0, 1
	v_add_u32_e32 v41, 4, v41
	s_cmp_lg_u32 s22, s0
	s_waitcnt lgkmcnt(0)
	v_cmp_lt_f32_e64 vcc, |v21|, |v43|
	s_nop 1
	v_cndmask_b32_e32 v21, v21, v43, vcc
	v_cndmask_b32_e32 v42, v42, v44, vcc
	s_cbranch_scc1 .LBB40_288
.LBB40_289:
	s_waitcnt lgkmcnt(0)
	v_cmp_eq_f32_e32 vcc, 0, v21
	s_and_saveexec_b64 s[0:1], vcc
	s_xor_b64 s[0:1], exec, s[0:1]
; %bb.290:
	v_cmp_ne_u32_e32 vcc, 0, v250
	s_nop 1
	v_cndmask_b32_e32 v250, 18, v250, vcc
; %bb.291:
	s_andn2_saveexec_b64 s[0:1], s[0:1]
	s_cbranch_execz .LBB40_293
; %bb.292:
	v_div_scale_f32 v41, s[2:3], v21, v21, 1.0
	v_rcp_f32_e32 v43, v41
	v_div_scale_f32 v44, vcc, 1.0, v21, 1.0
	v_fma_f32 v45, -v41, v43, 1.0
	v_fmac_f32_e32 v43, v45, v43
	v_mul_f32_e32 v45, v44, v43
	v_fma_f32 v46, -v41, v45, v44
	v_fmac_f32_e32 v45, v46, v43
	v_fma_f32 v41, -v41, v45, v44
	v_div_fmas_f32 v41, v41, v43, v45
	v_div_fixup_f32 v21, v41, v21, 1.0
.LBB40_293:
	s_or_b64 exec, exec, s[0:1]
	v_cmp_ne_u32_e32 vcc, v255, v42
	s_and_saveexec_b64 s[0:1], vcc
	s_xor_b64 s[0:1], exec, s[0:1]
	s_cbranch_execz .LBB40_299
; %bb.294:
	v_cmp_eq_u32_e32 vcc, 17, v255
	s_and_saveexec_b64 s[2:3], vcc
	s_cbranch_execz .LBB40_298
; %bb.295:
	v_cmp_ne_u32_e32 vcc, 17, v42
	s_xor_b64 s[18:19], s[16:17], -1
	s_and_b64 s[20:21], s[18:19], vcc
	s_and_saveexec_b64 s[18:19], s[20:21]
	s_cbranch_execz .LBB40_297
; %bb.296:
	scratch_load_dwordx2 v[46:47], off, off offset:1792 ; 8-byte Folded Reload
	v_ashrrev_i32_e32 v43, 31, v42
	s_waitcnt vmcnt(0)
	v_lshl_add_u64 v[44:45], v[42:43], 2, v[46:47]
	global_load_dword v41, v[44:45], off
	global_load_dword v43, v[46:47], off offset:68
	s_waitcnt vmcnt(1)
	global_store_dword v[46:47], v41, off offset:68
	s_waitcnt vmcnt(1)
	global_store_dword v[44:45], v43, off
.LBB40_297:
	s_or_b64 exec, exec, s[18:19]
	v_mov_b32_e32 v251, v42
	v_mov_b32_e32 v255, v42
.LBB40_298:
	s_or_b64 exec, exec, s[2:3]
.LBB40_299:
	s_andn2_saveexec_b64 s[0:1], s[0:1]
	s_cbranch_execz .LBB40_301
; %bb.300:
	scratch_load_dwordx4 v[72:75], off, off ; 16-byte Folded Reload
	scratch_load_dwordx4 v[76:79], off, off offset:16 ; 16-byte Folded Reload
	scratch_load_dwordx4 v[80:83], off, off offset:32 ; 16-byte Folded Reload
	;; [unrolled: 1-line block ×7, first 2 shown]
	v_mov_b32_e32 v255, 17
	s_waitcnt vmcnt(3)
	ds_write2_b32 v254, v90, v91 offset0:18 offset1:19
	ds_write_b32 v254, v253 offset:80
.LBB40_301:
	s_or_b64 exec, exec, s[0:1]
	v_cmp_lt_i32_e32 vcc, 17, v255
	s_waitcnt lgkmcnt(0)
	s_barrier
	s_and_saveexec_b64 s[0:1], vcc
	s_cbranch_execz .LBB40_303
; %bb.302:
	ds_read2_b32 v[0:1], v254 offset0:18 offset1:19
	ds_read_b32 v2, v254 offset:80
	scratch_load_dwordx4 v[22:25], off, off offset:256 ; 16-byte Folded Reload
	scratch_load_dwordx4 v[26:29], off, off offset:272 ; 16-byte Folded Reload
	;; [unrolled: 1-line block ×16, first 2 shown]
	s_waitcnt vmcnt(7)
	v_mov_b32_e32 v3, v185
	s_waitcnt vmcnt(4)
	v_mov_b32_e32 v36, v196
	v_mul_f32_e32 v42, v39, v21
	scratch_load_dwordx4 v[4:7], off, off   ; 16-byte Folded Reload
	scratch_load_dwordx4 v[8:11], off, off offset:16 ; 16-byte Folded Reload
	scratch_load_dwordx4 v[12:15], off, off offset:32 ; 16-byte Folded Reload
	;; [unrolled: 1-line block ×7, first 2 shown]
	s_waitcnt vmcnt(11)
	v_mov_b32_e32 v199, v42
	s_waitcnt vmcnt(3) lgkmcnt(0)
	v_fma_f32 v20, -v42, v2, v253
	s_waitcnt vmcnt(2)
	v_mov_b32_e32 v24, v184
	v_mov_b32_e32 v25, v185
	v_mov_b32_e32 v26, v186
	v_mov_b32_e32 v27, v187
	s_waitcnt vmcnt(1)
	v_mov_b32_e32 v28, v188
	v_mov_b32_e32 v29, v189
	v_mov_b32_e32 v30, v190
	v_mov_b32_e32 v31, v191
	;; [unrolled: 5-line block ×3, first 2 shown]
	v_mov_b32_e32 v37, v197
	v_mov_b32_e32 v38, v198
	v_mov_b32_e32 v39, v42
	v_mov_b32_e32 v17, v42
	v_mov_b32_e32 v14, v196
	v_mov_b32_e32 v15, v197
	v_mov_b32_e32 v2, v184
	v_mov_b32_e32 v4, v186
	v_mov_b32_e32 v5, v187
	v_mov_b32_e32 v6, v188
	v_mov_b32_e32 v7, v189
	v_mov_b32_e32 v8, v190
	v_mov_b32_e32 v9, v191
	v_mov_b32_e32 v10, v192
	v_mov_b32_e32 v11, v193
	v_mov_b32_e32 v12, v194
	v_mov_b32_e32 v13, v195
	v_mov_b32_e32 v16, v198
	v_mov_b32_e32 v253, v20
	v_pk_fma_f32 v[40:41], v[42:43], v[0:1], v[22:23] op_sel_hi:[0,1,1] neg_lo:[1,0,0] neg_hi:[1,0,0]
	v_mov_b32_e32 v42, v40
	v_mov_b32_e32 v18, v40
	;; [unrolled: 1-line block ×3, first 2 shown]
	scratch_store_dwordx4 off, v[24:27], off offset:128 ; 16-byte Folded Spill
	s_nop 0
	scratch_store_dwordx4 off, v[28:31], off offset:144 ; 16-byte Folded Spill
	scratch_store_dwordx4 off, v[32:35], off offset:160 ; 16-byte Folded Spill
	scratch_store_dwordx4 off, v[36:39], off offset:176 ; 16-byte Folded Spill
	scratch_store_dwordx4 off, v[40:43], off offset:192 ; 16-byte Folded Spill
	scratch_store_dwordx4 off, v[44:47], off offset:208 ; 16-byte Folded Spill
	scratch_store_dwordx4 off, v[48:51], off offset:224 ; 16-byte Folded Spill
	scratch_store_dwordx4 off, v[52:55], off offset:240 ; 16-byte Folded Spill
	v_mov_b32_e32 v0, v182
	v_mov_b32_e32 v1, v183
	v_mov_b64_e32 v[56:57], v[14:15]
	v_mov_b32_e32 v62, v20
	v_mov_b32_e32 v22, v182
	;; [unrolled: 1-line block ×3, first 2 shown]
	v_mov_b64_e32 v[54:55], v[12:13]
	v_mov_b64_e32 v[52:53], v[10:11]
	;; [unrolled: 1-line block ×7, first 2 shown]
	v_mov_b32_e32 v61, v19
	v_mov_b32_e32 v60, v18
	;; [unrolled: 1-line block ×4, first 2 shown]
	scratch_store_dwordx4 off, v[42:45], off ; 16-byte Folded Spill
	s_nop 0
	scratch_store_dwordx4 off, v[46:49], off offset:16 ; 16-byte Folded Spill
	scratch_store_dwordx4 off, v[50:53], off offset:32 ; 16-byte Folded Spill
	;; [unrolled: 1-line block ×7, first 2 shown]
	v_mov_b32_e32 v252, v41
.LBB40_303:
	s_or_b64 exec, exec, s[0:1]
	s_barrier
	scratch_load_dwordx4 v[42:45], off, off offset:128 ; 16-byte Folded Reload
	scratch_load_dwordx4 v[46:49], off, off offset:144 ; 16-byte Folded Reload
	;; [unrolled: 1-line block ×8, first 2 shown]
	v_lshl_add_u32 v21, v255, 2, v254
	s_cmp_lt_i32 s22, 20
	s_waitcnt vmcnt(7)
	v_mov_b32_e32 v42, 18
	s_waitcnt vmcnt(3)
	ds_write_b32 v21, v60
	s_waitcnt lgkmcnt(0)
	s_barrier
	ds_read_b32 v21, v254 offset:72
	s_cbranch_scc1 .LBB40_306
; %bb.304:
	v_add_u32_e32 v41, 0x4c, v254
	v_mov_b32_e32 v42, 18
	s_mov_b32 s0, 19
.LBB40_305:                             ; =>This Inner Loop Header: Depth=1
	ds_read_b32 v43, v41
	v_mov_b32_e32 v44, s0
	s_add_i32 s0, s0, 1
	v_add_u32_e32 v41, 4, v41
	s_cmp_lg_u32 s22, s0
	s_waitcnt lgkmcnt(0)
	v_cmp_lt_f32_e64 vcc, |v21|, |v43|
	s_nop 1
	v_cndmask_b32_e32 v21, v21, v43, vcc
	v_cndmask_b32_e32 v42, v42, v44, vcc
	s_cbranch_scc1 .LBB40_305
.LBB40_306:
	s_waitcnt lgkmcnt(0)
	v_cmp_eq_f32_e32 vcc, 0, v21
	s_and_saveexec_b64 s[0:1], vcc
	s_xor_b64 s[0:1], exec, s[0:1]
; %bb.307:
	v_cmp_ne_u32_e32 vcc, 0, v250
	s_nop 1
	v_cndmask_b32_e32 v250, 19, v250, vcc
; %bb.308:
	s_andn2_saveexec_b64 s[0:1], s[0:1]
	s_cbranch_execz .LBB40_310
; %bb.309:
	v_div_scale_f32 v41, s[2:3], v21, v21, 1.0
	v_rcp_f32_e32 v43, v41
	v_div_scale_f32 v44, vcc, 1.0, v21, 1.0
	v_fma_f32 v45, -v41, v43, 1.0
	v_fmac_f32_e32 v43, v45, v43
	v_mul_f32_e32 v45, v44, v43
	v_fma_f32 v46, -v41, v45, v44
	v_fmac_f32_e32 v45, v46, v43
	v_fma_f32 v41, -v41, v45, v44
	v_div_fmas_f32 v41, v41, v43, v45
	v_div_fixup_f32 v21, v41, v21, 1.0
.LBB40_310:
	s_or_b64 exec, exec, s[0:1]
	v_cmp_ne_u32_e32 vcc, v255, v42
	s_and_saveexec_b64 s[0:1], vcc
	s_xor_b64 s[0:1], exec, s[0:1]
	s_cbranch_execz .LBB40_316
; %bb.311:
	v_cmp_eq_u32_e32 vcc, 18, v255
	s_and_saveexec_b64 s[2:3], vcc
	s_cbranch_execz .LBB40_315
; %bb.312:
	v_cmp_ne_u32_e32 vcc, 18, v42
	s_xor_b64 s[18:19], s[16:17], -1
	s_and_b64 s[20:21], s[18:19], vcc
	s_and_saveexec_b64 s[18:19], s[20:21]
	s_cbranch_execz .LBB40_314
; %bb.313:
	scratch_load_dwordx2 v[46:47], off, off offset:1792 ; 8-byte Folded Reload
	v_ashrrev_i32_e32 v43, 31, v42
	s_waitcnt vmcnt(0)
	v_lshl_add_u64 v[44:45], v[42:43], 2, v[46:47]
	global_load_dword v41, v[44:45], off
	global_load_dword v43, v[46:47], off offset:72
	s_waitcnt vmcnt(1)
	global_store_dword v[46:47], v41, off offset:72
	s_waitcnt vmcnt(1)
	global_store_dword v[44:45], v43, off
.LBB40_314:
	s_or_b64 exec, exec, s[18:19]
	v_mov_b32_e32 v251, v42
	v_mov_b32_e32 v255, v42
.LBB40_315:
	s_or_b64 exec, exec, s[2:3]
.LBB40_316:
	s_andn2_saveexec_b64 s[0:1], s[0:1]
	s_cbranch_execz .LBB40_318
; %bb.317:
	scratch_load_dwordx4 v[42:45], off, off ; 16-byte Folded Reload
	scratch_load_dwordx4 v[46:49], off, off offset:16 ; 16-byte Folded Reload
	scratch_load_dwordx4 v[50:53], off, off offset:32 ; 16-byte Folded Reload
	;; [unrolled: 1-line block ×7, first 2 shown]
	v_mov_b32_e32 v255, 18
	s_waitcnt vmcnt(2)
	ds_write2_b32 v254, v61, v62 offset0:19 offset1:20
.LBB40_318:
	s_or_b64 exec, exec, s[0:1]
	v_cmp_lt_i32_e32 vcc, 18, v255
	s_waitcnt lgkmcnt(0)
	s_barrier
	s_and_saveexec_b64 s[0:1], vcc
	s_cbranch_execz .LBB40_320
; %bb.319:
	ds_read2_b32 v[0:1], v254 offset0:19 offset1:20
	scratch_load_dwordx4 v[22:25], off, off offset:128 ; 16-byte Folded Reload
	scratch_load_dwordx4 v[26:29], off, off offset:144 ; 16-byte Folded Reload
	scratch_load_dwordx4 v[30:33], off, off offset:160 ; 16-byte Folded Reload
	scratch_load_dwordx4 v[34:37], off, off offset:176 ; 16-byte Folded Reload
	scratch_load_dwordx4 v[38:41], off, off offset:192 ; 16-byte Folded Reload
	scratch_load_dwordx4 v[42:45], off, off offset:208 ; 16-byte Folded Reload
	scratch_load_dwordx4 v[46:49], off, off offset:224 ; 16-byte Folded Reload
	scratch_load_dwordx4 v[50:53], off, off offset:240 ; 16-byte Folded Reload
	s_waitcnt vmcnt(3)
	v_mul_f32_e32 v200, v40, v21
	scratch_load_dwordx4 v[2:5], off, off   ; 16-byte Folded Reload
	scratch_load_dwordx4 v[6:9], off, off offset:16 ; 16-byte Folded Reload
	scratch_load_dwordx4 v[10:13], off, off offset:32 ; 16-byte Folded Reload
	;; [unrolled: 1-line block ×7, first 2 shown]
	s_waitcnt vmcnt(2)
	v_mov_b32_e32 v19, v21
	v_mov_b32_e32 v20, v22
	;; [unrolled: 1-line block ×4, first 2 shown]
	s_waitcnt lgkmcnt(0)
	v_pk_fma_f32 v[252:253], v[200:201], v[0:1], v[2:3] op_sel_hi:[0,1,1] neg_lo:[1,0,0] neg_hi:[1,0,0]
	v_mov_b32_e32 v201, v252
	v_mov_b32_e32 v202, v253
	scratch_store_dwordx4 off, v[182:185], off ; 16-byte Folded Spill
	s_nop 0
	scratch_store_dwordx4 off, v[186:189], off offset:16 ; 16-byte Folded Spill
	scratch_store_dwordx4 off, v[190:193], off offset:32 ; 16-byte Folded Spill
	;; [unrolled: 1-line block ×7, first 2 shown]
	s_waitcnt vmcnt(8)
	v_mov_b64_e32 v[22:23], v[182:183]
	v_mov_b64_e32 v[24:25], v[184:185]
	v_mov_b64_e32 v[26:27], v[186:187]
	v_mov_b64_e32 v[28:29], v[188:189]
	v_mov_b64_e32 v[30:31], v[190:191]
	v_mov_b64_e32 v[32:33], v[192:193]
	v_mov_b64_e32 v[34:35], v[194:195]
	v_mov_b64_e32 v[36:37], v[196:197]
	v_mov_b64_e32 v[38:39], v[198:199]
	v_mov_b64_e32 v[40:41], v[200:201]
	v_mov_b64_e32 v[42:43], v[202:203]
	v_mov_b64_e32 v[44:45], v[204:205]
	v_mov_b64_e32 v[46:47], v[206:207]
	v_mov_b64_e32 v[48:49], v[208:209]
	v_mov_b64_e32 v[50:51], v[210:211]
	v_mov_b64_e32 v[52:53], v[212:213]
.LBB40_320:
	s_or_b64 exec, exec, s[0:1]
	v_lshl_add_u32 v21, v255, 2, v254
	s_barrier
	ds_write_b32 v21, v252
	s_waitcnt lgkmcnt(0)
	s_barrier
	ds_read_b32 v21, v254 offset:76
	s_cmp_lt_i32 s22, 21
	v_mov_b32_e32 v42, 19
	s_cbranch_scc1 .LBB40_323
; %bb.321:
	v_add_u32_e32 v41, 0x50, v254
	v_mov_b32_e32 v42, 19
	s_mov_b32 s0, 20
.LBB40_322:                             ; =>This Inner Loop Header: Depth=1
	ds_read_b32 v43, v41
	v_mov_b32_e32 v44, s0
	s_add_i32 s0, s0, 1
	v_add_u32_e32 v41, 4, v41
	s_cmp_lg_u32 s22, s0
	s_waitcnt lgkmcnt(0)
	v_cmp_lt_f32_e64 vcc, |v21|, |v43|
	s_nop 1
	v_cndmask_b32_e32 v21, v21, v43, vcc
	v_cndmask_b32_e32 v42, v42, v44, vcc
	s_cbranch_scc1 .LBB40_322
.LBB40_323:
	s_waitcnt lgkmcnt(0)
	v_cmp_eq_f32_e32 vcc, 0, v21
	s_and_saveexec_b64 s[0:1], vcc
	s_xor_b64 s[0:1], exec, s[0:1]
; %bb.324:
	v_cmp_ne_u32_e32 vcc, 0, v250
	s_nop 1
	v_cndmask_b32_e32 v250, 20, v250, vcc
; %bb.325:
	s_andn2_saveexec_b64 s[0:1], s[0:1]
	s_cbranch_execz .LBB40_327
; %bb.326:
	v_div_scale_f32 v41, s[2:3], v21, v21, 1.0
	v_rcp_f32_e32 v43, v41
	v_div_scale_f32 v44, vcc, 1.0, v21, 1.0
	v_fma_f32 v45, -v41, v43, 1.0
	v_fmac_f32_e32 v43, v45, v43
	v_mul_f32_e32 v45, v44, v43
	v_fma_f32 v46, -v41, v45, v44
	v_fmac_f32_e32 v45, v46, v43
	v_fma_f32 v41, -v41, v45, v44
	v_div_fmas_f32 v41, v41, v43, v45
	v_div_fixup_f32 v21, v41, v21, 1.0
.LBB40_327:
	s_or_b64 exec, exec, s[0:1]
	v_cmp_ne_u32_e32 vcc, v255, v42
	s_and_saveexec_b64 s[0:1], vcc
	s_xor_b64 s[0:1], exec, s[0:1]
	s_cbranch_execz .LBB40_333
; %bb.328:
	v_cmp_eq_u32_e32 vcc, 19, v255
	s_and_saveexec_b64 s[2:3], vcc
	s_cbranch_execz .LBB40_332
; %bb.329:
	v_cmp_ne_u32_e32 vcc, 19, v42
	s_xor_b64 s[18:19], s[16:17], -1
	s_and_b64 s[20:21], s[18:19], vcc
	s_and_saveexec_b64 s[18:19], s[20:21]
	s_cbranch_execz .LBB40_331
; %bb.330:
	scratch_load_dwordx2 v[46:47], off, off offset:1792 ; 8-byte Folded Reload
	v_ashrrev_i32_e32 v43, 31, v42
	s_waitcnt vmcnt(0)
	v_lshl_add_u64 v[44:45], v[42:43], 2, v[46:47]
	global_load_dword v41, v[44:45], off
	global_load_dword v43, v[46:47], off offset:76
	s_waitcnt vmcnt(1)
	global_store_dword v[46:47], v41, off offset:76
	s_waitcnt vmcnt(1)
	global_store_dword v[44:45], v43, off
.LBB40_331:
	s_or_b64 exec, exec, s[18:19]
	v_mov_b32_e32 v251, v42
	v_mov_b32_e32 v255, v42
.LBB40_332:
	s_or_b64 exec, exec, s[2:3]
.LBB40_333:
	s_andn2_saveexec_b64 s[0:1], s[0:1]
; %bb.334:
	v_mov_b32_e32 v255, 19
	ds_write_b32 v254, v253 offset:80
; %bb.335:
	s_or_b64 exec, exec, s[0:1]
	v_cmp_lt_i32_e32 vcc, 19, v255
	s_waitcnt lgkmcnt(0)
	s_barrier
	s_and_saveexec_b64 s[0:1], vcc
	s_cbranch_execz .LBB40_337
; %bb.336:
	ds_read_b32 v0, v254 offset:80
	v_mul_f32_e32 v41, v252, v21
	s_waitcnt lgkmcnt(0)
	v_fma_f32 v42, -v41, v0, v253
	scratch_store_dwordx4 off, v[22:25], off ; 16-byte Folded Spill
	s_nop 0
	scratch_store_dwordx4 off, v[26:29], off offset:16 ; 16-byte Folded Spill
	scratch_store_dwordx4 off, v[30:33], off offset:32 ; 16-byte Folded Spill
	;; [unrolled: 1-line block ×7, first 2 shown]
	v_mov_b32_e32 v253, v42
.LBB40_337:
	s_or_b64 exec, exec, s[0:1]
	v_lshl_add_u32 v21, v255, 2, v254
	s_barrier
	ds_write_b32 v21, v253
	s_waitcnt lgkmcnt(0)
	s_barrier
	ds_read_b32 v21, v254 offset:80
	s_cmp_lt_i32 s22, 22
	v_mov_b32_e32 v22, 20
	s_cbranch_scc1 .LBB40_340
; %bb.338:
	v_add_u32_e32 v23, 0x54, v254
	v_mov_b32_e32 v22, 20
	s_mov_b32 s0, 21
.LBB40_339:                             ; =>This Inner Loop Header: Depth=1
	ds_read_b32 v24, v23
	v_mov_b32_e32 v25, s0
	s_add_i32 s0, s0, 1
	v_add_u32_e32 v23, 4, v23
	s_cmp_lg_u32 s22, s0
	s_waitcnt lgkmcnt(0)
	v_cmp_lt_f32_e64 vcc, |v21|, |v24|
	s_nop 1
	v_cndmask_b32_e32 v21, v21, v24, vcc
	v_cndmask_b32_e32 v22, v22, v25, vcc
	s_cbranch_scc1 .LBB40_339
.LBB40_340:
	s_waitcnt lgkmcnt(0)
	v_cmp_eq_f32_e32 vcc, 0, v21
	s_and_saveexec_b64 s[0:1], vcc
	s_xor_b64 s[0:1], exec, s[0:1]
; %bb.341:
	v_cmp_ne_u32_e32 vcc, 0, v250
	s_nop 1
	v_cndmask_b32_e32 v250, 21, v250, vcc
; %bb.342:
	s_andn2_saveexec_b64 s[0:1], s[0:1]
	s_cbranch_execz .LBB40_344
; %bb.343:
	v_div_scale_f32 v23, s[2:3], v21, v21, 1.0
	v_rcp_f32_e32 v24, v23
	v_div_scale_f32 v25, vcc, 1.0, v21, 1.0
	v_fma_f32 v26, -v23, v24, 1.0
	v_fmac_f32_e32 v24, v26, v24
	v_mul_f32_e32 v26, v25, v24
	v_fma_f32 v27, -v23, v26, v25
	v_fmac_f32_e32 v26, v27, v24
	v_fma_f32 v23, -v23, v26, v25
	v_div_fmas_f32 v23, v23, v24, v26
	v_div_fixup_f32 v21, v23, v21, 1.0
.LBB40_344:
	s_or_b64 exec, exec, s[0:1]
	v_cmp_ne_u32_e32 vcc, v255, v22
	v_mov_b32_e32 v24, 20
	s_and_saveexec_b64 s[0:1], vcc
	s_cbranch_execz .LBB40_350
; %bb.345:
	v_cmp_eq_u32_e32 vcc, 20, v255
	s_and_saveexec_b64 s[2:3], vcc
	s_cbranch_execz .LBB40_349
; %bb.346:
	v_cmp_ne_u32_e32 vcc, 20, v22
	s_xor_b64 s[16:17], s[16:17], -1
	s_and_b64 s[18:19], s[16:17], vcc
	s_and_saveexec_b64 s[16:17], s[18:19]
	s_cbranch_execz .LBB40_348
; %bb.347:
	scratch_load_dwordx2 v[28:29], off, off offset:1792 ; 8-byte Folded Reload
	v_ashrrev_i32_e32 v23, 31, v22
	s_waitcnt vmcnt(0)
	v_lshl_add_u64 v[24:25], v[22:23], 2, v[28:29]
	global_load_dword v23, v[24:25], off
	global_load_dword v26, v[28:29], off offset:80
	s_waitcnt vmcnt(1)
	global_store_dword v[28:29], v23, off offset:80
	s_waitcnt vmcnt(1)
	global_store_dword v[24:25], v26, off
.LBB40_348:
	s_or_b64 exec, exec, s[16:17]
	v_mov_b32_e32 v251, v22
	v_mov_b32_e32 v255, v22
.LBB40_349:
	s_or_b64 exec, exec, s[2:3]
	v_mov_b32_e32 v24, v255
.LBB40_350:
	s_or_b64 exec, exec, s[0:1]
	v_cmp_gt_i32_e32 vcc, 21, v24
	v_ashrrev_i32_e32 v25, 31, v24
	s_barrier
	s_barrier
	s_and_saveexec_b64 s[0:1], vcc
	s_cbranch_execz .LBB40_352
; %bb.351:
	v_mul_lo_u32 v28, s11, v248
	v_mul_lo_u32 v29, s10, v249
	v_mad_u64_u32 v[26:27], s[2:3], s10, v248, 0
	v_mov_b32_e32 v22, s6
	v_mov_b32_e32 v23, s7
	v_add3_u32 v27, v27, v29, v28
	v_lshl_add_u64 v[22:23], v[26:27], 2, v[22:23]
	v_lshl_add_u64 v[22:23], s[8:9], 2, v[22:23]
	;; [unrolled: 1-line block ×3, first 2 shown]
	v_add3_u32 v26, v251, s15, 1
	global_store_dword v[22:23], v26, off
.LBB40_352:
	s_or_b64 exec, exec, s[0:1]
	v_cmp_eq_u32_e32 vcc, 0, v24
	s_and_saveexec_b64 s[2:3], vcc
	s_cbranch_execz .LBB40_355
; %bb.353:
	v_mov_b32_e32 v22, s4
	v_mov_b32_e32 v23, s5
	v_lshl_add_u64 v[22:23], v[248:249], 2, v[22:23]
	global_load_dword v26, v[22:23], off
	v_cmp_ne_u32_e64 s[0:1], 0, v250
	s_waitcnt vmcnt(0)
	v_cmp_eq_u32_e32 vcc, 0, v26
	s_and_b64 s[0:1], vcc, s[0:1]
	s_and_b64 exec, exec, s[0:1]
	s_cbranch_execz .LBB40_355
; %bb.354:
	v_add_u32_e32 v26, s15, v250
	global_store_dword v[22:23], v26, off
.LBB40_355:
	s_or_b64 exec, exec, s[2:3]
	scratch_load_dwordx4 v[26:29], off, off ; 16-byte Folded Reload
	scratch_load_dwordx4 v[30:33], off, off offset:16 ; 16-byte Folded Reload
	scratch_load_dwordx4 v[34:37], off, off offset:32 ; 16-byte Folded Reload
	;; [unrolled: 1-line block ×7, first 2 shown]
	v_mul_f32_e32 v21, v253, v21
	v_cmp_lt_i32_e32 vcc, 20, v24
	s_waitcnt vmcnt(4)
	v_mov_b64_e32 v[0:1], v[26:27]
	v_mov_b64_e32 v[2:3], v[28:29]
	s_waitcnt vmcnt(2)
	v_mov_b32_e32 v16, v42
	v_mov_b32_e32 v20, v46
	v_cndmask_b32_e32 v22, v20, v21, vcc
	v_lshl_add_u64 v[20:21], v[24:25], 2, v[246:247]
	global_store_dword v[20:21], v0, off
	v_lshl_add_u64 v[20:21], s[12:13], 2, v[20:21]
	v_add_u32_e32 v0, s14, v24
	global_store_dword v[20:21], v1, off
	v_ashrrev_i32_e32 v1, 31, v0
	v_lshl_add_u64 v[20:21], v[0:1], 2, v[246:247]
	v_add_u32_e32 v0, s12, v0
	v_ashrrev_i32_e32 v1, 31, v0
	global_store_dword v[20:21], v2, off
	v_lshl_add_u64 v[20:21], v[0:1], 2, v[246:247]
	v_add_u32_e32 v0, s12, v0
	v_ashrrev_i32_e32 v1, 31, v0
	global_store_dword v[20:21], v3, off
	v_lshl_add_u64 v[2:3], v[0:1], 2, v[246:247]
	v_add_u32_e32 v0, s12, v0
	v_mov_b64_e32 v[4:5], v[30:31]
	v_ashrrev_i32_e32 v1, 31, v0
	global_store_dword v[2:3], v4, off
	v_lshl_add_u64 v[2:3], v[0:1], 2, v[246:247]
	v_add_u32_e32 v0, s12, v0
	v_ashrrev_i32_e32 v1, 31, v0
	global_store_dword v[2:3], v5, off
	v_lshl_add_u64 v[2:3], v[0:1], 2, v[246:247]
	v_add_u32_e32 v0, s12, v0
	v_mov_b64_e32 v[6:7], v[32:33]
	;; [unrolled: 9-line block ×6, first 2 shown]
	v_ashrrev_i32_e32 v1, 31, v0
	global_store_dword v[2:3], v14, off
	v_lshl_add_u64 v[2:3], v[0:1], 2, v[246:247]
	v_add_u32_e32 v0, s12, v0
	v_ashrrev_i32_e32 v1, 31, v0
	global_store_dword v[2:3], v15, off
	v_lshl_add_u64 v[2:3], v[0:1], 2, v[246:247]
	v_add_u32_e32 v0, s12, v0
	;; [unrolled: 4-line block ×3, first 2 shown]
	v_mov_b32_e32 v17, v43
	v_ashrrev_i32_e32 v1, 31, v0
	global_store_dword v[2:3], v17, off
	v_lshl_add_u64 v[2:3], v[0:1], 2, v[246:247]
	v_add_u32_e32 v0, s12, v0
	v_mov_b32_e32 v18, v44
	v_ashrrev_i32_e32 v1, 31, v0
	global_store_dword v[2:3], v18, off
	v_lshl_add_u64 v[2:3], v[0:1], 2, v[246:247]
	v_add_u32_e32 v0, s12, v0
	v_ashrrev_i32_e32 v1, 31, v0
	v_mov_b32_e32 v19, v45
	v_lshl_add_u64 v[0:1], v[0:1], 2, v[246:247]
	global_store_dword v[2:3], v19, off
	global_store_dword v[0:1], v22, off
.LBB40_356:
	s_endpgm
.LBB40_357:
	v_mov_b32_e32 v74, v52
	v_mov_b32_e32 v75, v133
	;; [unrolled: 1-line block ×4, first 2 shown]
	s_waitcnt lgkmcnt(0)
	v_cmp_eq_f32_e32 vcc, 0, v41
	s_and_saveexec_b64 s[0:1], vcc
	s_xor_b64 s[0:1], exec, s[0:1]
	s_cbranch_execnz .LBB40_69
	s_branch .LBB40_70
.LBB40_358:
	scratch_load_dwordx4 v[200:203], off, off offset:896 ; 16-byte Folded Reload
	scratch_load_dwordx4 v[204:207], off, off offset:912 ; 16-byte Folded Reload
	;; [unrolled: 1-line block ×8, first 2 shown]
	s_waitcnt lgkmcnt(0)
	v_cmp_eq_f32_e32 vcc, 0, v41
	s_and_saveexec_b64 s[0:1], vcc
	s_xor_b64 s[0:1], exec, s[0:1]
	s_cbranch_execnz .LBB40_205
	s_branch .LBB40_206
.LBB40_359:
	scratch_load_dwordx4 v[44:47], off, off offset:768 ; 16-byte Folded Reload
	scratch_load_dwordx4 v[48:51], off, off offset:784 ; 16-byte Folded Reload
	;; [unrolled: 1-line block ×8, first 2 shown]
	s_waitcnt vmcnt(4)
	v_mov_b64_e32 v[196:197], v[58:59]
	v_mov_b64_e32 v[194:195], v[56:57]
	;; [unrolled: 1-line block ×8, first 2 shown]
	s_waitcnt vmcnt(3)
	v_mov_b64_e32 v[198:199], v[60:61]
	s_waitcnt lgkmcnt(0)
	v_cmp_eq_f32_e32 vcc, 0, v41
	s_and_saveexec_b64 s[0:1], vcc
	s_xor_b64 s[0:1], exec, s[0:1]
	s_cbranch_execnz .LBB40_239
	s_branch .LBB40_240
	.section	.rodata,"a",@progbits
	.p2align	6, 0x0
	.amdhsa_kernel _ZN9rocsolver6v33100L18getf2_small_kernelILi21EfiiPfEEvT1_T3_lS3_lPS3_llPT2_S3_S3_S5_l
		.amdhsa_group_segment_fixed_size 0
		.amdhsa_private_segment_fixed_size 2572
		.amdhsa_kernarg_size 352
		.amdhsa_user_sgpr_count 2
		.amdhsa_user_sgpr_dispatch_ptr 0
		.amdhsa_user_sgpr_queue_ptr 0
		.amdhsa_user_sgpr_kernarg_segment_ptr 1
		.amdhsa_user_sgpr_dispatch_id 0
		.amdhsa_user_sgpr_kernarg_preload_length 0
		.amdhsa_user_sgpr_kernarg_preload_offset 0
		.amdhsa_user_sgpr_private_segment_size 0
		.amdhsa_uses_dynamic_stack 0
		.amdhsa_enable_private_segment 1
		.amdhsa_system_sgpr_workgroup_id_x 1
		.amdhsa_system_sgpr_workgroup_id_y 1
		.amdhsa_system_sgpr_workgroup_id_z 0
		.amdhsa_system_sgpr_workgroup_info 0
		.amdhsa_system_vgpr_workitem_id 1
		.amdhsa_next_free_vgpr 256
		.amdhsa_next_free_sgpr 28
		.amdhsa_accum_offset 256
		.amdhsa_reserve_vcc 1
		.amdhsa_float_round_mode_32 0
		.amdhsa_float_round_mode_16_64 0
		.amdhsa_float_denorm_mode_32 3
		.amdhsa_float_denorm_mode_16_64 3
		.amdhsa_dx10_clamp 1
		.amdhsa_ieee_mode 1
		.amdhsa_fp16_overflow 0
		.amdhsa_tg_split 0
		.amdhsa_exception_fp_ieee_invalid_op 0
		.amdhsa_exception_fp_denorm_src 0
		.amdhsa_exception_fp_ieee_div_zero 0
		.amdhsa_exception_fp_ieee_overflow 0
		.amdhsa_exception_fp_ieee_underflow 0
		.amdhsa_exception_fp_ieee_inexact 0
		.amdhsa_exception_int_div_zero 0
	.end_amdhsa_kernel
	.section	.text._ZN9rocsolver6v33100L18getf2_small_kernelILi21EfiiPfEEvT1_T3_lS3_lPS3_llPT2_S3_S3_S5_l,"axG",@progbits,_ZN9rocsolver6v33100L18getf2_small_kernelILi21EfiiPfEEvT1_T3_lS3_lPS3_llPT2_S3_S3_S5_l,comdat
.Lfunc_end40:
	.size	_ZN9rocsolver6v33100L18getf2_small_kernelILi21EfiiPfEEvT1_T3_lS3_lPS3_llPT2_S3_S3_S5_l, .Lfunc_end40-_ZN9rocsolver6v33100L18getf2_small_kernelILi21EfiiPfEEvT1_T3_lS3_lPS3_llPT2_S3_S3_S5_l
                                        ; -- End function
	.set _ZN9rocsolver6v33100L18getf2_small_kernelILi21EfiiPfEEvT1_T3_lS3_lPS3_llPT2_S3_S3_S5_l.num_vgpr, 256
	.set _ZN9rocsolver6v33100L18getf2_small_kernelILi21EfiiPfEEvT1_T3_lS3_lPS3_llPT2_S3_S3_S5_l.num_agpr, 0
	.set _ZN9rocsolver6v33100L18getf2_small_kernelILi21EfiiPfEEvT1_T3_lS3_lPS3_llPT2_S3_S3_S5_l.numbered_sgpr, 28
	.set _ZN9rocsolver6v33100L18getf2_small_kernelILi21EfiiPfEEvT1_T3_lS3_lPS3_llPT2_S3_S3_S5_l.num_named_barrier, 0
	.set _ZN9rocsolver6v33100L18getf2_small_kernelILi21EfiiPfEEvT1_T3_lS3_lPS3_llPT2_S3_S3_S5_l.private_seg_size, 2572
	.set _ZN9rocsolver6v33100L18getf2_small_kernelILi21EfiiPfEEvT1_T3_lS3_lPS3_llPT2_S3_S3_S5_l.uses_vcc, 1
	.set _ZN9rocsolver6v33100L18getf2_small_kernelILi21EfiiPfEEvT1_T3_lS3_lPS3_llPT2_S3_S3_S5_l.uses_flat_scratch, 0
	.set _ZN9rocsolver6v33100L18getf2_small_kernelILi21EfiiPfEEvT1_T3_lS3_lPS3_llPT2_S3_S3_S5_l.has_dyn_sized_stack, 0
	.set _ZN9rocsolver6v33100L18getf2_small_kernelILi21EfiiPfEEvT1_T3_lS3_lPS3_llPT2_S3_S3_S5_l.has_recursion, 0
	.set _ZN9rocsolver6v33100L18getf2_small_kernelILi21EfiiPfEEvT1_T3_lS3_lPS3_llPT2_S3_S3_S5_l.has_indirect_call, 0
	.section	.AMDGPU.csdata,"",@progbits
; Kernel info:
; codeLenInByte = 43216
; TotalNumSgprs: 34
; NumVgprs: 256
; NumAgprs: 0
; TotalNumVgprs: 256
; ScratchSize: 2572
; MemoryBound: 0
; FloatMode: 240
; IeeeMode: 1
; LDSByteSize: 0 bytes/workgroup (compile time only)
; SGPRBlocks: 4
; VGPRBlocks: 31
; NumSGPRsForWavesPerEU: 34
; NumVGPRsForWavesPerEU: 256
; AccumOffset: 256
; Occupancy: 2
; WaveLimiterHint : 0
; COMPUTE_PGM_RSRC2:SCRATCH_EN: 1
; COMPUTE_PGM_RSRC2:USER_SGPR: 2
; COMPUTE_PGM_RSRC2:TRAP_HANDLER: 0
; COMPUTE_PGM_RSRC2:TGID_X_EN: 1
; COMPUTE_PGM_RSRC2:TGID_Y_EN: 1
; COMPUTE_PGM_RSRC2:TGID_Z_EN: 0
; COMPUTE_PGM_RSRC2:TIDIG_COMP_CNT: 1
; COMPUTE_PGM_RSRC3_GFX90A:ACCUM_OFFSET: 63
; COMPUTE_PGM_RSRC3_GFX90A:TG_SPLIT: 0
	.section	.text._ZN9rocsolver6v33100L23getf2_npvt_small_kernelILi21EfiiPfEEvT1_T3_lS3_lPT2_S3_S3_,"axG",@progbits,_ZN9rocsolver6v33100L23getf2_npvt_small_kernelILi21EfiiPfEEvT1_T3_lS3_lPT2_S3_S3_,comdat
	.globl	_ZN9rocsolver6v33100L23getf2_npvt_small_kernelILi21EfiiPfEEvT1_T3_lS3_lPT2_S3_S3_ ; -- Begin function _ZN9rocsolver6v33100L23getf2_npvt_small_kernelILi21EfiiPfEEvT1_T3_lS3_lPT2_S3_S3_
	.p2align	8
	.type	_ZN9rocsolver6v33100L23getf2_npvt_small_kernelILi21EfiiPfEEvT1_T3_lS3_lPT2_S3_S3_,@function
_ZN9rocsolver6v33100L23getf2_npvt_small_kernelILi21EfiiPfEEvT1_T3_lS3_lPT2_S3_S3_: ; @_ZN9rocsolver6v33100L23getf2_npvt_small_kernelILi21EfiiPfEEvT1_T3_lS3_lPT2_S3_S3_
; %bb.0:
	s_load_dword s2, s[0:1], 0x44
	s_load_dwordx2 s[8:9], s[0:1], 0x30
	v_bfe_u32 v1, v0, 10, 10
	s_waitcnt lgkmcnt(0)
	s_lshr_b32 s10, s2, 16
	s_mul_i32 s3, s3, s10
	v_add_u32_e32 v254, s3, v1
	v_cmp_gt_i32_e32 vcc, s8, v254
	s_and_saveexec_b64 s[2:3], vcc
	s_cbranch_execz .LBB41_110
; %bb.1:
	s_load_dwordx4 s[12:15], s[0:1], 0x8
	s_load_dword s2, s[0:1], 0x18
	s_load_dwordx4 s[4:7], s[0:1], 0x20
	v_ashrrev_i32_e32 v255, 31, v254
	v_and_b32_e32 v250, 0x3ff, v0
	s_waitcnt lgkmcnt(0)
	v_mov_b32_e32 v2, s12
	v_mov_b32_e32 v3, s13
	v_mul_lo_u32 v0, s5, v254
	v_mul_lo_u32 v6, s4, v255
	v_mad_u64_u32 v[4:5], s[0:1], s4, v254, 0
	v_add3_u32 v5, v5, v6, v0
	v_lshl_add_u64 v[2:3], v[4:5], 2, v[2:3]
	v_lshl_add_u64 v[2:3], s[14:15], 2, v[2:3]
	v_lshlrev_b32_e32 v4, 2, v250
	v_mov_b32_e32 v5, 0
	s_add_i32 s0, s2, s2
	v_lshl_add_u64 v[22:23], v[2:3], 0, v[4:5]
	v_add_u32_e32 v4, s0, v250
	v_ashrrev_i32_e32 v5, 31, v4
	v_lshl_add_u64 v[18:19], v[4:5], 2, v[2:3]
	v_add_u32_e32 v4, s2, v4
	v_ashrrev_i32_e32 v5, 31, v4
	;; [unrolled: 3-line block ×18, first 2 shown]
	v_lshl_add_u64 v[44:45], v[4:5], 2, v[2:3]
	v_add_u32_e32 v4, s2, v4
	s_ashr_i32 s3, s2, 31
	v_ashrrev_i32_e32 v5, 31, v4
	v_lshl_add_u64 v[16:17], s[2:3], 2, v[22:23]
	v_lshl_add_u64 v[2:3], v[4:5], 2, v[2:3]
	scratch_store_dwordx2 off, v[12:13], off offset:2312 ; 8-byte Folded Spill
	global_load_dword v4, v[12:13], off
	global_load_dword v248, v[44:45], off
	global_load_dword v0, v[22:23], off
	global_load_dword v5, v[42:43], off
	global_load_dword v249, v[2:3], off
	s_mulk_i32 s10, 0x54
	scratch_store_dwordx2 off, v[6:7], off offset:2304 ; 8-byte Folded Spill
	global_load_dword v7, v[6:7], off
	s_movk_i32 s0, 0x54
	scratch_store_dwordx2 off, v[8:9], off offset:2248 ; 8-byte Folded Spill
	scratch_store_dwordx2 off, v[10:11], off offset:2256 ; 8-byte Folded Spill
	;; [unrolled: 1-line block ×3, first 2 shown]
	global_load_dword v15, v[14:15], off
	s_add_i32 s1, s10, 0
	scratch_store_dwordx2 off, v[16:17], off offset:2184 ; 8-byte Folded Spill
	global_load_dword v16, v[16:17], off
	v_mad_u32_u24 v252, v1, s0, 0
	global_load_dword v12, v[8:9], off
	global_load_dword v13, v[10:11], off
	;; [unrolled: 1-line block ×4, first 2 shown]
	v_lshl_add_u32 v251, v1, 2, s1
	global_load_dword v8, v[32:33], off
	global_load_dword v10, v[36:37], off
	;; [unrolled: 1-line block ×5, first 2 shown]
	v_cmp_ne_u32_e64 s[2:3], 0, v250
	scratch_store_dwordx2 off, v[18:19], off offset:2192 ; 8-byte Folded Spill
	scratch_store_dwordx2 off, v[20:21], off offset:2200 ; 8-byte Folded Spill
	global_load_dword v18, v[20:21], off
	v_cmp_eq_u32_e64 s[0:1], 0, v250
	global_load_dword v19, v[24:25], off
	global_load_dword v20, v[26:27], off
	;; [unrolled: 1-line block ×3, first 2 shown]
	s_nop 0
	scratch_store_dwordx2 off, v[42:43], off offset:2320 ; 8-byte Folded Spill
	scratch_store_dwordx2 off, v[44:45], off offset:2328 ; 8-byte Folded Spill
	;; [unrolled: 1-line block ×13, first 2 shown]
	s_and_saveexec_b64 s[4:5], s[0:1]
	s_cbranch_execz .LBB41_4
; %bb.2:
	s_waitcnt vmcnt(38)
	ds_write_b32 v251, v0
	s_waitcnt vmcnt(25)
	ds_write2_b32 v252, v16, v17 offset0:1 offset1:2
	s_waitcnt vmcnt(15)
	ds_write2_b32 v252, v18, v19 offset0:3 offset1:4
	;; [unrolled: 2-line block ×3, first 2 shown]
	ds_write2_b32 v252, v14, v15 offset0:7 offset1:8
	ds_write2_b32 v252, v12, v13 offset0:9 offset1:10
	;; [unrolled: 1-line block ×7, first 2 shown]
	ds_read_b32 v1, v251
	s_waitcnt lgkmcnt(0)
	v_cmp_neq_f32_e32 vcc, 0, v1
	s_and_b64 exec, exec, vcc
	s_cbranch_execz .LBB41_4
; %bb.3:
	v_div_scale_f32 v2, s[10:11], v1, v1, 1.0
	v_rcp_f32_e32 v3, v2
	v_div_scale_f32 v22, vcc, 1.0, v1, 1.0
	v_fma_f32 v23, -v2, v3, 1.0
	v_fmac_f32_e32 v3, v23, v3
	v_mul_f32_e32 v23, v22, v3
	v_fma_f32 v24, -v2, v23, v22
	v_fmac_f32_e32 v23, v24, v3
	v_fma_f32 v2, -v2, v23, v22
	v_div_fmas_f32 v2, v2, v3, v23
	v_div_fixup_f32 v1, v2, v1, 1.0
	ds_write_b32 v251, v1
.LBB41_4:
	s_or_b64 exec, exec, s[4:5]
	s_waitcnt lgkmcnt(0)
	s_barrier
	ds_read_b32 v1, v251
                                        ; implicit-def: $vgpr148
                                        ; implicit-def: $vgpr205
                                        ; implicit-def: $vgpr22
                                        ; implicit-def: $vgpr128
                                        ; implicit-def: $vgpr235
                                        ; implicit-def: $vgpr90
                                        ; implicit-def: $vgpr179
                                        ; implicit-def: $vgpr164
                                        ; implicit-def: $vgpr53
                                        ; implicit-def: $vgpr140
                                        ; implicit-def: $vgpr41
                                        ; implicit-def: $vgpr30
                                        ; implicit-def: $vgpr173
                                        ; implicit-def: $vgpr68
                                        ; implicit-def: $vgpr101
                                        ; implicit-def: $vgpr92
                                        ; implicit-def: $vgpr95
	s_waitcnt lgkmcnt(0)
	scratch_store_dword off, v1, off offset:2344 ; 4-byte Folded Spill
	s_and_saveexec_b64 s[4:5], s[2:3]
	s_xor_b64 s[2:3], exec, s[4:5]
	s_cbranch_execz .LBB41_6
; %bb.5:
	ds_read2_b32 v[2:3], v252 offset0:1 offset1:2
	ds_read2_b32 v[24:25], v252 offset0:3 offset1:4
	;; [unrolled: 1-line block ×3, first 2 shown]
	scratch_load_dword v1, off, off offset:2344 ; 4-byte Folded Reload
	ds_read2_b32 v[28:29], v252 offset0:7 offset1:8
	s_waitcnt vmcnt(0)
	v_mul_f32_e32 v0, v0, v1
	s_waitcnt lgkmcnt(3)
	v_pk_fma_f32 v[22:23], v[0:1], v[2:3], v[16:17] op_sel_hi:[0,1,1] neg_lo:[1,0,0] neg_hi:[1,0,0]
	ds_read2_b32 v[2:3], v252 offset0:9 offset1:10
	s_waitcnt lgkmcnt(3)
	v_pk_fma_f32 v[24:25], v[0:1], v[24:25], v[18:19] op_sel_hi:[0,1,1] neg_lo:[1,0,0] neg_hi:[1,0,0]
	s_waitcnt lgkmcnt(1)
	v_pk_fma_f32 v[28:29], v[0:1], v[28:29], v[14:15] op_sel_hi:[0,1,1] neg_lo:[1,0,0] neg_hi:[1,0,0]
	ds_read2_b32 v[14:15], v252 offset0:11 offset1:12
	ds_read2_b32 v[16:17], v252 offset0:13 offset1:14
	;; [unrolled: 1-line block ×3, first 2 shown]
	v_pk_fma_f32 v[26:27], v[0:1], v[26:27], v[20:21] op_sel_hi:[0,1,1] neg_lo:[1,0,0] neg_hi:[1,0,0]
	s_waitcnt lgkmcnt(3)
	v_pk_fma_f32 v[30:31], v[0:1], v[2:3], v[12:13] op_sel_hi:[0,1,1] neg_lo:[1,0,0] neg_hi:[1,0,0]
	ds_read2_b32 v[2:3], v252 offset0:17 offset1:18
	ds_read2_b32 v[12:13], v252 offset0:19 offset1:20
	s_waitcnt lgkmcnt(4)
	v_pk_fma_f32 v[32:33], v[0:1], v[14:15], v[8:9] op_sel_hi:[0,1,1] neg_lo:[1,0,0] neg_hi:[1,0,0]
	s_waitcnt lgkmcnt(3)
	v_pk_fma_f32 v[34:35], v[0:1], v[16:17], v[10:11] op_sel_hi:[0,1,1] neg_lo:[1,0,0] neg_hi:[1,0,0]
	;; [unrolled: 2-line block ×5, first 2 shown]
	v_mov_b32_e32 v2, v23
                                        ; implicit-def: $vgpr16
                                        ; implicit-def: $vgpr18
                                        ; implicit-def: $vgpr20
                                        ; implicit-def: $vgpr14
                                        ; implicit-def: $vgpr12
                                        ; implicit-def: $vgpr8
                                        ; implicit-def: $vgpr10
                                        ; implicit-def: $vgpr6
                                        ; implicit-def: $vgpr4
	v_mov_b32_e32 v148, v39
	v_mov_b32_e32 v205, v38
	;; [unrolled: 1-line block ×16, first 2 shown]
.LBB41_6:
	s_or_saveexec_b64 s[2:3], s[2:3]
	v_mov_b32_e32 v1, v22
	s_xor_b64 exec, exec, s[2:3]
	s_cbranch_execz .LBB41_8
; %bb.7:
	s_waitcnt vmcnt(29)
	v_mov_b32_e32 v1, v16
	s_waitcnt vmcnt(26)
	v_mov_b32_e32 v2, v17
	;; [unrolled: 2-line block ×6, first 2 shown]
	v_mov_b32_e32 v173, v14
	v_mov_b32_e32 v30, v15
	;; [unrolled: 1-line block ×12, first 2 shown]
.LBB41_8:
	s_or_b64 exec, exec, s[2:3]
	v_mov_b32_e32 v3, v95
	s_waitcnt vmcnt(41)
	v_mov_b32_e32 v4, v92
	v_mov_b32_e32 v28, v92
	s_waitcnt vmcnt(38)
	v_mov_b32_e32 v5, v101
	s_waitcnt vmcnt(25)
	v_mov_b32_e32 v6, v68
	v_mov_b32_e32 v186, v68
	v_mov_b32_e32 v7, v173
	v_mov_b32_e32 v69, v173
	s_waitcnt vmcnt(24)
	v_mov_b32_e32 v8, v30
	s_waitcnt vmcnt(22)
	v_mov_b32_e32 v9, v41
	v_mov_b32_e32 v10, v140
	s_waitcnt vmcnt(21)
	v_mov_b32_e32 v11, v53
	v_mov_b32_e32 v12, v164
	;; [unrolled: 1-line block ×3, first 2 shown]
	s_waitcnt vmcnt(20)
	v_mov_b32_e32 v14, v90
	v_mov_b32_e32 v15, v235
	;; [unrolled: 1-line block ×4, first 2 shown]
	s_waitcnt vmcnt(17)
	v_mov_b32_e32 v18, v148
	s_waitcnt vmcnt(16)
	v_mov_b32_e32 v19, v248
	;; [unrolled: 2-line block ×3, first 2 shown]
	v_cmp_eq_u32_e32 vcc, 1, v250
	s_barrier
	s_and_saveexec_b64 s[2:3], vcc
	s_cbranch_execz .LBB41_11
; %bb.9:
	ds_write_b32 v251, v1
	ds_write2_b32 v252, v2, v95 offset0:2 offset1:3
	ds_write2_b32 v252, v28, v101 offset0:4 offset1:5
	;; [unrolled: 1-line block ×9, first 2 shown]
	ds_write_b32 v252, v249 offset:80
	s_waitcnt vmcnt(14)
	ds_read_b32 v21, v251
	s_waitcnt lgkmcnt(0)
	v_cmp_neq_f32_e32 vcc, 0, v21
	s_and_b64 exec, exec, vcc
	s_cbranch_execz .LBB41_11
; %bb.10:
	v_div_scale_f32 v22, s[4:5], v21, v21, 1.0
	v_rcp_f32_e32 v23, v22
	v_div_scale_f32 v24, vcc, 1.0, v21, 1.0
	v_fma_f32 v25, -v22, v23, 1.0
	v_fmac_f32_e32 v23, v25, v23
	v_mul_f32_e32 v25, v24, v23
	v_fma_f32 v26, -v22, v25, v24
	v_fmac_f32_e32 v25, v26, v23
	v_fma_f32 v22, -v22, v25, v24
	v_div_fmas_f32 v22, v22, v23, v25
	v_div_fixup_f32 v21, v22, v21, 1.0
	ds_write_b32 v251, v21
.LBB41_11:
	s_or_b64 exec, exec, s[2:3]
	v_mov_b32_e32 v106, v28
	v_mov_b32_e32 v130, v0
	;; [unrolled: 1-line block ×11, first 2 shown]
	scratch_store_dwordx4 off, v[130:133], off offset:2476 ; 16-byte Folded Spill
	s_nop 0
	scratch_store_dwordx4 off, v[134:137], off offset:2492 ; 16-byte Folded Spill
	scratch_store_dwordx4 off, v[138:141], off offset:2508 ; 16-byte Folded Spill
	;; [unrolled: 1-line block ×7, first 2 shown]
	v_mov_b32_e32 v100, v28
	v_mov_b32_e32 v184, v28
	;; [unrolled: 1-line block ×73, first 2 shown]
	scratch_store_dwordx4 off, v[22:25], off offset:1536 ; 16-byte Folded Spill
	s_nop 0
	scratch_store_dwordx4 off, v[26:29], off offset:1552 ; 16-byte Folded Spill
	scratch_store_dwordx4 off, v[30:33], off offset:1568 ; 16-byte Folded Spill
	;; [unrolled: 1-line block ×7, first 2 shown]
	v_mov_b32_e32 v162, v140
	v_mov_b32_e32 v176, v140
	;; [unrolled: 1-line block ×52, first 2 shown]
	v_cmp_lt_u32_e32 vcc, 1, v250
	v_mov_b64_e32 v[196:197], v[40:41]
	v_mov_b64_e32 v[194:195], v[38:39]
	v_mov_b64_e32 v[192:193], v[36:37]
	v_mov_b64_e32 v[190:191], v[34:35]
	v_mov_b64_e32 v[188:189], v[32:33]
	scratch_store_dwordx4 off, v[188:191], off offset:1664 ; 16-byte Folded Spill
	s_nop 0
	scratch_store_dwordx4 off, v[192:195], off offset:1680 ; 16-byte Folded Spill
	scratch_store_dwordx4 off, v[196:199], off offset:1696 ; 16-byte Folded Spill
	;; [unrolled: 1-line block ×8, first 2 shown]
	s_nop 0
	scratch_store_dwordx4 off, v[46:49], off offset:1808 ; 16-byte Folded Spill
	scratch_store_dwordx4 off, v[50:53], off offset:1824 ; 16-byte Folded Spill
	;; [unrolled: 1-line block ×7, first 2 shown]
	v_mov_b32_e32 v120, v30
	v_mov_b32_e32 v196, v30
	;; [unrolled: 1-line block ×15, first 2 shown]
	v_mov_b64_e32 v[214:215], v[220:221]
	v_mov_b64_e32 v[216:217], v[222:223]
	;; [unrolled: 1-line block ×8, first 2 shown]
	v_mov_b32_e32 v147, v205
	v_mov_b32_e32 v123, v53
	;; [unrolled: 1-line block ×3, first 2 shown]
	scratch_load_dwordx4 v[22:25], off, off offset:1536 ; 16-byte Folded Reload
	scratch_load_dwordx4 v[26:29], off, off offset:1552 ; 16-byte Folded Reload
	;; [unrolled: 1-line block ×8, first 2 shown]
	v_mov_b32_e32 v195, v69
	v_mov_b32_e32 v75, v205
	v_mov_b64_e32 v[60:61], v[204:205]
	v_mov_b32_e32 v121, v197
	s_waitcnt vmcnt(5)
	v_mov_b32_e32 v138, v30
	scratch_load_dwordx4 v[22:25], off, off offset:1664 ; 16-byte Folded Reload
	scratch_load_dwordx4 v[26:29], off, off offset:1680 ; 16-byte Folded Reload
	;; [unrolled: 1-line block ×8, first 2 shown]
	s_waitcnt vmcnt(5)
	v_mov_b32_e32 v139, v31
	scratch_load_dwordx4 v[22:25], off, off offset:1792 ; 16-byte Folded Reload
	scratch_load_dwordx4 v[26:29], off, off offset:1808 ; 16-byte Folded Reload
	;; [unrolled: 1-line block ×8, first 2 shown]
	s_waitcnt vmcnt(2)
	v_mov_b32_e32 v42, v148
	s_waitcnt lgkmcnt(0)
	s_barrier
	ds_read_b32 v21, v251
	v_mov_b32_e32 v141, v33
	scratch_store_dwordx4 off, v[24:27], off ; 16-byte Folded Spill
	s_nop 0
	scratch_store_dwordx4 off, v[28:31], off offset:16 ; 16-byte Folded Spill
	scratch_store_dwordx4 off, v[32:35], off offset:32 ; 16-byte Folded Spill
	;; [unrolled: 1-line block ×4, first 2 shown]
	s_waitcnt vmcnt(6)
	scratch_store_dwordx4 off, v[44:47], off offset:80 ; 16-byte Folded Spill
	s_waitcnt vmcnt(6)
	scratch_store_dwordx4 off, v[48:51], off offset:96 ; 16-byte Folded Spill
	scratch_store_dwordx4 off, v[52:55], off offset:112 ; 16-byte Folded Spill
	;; [unrolled: 1-line block ×3, first 2 shown]
	s_nop 0
	scratch_store_dwordx4 off, v[134:137], off offset:144 ; 16-byte Folded Spill
	scratch_store_dwordx4 off, v[138:141], off offset:160 ; 16-byte Folded Spill
	;; [unrolled: 1-line block ×7, first 2 shown]
	v_mov_b64_e32 v[44:45], v[188:189]
	v_mov_b64_e32 v[46:47], v[190:191]
	;; [unrolled: 1-line block ×8, first 2 shown]
	scratch_store_dwordx4 off, v[44:47], off offset:256 ; 16-byte Folded Spill
	s_nop 0
	scratch_store_dwordx4 off, v[48:51], off offset:272 ; 16-byte Folded Spill
	scratch_store_dwordx4 off, v[52:55], off offset:288 ; 16-byte Folded Spill
	;; [unrolled: 1-line block ×7, first 2 shown]
	v_mov_b32_e32 v57, v179
	scratch_store_dwordx4 off, v[166:169], off offset:384 ; 16-byte Folded Spill
	s_nop 0
	scratch_store_dwordx4 off, v[170:173], off offset:400 ; 16-byte Folded Spill
	scratch_store_dwordx4 off, v[174:177], off offset:416 ; 16-byte Folded Spill
	;; [unrolled: 1-line block ×7, first 2 shown]
	v_mov_b32_e32 v54, v128
	v_mov_b32_e32 v58, v164
	;; [unrolled: 1-line block ×4, first 2 shown]
	scratch_store_dwordx4 off, v[152:155], off offset:2048 ; 16-byte Folded Spill
	s_nop 0
	scratch_store_dwordx4 off, v[156:159], off offset:2064 ; 16-byte Folded Spill
	scratch_store_dwordx4 off, v[160:163], off offset:2080 ; 16-byte Folded Spill
	;; [unrolled: 1-line block ×7, first 2 shown]
	v_mov_b64_e32 v[22:23], v[112:113]
	v_mov_b64_e32 v[24:25], v[114:115]
	;; [unrolled: 1-line block ×24, first 2 shown]
	scratch_load_dwordx4 v[134:137], off, off offset:1792 ; 16-byte Folded Reload
	scratch_load_dwordx4 v[138:141], off, off offset:1808 ; 16-byte Folded Reload
	;; [unrolled: 1-line block ×8, first 2 shown]
	v_mov_b64_e32 v[132:133], v[90:91]
	v_mov_b64_e32 v[130:131], v[88:89]
	;; [unrolled: 1-line block ×8, first 2 shown]
	s_waitcnt vmcnt(5)
	v_mov_b64_e32 v[40:41], v[134:135]
	v_mov_b64_e32 v[50:51], v[144:145]
	;; [unrolled: 1-line block ×6, first 2 shown]
	v_mov_b32_e32 v59, v51
	scratch_store_dwordx4 off, v[40:43], off offset:512 ; 16-byte Folded Spill
	s_nop 0
	scratch_store_dwordx4 off, v[44:47], off offset:528 ; 16-byte Folded Spill
	scratch_store_dwordx4 off, v[48:51], off offset:544 ; 16-byte Folded Spill
	;; [unrolled: 1-line block ×7, first 2 shown]
	scratch_load_dwordx4 v[134:137], off, off offset:2476 ; 16-byte Folded Reload
	scratch_load_dwordx4 v[138:141], off, off offset:2492 ; 16-byte Folded Reload
	scratch_load_dwordx4 v[142:145], off, off offset:2508 ; 16-byte Folded Reload
	scratch_load_dwordx4 v[146:149], off, off offset:2524 ; 16-byte Folded Reload
	scratch_load_dwordx4 v[150:153], off, off offset:2540 ; 16-byte Folded Reload
	scratch_load_dwordx4 v[154:157], off, off offset:2556 ; 16-byte Folded Reload
	scratch_load_dwordx4 v[158:161], off, off offset:2572 ; 16-byte Folded Reload
	scratch_load_dwordx4 v[162:165], off, off offset:2588 ; 16-byte Folded Reload
	s_waitcnt vmcnt(5)
	v_mov_b32_e32 v40, v134
	v_mov_b32_e32 v50, v144
	v_mov_b32_e32 v41, v135
	v_mov_b32_e32 v42, v136
	v_mov_b32_e32 v43, v137
	v_mov_b32_e32 v44, v138
	v_mov_b32_e32 v45, v139
	v_mov_b32_e32 v46, v140
	v_mov_b32_e32 v47, v141
	v_mov_b32_e32 v48, v142
	v_mov_b32_e32 v49, v143
	v_mov_b32_e32 v70, v50
	scratch_store_dwordx4 off, v[40:43], off offset:640 ; 16-byte Folded Spill
	s_nop 0
	scratch_store_dwordx4 off, v[44:47], off offset:656 ; 16-byte Folded Spill
	scratch_store_dwordx4 off, v[48:51], off offset:672 ; 16-byte Folded Spill
	scratch_store_dwordx4 off, v[52:55], off offset:688 ; 16-byte Folded Spill
	scratch_store_dwordx4 off, v[56:59], off offset:704 ; 16-byte Folded Spill
	scratch_store_dwordx4 off, v[60:63], off offset:720 ; 16-byte Folded Spill
	scratch_store_dwordx4 off, v[64:67], off offset:736 ; 16-byte Folded Spill
	scratch_store_dwordx4 off, v[68:71], off offset:752 ; 16-byte Folded Spill
	scratch_load_dwordx4 v[134:137], off, off offset:1664 ; 16-byte Folded Reload
	scratch_load_dwordx4 v[138:141], off, off offset:1680 ; 16-byte Folded Reload
	;; [unrolled: 1-line block ×8, first 2 shown]
	s_waitcnt vmcnt(5)
	v_mov_b64_e32 v[40:41], v[134:135]
	v_mov_b64_e32 v[48:49], v[142:143]
	;; [unrolled: 1-line block ×5, first 2 shown]
	v_mov_b32_e32 v61, v49
	scratch_store_dwordx4 off, v[40:43], off offset:768 ; 16-byte Folded Spill
	s_nop 0
	scratch_store_dwordx4 off, v[44:47], off offset:784 ; 16-byte Folded Spill
	scratch_store_dwordx4 off, v[48:51], off offset:800 ; 16-byte Folded Spill
	;; [unrolled: 1-line block ×7, first 2 shown]
	scratch_load_dwordx4 v[134:137], off, off offset:1536 ; 16-byte Folded Reload
	scratch_load_dwordx4 v[138:141], off, off offset:1552 ; 16-byte Folded Reload
	;; [unrolled: 1-line block ×8, first 2 shown]
	s_waitcnt vmcnt(5)
	v_mov_b32_e32 v40, v134
	v_mov_b32_e32 v41, v135
	;; [unrolled: 1-line block ×10, first 2 shown]
	scratch_store_dwordx4 off, v[40:43], off offset:896 ; 16-byte Folded Spill
	s_nop 0
	scratch_store_dwordx4 off, v[44:47], off offset:912 ; 16-byte Folded Spill
	scratch_store_dwordx4 off, v[48:51], off offset:928 ; 16-byte Folded Spill
	;; [unrolled: 1-line block ×7, first 2 shown]
	v_mov_b32_e32 v60, v186
	v_mov_b32_e32 v117, v69
	scratch_store_dwordx4 off, v[62:65], off offset:1024 ; 16-byte Folded Spill
	s_nop 0
	scratch_store_dwordx4 off, v[66:69], off offset:1040 ; 16-byte Folded Spill
	scratch_store_dwordx4 off, v[70:73], off offset:1056 ; 16-byte Folded Spill
	;; [unrolled: 1-line block ×8, first 2 shown]
	s_nop 0
	scratch_store_dwordx4 off, v[184:187], off offset:1168 ; 16-byte Folded Spill
	scratch_store_dwordx4 off, v[188:191], off offset:1184 ; 16-byte Folded Spill
	;; [unrolled: 1-line block ×7, first 2 shown]
	v_mov_b32_e32 v63, v101
	scratch_store_dwordx4 off, v[96:99], off offset:1280 ; 16-byte Folded Spill
	s_nop 0
	scratch_store_dwordx4 off, v[100:103], off offset:1296 ; 16-byte Folded Spill
	scratch_store_dwordx4 off, v[104:107], off offset:1312 ; 16-byte Folded Spill
	;; [unrolled: 1-line block ×7, first 2 shown]
	s_waitcnt vmcnt(32)
	v_mov_b64_e32 v[164:165], v[132:133]
	v_mov_b32_e32 v62, v106
	v_mov_b64_e32 v[138:139], v[106:107]
	v_mov_b64_e32 v[136:137], v[104:105]
	v_mov_b64_e32 v[134:135], v[102:103]
	v_mov_b64_e32 v[162:163], v[130:131]
	v_mov_b64_e32 v[160:161], v[128:129]
	v_mov_b64_e32 v[158:159], v[126:127]
	v_mov_b64_e32 v[156:157], v[124:125]
	v_mov_b64_e32 v[154:155], v[122:123]
	v_mov_b64_e32 v[152:153], v[120:121]
	v_mov_b64_e32 v[150:151], v[118:119]
	v_mov_b64_e32 v[148:149], v[116:117]
	v_mov_b64_e32 v[146:147], v[114:115]
	v_mov_b64_e32 v[144:145], v[112:113]
	v_mov_b64_e32 v[142:143], v[110:111]
	v_mov_b64_e32 v[140:141], v[108:109]
	scratch_store_dwordx4 off, v[92:95], off offset:1408 ; 16-byte Folded Spill
	s_nop 0
	scratch_store_dwordx4 off, v[96:99], off offset:1424 ; 16-byte Folded Spill
	scratch_store_dwordx4 off, v[100:103], off offset:1440 ; 16-byte Folded Spill
	;; [unrolled: 1-line block ×8, first 2 shown]
	s_nop 0
	scratch_store_dwordx4 off, v[4:7], off offset:1936 ; 16-byte Folded Spill
	scratch_store_dwordx4 off, v[8:11], off offset:1952 ; 16-byte Folded Spill
	;; [unrolled: 1-line block ×4, first 2 shown]
	s_waitcnt lgkmcnt(0)
	scratch_store_dwordx4 off, v[20:23], off offset:2000 ; 16-byte Folded Spill
	scratch_store_dwordx4 off, v[24:27], off offset:2016 ; 16-byte Folded Spill
	scratch_store_dwordx4 off, v[28:31], off offset:2032 ; 16-byte Folded Spill
	scratch_store_dwordx4 off, v[0:3], off offset:2348 ; 16-byte Folded Spill
	s_nop 0
	scratch_store_dwordx4 off, v[4:7], off offset:2364 ; 16-byte Folded Spill
	scratch_store_dwordx4 off, v[8:11], off offset:2380 ; 16-byte Folded Spill
	;; [unrolled: 1-line block ×7, first 2 shown]
	s_and_saveexec_b64 s[2:3], vcc
	s_cbranch_execz .LBB41_13
; %bb.12:
	ds_read2_b32 v[4:5], v252 offset0:2 offset1:3
	ds_read2_b32 v[6:7], v252 offset0:4 offset1:5
	ds_read2_b32 v[8:9], v252 offset0:6 offset1:7
	ds_read2_b32 v[10:11], v252 offset0:8 offset1:9
	v_mov_b32_e32 v3, v65
	v_mov_b32_e32 v90, v60
	;; [unrolled: 1-line block ×5, first 2 shown]
	v_mul_f32_e32 v20, v1, v21
	s_waitcnt lgkmcnt(3)
	v_pk_fma_f32 v[2:3], v[20:21], v[4:5], v[2:3] op_sel_hi:[0,1,1] neg_lo:[1,0,0] neg_hi:[1,0,0]
	s_waitcnt lgkmcnt(2)
	v_pk_fma_f32 v[62:63], v[20:21], v[6:7], v[62:63] op_sel_hi:[0,1,1] neg_lo:[1,0,0] neg_hi:[1,0,0]
	;; [unrolled: 2-line block ×4, first 2 shown]
	ds_read2_b32 v[4:5], v252 offset0:10 offset1:11
	ds_read2_b32 v[6:7], v252 offset0:12 offset1:13
	;; [unrolled: 1-line block ×4, first 2 shown]
	scratch_load_dwordx4 v[22:25], off, off ; 16-byte Folded Reload
	scratch_load_dwordx4 v[26:29], off, off offset:16 ; 16-byte Folded Reload
	scratch_load_dwordx4 v[30:33], off, off offset:32 ; 16-byte Folded Reload
	;; [unrolled: 1-line block ×7, first 2 shown]
	v_mov_b32_e32 v71, v59
	s_waitcnt lgkmcnt(3)
	v_pk_fma_f32 v[70:71], v[20:21], v[4:5], v[70:71] op_sel_hi:[0,1,1] neg_lo:[1,0,0] neg_hi:[1,0,0]
	ds_read2_b32 v[4:5], v252 offset0:18 offset1:19
	ds_read_b32 v1, v252 offset:80
	v_mov_b32_e32 v66, v58
	v_mov_b32_e32 v67, v57
	;; [unrolled: 1-line block ×7, first 2 shown]
	s_waitcnt lgkmcnt(0)
	v_fma_f32 v249, -v20, v1, v249
	v_mov_b32_e32 v1, v20
	v_pk_fma_f32 v[66:67], v[20:21], v[6:7], v[66:67] op_sel_hi:[0,1,1] neg_lo:[1,0,0] neg_hi:[1,0,0]
	v_pk_fma_f32 v[72:73], v[20:21], v[8:9], v[72:73] op_sel_hi:[0,1,1] neg_lo:[1,0,0] neg_hi:[1,0,0]
	;; [unrolled: 1-line block ×3, first 2 shown]
	v_mov_b32_e32 v60, v90
	v_mov_b32_e32 v117, v91
	;; [unrolled: 1-line block ×9, first 2 shown]
	s_waitcnt vmcnt(3)
	v_mov_b32_e32 v54, v40
	v_pk_fma_f32 v[54:55], v[20:21], v[4:5], v[54:55] op_sel_hi:[0,1,1] neg_lo:[1,0,0] neg_hi:[1,0,0]
	scratch_store_dwordx4 off, v[0:3], off offset:2348 ; 16-byte Folded Spill
	s_nop 0
	scratch_store_dwordx4 off, v[4:7], off offset:2364 ; 16-byte Folded Spill
	scratch_store_dwordx4 off, v[8:11], off offset:2380 ; 16-byte Folded Spill
	scratch_store_dwordx4 off, v[12:15], off offset:2396 ; 16-byte Folded Spill
	scratch_store_dwordx4 off, v[16:19], off offset:2412 ; 16-byte Folded Spill
	scratch_store_dwordx4 off, v[20:23], off offset:2428 ; 16-byte Folded Spill
	scratch_store_dwordx4 off, v[24:27], off offset:2444 ; 16-byte Folded Spill
	scratch_store_dwordx4 off, v[28:31], off offset:2460 ; 16-byte Folded Spill
	scratch_store_dwordx4 off, v[0:3], off offset:1920 ; 16-byte Folded Spill
	s_nop 0
	scratch_store_dwordx4 off, v[4:7], off offset:1936 ; 16-byte Folded Spill
	scratch_store_dwordx4 off, v[8:11], off offset:1952 ; 16-byte Folded Spill
	scratch_store_dwordx4 off, v[12:15], off offset:1968 ; 16-byte Folded Spill
	scratch_store_dwordx4 off, v[16:19], off offset:1984 ; 16-byte Folded Spill
	scratch_store_dwordx4 off, v[20:23], off offset:2000 ; 16-byte Folded Spill
	scratch_store_dwordx4 off, v[24:27], off offset:2016 ; 16-byte Folded Spill
	scratch_store_dwordx4 off, v[28:31], off offset:2032 ; 16-byte Folded Spill
	;; [unrolled: 9-line block ×3, first 2 shown]
	v_mov_b32_e32 v4, v62
	v_mov_b32_e32 v248, v55
	s_waitcnt vmcnt(24)
	v_mov_b64_e32 v[52:53], v[30:31]
	v_mov_b64_e32 v[50:51], v[28:29]
	;; [unrolled: 1-line block ×16, first 2 shown]
	v_mov_b32_e32 v5, v63
	scratch_store_dwordx4 off, v[0:3], off offset:1280 ; 16-byte Folded Spill
	s_nop 0
	scratch_store_dwordx4 off, v[4:7], off offset:1296 ; 16-byte Folded Spill
	scratch_store_dwordx4 off, v[8:11], off offset:1312 ; 16-byte Folded Spill
	scratch_store_dwordx4 off, v[12:15], off offset:1328 ; 16-byte Folded Spill
	scratch_store_dwordx4 off, v[16:19], off offset:1344 ; 16-byte Folded Spill
	scratch_store_dwordx4 off, v[20:23], off offset:1360 ; 16-byte Folded Spill
	scratch_store_dwordx4 off, v[24:27], off offset:1376 ; 16-byte Folded Spill
	scratch_store_dwordx4 off, v[28:31], off offset:1392 ; 16-byte Folded Spill
	v_mov_b32_e32 v6, v90
	scratch_store_dwordx4 off, v[0:3], off offset:1152 ; 16-byte Folded Spill
	s_nop 0
	scratch_store_dwordx4 off, v[4:7], off offset:1168 ; 16-byte Folded Spill
	scratch_store_dwordx4 off, v[8:11], off offset:1184 ; 16-byte Folded Spill
	scratch_store_dwordx4 off, v[12:15], off offset:1200 ; 16-byte Folded Spill
	scratch_store_dwordx4 off, v[16:19], off offset:1216 ; 16-byte Folded Spill
	scratch_store_dwordx4 off, v[20:23], off offset:1232 ; 16-byte Folded Spill
	scratch_store_dwordx4 off, v[24:27], off offset:1248 ; 16-byte Folded Spill
	scratch_store_dwordx4 off, v[28:31], off offset:1264 ; 16-byte Folded Spill
	v_mov_b32_e32 v7, v91
	scratch_store_dwordx4 off, v[0:3], off offset:1024 ; 16-byte Folded Spill
	s_nop 0
	scratch_store_dwordx4 off, v[4:7], off offset:1040 ; 16-byte Folded Spill
	scratch_store_dwordx4 off, v[8:11], off offset:1056 ; 16-byte Folded Spill
	scratch_store_dwordx4 off, v[12:15], off offset:1072 ; 16-byte Folded Spill
	scratch_store_dwordx4 off, v[16:19], off offset:1088 ; 16-byte Folded Spill
	scratch_store_dwordx4 off, v[20:23], off offset:1104 ; 16-byte Folded Spill
	scratch_store_dwordx4 off, v[24:27], off offset:1120 ; 16-byte Folded Spill
	scratch_store_dwordx4 off, v[28:31], off offset:1136 ; 16-byte Folded Spill
	v_mov_b32_e32 v8, v88
	scratch_store_dwordx4 off, v[0:3], off offset:896 ; 16-byte Folded Spill
	s_nop 0
	scratch_store_dwordx4 off, v[4:7], off offset:912 ; 16-byte Folded Spill
	scratch_store_dwordx4 off, v[8:11], off offset:928 ; 16-byte Folded Spill
	scratch_store_dwordx4 off, v[12:15], off offset:944 ; 16-byte Folded Spill
	scratch_store_dwordx4 off, v[16:19], off offset:960 ; 16-byte Folded Spill
	scratch_store_dwordx4 off, v[20:23], off offset:976 ; 16-byte Folded Spill
	scratch_store_dwordx4 off, v[24:27], off offset:992 ; 16-byte Folded Spill
	scratch_store_dwordx4 off, v[28:31], off offset:1008 ; 16-byte Folded Spill
	v_mov_b32_e32 v9, v89
	scratch_store_dwordx4 off, v[0:3], off offset:768 ; 16-byte Folded Spill
	s_nop 0
	scratch_store_dwordx4 off, v[4:7], off offset:784 ; 16-byte Folded Spill
	scratch_store_dwordx4 off, v[8:11], off offset:800 ; 16-byte Folded Spill
	scratch_store_dwordx4 off, v[12:15], off offset:816 ; 16-byte Folded Spill
	scratch_store_dwordx4 off, v[16:19], off offset:832 ; 16-byte Folded Spill
	scratch_store_dwordx4 off, v[20:23], off offset:848 ; 16-byte Folded Spill
	scratch_store_dwordx4 off, v[24:27], off offset:864 ; 16-byte Folded Spill
	scratch_store_dwordx4 off, v[28:31], off offset:880 ; 16-byte Folded Spill
	v_mov_b32_e32 v10, v70
	scratch_store_dwordx4 off, v[0:3], off offset:640 ; 16-byte Folded Spill
	s_nop 0
	scratch_store_dwordx4 off, v[4:7], off offset:656 ; 16-byte Folded Spill
	scratch_store_dwordx4 off, v[8:11], off offset:672 ; 16-byte Folded Spill
	scratch_store_dwordx4 off, v[12:15], off offset:688 ; 16-byte Folded Spill
	scratch_store_dwordx4 off, v[16:19], off offset:704 ; 16-byte Folded Spill
	scratch_store_dwordx4 off, v[20:23], off offset:720 ; 16-byte Folded Spill
	scratch_store_dwordx4 off, v[24:27], off offset:736 ; 16-byte Folded Spill
	scratch_store_dwordx4 off, v[28:31], off offset:752 ; 16-byte Folded Spill
	v_mov_b32_e32 v11, v71
	scratch_store_dwordx4 off, v[0:3], off offset:512 ; 16-byte Folded Spill
	s_nop 0
	scratch_store_dwordx4 off, v[4:7], off offset:528 ; 16-byte Folded Spill
	scratch_store_dwordx4 off, v[8:11], off offset:544 ; 16-byte Folded Spill
	scratch_store_dwordx4 off, v[12:15], off offset:560 ; 16-byte Folded Spill
	scratch_store_dwordx4 off, v[16:19], off offset:576 ; 16-byte Folded Spill
	scratch_store_dwordx4 off, v[20:23], off offset:592 ; 16-byte Folded Spill
	scratch_store_dwordx4 off, v[24:27], off offset:608 ; 16-byte Folded Spill
	scratch_store_dwordx4 off, v[28:31], off offset:624 ; 16-byte Folded Spill
	v_mov_b32_e32 v12, v66
	scratch_store_dwordx4 off, v[0:3], off offset:2048 ; 16-byte Folded Spill
	s_nop 0
	scratch_store_dwordx4 off, v[4:7], off offset:2064 ; 16-byte Folded Spill
	scratch_store_dwordx4 off, v[8:11], off offset:2080 ; 16-byte Folded Spill
	scratch_store_dwordx4 off, v[12:15], off offset:2096 ; 16-byte Folded Spill
	scratch_store_dwordx4 off, v[16:19], off offset:2112 ; 16-byte Folded Spill
	scratch_store_dwordx4 off, v[20:23], off offset:2128 ; 16-byte Folded Spill
	scratch_store_dwordx4 off, v[24:27], off offset:2144 ; 16-byte Folded Spill
	scratch_store_dwordx4 off, v[28:31], off offset:2160 ; 16-byte Folded Spill
	v_mov_b32_e32 v13, v67
	scratch_store_dwordx4 off, v[0:3], off offset:384 ; 16-byte Folded Spill
	s_nop 0
	scratch_store_dwordx4 off, v[4:7], off offset:400 ; 16-byte Folded Spill
	scratch_store_dwordx4 off, v[8:11], off offset:416 ; 16-byte Folded Spill
	scratch_store_dwordx4 off, v[12:15], off offset:432 ; 16-byte Folded Spill
	scratch_store_dwordx4 off, v[16:19], off offset:448 ; 16-byte Folded Spill
	scratch_store_dwordx4 off, v[20:23], off offset:464 ; 16-byte Folded Spill
	scratch_store_dwordx4 off, v[24:27], off offset:480 ; 16-byte Folded Spill
	scratch_store_dwordx4 off, v[28:31], off offset:496 ; 16-byte Folded Spill
	v_mov_b32_e32 v14, v72
	v_mov_b64_e32 v[148:149], v[30:31]
	v_mov_b64_e32 v[138:139], v[20:21]
	v_mov_b64_e32 v[136:137], v[18:19]
	v_mov_b64_e32 v[134:135], v[16:17]
	v_mov_b64_e32 v[146:147], v[28:29]
	v_mov_b64_e32 v[144:145], v[26:27]
	v_mov_b64_e32 v[142:143], v[24:25]
	v_mov_b64_e32 v[140:141], v[22:23]
	v_mov_b64_e32 v[132:133], v[14:15]
	v_mov_b64_e32 v[130:131], v[12:13]
	v_mov_b64_e32 v[128:129], v[10:11]
	v_mov_b64_e32 v[126:127], v[8:9]
	v_mov_b64_e32 v[124:125], v[6:7]
	v_mov_b64_e32 v[122:123], v[4:5]
	v_mov_b64_e32 v[120:121], v[2:3]
	v_mov_b64_e32 v[118:119], v[0:1]
	v_mov_b32_e32 v138, v26
	v_mov_b32_e32 v15, v73
	v_mov_b64_e32 v[244:245], v[30:31]
	v_mov_b32_e32 v137, v25
	v_mov_b32_e32 v136, v24
	;; [unrolled: 1-line block ×4, first 2 shown]
	v_mov_b64_e32 v[242:243], v[28:29]
	v_mov_b64_e32 v[240:241], v[26:27]
	v_mov_b64_e32 v[238:239], v[24:25]
	v_mov_b64_e32 v[236:237], v[22:23]
	v_mov_b64_e32 v[234:235], v[20:21]
	v_mov_b64_e32 v[232:233], v[18:19]
	v_mov_b64_e32 v[230:231], v[16:17]
	v_mov_b64_e32 v[228:229], v[14:15]
	v_mov_b64_e32 v[226:227], v[12:13]
	v_mov_b64_e32 v[224:225], v[10:11]
	v_mov_b64_e32 v[222:223], v[8:9]
	v_mov_b64_e32 v[220:221], v[6:7]
	v_mov_b64_e32 v[218:219], v[4:5]
	v_mov_b64_e32 v[216:217], v[2:3]
	v_mov_b64_e32 v[214:215], v[0:1]
	v_mov_b32_e32 v16, v68
	v_mov_b64_e32 v[52:53], v[30:31]
	v_mov_b64_e32 v[50:51], v[28:29]
	;; [unrolled: 1-line block ×16, first 2 shown]
	v_mov_b32_e32 v17, v69
	scratch_store_dwordx4 off, v[0:3], off offset:256 ; 16-byte Folded Spill
	s_nop 0
	scratch_store_dwordx4 off, v[4:7], off offset:272 ; 16-byte Folded Spill
	scratch_store_dwordx4 off, v[8:11], off offset:288 ; 16-byte Folded Spill
	;; [unrolled: 1-line block ×7, first 2 shown]
	v_mov_b32_e32 v18, v54
	scratch_store_dwordx4 off, v[0:3], off offset:128 ; 16-byte Folded Spill
	s_nop 0
	scratch_store_dwordx4 off, v[4:7], off offset:144 ; 16-byte Folded Spill
	scratch_store_dwordx4 off, v[8:11], off offset:160 ; 16-byte Folded Spill
	;; [unrolled: 1-line block ×7, first 2 shown]
	v_mov_b32_e32 v19, v55
	v_mov_b32_e32 v20, v249
	v_mov_b32_e32 v40, v54
	v_mov_b32_e32 v55, v73
	v_mov_b32_e32 v54, v68
	scratch_store_dwordx4 off, v[22:25], off ; 16-byte Folded Spill
	s_nop 0
	scratch_store_dwordx4 off, v[26:29], off offset:16 ; 16-byte Folded Spill
	scratch_store_dwordx4 off, v[30:33], off offset:32 ; 16-byte Folded Spill
	;; [unrolled: 1-line block ×7, first 2 shown]
	v_mov_b32_e32 v65, v3
.LBB41_13:
	s_or_b64 exec, exec, s[2:3]
	v_cmp_eq_u32_e32 vcc, 2, v250
	scratch_store_dword off, v21, off offset:1792 ; 4-byte Folded Spill
	s_waitcnt vmcnt(63) expcnt(7) lgkmcnt(15)
	s_barrier
	s_and_saveexec_b64 s[2:3], vcc
	s_cbranch_execz .LBB41_16
; %bb.14:
	ds_write_b32 v251, v2
	ds_write2_b32 v252, v3, v4 offset0:3 offset1:4
	ds_write2_b32 v252, v5, v6 offset0:5 offset1:6
	;; [unrolled: 1-line block ×9, first 2 shown]
	ds_read_b32 v21, v251
	s_waitcnt lgkmcnt(0)
	v_cmp_neq_f32_e32 vcc, 0, v21
	s_and_b64 exec, exec, vcc
	s_cbranch_execz .LBB41_16
; %bb.15:
	v_div_scale_f32 v39, s[4:5], v21, v21, 1.0
	v_rcp_f32_e32 v40, v39
	v_div_scale_f32 v41, vcc, 1.0, v21, 1.0
	v_fma_f32 v42, -v39, v40, 1.0
	v_fmac_f32_e32 v40, v42, v40
	v_mul_f32_e32 v42, v41, v40
	v_fma_f32 v43, -v39, v42, v41
	v_fmac_f32_e32 v42, v43, v40
	v_fma_f32 v39, -v39, v42, v41
	v_div_fmas_f32 v39, v39, v40, v42
	v_div_fixup_f32 v21, v39, v21, 1.0
	ds_write_b32 v251, v21
.LBB41_16:
	s_or_b64 exec, exec, s[2:3]
	s_waitcnt lgkmcnt(0)
	s_barrier
	ds_read_b32 v21, v251
	v_cmp_lt_u32_e32 vcc, 2, v250
	s_waitcnt lgkmcnt(0)
	scratch_store_dword off, v21, off offset:1536 ; 4-byte Folded Spill
	s_mov_b64 s[2:3], exec
	scratch_load_dwordx4 v[174:177], off, off offset:2048 ; 16-byte Folded Reload
	scratch_load_dwordx4 v[178:181], off, off offset:2064 ; 16-byte Folded Reload
	;; [unrolled: 1-line block ×8, first 2 shown]
	s_and_b64 s[4:5], s[2:3], vcc
	s_mov_b64 exec, s[4:5]
	s_cbranch_execz .LBB41_18
; %bb.17:
	scratch_load_dword v0, off, off offset:1536 ; 4-byte Folded Reload
	scratch_load_dwordx4 v[54:57], off, off offset:2348 ; 16-byte Folded Reload
	scratch_load_dwordx4 v[58:61], off, off offset:2364 ; 16-byte Folded Reload
	;; [unrolled: 1-line block ×8, first 2 shown]
	s_waitcnt vmcnt(7)
	v_mul_f32_e32 v56, v2, v0
	ds_read2_b32 v[0:1], v252 offset0:3 offset1:4
	ds_read2_b32 v[22:23], v252 offset0:5 offset1:6
	;; [unrolled: 1-line block ×4, first 2 shown]
	v_mov_b32_e32 v2, v3
	v_mov_b32_e32 v3, v4
	;; [unrolled: 1-line block ×3, first 2 shown]
	s_waitcnt lgkmcnt(3)
	v_pk_fma_f32 v[40:41], v[56:57], v[0:1], v[2:3] op_sel_hi:[0,1,1] neg_lo:[1,0,0] neg_hi:[1,0,0]
	v_mov_b32_e32 v0, v5
	v_mov_b32_e32 v1, v6
	s_waitcnt lgkmcnt(2)
	v_pk_fma_f32 v[42:43], v[56:57], v[22:23], v[0:1] op_sel_hi:[0,1,1] neg_lo:[1,0,0] neg_hi:[1,0,0]
	v_mov_b32_e32 v0, v7
	v_mov_b32_e32 v1, v8
	;; [unrolled: 4-line block ×3, first 2 shown]
	s_waitcnt lgkmcnt(0)
	v_pk_fma_f32 v[46:47], v[56:57], v[26:27], v[0:1] op_sel_hi:[0,1,1] neg_lo:[1,0,0] neg_hi:[1,0,0]
	ds_read2_b32 v[0:1], v252 offset0:11 offset1:12
	v_mov_b32_e32 v2, v11
	v_mov_b32_e32 v3, v12
	ds_read2_b32 v[4:5], v252 offset0:13 offset1:14
	ds_read2_b32 v[6:7], v252 offset0:15 offset1:16
	;; [unrolled: 1-line block ×3, first 2 shown]
	v_mov_b32_e32 v135, v55
	s_waitcnt lgkmcnt(3)
	v_pk_fma_f32 v[48:49], v[56:57], v[0:1], v[2:3] op_sel_hi:[0,1,1] neg_lo:[1,0,0] neg_hi:[1,0,0]
	ds_read2_b32 v[2:3], v252 offset0:19 offset1:20
	v_mov_b32_e32 v0, v13
	v_mov_b32_e32 v1, v14
	s_waitcnt lgkmcnt(3)
	v_pk_fma_f32 v[50:51], v[56:57], v[4:5], v[0:1] op_sel_hi:[0,1,1] neg_lo:[1,0,0] neg_hi:[1,0,0]
	v_mov_b32_e32 v0, v15
	v_mov_b32_e32 v1, v16
	s_waitcnt lgkmcnt(2)
	v_pk_fma_f32 v[52:53], v[56:57], v[6:7], v[0:1] op_sel_hi:[0,1,1] neg_lo:[1,0,0] neg_hi:[1,0,0]
	v_mov_b32_e32 v0, v17
	v_mov_b32_e32 v1, v18
	s_waitcnt vmcnt(3) lgkmcnt(1)
	v_pk_fma_f32 v[72:73], v[56:57], v[8:9], v[0:1] op_sel_hi:[0,1,1] neg_lo:[1,0,0] neg_hi:[1,0,0]
	v_mov_b32_e32 v0, v19
	v_mov_b32_e32 v1, v20
	s_waitcnt lgkmcnt(0)
	v_pk_fma_f32 v[248:249], v[56:57], v[2:3], v[0:1] op_sel_hi:[0,1,1] neg_lo:[1,0,0] neg_hi:[1,0,0]
	v_mov_b32_e32 v0, v54
	v_mov_b32_e32 v1, v55
	;; [unrolled: 1-line block ×6, first 2 shown]
	scratch_store_dwordx4 off, v[0:3], off offset:1280 ; 16-byte Folded Spill
	s_nop 0
	scratch_store_dwordx4 off, v[4:7], off offset:1296 ; 16-byte Folded Spill
	scratch_store_dwordx4 off, v[8:11], off offset:1312 ; 16-byte Folded Spill
	;; [unrolled: 1-line block ×7, first 2 shown]
	v_mov_b32_e32 v6, v43
	v_mov_b32_e32 v57, v40
	;; [unrolled: 1-line block ×50, first 2 shown]
	scratch_store_dwordx4 off, v[0:3], off offset:1152 ; 16-byte Folded Spill
	s_nop 0
	scratch_store_dwordx4 off, v[4:7], off offset:1168 ; 16-byte Folded Spill
	scratch_store_dwordx4 off, v[8:11], off offset:1184 ; 16-byte Folded Spill
	;; [unrolled: 1-line block ×7, first 2 shown]
	v_mov_b32_e32 v7, v44
	v_mov_b32_e32 v33, v48
	;; [unrolled: 1-line block ×9, first 2 shown]
	scratch_store_dwordx4 off, v[0:3], off offset:1024 ; 16-byte Folded Spill
	s_nop 0
	scratch_store_dwordx4 off, v[4:7], off offset:1040 ; 16-byte Folded Spill
	scratch_store_dwordx4 off, v[8:11], off offset:1056 ; 16-byte Folded Spill
	scratch_store_dwordx4 off, v[12:15], off offset:1072 ; 16-byte Folded Spill
	scratch_store_dwordx4 off, v[16:19], off offset:1088 ; 16-byte Folded Spill
	scratch_store_dwordx4 off, v[20:23], off offset:1104 ; 16-byte Folded Spill
	scratch_store_dwordx4 off, v[24:27], off offset:1120 ; 16-byte Folded Spill
	scratch_store_dwordx4 off, v[28:31], off offset:1136 ; 16-byte Folded Spill
	v_mov_b32_e32 v8, v45
	scratch_store_dwordx4 off, v[0:3], off offset:896 ; 16-byte Folded Spill
	s_nop 0
	scratch_store_dwordx4 off, v[4:7], off offset:912 ; 16-byte Folded Spill
	scratch_store_dwordx4 off, v[8:11], off offset:928 ; 16-byte Folded Spill
	scratch_store_dwordx4 off, v[12:15], off offset:944 ; 16-byte Folded Spill
	scratch_store_dwordx4 off, v[16:19], off offset:960 ; 16-byte Folded Spill
	scratch_store_dwordx4 off, v[20:23], off offset:976 ; 16-byte Folded Spill
	scratch_store_dwordx4 off, v[24:27], off offset:992 ; 16-byte Folded Spill
	scratch_store_dwordx4 off, v[28:31], off offset:1008 ; 16-byte Folded Spill
	v_mov_b32_e32 v9, v46
	;; [unrolled: 10-line block ×5, first 2 shown]
	v_mov_b32_e32 v13, v50
	scratch_store_dwordx4 off, v[0:3], off offset:384 ; 16-byte Folded Spill
	s_nop 0
	scratch_store_dwordx4 off, v[4:7], off offset:400 ; 16-byte Folded Spill
	scratch_store_dwordx4 off, v[8:11], off offset:416 ; 16-byte Folded Spill
	;; [unrolled: 1-line block ×7, first 2 shown]
	v_mov_b32_e32 v22, v54
	v_mov_b32_e32 v23, v55
	;; [unrolled: 1-line block ×14, first 2 shown]
	scratch_store_dwordx4 off, v[0:3], off offset:256 ; 16-byte Folded Spill
	s_nop 0
	scratch_store_dwordx4 off, v[4:7], off offset:272 ; 16-byte Folded Spill
	scratch_store_dwordx4 off, v[8:11], off offset:288 ; 16-byte Folded Spill
	;; [unrolled: 1-line block ×7, first 2 shown]
	v_mov_b32_e32 v18, v73
	scratch_store_dwordx4 off, v[0:3], off offset:128 ; 16-byte Folded Spill
	s_nop 0
	scratch_store_dwordx4 off, v[4:7], off offset:144 ; 16-byte Folded Spill
	scratch_store_dwordx4 off, v[8:11], off offset:160 ; 16-byte Folded Spill
	;; [unrolled: 1-line block ×8, first 2 shown]
	s_nop 0
	scratch_store_dwordx4 off, v[58:61], off offset:1424 ; 16-byte Folded Spill
	scratch_store_dwordx4 off, v[62:65], off offset:1440 ; 16-byte Folded Spill
	;; [unrolled: 1-line block ×4, first 2 shown]
	s_waitcnt vmcnt(62)
	scratch_store_dwordx4 off, v[74:77], off offset:1488 ; 16-byte Folded Spill
	scratch_store_dwordx4 off, v[78:81], off offset:1504 ; 16-byte Folded Spill
	;; [unrolled: 1-line block ×4, first 2 shown]
	s_nop 0
	scratch_store_dwordx4 off, v[58:61], off offset:1936 ; 16-byte Folded Spill
	scratch_store_dwordx4 off, v[62:65], off offset:1952 ; 16-byte Folded Spill
	;; [unrolled: 1-line block ×7, first 2 shown]
	v_mov_b32_e32 v19, v248
	v_mov_b32_e32 v20, v249
	;; [unrolled: 1-line block ×16, first 2 shown]
	scratch_store_dwordx4 off, v[22:25], off ; 16-byte Folded Spill
	s_nop 0
	scratch_store_dwordx4 off, v[26:29], off offset:16 ; 16-byte Folded Spill
	scratch_store_dwordx4 off, v[30:33], off offset:32 ; 16-byte Folded Spill
	;; [unrolled: 1-line block ×7, first 2 shown]
.LBB41_18:
	s_or_b64 exec, exec, s[2:3]
	v_mov_b32_e32 v82, v134
	v_mov_b32_e32 v83, v135
	;; [unrolled: 1-line block ×5, first 2 shown]
	v_cmp_eq_u32_e32 vcc, 3, v250
	s_waitcnt vmcnt(63) expcnt(7) lgkmcnt(15)
	s_barrier
	s_and_saveexec_b64 s[2:3], vcc
	s_cbranch_execz .LBB41_21
; %bb.19:
	ds_write_b32 v251, v65
	ds_write2_b32 v252, v4, v5 offset0:4 offset1:5
	ds_write2_b32 v252, v6, v7 offset0:6 offset1:7
	;; [unrolled: 1-line block ×8, first 2 shown]
	ds_write_b32 v252, v249 offset:80
	ds_read_b32 v21, v251
	s_waitcnt lgkmcnt(0)
	v_cmp_neq_f32_e32 vcc, 0, v21
	s_and_b64 exec, exec, vcc
	s_cbranch_execz .LBB41_21
; %bb.20:
	v_div_scale_f32 v39, s[4:5], v21, v21, 1.0
	v_rcp_f32_e32 v40, v39
	v_div_scale_f32 v41, vcc, 1.0, v21, 1.0
	v_fma_f32 v42, -v39, v40, 1.0
	v_fmac_f32_e32 v40, v42, v40
	v_mul_f32_e32 v42, v41, v40
	v_fma_f32 v43, -v39, v42, v41
	v_fmac_f32_e32 v42, v43, v40
	v_fma_f32 v39, -v39, v42, v41
	v_div_fmas_f32 v39, v39, v40, v42
	v_div_fixup_f32 v21, v39, v21, 1.0
	ds_write_b32 v251, v21
.LBB41_21:
	s_or_b64 exec, exec, s[2:3]
	s_waitcnt lgkmcnt(0)
	s_barrier
	ds_read_b32 v21, v251
	v_cmp_lt_u32_e32 vcc, 3, v250
	s_waitcnt lgkmcnt(0)
	scratch_store_dword off, v21, off offset:1664 ; 4-byte Folded Spill
	s_and_saveexec_b64 s[2:3], vcc
	s_cbranch_execz .LBB41_23
; %bb.22:
	ds_read2_b32 v[0:1], v252 offset0:4 offset1:5
	ds_read2_b32 v[2:3], v252 offset0:6 offset1:7
	;; [unrolled: 1-line block ×3, first 2 shown]
	scratch_load_dword v22, off, off offset:1664 ; 4-byte Folded Reload
	s_waitcnt vmcnt(0)
	v_mul_f32_e32 v40, v65, v22
	ds_read2_b32 v[22:23], v252 offset0:10 offset1:11
	s_waitcnt lgkmcnt(3)
	v_pk_fma_f32 v[86:87], v[40:41], v[0:1], v[4:5] op_sel_hi:[0,1,1] neg_lo:[1,0,0] neg_hi:[1,0,0]
	s_waitcnt lgkmcnt(2)
	v_pk_fma_f32 v[116:117], v[40:41], v[2:3], v[6:7] op_sel_hi:[0,1,1] neg_lo:[1,0,0] neg_hi:[1,0,0]
	ds_read2_b32 v[0:1], v252 offset0:12 offset1:13
	ds_read2_b32 v[2:3], v252 offset0:14 offset1:15
	;; [unrolled: 1-line block ×4, first 2 shown]
	scratch_load_dwordx4 v[134:137], off, off offset:1920 ; 16-byte Folded Reload
	scratch_load_dwordx4 v[138:141], off, off offset:1936 ; 16-byte Folded Reload
	scratch_load_dwordx4 v[142:145], off, off offset:1952 ; 16-byte Folded Reload
	scratch_load_dwordx4 v[146:149], off, off offset:1968 ; 16-byte Folded Reload
	scratch_load_dwordx4 v[150:153], off, off offset:1984 ; 16-byte Folded Reload
	scratch_load_dwordx4 v[154:157], off, off offset:2000 ; 16-byte Folded Reload
	scratch_load_dwordx4 v[158:161], off, off offset:2016 ; 16-byte Folded Reload
	scratch_load_dwordx4 v[162:165], off, off offset:2032 ; 16-byte Folded Reload
	s_waitcnt lgkmcnt(3)
	v_pk_fma_f32 v[186:187], v[40:41], v[0:1], v[12:13] op_sel_hi:[0,1,1] neg_lo:[1,0,0] neg_hi:[1,0,0]
	s_waitcnt lgkmcnt(2)
	v_pk_fma_f32 v[132:133], v[40:41], v[2:3], v[14:15] op_sel_hi:[0,1,1] neg_lo:[1,0,0] neg_hi:[1,0,0]
	;; [unrolled: 2-line block ×3, first 2 shown]
	v_mov_b32_e32 v3, v40
	v_mov_b32_e32 v4, v86
	;; [unrolled: 1-line block ×3, first 2 shown]
	v_pk_fma_f32 v[80:81], v[40:41], v[20:21], v[8:9] op_sel_hi:[0,1,1] neg_lo:[1,0,0] neg_hi:[1,0,0]
	v_pk_fma_f32 v[52:53], v[40:41], v[22:23], v[10:11] op_sel_hi:[0,1,1] neg_lo:[1,0,0] neg_hi:[1,0,0]
	s_waitcnt lgkmcnt(0)
	v_pk_fma_f32 v[106:107], v[40:41], v[6:7], v[18:19] op_sel_hi:[0,1,1] neg_lo:[1,0,0] neg_hi:[1,0,0]
	v_mov_b32_e32 v85, v40
	v_mov_b32_e32 v75, v40
	;; [unrolled: 1-line block ×21, first 2 shown]
	s_waitcnt vmcnt(7)
	v_mov_b32_e32 v137, v40
	v_mov_b32_e32 v50, v80
	;; [unrolled: 1-line block ×45, first 2 shown]
	scratch_store_dwordx4 off, v[0:3], off offset:1280 ; 16-byte Folded Spill
	s_nop 0
	scratch_store_dwordx4 off, v[4:7], off offset:1296 ; 16-byte Folded Spill
	scratch_store_dwordx4 off, v[8:11], off offset:1312 ; 16-byte Folded Spill
	;; [unrolled: 1-line block ×7, first 2 shown]
	v_mov_b32_e32 v6, v116
	v_mov_b32_e32 v7, v117
	;; [unrolled: 1-line block ×51, first 2 shown]
	scratch_store_dwordx4 off, v[0:3], off offset:1024 ; 16-byte Folded Spill
	s_nop 0
	scratch_store_dwordx4 off, v[4:7], off offset:1040 ; 16-byte Folded Spill
	scratch_store_dwordx4 off, v[8:11], off offset:1056 ; 16-byte Folded Spill
	scratch_store_dwordx4 off, v[12:15], off offset:1072 ; 16-byte Folded Spill
	scratch_store_dwordx4 off, v[16:19], off offset:1088 ; 16-byte Folded Spill
	scratch_store_dwordx4 off, v[20:23], off offset:1104 ; 16-byte Folded Spill
	scratch_store_dwordx4 off, v[24:27], off offset:1120 ; 16-byte Folded Spill
	scratch_store_dwordx4 off, v[28:31], off offset:1136 ; 16-byte Folded Spill
	v_mov_b32_e32 v8, v80
	v_mov_b32_e32 v9, v81
	scratch_store_dwordx4 off, v[0:3], off offset:768 ; 16-byte Folded Spill
	s_nop 0
	scratch_store_dwordx4 off, v[4:7], off offset:784 ; 16-byte Folded Spill
	scratch_store_dwordx4 off, v[8:11], off offset:800 ; 16-byte Folded Spill
	scratch_store_dwordx4 off, v[12:15], off offset:816 ; 16-byte Folded Spill
	scratch_store_dwordx4 off, v[16:19], off offset:832 ; 16-byte Folded Spill
	scratch_store_dwordx4 off, v[20:23], off offset:848 ; 16-byte Folded Spill
	scratch_store_dwordx4 off, v[24:27], off offset:864 ; 16-byte Folded Spill
	scratch_store_dwordx4 off, v[28:31], off offset:880 ; 16-byte Folded Spill
	v_mov_b32_e32 v10, v52
	v_mov_b32_e32 v11, v53
	;; [unrolled: 11-line block ×3, first 2 shown]
	scratch_store_dwordx4 off, v[0:3], off offset:384 ; 16-byte Folded Spill
	s_nop 0
	scratch_store_dwordx4 off, v[4:7], off offset:400 ; 16-byte Folded Spill
	scratch_store_dwordx4 off, v[8:11], off offset:416 ; 16-byte Folded Spill
	;; [unrolled: 1-line block ×7, first 2 shown]
	ds_read_b32 v0, v252 offset:80
	s_nop 0
	v_mov_b32_e32 v30, v80
	v_mov_b32_e32 v31, v81
	scratch_store_dwordx4 off, v[54:57], off offset:256 ; 16-byte Folded Spill
	s_nop 0
	scratch_store_dwordx4 off, v[58:61], off offset:272 ; 16-byte Folded Spill
	scratch_store_dwordx4 off, v[62:65], off offset:288 ; 16-byte Folded Spill
	;; [unrolled: 1-line block ×7, first 2 shown]
	v_mov_b32_e32 v22, v134
	v_mov_b32_e32 v23, v135
	;; [unrolled: 1-line block ×3, first 2 shown]
	s_waitcnt lgkmcnt(0)
	v_fma_f32 v20, -v40, v0, v249
	v_mov_b32_e32 v0, v134
	scratch_store_dwordx4 off, v[134:137], off offset:1408 ; 16-byte Folded Spill
	s_waitcnt vmcnt(55)
	scratch_store_dwordx4 off, v[138:141], off offset:1424 ; 16-byte Folded Spill
	s_waitcnt vmcnt(55)
	;; [unrolled: 2-line block ×7, first 2 shown]
	scratch_store_dwordx4 off, v[162:165], off offset:1520 ; 16-byte Folded Spill
	v_mov_b32_e32 v26, v86
	v_mov_b32_e32 v27, v87
	;; [unrolled: 1-line block ×19, first 2 shown]
	scratch_store_dwordx4 off, v[110:113], off offset:1152 ; 16-byte Folded Spill
	s_nop 0
	scratch_store_dwordx4 off, v[114:117], off offset:1168 ; 16-byte Folded Spill
	scratch_store_dwordx4 off, v[118:121], off offset:1184 ; 16-byte Folded Spill
	;; [unrolled: 1-line block ×7, first 2 shown]
	v_mov_b32_e32 v96, v80
	v_mov_b32_e32 v97, v81
	;; [unrolled: 1-line block ×3, first 2 shown]
	scratch_store_dwordx4 off, v[72:75], off offset:896 ; 16-byte Folded Spill
	s_nop 0
	scratch_store_dwordx4 off, v[76:79], off offset:912 ; 16-byte Folded Spill
	scratch_store_dwordx4 off, v[80:83], off offset:928 ; 16-byte Folded Spill
	scratch_store_dwordx4 off, v[84:87], off offset:944 ; 16-byte Folded Spill
	scratch_store_dwordx4 off, v[88:91], off offset:960 ; 16-byte Folded Spill
	scratch_store_dwordx4 off, v[92:95], off offset:976 ; 16-byte Folded Spill
	scratch_store_dwordx4 off, v[96:99], off offset:992 ; 16-byte Folded Spill
	scratch_store_dwordx4 off, v[100:103], off offset:1008 ; 16-byte Folded Spill
	v_mov_b32_e32 v75, v39
	v_mov_b32_e32 v61, v81
	scratch_store_dwordx4 off, v[42:45], off offset:640 ; 16-byte Folded Spill
	s_nop 0
	scratch_store_dwordx4 off, v[46:49], off offset:656 ; 16-byte Folded Spill
	scratch_store_dwordx4 off, v[50:53], off offset:672 ; 16-byte Folded Spill
	;; [unrolled: 1-line block ×7, first 2 shown]
	v_mov_b64_e32 v[148:149], v[102:103]
	v_mov_b32_e32 v58, v186
	v_mov_b32_e32 v57, v187
	;; [unrolled: 1-line block ×5, first 2 shown]
	v_mov_b64_e32 v[146:147], v[100:101]
	v_mov_b64_e32 v[144:145], v[98:99]
	;; [unrolled: 1-line block ×7, first 2 shown]
	scratch_store_dwordx4 off, v[134:137], off offset:128 ; 16-byte Folded Spill
	s_nop 0
	scratch_store_dwordx4 off, v[138:141], off offset:144 ; 16-byte Folded Spill
	scratch_store_dwordx4 off, v[142:145], off offset:160 ; 16-byte Folded Spill
	;; [unrolled: 1-line block ×7, first 2 shown]
	v_mov_b32_e32 v59, v53
	scratch_store_dwordx4 off, v[22:25], off ; 16-byte Folded Spill
	s_nop 0
	scratch_store_dwordx4 off, v[26:29], off offset:16 ; 16-byte Folded Spill
	scratch_store_dwordx4 off, v[30:33], off offset:32 ; 16-byte Folded Spill
	;; [unrolled: 1-line block ×7, first 2 shown]
.LBB41_23:
	s_or_b64 exec, exec, s[2:3]
	v_cmp_eq_u32_e32 vcc, 4, v250
	s_waitcnt vmcnt(63) expcnt(7) lgkmcnt(15)
	s_barrier
	s_and_saveexec_b64 s[2:3], vcc
	s_cbranch_execz .LBB41_26
; %bb.24:
	ds_write_b32 v251, v62
	ds_write2_b32 v252, v5, v6 offset0:5 offset1:6
	ds_write2_b32 v252, v7, v8 offset0:7 offset1:8
	;; [unrolled: 1-line block ×8, first 2 shown]
	ds_read_b32 v21, v251
	s_waitcnt lgkmcnt(0)
	v_cmp_neq_f32_e32 vcc, 0, v21
	s_and_b64 exec, exec, vcc
	s_cbranch_execz .LBB41_26
; %bb.25:
	v_div_scale_f32 v39, s[4:5], v21, v21, 1.0
	v_rcp_f32_e32 v40, v39
	v_div_scale_f32 v41, vcc, 1.0, v21, 1.0
	v_fma_f32 v42, -v39, v40, 1.0
	v_fmac_f32_e32 v40, v42, v40
	v_mul_f32_e32 v42, v41, v40
	v_fma_f32 v43, -v39, v42, v41
	v_fmac_f32_e32 v42, v43, v40
	v_fma_f32 v39, -v39, v42, v41
	v_div_fmas_f32 v39, v39, v40, v42
	v_div_fixup_f32 v21, v39, v21, 1.0
	ds_write_b32 v251, v21
.LBB41_26:
	s_or_b64 exec, exec, s[2:3]
	s_waitcnt lgkmcnt(0)
	s_barrier
	ds_read_b32 v110, v251
	v_cmp_lt_u32_e32 vcc, 4, v250
	s_mov_b64 s[2:3], exec
	v_mov_b32_e32 v146, v86
	s_and_b64 s[4:5], s[2:3], vcc
	v_mov_b32_e32 v145, v85
	v_mov_b32_e32 v144, v84
	;; [unrolled: 1-line block ×4, first 2 shown]
	s_mov_b64 exec, s[4:5]
	s_cbranch_execz .LBB41_28
; %bb.27:
	scratch_load_dwordx4 v[142:145], off, off offset:1408 ; 16-byte Folded Reload
	scratch_load_dwordx4 v[146:149], off, off offset:1424 ; 16-byte Folded Reload
	;; [unrolled: 1-line block ×8, first 2 shown]
	ds_read2_b32 v[0:1], v252 offset0:5 offset1:6
	v_mov_b32_e32 v2, v5
	ds_read2_b32 v[4:5], v252 offset0:7 offset1:8
	ds_read2_b32 v[22:23], v252 offset0:9 offset1:10
	;; [unrolled: 1-line block ×3, first 2 shown]
	s_waitcnt vmcnt(6) lgkmcnt(4)
	v_mul_f32_e32 v146, v62, v110
	v_mov_b32_e32 v3, v6
	v_mov_b32_e32 v178, v146
	;; [unrolled: 1-line block ×5, first 2 shown]
	s_waitcnt lgkmcnt(3)
	v_pk_fma_f32 v[40:41], v[146:147], v[0:1], v[2:3] op_sel_hi:[0,1,1] neg_lo:[1,0,0] neg_hi:[1,0,0]
	v_mov_b32_e32 v0, v7
	v_mov_b32_e32 v1, v8
	s_waitcnt lgkmcnt(2)
	v_pk_fma_f32 v[42:43], v[146:147], v[4:5], v[0:1] op_sel_hi:[0,1,1] neg_lo:[1,0,0] neg_hi:[1,0,0]
	v_mov_b32_e32 v0, v9
	v_mov_b32_e32 v1, v10
	;; [unrolled: 4-line block ×3, first 2 shown]
	s_waitcnt lgkmcnt(0)
	v_pk_fma_f32 v[46:47], v[146:147], v[24:25], v[0:1] op_sel_hi:[0,1,1] neg_lo:[1,0,0] neg_hi:[1,0,0]
	ds_read2_b32 v[0:1], v252 offset0:13 offset1:14
	ds_read2_b32 v[4:5], v252 offset0:15 offset1:16
	;; [unrolled: 1-line block ×4, first 2 shown]
	v_mov_b32_e32 v2, v13
	v_mov_b32_e32 v3, v14
	v_mov_b32_e32 v175, v143
	s_waitcnt lgkmcnt(3)
	v_pk_fma_f32 v[48:49], v[146:147], v[0:1], v[2:3] op_sel_hi:[0,1,1] neg_lo:[1,0,0] neg_hi:[1,0,0]
	v_mov_b32_e32 v0, v15
	v_mov_b32_e32 v1, v16
	s_waitcnt lgkmcnt(2)
	v_pk_fma_f32 v[50:51], v[146:147], v[4:5], v[0:1] op_sel_hi:[0,1,1] neg_lo:[1,0,0] neg_hi:[1,0,0]
	v_mov_b32_e32 v0, v17
	v_mov_b32_e32 v1, v18
	;; [unrolled: 4-line block ×4, first 2 shown]
	v_mov_b32_e32 v2, v144
	v_mov_b32_e32 v3, v145
	;; [unrolled: 1-line block ×5, first 2 shown]
	scratch_store_dwordx4 off, v[0:3], off offset:1152 ; 16-byte Folded Spill
	s_nop 0
	scratch_store_dwordx4 off, v[4:7], off offset:1168 ; 16-byte Folded Spill
	scratch_store_dwordx4 off, v[8:11], off offset:1184 ; 16-byte Folded Spill
	;; [unrolled: 1-line block ×7, first 2 shown]
	v_mov_b32_e32 v7, v42
	v_mov_b32_e32 v147, v40
	;; [unrolled: 1-line block ×52, first 2 shown]
	scratch_store_dwordx4 off, v[0:3], off offset:1024 ; 16-byte Folded Spill
	s_nop 0
	scratch_store_dwordx4 off, v[4:7], off offset:1040 ; 16-byte Folded Spill
	scratch_store_dwordx4 off, v[8:11], off offset:1056 ; 16-byte Folded Spill
	scratch_store_dwordx4 off, v[12:15], off offset:1072 ; 16-byte Folded Spill
	scratch_store_dwordx4 off, v[16:19], off offset:1088 ; 16-byte Folded Spill
	scratch_store_dwordx4 off, v[20:23], off offset:1104 ; 16-byte Folded Spill
	scratch_store_dwordx4 off, v[24:27], off offset:1120 ; 16-byte Folded Spill
	scratch_store_dwordx4 off, v[28:31], off offset:1136 ; 16-byte Folded Spill
	v_mov_b32_e32 v8, v43
	v_mov_b32_e32 v61, v44
	;; [unrolled: 1-line block ×10, first 2 shown]
	scratch_store_dwordx4 off, v[0:3], off offset:896 ; 16-byte Folded Spill
	s_nop 0
	scratch_store_dwordx4 off, v[4:7], off offset:912 ; 16-byte Folded Spill
	scratch_store_dwordx4 off, v[8:11], off offset:928 ; 16-byte Folded Spill
	scratch_store_dwordx4 off, v[12:15], off offset:944 ; 16-byte Folded Spill
	scratch_store_dwordx4 off, v[16:19], off offset:960 ; 16-byte Folded Spill
	scratch_store_dwordx4 off, v[20:23], off offset:976 ; 16-byte Folded Spill
	scratch_store_dwordx4 off, v[24:27], off offset:992 ; 16-byte Folded Spill
	scratch_store_dwordx4 off, v[28:31], off offset:1008 ; 16-byte Folded Spill
	v_mov_b32_e32 v9, v44
	scratch_store_dwordx4 off, v[0:3], off offset:768 ; 16-byte Folded Spill
	s_nop 0
	scratch_store_dwordx4 off, v[4:7], off offset:784 ; 16-byte Folded Spill
	scratch_store_dwordx4 off, v[8:11], off offset:800 ; 16-byte Folded Spill
	scratch_store_dwordx4 off, v[12:15], off offset:816 ; 16-byte Folded Spill
	scratch_store_dwordx4 off, v[16:19], off offset:832 ; 16-byte Folded Spill
	scratch_store_dwordx4 off, v[20:23], off offset:848 ; 16-byte Folded Spill
	scratch_store_dwordx4 off, v[24:27], off offset:864 ; 16-byte Folded Spill
	scratch_store_dwordx4 off, v[28:31], off offset:880 ; 16-byte Folded Spill
	v_mov_b32_e32 v10, v45
	;; [unrolled: 10-line block ×4, first 2 shown]
	v_mov_b32_e32 v13, v48
	scratch_store_dwordx4 off, v[0:3], off offset:384 ; 16-byte Folded Spill
	s_nop 0
	scratch_store_dwordx4 off, v[4:7], off offset:400 ; 16-byte Folded Spill
	scratch_store_dwordx4 off, v[8:11], off offset:416 ; 16-byte Folded Spill
	;; [unrolled: 1-line block ×7, first 2 shown]
	v_mov_b32_e32 v22, v142
	v_mov_b32_e32 v23, v143
	v_mov_b32_e32 v24, v144
	v_mov_b32_e32 v25, v145
	v_mov_b32_e32 v26, v146
	v_mov_b32_e32 v27, v40
	v_mov_b32_e32 v28, v41
	v_mov_b32_e32 v29, v42
	v_mov_b32_e32 v30, v43
	v_mov_b32_e32 v31, v44
	v_mov_b32_e32 v14, v49
	v_mov_b32_e32 v15, v50
	v_mov_b32_e32 v16, v51
	v_mov_b32_e32 v17, v52
	v_mov_b32_e32 v40, v53
	scratch_store_dwordx4 off, v[0:3], off offset:256 ; 16-byte Folded Spill
	s_nop 0
	scratch_store_dwordx4 off, v[4:7], off offset:272 ; 16-byte Folded Spill
	scratch_store_dwordx4 off, v[8:11], off offset:288 ; 16-byte Folded Spill
	;; [unrolled: 1-line block ×7, first 2 shown]
	v_mov_b32_e32 v18, v53
	scratch_store_dwordx4 off, v[0:3], off offset:128 ; 16-byte Folded Spill
	s_nop 0
	scratch_store_dwordx4 off, v[4:7], off offset:144 ; 16-byte Folded Spill
	scratch_store_dwordx4 off, v[8:11], off offset:160 ; 16-byte Folded Spill
	;; [unrolled: 1-line block ×7, first 2 shown]
	v_mov_b32_e32 v19, v248
	v_mov_b32_e32 v20, v249
	scratch_store_dwordx4 off, v[142:145], off offset:1280 ; 16-byte Folded Spill
	s_nop 0
	scratch_store_dwordx4 off, v[146:149], off offset:1296 ; 16-byte Folded Spill
	s_waitcnt vmcnt(62)
	scratch_store_dwordx4 off, v[150:153], off offset:1312 ; 16-byte Folded Spill
	scratch_store_dwordx4 off, v[154:157], off offset:1328 ; 16-byte Folded Spill
	;; [unrolled: 1-line block ×6, first 2 shown]
	scratch_store_dwordx4 off, v[22:25], off ; 16-byte Folded Spill
	s_nop 0
	scratch_store_dwordx4 off, v[26:29], off offset:16 ; 16-byte Folded Spill
	scratch_store_dwordx4 off, v[30:33], off offset:32 ; 16-byte Folded Spill
	;; [unrolled: 1-line block ×7, first 2 shown]
.LBB41_28:
	s_or_b64 exec, exec, s[2:3]
	v_cmp_eq_u32_e32 vcc, 5, v250
	s_waitcnt lgkmcnt(0)
	s_barrier
	s_and_saveexec_b64 s[2:3], vcc
	s_cbranch_execz .LBB41_31
; %bb.29:
	ds_write_b32 v251, v63
	ds_write2_b32 v252, v6, v7 offset0:6 offset1:7
	ds_write2_b32 v252, v8, v9 offset0:8 offset1:9
	;; [unrolled: 1-line block ×7, first 2 shown]
	ds_write_b32 v252, v249 offset:80
	ds_read_b32 v21, v251
	s_waitcnt lgkmcnt(0)
	v_cmp_neq_f32_e32 vcc, 0, v21
	s_and_b64 exec, exec, vcc
	s_cbranch_execz .LBB41_31
; %bb.30:
	v_div_scale_f32 v39, s[4:5], v21, v21, 1.0
	v_rcp_f32_e32 v40, v39
	v_div_scale_f32 v41, vcc, 1.0, v21, 1.0
	v_fma_f32 v42, -v39, v40, 1.0
	v_fmac_f32_e32 v40, v42, v40
	v_mul_f32_e32 v42, v41, v40
	v_fma_f32 v43, -v39, v42, v41
	v_fmac_f32_e32 v42, v43, v40
	v_fma_f32 v39, -v39, v42, v41
	v_div_fmas_f32 v39, v39, v40, v42
	v_div_fixup_f32 v21, v39, v21, 1.0
	ds_write_b32 v251, v21
.LBB41_31:
	s_or_b64 exec, exec, s[2:3]
	s_waitcnt lgkmcnt(0)
	s_barrier
	ds_read_b32 v52, v251
	v_cmp_lt_u32_e32 vcc, 5, v250
	s_and_saveexec_b64 s[2:3], vcc
	s_cbranch_execz .LBB41_33
; %bb.32:
	ds_read2_b32 v[0:1], v252 offset0:6 offset1:7
	ds_read2_b32 v[2:3], v252 offset0:8 offset1:9
	;; [unrolled: 1-line block ×3, first 2 shown]
	s_waitcnt lgkmcnt(3)
	v_mul_f32_e32 v40, v63, v52
	ds_read2_b32 v[20:21], v252 offset0:12 offset1:13
	s_waitcnt lgkmcnt(3)
	v_pk_fma_f32 v[140:141], v[40:41], v[0:1], v[6:7] op_sel_hi:[0,1,1] neg_lo:[1,0,0] neg_hi:[1,0,0]
	s_waitcnt lgkmcnt(2)
	v_pk_fma_f32 v[50:51], v[40:41], v[2:3], v[8:9] op_sel_hi:[0,1,1] neg_lo:[1,0,0] neg_hi:[1,0,0]
	;; [unrolled: 2-line block ×3, first 2 shown]
	ds_read2_b32 v[0:1], v252 offset0:14 offset1:15
	ds_read2_b32 v[2:3], v252 offset0:16 offset1:17
	;; [unrolled: 1-line block ×3, first 2 shown]
	s_waitcnt vmcnt(5) lgkmcnt(3)
	v_pk_fma_f32 v[186:187], v[40:41], v[20:21], v[12:13] op_sel_hi:[0,1,1] neg_lo:[1,0,0] neg_hi:[1,0,0]
	v_mov_b32_e32 v8, v142
	s_waitcnt lgkmcnt(2)
	v_pk_fma_f32 v[132:133], v[40:41], v[0:1], v[14:15] op_sel_hi:[0,1,1] neg_lo:[1,0,0] neg_hi:[1,0,0]
	s_waitcnt lgkmcnt(1)
	v_pk_fma_f32 v[38:39], v[40:41], v[2:3], v[16:17] op_sel_hi:[0,1,1] neg_lo:[1,0,0] neg_hi:[1,0,0]
	v_mov_b32_e32 v9, v143
	v_mov_b32_e32 v10, v144
	;; [unrolled: 1-line block ×7, first 2 shown]
	ds_read_b32 v6, v252 offset:80
	s_waitcnt lgkmcnt(1)
	v_pk_fma_f32 v[106:107], v[40:41], v[4:5], v[18:19] op_sel_hi:[0,1,1] neg_lo:[1,0,0] neg_hi:[1,0,0]
	scratch_store_dwordx4 off, v[8:11], off offset:1024 ; 16-byte Folded Spill
	s_nop 0
	scratch_store_dwordx4 off, v[12:15], off offset:1040 ; 16-byte Folded Spill
	scratch_store_dwordx4 off, v[16:19], off offset:1056 ; 16-byte Folded Spill
	scratch_store_dwordx4 off, v[20:23], off offset:1072 ; 16-byte Folded Spill
	scratch_store_dwordx4 off, v[24:27], off offset:1088 ; 16-byte Folded Spill
	scratch_store_dwordx4 off, v[28:31], off offset:1104 ; 16-byte Folded Spill
	scratch_store_dwordx4 off, v[32:35], off offset:1120 ; 16-byte Folded Spill
	scratch_store_dwordx4 off, v[36:39], off offset:1136 ; 16-byte Folded Spill
	v_mov_b32_e32 v16, v50
	v_mov_b32_e32 v17, v51
	;; [unrolled: 1-line block ×62, first 2 shown]
	scratch_store_dwordx4 off, v[8:11], off offset:768 ; 16-byte Folded Spill
	s_nop 0
	scratch_store_dwordx4 off, v[12:15], off offset:784 ; 16-byte Folded Spill
	scratch_store_dwordx4 off, v[16:19], off offset:800 ; 16-byte Folded Spill
	;; [unrolled: 1-line block ×7, first 2 shown]
	v_mov_b32_e32 v18, v82
	v_mov_b32_e32 v19, v83
	;; [unrolled: 1-line block ×48, first 2 shown]
	scratch_store_dwordx4 off, v[8:11], off offset:512 ; 16-byte Folded Spill
	s_nop 0
	scratch_store_dwordx4 off, v[12:15], off offset:528 ; 16-byte Folded Spill
	scratch_store_dwordx4 off, v[16:19], off offset:544 ; 16-byte Folded Spill
	;; [unrolled: 1-line block ×7, first 2 shown]
	v_mov_b32_e32 v20, v186
	v_mov_b32_e32 v21, v187
	scratch_store_dwordx4 off, v[8:11], off offset:384 ; 16-byte Folded Spill
	s_nop 0
	scratch_store_dwordx4 off, v[12:15], off offset:400 ; 16-byte Folded Spill
	scratch_store_dwordx4 off, v[16:19], off offset:416 ; 16-byte Folded Spill
	;; [unrolled: 1-line block ×7, first 2 shown]
	v_mov_b32_e32 v22, v142
	v_mov_b32_e32 v23, v143
	;; [unrolled: 1-line block ×11, first 2 shown]
	s_waitcnt lgkmcnt(0)
	v_fma_f32 v20, -v40, v6, v249
	v_mov_b32_e32 v6, v140
	v_mov_b32_e32 v8, v50
	;; [unrolled: 1-line block ×18, first 2 shown]
	scratch_store_dwordx4 off, v[54:57], off offset:256 ; 16-byte Folded Spill
	s_nop 0
	scratch_store_dwordx4 off, v[58:61], off offset:272 ; 16-byte Folded Spill
	scratch_store_dwordx4 off, v[62:65], off offset:288 ; 16-byte Folded Spill
	;; [unrolled: 1-line block ×8, first 2 shown]
	s_nop 0
	scratch_store_dwordx4 off, v[146:149], off offset:1296 ; 16-byte Folded Spill
	scratch_store_dwordx4 off, v[150:153], off offset:1312 ; 16-byte Folded Spill
	;; [unrolled: 1-line block ×7, first 2 shown]
	v_mov_b32_e32 v104, v38
	v_mov_b32_e32 v105, v39
	;; [unrolled: 1-line block ×4, first 2 shown]
	scratch_store_dwordx4 off, v[134:137], off offset:1152 ; 16-byte Folded Spill
	s_nop 0
	scratch_store_dwordx4 off, v[138:141], off offset:1168 ; 16-byte Folded Spill
	scratch_store_dwordx4 off, v[142:145], off offset:1184 ; 16-byte Folded Spill
	;; [unrolled: 1-line block ×8, first 2 shown]
	s_nop 0
	scratch_store_dwordx4 off, v[46:49], off offset:912 ; 16-byte Folded Spill
	scratch_store_dwordx4 off, v[50:53], off offset:928 ; 16-byte Folded Spill
	;; [unrolled: 1-line block ×7, first 2 shown]
	v_mov_b32_e32 v98, v82
	v_mov_b32_e32 v99, v83
	;; [unrolled: 1-line block ×13, first 2 shown]
	scratch_store_dwordx4 off, v[72:75], off offset:640 ; 16-byte Folded Spill
	s_nop 0
	scratch_store_dwordx4 off, v[76:79], off offset:656 ; 16-byte Folded Spill
	scratch_store_dwordx4 off, v[80:83], off offset:672 ; 16-byte Folded Spill
	;; [unrolled: 1-line block ×7, first 2 shown]
	v_mov_b32_e32 v117, v141
	v_mov_b32_e32 v61, v51
	;; [unrolled: 1-line block ×3, first 2 shown]
	v_mov_b64_e32 v[148:149], v[102:103]
	v_mov_b32_e32 v59, v83
	v_mov_b64_e32 v[146:147], v[100:101]
	v_mov_b64_e32 v[144:145], v[98:99]
	;; [unrolled: 1-line block ×7, first 2 shown]
	scratch_store_dwordx4 off, v[134:137], off offset:128 ; 16-byte Folded Spill
	s_nop 0
	scratch_store_dwordx4 off, v[138:141], off offset:144 ; 16-byte Folded Spill
	scratch_store_dwordx4 off, v[142:145], off offset:160 ; 16-byte Folded Spill
	;; [unrolled: 1-line block ×7, first 2 shown]
	scratch_store_dwordx4 off, v[22:25], off ; 16-byte Folded Spill
	s_nop 0
	scratch_store_dwordx4 off, v[26:29], off offset:16 ; 16-byte Folded Spill
	scratch_store_dwordx4 off, v[30:33], off offset:32 ; 16-byte Folded Spill
	scratch_store_dwordx4 off, v[34:37], off offset:48 ; 16-byte Folded Spill
	scratch_store_dwordx4 off, v[38:41], off offset:64 ; 16-byte Folded Spill
	scratch_store_dwordx4 off, v[42:45], off offset:80 ; 16-byte Folded Spill
	scratch_store_dwordx4 off, v[46:49], off offset:96 ; 16-byte Folded Spill
	scratch_store_dwordx4 off, v[50:53], off offset:112 ; 16-byte Folded Spill
.LBB41_33:
	s_or_b64 exec, exec, s[2:3]
	v_cmp_eq_u32_e32 vcc, 6, v250
	s_waitcnt lgkmcnt(0)
	s_barrier
	s_and_saveexec_b64 s[2:3], vcc
	s_cbranch_execz .LBB41_36
; %bb.34:
	ds_write_b32 v251, v60
	ds_write2_b32 v252, v7, v8 offset0:7 offset1:8
	ds_write2_b32 v252, v9, v10 offset0:9 offset1:10
	;; [unrolled: 1-line block ×7, first 2 shown]
	ds_read_b32 v21, v251
	s_waitcnt lgkmcnt(0)
	v_cmp_neq_f32_e32 vcc, 0, v21
	s_and_b64 exec, exec, vcc
	s_cbranch_execz .LBB41_36
; %bb.35:
	v_div_scale_f32 v39, s[4:5], v21, v21, 1.0
	v_rcp_f32_e32 v40, v39
	v_div_scale_f32 v41, vcc, 1.0, v21, 1.0
	v_fma_f32 v42, -v39, v40, 1.0
	v_fmac_f32_e32 v40, v42, v40
	v_mul_f32_e32 v42, v41, v40
	v_fma_f32 v43, -v39, v42, v41
	v_fmac_f32_e32 v42, v43, v40
	v_fma_f32 v39, -v39, v42, v41
	v_div_fmas_f32 v39, v39, v40, v42
	v_div_fixup_f32 v21, v39, v21, 1.0
	ds_write_b32 v251, v21
.LBB41_36:
	s_or_b64 exec, exec, s[2:3]
	s_waitcnt lgkmcnt(0)
	s_barrier
	ds_read_b32 v53, v251
	v_cmp_lt_u32_e32 vcc, 6, v250
	s_and_saveexec_b64 s[2:3], vcc
	s_cbranch_execz .LBB41_38
; %bb.37:
	scratch_load_dwordx4 v[72:75], off, off offset:1280 ; 16-byte Folded Reload
	scratch_load_dwordx4 v[76:79], off, off offset:1296 ; 16-byte Folded Reload
	;; [unrolled: 1-line block ×8, first 2 shown]
	ds_read2_b32 v[0:1], v252 offset0:7 offset1:8
	v_mov_b32_e32 v2, v7
	ds_read2_b32 v[4:5], v252 offset0:9 offset1:10
	ds_read2_b32 v[6:7], v252 offset0:11 offset1:12
	;; [unrolled: 1-line block ×3, first 2 shown]
	s_waitcnt vmcnt(6) lgkmcnt(4)
	v_mul_f32_e32 v78, v60, v53
	v_mov_b32_e32 v3, v8
	v_mov_b32_e32 v180, v78
	;; [unrolled: 1-line block ×5, first 2 shown]
	s_waitcnt lgkmcnt(3)
	v_pk_fma_f32 v[40:41], v[78:79], v[0:1], v[2:3] op_sel_hi:[0,1,1] neg_lo:[1,0,0] neg_hi:[1,0,0]
	v_mov_b32_e32 v0, v9
	v_mov_b32_e32 v1, v10
	s_waitcnt lgkmcnt(2)
	v_pk_fma_f32 v[42:43], v[78:79], v[4:5], v[0:1] op_sel_hi:[0,1,1] neg_lo:[1,0,0] neg_hi:[1,0,0]
	v_mov_b32_e32 v0, v11
	v_mov_b32_e32 v1, v12
	;; [unrolled: 4-line block ×3, first 2 shown]
	s_waitcnt lgkmcnt(0)
	v_pk_fma_f32 v[46:47], v[78:79], v[22:23], v[0:1] op_sel_hi:[0,1,1] neg_lo:[1,0,0] neg_hi:[1,0,0]
	ds_read2_b32 v[0:1], v252 offset0:15 offset1:16
	ds_read2_b32 v[4:5], v252 offset0:17 offset1:18
	;; [unrolled: 1-line block ×3, first 2 shown]
	v_mov_b32_e32 v2, v15
	v_mov_b32_e32 v3, v16
	;; [unrolled: 1-line block ×3, first 2 shown]
	s_waitcnt lgkmcnt(2)
	v_pk_fma_f32 v[48:49], v[78:79], v[0:1], v[2:3] op_sel_hi:[0,1,1] neg_lo:[1,0,0] neg_hi:[1,0,0]
	v_mov_b32_e32 v0, v17
	v_mov_b32_e32 v1, v18
	s_waitcnt lgkmcnt(1)
	v_pk_fma_f32 v[50:51], v[78:79], v[4:5], v[0:1] op_sel_hi:[0,1,1] neg_lo:[1,0,0] neg_hi:[1,0,0]
	v_mov_b32_e32 v0, v19
	v_mov_b32_e32 v1, v20
	;; [unrolled: 4-line block ×3, first 2 shown]
	v_mov_b32_e32 v2, v74
	v_mov_b32_e32 v3, v75
	;; [unrolled: 1-line block ×6, first 2 shown]
	scratch_store_dwordx4 off, v[0:3], off offset:896 ; 16-byte Folded Spill
	s_nop 0
	scratch_store_dwordx4 off, v[4:7], off offset:912 ; 16-byte Folded Spill
	scratch_store_dwordx4 off, v[8:11], off offset:928 ; 16-byte Folded Spill
	;; [unrolled: 1-line block ×7, first 2 shown]
	v_mov_b32_e32 v9, v42
	v_mov_b32_e32 v79, v40
	v_mov_b32_e32 v175, v73
	v_mov_b32_e32 v176, v74
	v_mov_b32_e32 v177, v75
	v_mov_b32_e32 v178, v76
	v_mov_b32_e32 v179, v77
	v_mov_b32_e32 v118, v72
	v_mov_b32_e32 v119, v73
	v_mov_b32_e32 v120, v74
	v_mov_b32_e32 v121, v75
	v_mov_b32_e32 v122, v76
	v_mov_b32_e32 v123, v77
	v_mov_b32_e32 v214, v72
	v_mov_b32_e32 v215, v73
	v_mov_b32_e32 v216, v74
	v_mov_b32_e32 v217, v75
	v_mov_b32_e32 v218, v76
	v_mov_b32_e32 v219, v77
	v_mov_b32_e32 v181, v40
	v_mov_b32_e32 v182, v41
	v_mov_b32_e32 v183, v42
	v_mov_b32_e32 v184, v43
	v_mov_b32_e32 v185, v44
	v_mov_b32_e32 v186, v45
	v_mov_b32_e32 v125, v40
	v_mov_b32_e32 v126, v41
	v_mov_b32_e32 v127, v42
	v_mov_b32_e32 v128, v43
	v_mov_b32_e32 v129, v44
	v_mov_b32_e32 v130, v45
	v_mov_b32_e32 v131, v46
	v_mov_b32_e32 v132, v47
	v_mov_b32_e32 v221, v40
	v_mov_b32_e32 v222, v41
	v_mov_b32_e32 v223, v42
	v_mov_b32_e32 v224, v43
	v_mov_b32_e32 v225, v44
	v_mov_b32_e32 v226, v45
	v_mov_b32_e32 v227, v46
	v_mov_b32_e32 v228, v47
	v_mov_b32_e32 v229, v48
	v_mov_b32_e32 v32, v43
	v_mov_b32_e32 v33, v44
	v_mov_b32_e32 v34, v45
	v_mov_b32_e32 v35, v46
	v_mov_b32_e32 v36, v47
	v_mov_b32_e32 v37, v48
	v_mov_b32_e32 v38, v49
	v_mov_b32_e32 v117, v40
	v_mov_b32_e32 v108, v41
	v_mov_b32_e32 v61, v42
	v_mov_b32_e32 v70, v43
	scratch_store_dwordx4 off, v[0:3], off offset:768 ; 16-byte Folded Spill
	s_nop 0
	scratch_store_dwordx4 off, v[4:7], off offset:784 ; 16-byte Folded Spill
	scratch_store_dwordx4 off, v[8:11], off offset:800 ; 16-byte Folded Spill
	;; [unrolled: 1-line block ×7, first 2 shown]
	v_mov_b32_e32 v10, v43
	v_mov_b32_e32 v59, v44
	;; [unrolled: 1-line block ×7, first 2 shown]
	scratch_store_dwordx4 off, v[0:3], off offset:640 ; 16-byte Folded Spill
	s_nop 0
	scratch_store_dwordx4 off, v[4:7], off offset:656 ; 16-byte Folded Spill
	scratch_store_dwordx4 off, v[8:11], off offset:672 ; 16-byte Folded Spill
	;; [unrolled: 1-line block ×7, first 2 shown]
	v_mov_b32_e32 v11, v44
	scratch_store_dwordx4 off, v[0:3], off offset:512 ; 16-byte Folded Spill
	s_nop 0
	scratch_store_dwordx4 off, v[4:7], off offset:528 ; 16-byte Folded Spill
	scratch_store_dwordx4 off, v[8:11], off offset:544 ; 16-byte Folded Spill
	;; [unrolled: 1-line block ×7, first 2 shown]
	v_mov_b32_e32 v12, v45
	v_mov_b32_e32 v13, v46
	scratch_store_dwordx4 off, v[0:3], off offset:384 ; 16-byte Folded Spill
	s_nop 0
	scratch_store_dwordx4 off, v[4:7], off offset:400 ; 16-byte Folded Spill
	scratch_store_dwordx4 off, v[8:11], off offset:416 ; 16-byte Folded Spill
	;; [unrolled: 1-line block ×7, first 2 shown]
	v_mov_b32_e32 v22, v72
	v_mov_b32_e32 v23, v73
	;; [unrolled: 1-line block ×15, first 2 shown]
	scratch_store_dwordx4 off, v[0:3], off offset:256 ; 16-byte Folded Spill
	s_nop 0
	scratch_store_dwordx4 off, v[4:7], off offset:272 ; 16-byte Folded Spill
	scratch_store_dwordx4 off, v[8:11], off offset:288 ; 16-byte Folded Spill
	;; [unrolled: 1-line block ×7, first 2 shown]
	v_mov_b32_e32 v18, v51
	scratch_store_dwordx4 off, v[0:3], off offset:128 ; 16-byte Folded Spill
	s_nop 0
	scratch_store_dwordx4 off, v[4:7], off offset:144 ; 16-byte Folded Spill
	scratch_store_dwordx4 off, v[8:11], off offset:160 ; 16-byte Folded Spill
	;; [unrolled: 1-line block ×8, first 2 shown]
	s_nop 0
	scratch_store_dwordx4 off, v[76:79], off offset:1040 ; 16-byte Folded Spill
	s_waitcnt vmcnt(62)
	scratch_store_dwordx4 off, v[80:83], off offset:1056 ; 16-byte Folded Spill
	scratch_store_dwordx4 off, v[84:87], off offset:1072 ; 16-byte Folded Spill
	s_waitcnt vmcnt(62)
	scratch_store_dwordx4 off, v[88:91], off offset:1088 ; 16-byte Folded Spill
	;; [unrolled: 3-line block ×3, first 2 shown]
	scratch_store_dwordx4 off, v[100:103], off offset:1136 ; 16-byte Folded Spill
	scratch_store_dwordx4 off, v[72:75], off offset:1152 ; 16-byte Folded Spill
	s_nop 0
	scratch_store_dwordx4 off, v[76:79], off offset:1168 ; 16-byte Folded Spill
	scratch_store_dwordx4 off, v[80:83], off offset:1184 ; 16-byte Folded Spill
	;; [unrolled: 1-line block ×7, first 2 shown]
	v_mov_b32_e32 v19, v248
	v_mov_b32_e32 v20, v249
	;; [unrolled: 1-line block ×3, first 2 shown]
	scratch_store_dwordx4 off, v[22:25], off ; 16-byte Folded Spill
	s_nop 0
	scratch_store_dwordx4 off, v[26:29], off offset:16 ; 16-byte Folded Spill
	scratch_store_dwordx4 off, v[30:33], off offset:32 ; 16-byte Folded Spill
	;; [unrolled: 1-line block ×7, first 2 shown]
.LBB41_38:
	s_or_b64 exec, exec, s[2:3]
	v_cmp_eq_u32_e32 vcc, 7, v250
	s_waitcnt lgkmcnt(0)
	s_barrier
	s_and_saveexec_b64 s[2:3], vcc
	s_cbranch_execz .LBB41_41
; %bb.39:
	ds_write_b32 v251, v117
	ds_write2_b32 v252, v8, v9 offset0:8 offset1:9
	ds_write2_b32 v252, v10, v11 offset0:10 offset1:11
	;; [unrolled: 1-line block ×6, first 2 shown]
	ds_write_b32 v252, v249 offset:80
	ds_read_b32 v21, v251
	s_waitcnt lgkmcnt(0)
	v_cmp_neq_f32_e32 vcc, 0, v21
	s_and_b64 exec, exec, vcc
	s_cbranch_execz .LBB41_41
; %bb.40:
	v_div_scale_f32 v39, s[4:5], v21, v21, 1.0
	v_rcp_f32_e32 v40, v39
	v_div_scale_f32 v41, vcc, 1.0, v21, 1.0
	v_fma_f32 v42, -v39, v40, 1.0
	v_fmac_f32_e32 v40, v42, v40
	v_mul_f32_e32 v42, v41, v40
	v_fma_f32 v43, -v39, v42, v41
	v_fmac_f32_e32 v42, v43, v40
	v_fma_f32 v39, -v39, v42, v41
	v_div_fmas_f32 v39, v39, v40, v42
	v_div_fixup_f32 v21, v39, v21, 1.0
	ds_write_b32 v251, v21
.LBB41_41:
	s_or_b64 exec, exec, s[2:3]
	s_waitcnt lgkmcnt(0)
	s_barrier
	ds_read_b32 v111, v251
	v_cmp_lt_u32_e32 vcc, 7, v250
	s_and_saveexec_b64 s[2:3], vcc
	s_cbranch_execz .LBB41_43
; %bb.42:
	ds_read2_b32 v[0:1], v252 offset0:8 offset1:9
	ds_read2_b32 v[2:3], v252 offset0:10 offset1:11
	ds_read2_b32 v[6:7], v252 offset0:12 offset1:13
	ds_read2_b32 v[20:21], v252 offset0:14 offset1:15
	s_waitcnt lgkmcnt(4)
	v_mul_f32_e32 v4, v117, v111
	v_mov_b32_e32 v79, v4
	s_waitcnt lgkmcnt(3)
	v_pk_fma_f32 v[80:81], v[4:5], v[0:1], v[8:9] op_sel_hi:[0,1,1] neg_lo:[1,0,0] neg_hi:[1,0,0]
	s_waitcnt lgkmcnt(2)
	v_pk_fma_f32 v[50:51], v[4:5], v[2:3], v[10:11] op_sel_hi:[0,1,1] neg_lo:[1,0,0] neg_hi:[1,0,0]
	ds_read2_b32 v[0:1], v252 offset0:16 offset1:17
	ds_read2_b32 v[2:3], v252 offset0:18 offset1:19
	s_waitcnt vmcnt(5) lgkmcnt(3)
	v_pk_fma_f32 v[186:187], v[4:5], v[6:7], v[12:13] op_sel_hi:[0,1,1] neg_lo:[1,0,0] neg_hi:[1,0,0]
	s_waitcnt lgkmcnt(2)
	v_pk_fma_f32 v[132:133], v[4:5], v[20:21], v[14:15] op_sel_hi:[0,1,1] neg_lo:[1,0,0] neg_hi:[1,0,0]
	ds_read_b32 v5, v252 offset:80
	v_mov_b32_e32 v61, v4
	v_mov_b32_e32 v62, v80
	;; [unrolled: 1-line block ×4, first 2 shown]
	s_waitcnt lgkmcnt(0)
	v_pk_fma_f32 v[38:39], v[4:5], v[0:1], v[16:17] op_sel_hi:[0,1,1] neg_lo:[1,0,0] neg_hi:[1,0,0]
	v_pk_fma_f32 v[106:107], v[4:5], v[2:3], v[18:19] op_sel_hi:[0,1,1] neg_lo:[1,0,0] neg_hi:[1,0,0]
	scratch_load_dwordx4 v[6:9], off, off offset:1152 ; 16-byte Folded Reload
	scratch_load_dwordx4 v[10:13], off, off offset:1168 ; 16-byte Folded Reload
	;; [unrolled: 1-line block ×8, first 2 shown]
	s_waitcnt vmcnt(6)
	v_mov_b32_e32 v13, v4
	s_waitcnt vmcnt(5)
	v_mov_b32_e32 v14, v80
	v_mov_b32_e32 v15, v81
	;; [unrolled: 1-line block ×51, first 2 shown]
	scratch_store_dwordx4 off, v[6:9], off offset:768 ; 16-byte Folded Spill
	s_nop 0
	scratch_store_dwordx4 off, v[10:13], off offset:784 ; 16-byte Folded Spill
	scratch_store_dwordx4 off, v[14:17], off offset:800 ; 16-byte Folded Spill
	s_waitcnt vmcnt(7)
	scratch_store_dwordx4 off, v[18:21], off offset:816 ; 16-byte Folded Spill
	s_waitcnt vmcnt(7)
	;; [unrolled: 2-line block ×5, first 2 shown]
	scratch_store_dwordx4 off, v[34:37], off offset:880 ; 16-byte Folded Spill
	v_mov_b32_e32 v16, v50
	v_mov_b32_e32 v17, v51
	;; [unrolled: 1-line block ×55, first 2 shown]
	scratch_store_dwordx4 off, v[6:9], off offset:512 ; 16-byte Folded Spill
	s_nop 0
	scratch_store_dwordx4 off, v[10:13], off offset:528 ; 16-byte Folded Spill
	scratch_store_dwordx4 off, v[14:17], off offset:544 ; 16-byte Folded Spill
	;; [unrolled: 1-line block ×7, first 2 shown]
	v_mov_b32_e32 v18, v186
	v_mov_b32_e32 v19, v187
	scratch_store_dwordx4 off, v[6:9], off offset:384 ; 16-byte Folded Spill
	s_nop 0
	scratch_store_dwordx4 off, v[10:13], off offset:400 ; 16-byte Folded Spill
	scratch_store_dwordx4 off, v[14:17], off offset:416 ; 16-byte Folded Spill
	;; [unrolled: 1-line block ×7, first 2 shown]
	s_nop 0
	v_mov_b32_e32 v30, v80
	v_mov_b32_e32 v31, v81
	scratch_store_dwordx4 off, v[54:57], off offset:256 ; 16-byte Folded Spill
	s_nop 0
	scratch_store_dwordx4 off, v[58:61], off offset:272 ; 16-byte Folded Spill
	scratch_store_dwordx4 off, v[62:65], off offset:288 ; 16-byte Folded Spill
	;; [unrolled: 1-line block ×7, first 2 shown]
	v_mov_b32_e32 v22, v134
	v_mov_b32_e32 v23, v135
	v_mov_b32_e32 v24, v136
	v_mov_b32_e32 v25, v137
	v_mov_b32_e32 v26, v138
	v_mov_b32_e32 v27, v139
	v_mov_b32_e32 v28, v140
	v_mov_b32_e32 v29, v4
	v_fma_f32 v20, -v4, v5, v249
	v_mov_b32_e32 v7, v4
	v_mov_b32_e32 v4, v138
	;; [unrolled: 1-line block ×4, first 2 shown]
	scratch_store_dwordx4 off, v[134:137], off offset:1024 ; 16-byte Folded Spill
	s_nop 0
	scratch_store_dwordx4 off, v[138:141], off offset:1040 ; 16-byte Folded Spill
	scratch_store_dwordx4 off, v[142:145], off offset:1056 ; 16-byte Folded Spill
	;; [unrolled: 1-line block ×7, first 2 shown]
	v_mov_b32_e32 v70, v50
	v_mov_b32_e32 v32, v50
	v_mov_b32_e32 v33, v51
	v_mov_b32_e32 v10, v50
	v_mov_b32_e32 v11, v51
	v_mov_b32_e32 v152, v106
	v_mov_b32_e32 v34, v186
	v_mov_b32_e32 v35, v187
	v_mov_b32_e32 v36, v132
	v_mov_b32_e32 v37, v133
	v_mov_b32_e32 v12, v186
	v_mov_b32_e32 v13, v187
	v_mov_b32_e32 v14, v132
	v_mov_b32_e32 v15, v133
	v_mov_b32_e32 v16, v38
	v_mov_b32_e32 v17, v39
	v_mov_b32_e32 v18, v106
	v_mov_b32_e32 v19, v107
	v_mov_b32_e32 v249, v20
	v_mov_b32_e32 v151, v105
	v_mov_b32_e32 v150, v104
	v_mov_b32_e32 v96, v80
	v_mov_b32_e32 v97, v81
	v_mov_b32_e32 v8, v80
	v_mov_b32_e32 v9, v81
	v_mov_b32_e32 v108, v80
	scratch_store_dwordx4 off, v[72:75], off offset:896 ; 16-byte Folded Spill
	s_nop 0
	scratch_store_dwordx4 off, v[76:79], off offset:912 ; 16-byte Folded Spill
	scratch_store_dwordx4 off, v[80:83], off offset:928 ; 16-byte Folded Spill
	;; [unrolled: 1-line block ×7, first 2 shown]
	v_mov_b32_e32 v75, v39
	v_mov_b32_e32 v61, v81
	scratch_store_dwordx4 off, v[40:43], off offset:640 ; 16-byte Folded Spill
	s_nop 0
	scratch_store_dwordx4 off, v[44:47], off offset:656 ; 16-byte Folded Spill
	scratch_store_dwordx4 off, v[48:51], off offset:672 ; 16-byte Folded Spill
	;; [unrolled: 1-line block ×7, first 2 shown]
	v_mov_b64_e32 v[148:149], v[102:103]
	v_mov_b32_e32 v58, v186
	v_mov_b32_e32 v57, v187
	;; [unrolled: 1-line block ×5, first 2 shown]
	v_mov_b64_e32 v[146:147], v[100:101]
	v_mov_b64_e32 v[144:145], v[98:99]
	;; [unrolled: 1-line block ×7, first 2 shown]
	v_mov_b32_e32 v40, v106
	scratch_store_dwordx4 off, v[134:137], off offset:128 ; 16-byte Folded Spill
	s_nop 0
	scratch_store_dwordx4 off, v[138:141], off offset:144 ; 16-byte Folded Spill
	scratch_store_dwordx4 off, v[142:145], off offset:160 ; 16-byte Folded Spill
	;; [unrolled: 1-line block ×7, first 2 shown]
	v_mov_b32_e32 v59, v51
	scratch_store_dwordx4 off, v[22:25], off ; 16-byte Folded Spill
	s_nop 0
	scratch_store_dwordx4 off, v[26:29], off offset:16 ; 16-byte Folded Spill
	scratch_store_dwordx4 off, v[30:33], off offset:32 ; 16-byte Folded Spill
	;; [unrolled: 1-line block ×7, first 2 shown]
.LBB41_43:
	s_or_b64 exec, exec, s[2:3]
	v_cmp_eq_u32_e32 vcc, 8, v250
	s_waitcnt lgkmcnt(0)
	s_barrier
	s_and_saveexec_b64 s[2:3], vcc
	s_cbranch_execz .LBB41_46
; %bb.44:
	ds_write_b32 v251, v108
	ds_write2_b32 v252, v9, v10 offset0:9 offset1:10
	ds_write2_b32 v252, v11, v12 offset0:11 offset1:12
	;; [unrolled: 1-line block ×6, first 2 shown]
	ds_read_b32 v21, v251
	s_waitcnt lgkmcnt(0)
	v_cmp_neq_f32_e32 vcc, 0, v21
	s_and_b64 exec, exec, vcc
	s_cbranch_execz .LBB41_46
; %bb.45:
	v_div_scale_f32 v39, s[4:5], v21, v21, 1.0
	v_rcp_f32_e32 v40, v39
	v_div_scale_f32 v41, vcc, 1.0, v21, 1.0
	v_fma_f32 v42, -v39, v40, 1.0
	v_fmac_f32_e32 v40, v42, v40
	v_mul_f32_e32 v42, v41, v40
	v_fma_f32 v43, -v39, v42, v41
	v_fmac_f32_e32 v42, v43, v40
	v_fma_f32 v39, -v39, v42, v41
	v_div_fmas_f32 v39, v39, v40, v42
	v_div_fixup_f32 v21, v39, v21, 1.0
	ds_write_b32 v251, v21
.LBB41_46:
	s_or_b64 exec, exec, s[2:3]
	s_waitcnt lgkmcnt(0)
	s_barrier
	ds_read_b32 v112, v251
	v_cmp_lt_u32_e32 vcc, 8, v250
	s_and_saveexec_b64 s[2:3], vcc
	s_cbranch_execz .LBB41_48
; %bb.47:
	scratch_load_dwordx4 v[72:75], off, off offset:1024 ; 16-byte Folded Reload
	scratch_load_dwordx4 v[76:79], off, off offset:1040 ; 16-byte Folded Reload
	;; [unrolled: 1-line block ×8, first 2 shown]
	ds_read2_b32 v[0:1], v252 offset0:9 offset1:10
	v_mov_b32_e32 v2, v9
	ds_read2_b32 v[4:5], v252 offset0:11 offset1:12
	ds_read2_b32 v[6:7], v252 offset0:13 offset1:14
	ds_read2_b32 v[8:9], v252 offset0:15 offset1:16
	s_waitcnt vmcnt(5) lgkmcnt(4)
	v_mul_f32_e32 v80, v108, v112
	v_mov_b32_e32 v3, v10
	v_mov_b32_e32 v182, v80
	;; [unrolled: 1-line block ×6, first 2 shown]
	s_waitcnt lgkmcnt(3)
	v_pk_fma_f32 v[40:41], v[80:81], v[0:1], v[2:3] op_sel_hi:[0,1,1] neg_lo:[1,0,0] neg_hi:[1,0,0]
	v_mov_b32_e32 v0, v11
	v_mov_b32_e32 v1, v12
	ds_read2_b32 v[2:3], v252 offset0:17 offset1:18
	s_waitcnt lgkmcnt(3)
	v_pk_fma_f32 v[42:43], v[80:81], v[4:5], v[0:1] op_sel_hi:[0,1,1] neg_lo:[1,0,0] neg_hi:[1,0,0]
	ds_read2_b32 v[4:5], v252 offset0:19 offset1:20
	v_mov_b32_e32 v0, v13
	v_mov_b32_e32 v1, v14
	s_waitcnt lgkmcnt(3)
	v_pk_fma_f32 v[44:45], v[80:81], v[6:7], v[0:1] op_sel_hi:[0,1,1] neg_lo:[1,0,0] neg_hi:[1,0,0]
	v_mov_b32_e32 v0, v15
	v_mov_b32_e32 v1, v16
	s_waitcnt lgkmcnt(2)
	v_pk_fma_f32 v[46:47], v[80:81], v[8:9], v[0:1] op_sel_hi:[0,1,1] neg_lo:[1,0,0] neg_hi:[1,0,0]
	v_mov_b32_e32 v0, v17
	v_mov_b32_e32 v1, v18
	s_waitcnt lgkmcnt(1)
	v_pk_fma_f32 v[48:49], v[80:81], v[2:3], v[0:1] op_sel_hi:[0,1,1] neg_lo:[1,0,0] neg_hi:[1,0,0]
	v_mov_b32_e32 v0, v19
	v_mov_b32_e32 v1, v20
	s_waitcnt lgkmcnt(0)
	v_pk_fma_f32 v[248:249], v[80:81], v[4:5], v[0:1] op_sel_hi:[0,1,1] neg_lo:[1,0,0] neg_hi:[1,0,0]
	v_mov_b32_e32 v0, v72
	v_mov_b32_e32 v1, v73
	;; [unrolled: 1-line block ×11, first 2 shown]
	scratch_store_dwordx4 off, v[0:3], off offset:640 ; 16-byte Folded Spill
	s_nop 0
	scratch_store_dwordx4 off, v[4:7], off offset:656 ; 16-byte Folded Spill
	scratch_store_dwordx4 off, v[8:11], off offset:672 ; 16-byte Folded Spill
	scratch_store_dwordx4 off, v[12:15], off offset:688 ; 16-byte Folded Spill
	scratch_store_dwordx4 off, v[16:19], off offset:704 ; 16-byte Folded Spill
	scratch_store_dwordx4 off, v[20:23], off offset:720 ; 16-byte Folded Spill
	scratch_store_dwordx4 off, v[24:27], off offset:736 ; 16-byte Folded Spill
	scratch_store_dwordx4 off, v[28:31], off offset:752 ; 16-byte Folded Spill
	v_mov_b32_e32 v11, v42
	v_mov_b32_e32 v81, v40
	;; [unrolled: 1-line block ×50, first 2 shown]
	scratch_store_dwordx4 off, v[0:3], off offset:512 ; 16-byte Folded Spill
	s_nop 0
	scratch_store_dwordx4 off, v[4:7], off offset:528 ; 16-byte Folded Spill
	scratch_store_dwordx4 off, v[8:11], off offset:544 ; 16-byte Folded Spill
	scratch_store_dwordx4 off, v[12:15], off offset:560 ; 16-byte Folded Spill
	scratch_store_dwordx4 off, v[16:19], off offset:576 ; 16-byte Folded Spill
	scratch_store_dwordx4 off, v[20:23], off offset:592 ; 16-byte Folded Spill
	scratch_store_dwordx4 off, v[24:27], off offset:608 ; 16-byte Folded Spill
	scratch_store_dwordx4 off, v[28:31], off offset:624 ; 16-byte Folded Spill
	v_mov_b32_e32 v12, v43
	v_mov_b32_e32 v13, v44
	;; [unrolled: 1-line block ×8, first 2 shown]
	scratch_store_dwordx4 off, v[0:3], off offset:384 ; 16-byte Folded Spill
	s_nop 0
	scratch_store_dwordx4 off, v[4:7], off offset:400 ; 16-byte Folded Spill
	scratch_store_dwordx4 off, v[8:11], off offset:416 ; 16-byte Folded Spill
	;; [unrolled: 1-line block ×7, first 2 shown]
	v_mov_b32_e32 v22, v72
	v_mov_b32_e32 v23, v73
	;; [unrolled: 1-line block ×15, first 2 shown]
	scratch_store_dwordx4 off, v[0:3], off offset:256 ; 16-byte Folded Spill
	s_nop 0
	scratch_store_dwordx4 off, v[4:7], off offset:272 ; 16-byte Folded Spill
	scratch_store_dwordx4 off, v[8:11], off offset:288 ; 16-byte Folded Spill
	;; [unrolled: 1-line block ×7, first 2 shown]
	v_mov_b32_e32 v18, v49
	scratch_store_dwordx4 off, v[0:3], off offset:128 ; 16-byte Folded Spill
	s_nop 0
	scratch_store_dwordx4 off, v[4:7], off offset:144 ; 16-byte Folded Spill
	scratch_store_dwordx4 off, v[8:11], off offset:160 ; 16-byte Folded Spill
	;; [unrolled: 1-line block ×8, first 2 shown]
	s_nop 0
	scratch_store_dwordx4 off, v[76:79], off offset:784 ; 16-byte Folded Spill
	scratch_store_dwordx4 off, v[80:83], off offset:800 ; 16-byte Folded Spill
	s_waitcnt vmcnt(47)
	scratch_store_dwordx4 off, v[84:87], off offset:816 ; 16-byte Folded Spill
	s_waitcnt vmcnt(47)
	;; [unrolled: 2-line block ×5, first 2 shown]
	scratch_store_dwordx4 off, v[100:103], off offset:880 ; 16-byte Folded Spill
	scratch_store_dwordx4 off, v[72:75], off offset:896 ; 16-byte Folded Spill
	s_nop 0
	scratch_store_dwordx4 off, v[76:79], off offset:912 ; 16-byte Folded Spill
	scratch_store_dwordx4 off, v[80:83], off offset:928 ; 16-byte Folded Spill
	;; [unrolled: 1-line block ×7, first 2 shown]
	v_mov_b32_e32 v19, v248
	v_mov_b32_e32 v20, v249
	;; [unrolled: 1-line block ×3, first 2 shown]
	scratch_store_dwordx4 off, v[22:25], off ; 16-byte Folded Spill
	s_nop 0
	scratch_store_dwordx4 off, v[26:29], off offset:16 ; 16-byte Folded Spill
	scratch_store_dwordx4 off, v[30:33], off offset:32 ; 16-byte Folded Spill
	;; [unrolled: 1-line block ×7, first 2 shown]
.LBB41_48:
	s_or_b64 exec, exec, s[2:3]
	v_cmp_eq_u32_e32 vcc, 9, v250
	s_waitcnt lgkmcnt(0)
	s_barrier
	s_and_saveexec_b64 s[2:3], vcc
	s_cbranch_execz .LBB41_51
; %bb.49:
	ds_write_b32 v251, v61
	ds_write2_b32 v252, v10, v11 offset0:10 offset1:11
	ds_write2_b32 v252, v12, v13 offset0:12 offset1:13
	ds_write2_b32 v252, v14, v15 offset0:14 offset1:15
	ds_write2_b32 v252, v16, v17 offset0:16 offset1:17
	ds_write2_b32 v252, v18, v19 offset0:18 offset1:19
	ds_write_b32 v252, v249 offset:80
	ds_read_b32 v21, v251
	s_waitcnt lgkmcnt(0)
	v_cmp_neq_f32_e32 vcc, 0, v21
	s_and_b64 exec, exec, vcc
	s_cbranch_execz .LBB41_51
; %bb.50:
	v_div_scale_f32 v39, s[4:5], v21, v21, 1.0
	v_rcp_f32_e32 v40, v39
	v_div_scale_f32 v41, vcc, 1.0, v21, 1.0
	v_fma_f32 v42, -v39, v40, 1.0
	v_fmac_f32_e32 v40, v42, v40
	v_mul_f32_e32 v42, v41, v40
	v_fma_f32 v43, -v39, v42, v41
	v_fmac_f32_e32 v42, v43, v40
	v_fma_f32 v39, -v39, v42, v41
	v_div_fmas_f32 v39, v39, v40, v42
	v_div_fixup_f32 v21, v39, v21, 1.0
	ds_write_b32 v251, v21
.LBB41_51:
	s_or_b64 exec, exec, s[2:3]
	s_waitcnt lgkmcnt(0)
	s_barrier
	ds_read_b32 v113, v251
	v_cmp_lt_u32_e32 vcc, 9, v250
	s_and_saveexec_b64 s[2:3], vcc
	s_cbranch_execz .LBB41_53
; %bb.52:
	ds_read2_b32 v[0:1], v252 offset0:10 offset1:11
	ds_read2_b32 v[4:5], v252 offset0:12 offset1:13
	ds_read2_b32 v[6:7], v252 offset0:14 offset1:15
	ds_read2_b32 v[8:9], v252 offset0:16 offset1:17
	s_waitcnt lgkmcnt(4)
	v_mul_f32_e32 v2, v61, v113
	v_mov_b32_e32 v63, v2
	s_waitcnt vmcnt(5) lgkmcnt(2)
	v_pk_fma_f32 v[186:187], v[2:3], v[4:5], v[12:13] op_sel_hi:[0,1,1] neg_lo:[1,0,0] neg_hi:[1,0,0]
	v_pk_fma_f32 v[50:51], v[2:3], v[0:1], v[10:11] op_sel_hi:[0,1,1] neg_lo:[1,0,0] neg_hi:[1,0,0]
	ds_read2_b32 v[0:1], v252 offset0:18 offset1:19
	s_waitcnt lgkmcnt(2)
	v_pk_fma_f32 v[132:133], v[2:3], v[6:7], v[14:15] op_sel_hi:[0,1,1] neg_lo:[1,0,0] neg_hi:[1,0,0]
	s_waitcnt lgkmcnt(1)
	v_pk_fma_f32 v[38:39], v[2:3], v[8:9], v[16:17] op_sel_hi:[0,1,1] neg_lo:[1,0,0] neg_hi:[1,0,0]
	ds_read_b32 v3, v252 offset:80
	scratch_load_dwordx4 v[72:75], off, off offset:896 ; 16-byte Folded Reload
	scratch_load_dwordx4 v[76:79], off, off offset:912 ; 16-byte Folded Reload
	;; [unrolled: 1-line block ×8, first 2 shown]
	v_mov_b32_e32 v13, v2
	v_mov_b32_e32 v14, v50
	v_mov_b32_e32 v15, v51
	s_waitcnt lgkmcnt(0)
	v_pk_fma_f32 v[168:169], v[2:3], v[0:1], v[18:19] op_sel_hi:[0,1,1] neg_lo:[1,0,0] neg_hi:[1,0,0]
	s_waitcnt vmcnt(5)
	v_mov_b32_e32 v81, v2
	v_mov_b32_e32 v64, v50
	;; [unrolled: 1-line block ×49, first 2 shown]
	scratch_store_dwordx4 off, v[4:7], off offset:512 ; 16-byte Folded Spill
	s_nop 0
	scratch_store_dwordx4 off, v[8:11], off offset:528 ; 16-byte Folded Spill
	scratch_store_dwordx4 off, v[12:15], off offset:544 ; 16-byte Folded Spill
	;; [unrolled: 1-line block ×7, first 2 shown]
	v_mov_b32_e32 v16, v186
	v_mov_b32_e32 v17, v187
	;; [unrolled: 1-line block ×47, first 2 shown]
	scratch_store_dwordx4 off, v[4:7], off offset:384 ; 16-byte Folded Spill
	s_nop 0
	scratch_store_dwordx4 off, v[8:11], off offset:400 ; 16-byte Folded Spill
	scratch_store_dwordx4 off, v[12:15], off offset:416 ; 16-byte Folded Spill
	;; [unrolled: 1-line block ×7, first 2 shown]
	v_mov_b32_e32 v22, v72
	v_mov_b32_e32 v23, v73
	;; [unrolled: 1-line block ×9, first 2 shown]
	scratch_store_dwordx4 off, v[54:57], off offset:256 ; 16-byte Folded Spill
	s_nop 0
	scratch_store_dwordx4 off, v[58:61], off offset:272 ; 16-byte Folded Spill
	scratch_store_dwordx4 off, v[62:65], off offset:288 ; 16-byte Folded Spill
	scratch_store_dwordx4 off, v[66:69], off offset:304 ; 16-byte Folded Spill
	scratch_store_dwordx4 off, v[70:73], off offset:320 ; 16-byte Folded Spill
	scratch_store_dwordx4 off, v[74:77], off offset:336 ; 16-byte Folded Spill
	scratch_store_dwordx4 off, v[78:81], off offset:352 ; 16-byte Folded Spill
	s_waitcnt vmcnt(27)
	scratch_store_dwordx4 off, v[82:85], off offset:368 ; 16-byte Folded Spill
	v_mov_b32_e32 v70, v50
	v_mov_b32_e32 v31, v2
	;; [unrolled: 1-line block ×4, first 2 shown]
	v_fma_f32 v20, -v2, v3, v249
	v_mov_b32_e32 v9, v2
	v_mov_b32_e32 v10, v50
	;; [unrolled: 1-line block ×32, first 2 shown]
	scratch_store_dwordx4 off, v[72:75], off offset:768 ; 16-byte Folded Spill
	s_nop 0
	scratch_store_dwordx4 off, v[76:79], off offset:784 ; 16-byte Folded Spill
	scratch_store_dwordx4 off, v[80:83], off offset:800 ; 16-byte Folded Spill
	;; [unrolled: 1-line block ×3, first 2 shown]
	s_waitcnt vmcnt(31)
	scratch_store_dwordx4 off, v[88:91], off offset:832 ; 16-byte Folded Spill
	s_waitcnt vmcnt(31)
	scratch_store_dwordx4 off, v[92:95], off offset:848 ; 16-byte Folded Spill
	;; [unrolled: 2-line block ×4, first 2 shown]
	scratch_store_dwordx4 off, v[40:43], off offset:640 ; 16-byte Folded Spill
	s_nop 0
	scratch_store_dwordx4 off, v[44:47], off offset:656 ; 16-byte Folded Spill
	scratch_store_dwordx4 off, v[48:51], off offset:672 ; 16-byte Folded Spill
	;; [unrolled: 1-line block ×7, first 2 shown]
	v_mov_b64_e32 v[88:89], v[150:151]
	v_mov_b32_e32 v58, v186
	v_mov_b32_e32 v57, v187
	v_mov_b32_e32 v56, v132
	v_mov_b32_e32 v55, v133
	v_mov_b32_e32 v54, v38
	v_mov_b32_e32 v75, v39
	v_mov_b64_e32 v[90:91], v[152:153]
	v_mov_b64_e32 v[92:93], v[154:155]
	;; [unrolled: 1-line block ×7, first 2 shown]
	scratch_store_dwordx4 off, v[88:91], off offset:128 ; 16-byte Folded Spill
	s_nop 0
	scratch_store_dwordx4 off, v[92:95], off offset:144 ; 16-byte Folded Spill
	scratch_store_dwordx4 off, v[96:99], off offset:160 ; 16-byte Folded Spill
	;; [unrolled: 1-line block ×7, first 2 shown]
	scratch_store_dwordx4 off, v[150:153], off ; 16-byte Folded Spill
	s_nop 0
	scratch_store_dwordx4 off, v[154:157], off offset:16 ; 16-byte Folded Spill
	scratch_store_dwordx4 off, v[158:161], off offset:32 ; 16-byte Folded Spill
	;; [unrolled: 1-line block ×7, first 2 shown]
	v_mov_b32_e32 v59, v51
.LBB41_53:
	s_or_b64 exec, exec, s[2:3]
	v_cmp_eq_u32_e32 vcc, 10, v250
	s_waitcnt lgkmcnt(0)
	s_barrier
	s_and_saveexec_b64 s[2:3], vcc
	s_cbranch_execz .LBB41_56
; %bb.54:
	ds_write_b32 v251, v70
	ds_write2_b32 v252, v11, v12 offset0:11 offset1:12
	ds_write2_b32 v252, v13, v14 offset0:13 offset1:14
	;; [unrolled: 1-line block ×5, first 2 shown]
	ds_read_b32 v21, v251
	s_waitcnt lgkmcnt(0)
	v_cmp_neq_f32_e32 vcc, 0, v21
	s_and_b64 exec, exec, vcc
	s_cbranch_execz .LBB41_56
; %bb.55:
	v_div_scale_f32 v39, s[4:5], v21, v21, 1.0
	v_rcp_f32_e32 v40, v39
	v_div_scale_f32 v41, vcc, 1.0, v21, 1.0
	v_fma_f32 v42, -v39, v40, 1.0
	v_fmac_f32_e32 v40, v42, v40
	v_mul_f32_e32 v42, v41, v40
	v_fma_f32 v43, -v39, v42, v41
	v_fmac_f32_e32 v42, v43, v40
	v_fma_f32 v39, -v39, v42, v41
	v_div_fmas_f32 v39, v39, v40, v42
	v_div_fixup_f32 v21, v39, v21, 1.0
	ds_write_b32 v251, v21
.LBB41_56:
	s_or_b64 exec, exec, s[2:3]
	s_waitcnt lgkmcnt(0)
	s_barrier
	ds_read_b32 v253, v251
	v_cmp_lt_u32_e32 vcc, 10, v250
	s_and_saveexec_b64 s[2:3], vcc
	s_cbranch_execz .LBB41_58
; %bb.57:
	scratch_load_dwordx4 v[72:75], off, off offset:768 ; 16-byte Folded Reload
	scratch_load_dwordx4 v[76:79], off, off offset:784 ; 16-byte Folded Reload
	;; [unrolled: 1-line block ×8, first 2 shown]
	ds_read2_b32 v[0:1], v252 offset0:11 offset1:12
	s_waitcnt vmcnt(5) lgkmcnt(1)
	v_mul_f32_e32 v82, v70, v253
	v_mov_b32_e32 v2, v11
	v_mov_b32_e32 v3, v12
	ds_read2_b32 v[4:5], v252 offset0:13 offset1:14
	ds_read2_b32 v[6:7], v252 offset0:15 offset1:16
	ds_read2_b32 v[8:9], v252 offset0:17 offset1:18
	v_mov_b32_e32 v10, v82
	v_mov_b32_e32 v184, v82
	;; [unrolled: 1-line block ×7, first 2 shown]
	s_waitcnt lgkmcnt(3)
	v_pk_fma_f32 v[40:41], v[82:83], v[0:1], v[2:3] op_sel_hi:[0,1,1] neg_lo:[1,0,0] neg_hi:[1,0,0]
	ds_read2_b32 v[2:3], v252 offset0:19 offset1:20
	v_mov_b32_e32 v0, v13
	v_mov_b32_e32 v1, v14
	s_waitcnt lgkmcnt(3)
	v_pk_fma_f32 v[42:43], v[82:83], v[4:5], v[0:1] op_sel_hi:[0,1,1] neg_lo:[1,0,0] neg_hi:[1,0,0]
	v_mov_b32_e32 v0, v15
	v_mov_b32_e32 v1, v16
	s_waitcnt lgkmcnt(2)
	v_pk_fma_f32 v[44:45], v[82:83], v[6:7], v[0:1] op_sel_hi:[0,1,1] neg_lo:[1,0,0] neg_hi:[1,0,0]
	;; [unrolled: 4-line block ×4, first 2 shown]
	v_mov_b32_e32 v0, v72
	v_mov_b32_e32 v1, v73
	;; [unrolled: 1-line block ×13, first 2 shown]
	scratch_store_dwordx4 off, v[0:3], off offset:384 ; 16-byte Folded Spill
	s_nop 0
	scratch_store_dwordx4 off, v[4:7], off offset:400 ; 16-byte Folded Spill
	scratch_store_dwordx4 off, v[8:11], off offset:416 ; 16-byte Folded Spill
	;; [unrolled: 1-line block ×7, first 2 shown]
	v_mov_b32_e32 v22, v72
	v_mov_b32_e32 v23, v73
	v_mov_b32_e32 v24, v74
	v_mov_b32_e32 v25, v75
	v_mov_b32_e32 v26, v76
	v_mov_b32_e32 v27, v77
	v_mov_b32_e32 v28, v78
	v_mov_b32_e32 v29, v79
	v_mov_b32_e32 v30, v80
	v_mov_b32_e32 v31, v81
	v_mov_b32_e32 v14, v43
	v_mov_b32_e32 v15, v44
	v_mov_b32_e32 v16, v45
	v_mov_b32_e32 v17, v46
	v_mov_b32_e32 v83, v40
	v_mov_b32_e32 v176, v74
	v_mov_b32_e32 v177, v75
	v_mov_b32_e32 v178, v76
	v_mov_b32_e32 v179, v77
	v_mov_b32_e32 v180, v78
	v_mov_b32_e32 v181, v79
	v_mov_b32_e32 v182, v80
	v_mov_b32_e32 v183, v81
	v_mov_b32_e32 v118, v72
	v_mov_b32_e32 v119, v73
	v_mov_b32_e32 v120, v74
	v_mov_b32_e32 v121, v75
	v_mov_b32_e32 v122, v76
	v_mov_b32_e32 v123, v77
	v_mov_b32_e32 v124, v78
	v_mov_b32_e32 v125, v79
	v_mov_b32_e32 v126, v80
	v_mov_b32_e32 v127, v81
	v_mov_b32_e32 v214, v72
	v_mov_b32_e32 v215, v73
	v_mov_b32_e32 v216, v74
	v_mov_b32_e32 v217, v75
	v_mov_b32_e32 v218, v76
	v_mov_b32_e32 v219, v77
	v_mov_b32_e32 v220, v78
	v_mov_b32_e32 v221, v79
	v_mov_b32_e32 v222, v80
	v_mov_b32_e32 v223, v81
	v_mov_b32_e32 v185, v40
	v_mov_b32_e32 v186, v41
	v_mov_b32_e32 v129, v40
	v_mov_b32_e32 v130, v41
	v_mov_b32_e32 v131, v42
	v_mov_b32_e32 v132, v43
	v_mov_b32_e32 v225, v40
	v_mov_b32_e32 v226, v41
	scratch_store_dwordx4 off, v[0:3], off offset:256 ; 16-byte Folded Spill
	s_nop 0
	scratch_store_dwordx4 off, v[4:7], off offset:272 ; 16-byte Folded Spill
	scratch_store_dwordx4 off, v[8:11], off offset:288 ; 16-byte Folded Spill
	;; [unrolled: 1-line block ×7, first 2 shown]
	v_mov_b32_e32 v18, v47
	v_mov_b32_e32 v227, v42
	;; [unrolled: 1-line block ×17, first 2 shown]
	scratch_store_dwordx4 off, v[0:3], off offset:128 ; 16-byte Folded Spill
	s_nop 0
	scratch_store_dwordx4 off, v[4:7], off offset:144 ; 16-byte Folded Spill
	scratch_store_dwordx4 off, v[8:11], off offset:160 ; 16-byte Folded Spill
	;; [unrolled: 1-line block ×8, first 2 shown]
	s_nop 0
	scratch_store_dwordx4 off, v[76:79], off offset:528 ; 16-byte Folded Spill
	scratch_store_dwordx4 off, v[80:83], off offset:544 ; 16-byte Folded Spill
	s_waitcnt vmcnt(31)
	scratch_store_dwordx4 off, v[84:87], off offset:560 ; 16-byte Folded Spill
	s_waitcnt vmcnt(31)
	;; [unrolled: 2-line block ×5, first 2 shown]
	scratch_store_dwordx4 off, v[100:103], off offset:624 ; 16-byte Folded Spill
	scratch_store_dwordx4 off, v[72:75], off offset:640 ; 16-byte Folded Spill
	s_nop 0
	scratch_store_dwordx4 off, v[76:79], off offset:656 ; 16-byte Folded Spill
	scratch_store_dwordx4 off, v[80:83], off offset:672 ; 16-byte Folded Spill
	;; [unrolled: 1-line block ×7, first 2 shown]
	v_mov_b32_e32 v19, v248
	v_mov_b32_e32 v20, v249
	;; [unrolled: 1-line block ×3, first 2 shown]
	scratch_store_dwordx4 off, v[22:25], off ; 16-byte Folded Spill
	s_nop 0
	scratch_store_dwordx4 off, v[26:29], off offset:16 ; 16-byte Folded Spill
	scratch_store_dwordx4 off, v[30:33], off offset:32 ; 16-byte Folded Spill
	;; [unrolled: 1-line block ×7, first 2 shown]
.LBB41_58:
	s_or_b64 exec, exec, s[2:3]
	v_cmp_eq_u32_e32 vcc, 11, v250
	s_waitcnt lgkmcnt(0)
	s_barrier
	s_and_saveexec_b64 s[2:3], vcc
	s_cbranch_execz .LBB41_61
; %bb.59:
	ds_write_b32 v251, v59
	ds_write2_b32 v252, v12, v13 offset0:12 offset1:13
	ds_write2_b32 v252, v14, v15 offset0:14 offset1:15
	;; [unrolled: 1-line block ×4, first 2 shown]
	ds_write_b32 v252, v249 offset:80
	ds_read_b32 v21, v251
	s_waitcnt lgkmcnt(0)
	v_cmp_neq_f32_e32 vcc, 0, v21
	s_and_b64 exec, exec, vcc
	s_cbranch_execz .LBB41_61
; %bb.60:
	v_div_scale_f32 v39, s[4:5], v21, v21, 1.0
	v_rcp_f32_e32 v40, v39
	v_div_scale_f32 v41, vcc, 1.0, v21, 1.0
	v_fma_f32 v42, -v39, v40, 1.0
	v_fmac_f32_e32 v40, v42, v40
	v_mul_f32_e32 v42, v41, v40
	v_fma_f32 v43, -v39, v42, v41
	v_fmac_f32_e32 v42, v43, v40
	v_fma_f32 v39, -v39, v42, v41
	v_div_fmas_f32 v39, v39, v40, v42
	v_div_fixup_f32 v21, v39, v21, 1.0
	ds_write_b32 v251, v21
.LBB41_61:
	s_or_b64 exec, exec, s[2:3]
	s_waitcnt lgkmcnt(0)
	s_barrier
	ds_read_b32 v246, v251
	v_cmp_lt_u32_e32 vcc, 11, v250
	s_and_saveexec_b64 s[2:3], vcc
	s_cbranch_execz .LBB41_63
; %bb.62:
	ds_read2_b32 v[0:1], v252 offset0:12 offset1:13
	ds_read2_b32 v[2:3], v252 offset0:14 offset1:15
	;; [unrolled: 1-line block ×4, first 2 shown]
	s_waitcnt lgkmcnt(4)
	v_mul_f32_e32 v8, v59, v246
	s_waitcnt vmcnt(5) lgkmcnt(3)
	v_pk_fma_f32 v[186:187], v[8:9], v[0:1], v[12:13] op_sel_hi:[0,1,1] neg_lo:[1,0,0] neg_hi:[1,0,0]
	ds_read_b32 v0, v252 offset:80
	scratch_load_dwordx4 v[54:57], off, off offset:640 ; 16-byte Folded Reload
	scratch_load_dwordx4 v[58:61], off, off offset:656 ; 16-byte Folded Reload
	;; [unrolled: 1-line block ×8, first 2 shown]
	s_waitcnt lgkmcnt(3)
	v_pk_fma_f32 v[132:133], v[8:9], v[2:3], v[14:15] op_sel_hi:[0,1,1] neg_lo:[1,0,0] neg_hi:[1,0,0]
	s_waitcnt lgkmcnt(2)
	v_pk_fma_f32 v[38:39], v[8:9], v[4:5], v[16:17] op_sel_hi:[0,1,1] neg_lo:[1,0,0] neg_hi:[1,0,0]
	;; [unrolled: 2-line block ×3, first 2 shown]
	v_mov_b32_e32 v21, v8
	v_mov_b32_e32 v22, v186
	;; [unrolled: 1-line block ×3, first 2 shown]
	s_waitcnt vmcnt(5)
	v_mov_b32_e32 v65, v8
	s_waitcnt vmcnt(4)
	v_mov_b32_e32 v66, v186
	v_mov_b32_e32 v67, v187
	;; [unrolled: 1-line block ×44, first 2 shown]
	scratch_store_dwordx4 off, v[10:13], off offset:384 ; 16-byte Folded Spill
	s_nop 0
	scratch_store_dwordx4 off, v[14:17], off offset:400 ; 16-byte Folded Spill
	scratch_store_dwordx4 off, v[18:21], off offset:416 ; 16-byte Folded Spill
	;; [unrolled: 1-line block ×7, first 2 shown]
	v_mov_b32_e32 v92, v42
	v_mov_b32_e32 v93, v43
	;; [unrolled: 1-line block ×46, first 2 shown]
	s_waitcnt lgkmcnt(0)
	v_fma_f32 v20, -v8, v0, v249
	v_mov_b32_e32 v11, v8
	v_mov_b32_e32 v2, v42
	;; [unrolled: 1-line block ×21, first 2 shown]
	s_waitcnt vmcnt(11)
	v_mov_b32_e32 v70, v38
	v_mov_b32_e32 v71, v39
	scratch_store_dwordx4 off, v[54:57], off offset:256 ; 16-byte Folded Spill
	s_nop 0
	scratch_store_dwordx4 off, v[58:61], off offset:272 ; 16-byte Folded Spill
	scratch_store_dwordx4 off, v[62:65], off offset:288 ; 16-byte Folded Spill
	;; [unrolled: 1-line block ×4, first 2 shown]
	s_waitcnt vmcnt(15)
	scratch_store_dwordx4 off, v[74:77], off offset:336 ; 16-byte Folded Spill
	s_waitcnt vmcnt(15)
	scratch_store_dwordx4 off, v[78:81], off offset:352 ; 16-byte Folded Spill
	;; [unrolled: 2-line block ×3, first 2 shown]
	v_mov_b32_e32 v90, v40
	v_mov_b32_e32 v91, v41
	v_mov_b32_e32 v106, v38
	v_mov_b64_e32 v[88:89], v[90:91]
	v_mov_b32_e32 v107, v39
	v_mov_b64_e32 v[90:91], v[92:93]
	v_mov_b64_e32 v[92:93], v[94:95]
	;; [unrolled: 1-line block ×7, first 2 shown]
	v_mov_b32_e32 v104, v106
	v_mov_b32_e32 v118, v40
	;; [unrolled: 1-line block ×14, first 2 shown]
	scratch_store_dwordx4 off, v[40:43], off offset:512 ; 16-byte Folded Spill
	s_nop 0
	scratch_store_dwordx4 off, v[44:47], off offset:528 ; 16-byte Folded Spill
	scratch_store_dwordx4 off, v[48:51], off offset:544 ; 16-byte Folded Spill
	;; [unrolled: 1-line block ×8, first 2 shown]
	s_nop 0
	scratch_store_dwordx4 off, v[92:95], off offset:144 ; 16-byte Folded Spill
	scratch_store_dwordx4 off, v[96:99], off offset:160 ; 16-byte Folded Spill
	;; [unrolled: 1-line block ×7, first 2 shown]
	v_mov_b32_e32 v58, v186
	v_mov_b32_e32 v57, v187
	;; [unrolled: 1-line block ×6, first 2 shown]
	scratch_store_dwordx4 off, v[22:25], off ; 16-byte Folded Spill
	s_nop 0
	scratch_store_dwordx4 off, v[26:29], off offset:16 ; 16-byte Folded Spill
	scratch_store_dwordx4 off, v[30:33], off offset:32 ; 16-byte Folded Spill
	;; [unrolled: 1-line block ×7, first 2 shown]
.LBB41_63:
	s_or_b64 exec, exec, s[2:3]
	v_cmp_eq_u32_e32 vcc, 12, v250
	s_waitcnt lgkmcnt(0)
	s_barrier
	s_and_saveexec_b64 s[2:3], vcc
	s_cbranch_execz .LBB41_66
; %bb.64:
	ds_write_b32 v251, v58
	ds_write2_b32 v252, v13, v14 offset0:13 offset1:14
	ds_write2_b32 v252, v15, v16 offset0:15 offset1:16
	;; [unrolled: 1-line block ×4, first 2 shown]
	ds_read_b32 v21, v251
	s_waitcnt lgkmcnt(0)
	v_cmp_neq_f32_e32 vcc, 0, v21
	s_and_b64 exec, exec, vcc
	s_cbranch_execz .LBB41_66
; %bb.65:
	v_div_scale_f32 v39, s[4:5], v21, v21, 1.0
	v_rcp_f32_e32 v40, v39
	v_div_scale_f32 v41, vcc, 1.0, v21, 1.0
	v_fma_f32 v42, -v39, v40, 1.0
	v_fmac_f32_e32 v40, v42, v40
	v_mul_f32_e32 v42, v41, v40
	v_fma_f32 v43, -v39, v42, v41
	v_fmac_f32_e32 v42, v43, v40
	v_fma_f32 v39, -v39, v42, v41
	v_div_fmas_f32 v39, v39, v40, v42
	v_div_fixup_f32 v21, v39, v21, 1.0
	ds_write_b32 v251, v21
.LBB41_66:
	s_or_b64 exec, exec, s[2:3]
	s_waitcnt lgkmcnt(0)
	s_barrier
	ds_read_b32 v247, v251
	v_cmp_lt_u32_e32 vcc, 12, v250
	s_and_saveexec_b64 s[2:3], vcc
	s_cbranch_execz .LBB41_68
; %bb.67:
	scratch_load_dwordx4 v[150:153], off, off offset:512 ; 16-byte Folded Reload
	scratch_load_dwordx4 v[154:157], off, off offset:528 ; 16-byte Folded Reload
	;; [unrolled: 1-line block ×8, first 2 shown]
	ds_read2_b32 v[0:1], v252 offset0:13 offset1:14
	ds_read2_b32 v[4:5], v252 offset0:15 offset1:16
	;; [unrolled: 1-line block ×4, first 2 shown]
	s_waitcnt vmcnt(4) lgkmcnt(4)
	v_mul_f32_e32 v162, v58, v247
	v_mov_b32_e32 v2, v13
	v_mov_b32_e32 v3, v14
	v_mov_b32_e32 v12, v162
	v_mov_b32_e32 v130, v162
	v_mov_b32_e32 v226, v162
	v_mov_b32_e32 v34, v162
	v_mov_b32_e32 v22, v150
	v_mov_b32_e32 v23, v151
	v_mov_b32_e32 v24, v152
	s_waitcnt lgkmcnt(3)
	v_pk_fma_f32 v[40:41], v[162:163], v[0:1], v[2:3] op_sel_hi:[0,1,1] neg_lo:[1,0,0] neg_hi:[1,0,0]
	v_mov_b32_e32 v0, v15
	v_mov_b32_e32 v1, v16
	s_waitcnt lgkmcnt(2)
	v_pk_fma_f32 v[42:43], v[162:163], v[4:5], v[0:1] op_sel_hi:[0,1,1] neg_lo:[1,0,0] neg_hi:[1,0,0]
	v_mov_b32_e32 v0, v17
	v_mov_b32_e32 v1, v18
	;; [unrolled: 4-line block ×4, first 2 shown]
	v_mov_b32_e32 v27, v155
	v_mov_b32_e32 v28, v156
	;; [unrolled: 1-line block ×22, first 2 shown]
	scratch_store_dwordx4 off, v[0:3], off offset:256 ; 16-byte Folded Spill
	s_nop 0
	scratch_store_dwordx4 off, v[4:7], off offset:272 ; 16-byte Folded Spill
	scratch_store_dwordx4 off, v[8:11], off offset:288 ; 16-byte Folded Spill
	;; [unrolled: 1-line block ×7, first 2 shown]
	v_mov_b32_e32 v163, v40
	v_mov_b32_e32 v18, v45
	;; [unrolled: 1-line block ×42, first 2 shown]
	scratch_store_dwordx4 off, v[0:3], off offset:128 ; 16-byte Folded Spill
	s_nop 0
	scratch_store_dwordx4 off, v[4:7], off offset:144 ; 16-byte Folded Spill
	scratch_store_dwordx4 off, v[8:11], off offset:160 ; 16-byte Folded Spill
	;; [unrolled: 1-line block ×8, first 2 shown]
	s_nop 0
	scratch_store_dwordx4 off, v[154:157], off offset:400 ; 16-byte Folded Spill
	scratch_store_dwordx4 off, v[158:161], off offset:416 ; 16-byte Folded Spill
	;; [unrolled: 1-line block ×3, first 2 shown]
	s_waitcnt vmcnt(23)
	scratch_store_dwordx4 off, v[166:169], off offset:448 ; 16-byte Folded Spill
	s_waitcnt vmcnt(23)
	scratch_store_dwordx4 off, v[170:173], off offset:464 ; 16-byte Folded Spill
	;; [unrolled: 2-line block ×4, first 2 shown]
	v_mov_b32_e32 v19, v248
	v_mov_b32_e32 v20, v249
	;; [unrolled: 1-line block ×3, first 2 shown]
	scratch_store_dwordx4 off, v[22:25], off ; 16-byte Folded Spill
	s_nop 0
	scratch_store_dwordx4 off, v[26:29], off offset:16 ; 16-byte Folded Spill
	scratch_store_dwordx4 off, v[30:33], off offset:32 ; 16-byte Folded Spill
	;; [unrolled: 1-line block ×7, first 2 shown]
	v_mov_b64_e32 v[204:205], v[180:181]
	v_mov_b64_e32 v[202:203], v[178:179]
	;; [unrolled: 1-line block ×16, first 2 shown]
.LBB41_68:
	s_or_b64 exec, exec, s[2:3]
	v_cmp_eq_u32_e32 vcc, 13, v250
	s_waitcnt lgkmcnt(0)
	s_barrier
	s_and_saveexec_b64 s[2:3], vcc
	s_cbranch_execz .LBB41_71
; %bb.69:
	ds_write_b32 v251, v57
	ds_write2_b32 v252, v14, v15 offset0:14 offset1:15
	ds_write2_b32 v252, v16, v17 offset0:16 offset1:17
	ds_write2_b32 v252, v18, v19 offset0:18 offset1:19
	ds_write_b32 v252, v249 offset:80
	ds_read_b32 v21, v251
	s_waitcnt lgkmcnt(0)
	v_cmp_neq_f32_e32 vcc, 0, v21
	s_and_b64 exec, exec, vcc
	s_cbranch_execz .LBB41_71
; %bb.70:
	v_div_scale_f32 v39, s[4:5], v21, v21, 1.0
	v_rcp_f32_e32 v40, v39
	v_div_scale_f32 v41, vcc, 1.0, v21, 1.0
	v_fma_f32 v42, -v39, v40, 1.0
	v_fmac_f32_e32 v40, v42, v40
	v_mul_f32_e32 v42, v41, v40
	v_fma_f32 v43, -v39, v42, v41
	v_fmac_f32_e32 v42, v43, v40
	v_fma_f32 v39, -v39, v42, v41
	v_div_fmas_f32 v39, v39, v40, v42
	v_div_fixup_f32 v21, v39, v21, 1.0
	ds_write_b32 v251, v21
.LBB41_71:
	s_or_b64 exec, exec, s[2:3]
	s_waitcnt lgkmcnt(0)
	s_barrier
	ds_read_b32 v164, v251
	v_cmp_lt_u32_e32 vcc, 13, v250
	s_and_saveexec_b64 s[2:3], vcc
	s_cbranch_execz .LBB41_73
; %bb.72:
	ds_read2_b32 v[0:1], v252 offset0:14 offset1:15
	ds_read2_b32 v[2:3], v252 offset0:16 offset1:17
	;; [unrolled: 1-line block ×3, first 2 shown]
	ds_read_b32 v6, v252 offset:80
	s_waitcnt lgkmcnt(4)
	v_mul_f32_e32 v40, v57, v164
	s_waitcnt lgkmcnt(3)
	v_pk_fma_f32 v[132:133], v[40:41], v[0:1], v[14:15] op_sel_hi:[0,1,1] neg_lo:[1,0,0] neg_hi:[1,0,0]
	s_waitcnt lgkmcnt(2)
	v_pk_fma_f32 v[38:39], v[40:41], v[2:3], v[16:17] op_sel_hi:[0,1,1] neg_lo:[1,0,0] neg_hi:[1,0,0]
	;; [unrolled: 2-line block ×3, first 2 shown]
	s_waitcnt lgkmcnt(0)
	v_fma_f32 v20, -v40, v6, v249
	s_waitcnt vmcnt(8)
	v_mov_b32_e32 v22, v174
	v_mov_b32_e32 v23, v175
	v_mov_b32_e32 v24, v176
	v_mov_b32_e32 v25, v177
	s_waitcnt vmcnt(7)
	v_mov_b32_e32 v26, v178
	v_mov_b32_e32 v27, v179
	v_mov_b32_e32 v28, v180
	v_mov_b32_e32 v29, v181
	;; [unrolled: 5-line block ×3, first 2 shown]
	v_mov_b32_e32 v2, v176
	v_mov_b32_e32 v3, v177
	;; [unrolled: 1-line block ×10, first 2 shown]
	s_waitcnt vmcnt(5)
	v_mov_b32_e32 v12, v186
	v_mov_b32_e32 v13, v40
	;; [unrolled: 1-line block ×6, first 2 shown]
	scratch_store_dwordx4 off, v[0:3], off offset:256 ; 16-byte Folded Spill
	s_nop 0
	scratch_store_dwordx4 off, v[4:7], off offset:272 ; 16-byte Folded Spill
	scratch_store_dwordx4 off, v[8:11], off offset:288 ; 16-byte Folded Spill
	;; [unrolled: 1-line block ×7, first 2 shown]
	v_mov_b32_e32 v102, v132
	v_mov_b32_e32 v103, v133
	v_mov_b32_e32 v88, v174
	v_mov_b32_e32 v89, v175
	v_mov_b32_e32 v90, v176
	v_mov_b32_e32 v91, v177
	v_mov_b32_e32 v92, v178
	v_mov_b32_e32 v93, v179
	v_mov_b32_e32 v94, v180
	v_mov_b32_e32 v95, v181
	v_mov_b32_e32 v96, v182
	v_mov_b32_e32 v97, v183
	v_mov_b32_e32 v98, v184
	v_mov_b32_e32 v99, v185
	v_mov_b32_e32 v100, v186
	v_mov_b32_e32 v101, v40
	v_mov_b32_e32 v104, v38
	v_mov_b32_e32 v105, v39
	v_mov_b64_e32 v[148:149], v[102:103]
	v_mov_b32_e32 v152, v106
	v_mov_b32_e32 v187, v40
	v_mov_b32_e32 v118, v174
	v_mov_b32_e32 v119, v175
	v_mov_b32_e32 v120, v176
	v_mov_b32_e32 v121, v177
	v_mov_b32_e32 v122, v178
	v_mov_b32_e32 v123, v179
	v_mov_b32_e32 v124, v180
	v_mov_b32_e32 v125, v181
	v_mov_b32_e32 v126, v182
	v_mov_b32_e32 v127, v183
	v_mov_b32_e32 v128, v184
	v_mov_b32_e32 v129, v185
	v_mov_b32_e32 v130, v186
	v_mov_b32_e32 v131, v40
	v_mov_b32_e32 v214, v174
	v_mov_b32_e32 v215, v175
	v_mov_b32_e32 v216, v176
	v_mov_b32_e32 v217, v177
	v_mov_b32_e32 v218, v178
	v_mov_b32_e32 v219, v179
	v_mov_b32_e32 v220, v180
	v_mov_b32_e32 v221, v181
	v_mov_b32_e32 v222, v182
	v_mov_b32_e32 v223, v183
	v_mov_b32_e32 v224, v184
	v_mov_b32_e32 v225, v185
	v_mov_b32_e32 v226, v186
	v_mov_b32_e32 v227, v40
	v_mov_b32_e32 v228, v132
	v_mov_b32_e32 v229, v133
	v_mov_b32_e32 v32, v184
	v_mov_b32_e32 v33, v185
	v_mov_b32_e32 v34, v186
	v_mov_b32_e32 v35, v40
	v_mov_b32_e32 v36, v132
	v_mov_b32_e32 v37, v133
	v_mov_b32_e32 v18, v106
	v_mov_b32_e32 v19, v107
	v_mov_b32_e32 v248, v107
	v_mov_b32_e32 v56, v132
	v_mov_b32_e32 v55, v133
	v_mov_b32_e32 v54, v38
	v_mov_b32_e32 v75, v39
	v_mov_b64_e32 v[146:147], v[100:101]
	v_mov_b64_e32 v[144:145], v[98:99]
	;; [unrolled: 1-line block ×7, first 2 shown]
	v_mov_b32_e32 v151, v105
	v_mov_b32_e32 v249, v20
	;; [unrolled: 1-line block ×4, first 2 shown]
	scratch_store_dwordx4 off, v[174:177], off offset:384 ; 16-byte Folded Spill
	s_nop 0
	scratch_store_dwordx4 off, v[178:181], off offset:400 ; 16-byte Folded Spill
	scratch_store_dwordx4 off, v[182:185], off offset:416 ; 16-byte Folded Spill
	;; [unrolled: 1-line block ×3, first 2 shown]
	s_waitcnt vmcnt(16)
	scratch_store_dwordx4 off, v[190:193], off offset:448 ; 16-byte Folded Spill
	s_waitcnt vmcnt(16)
	scratch_store_dwordx4 off, v[194:197], off offset:464 ; 16-byte Folded Spill
	;; [unrolled: 2-line block ×4, first 2 shown]
	scratch_store_dwordx4 off, v[134:137], off offset:128 ; 16-byte Folded Spill
	s_nop 0
	scratch_store_dwordx4 off, v[138:141], off offset:144 ; 16-byte Folded Spill
	scratch_store_dwordx4 off, v[142:145], off offset:160 ; 16-byte Folded Spill
	;; [unrolled: 1-line block ×7, first 2 shown]
	scratch_store_dwordx4 off, v[22:25], off ; 16-byte Folded Spill
	s_nop 0
	scratch_store_dwordx4 off, v[26:29], off offset:16 ; 16-byte Folded Spill
	scratch_store_dwordx4 off, v[30:33], off offset:32 ; 16-byte Folded Spill
	;; [unrolled: 1-line block ×7, first 2 shown]
.LBB41_73:
	s_or_b64 exec, exec, s[2:3]
	v_cmp_eq_u32_e32 vcc, 14, v250
	s_waitcnt lgkmcnt(0)
	s_barrier
	s_and_saveexec_b64 s[2:3], vcc
	s_cbranch_execz .LBB41_76
; %bb.74:
	ds_write_b32 v251, v56
	ds_write2_b32 v252, v15, v16 offset0:15 offset1:16
	ds_write2_b32 v252, v17, v18 offset0:17 offset1:18
	ds_write2_b32 v252, v19, v20 offset0:19 offset1:20
	ds_read_b32 v21, v251
	s_waitcnt lgkmcnt(0)
	v_cmp_neq_f32_e32 vcc, 0, v21
	s_and_b64 exec, exec, vcc
	s_cbranch_execz .LBB41_76
; %bb.75:
	v_div_scale_f32 v39, s[4:5], v21, v21, 1.0
	v_rcp_f32_e32 v40, v39
	v_div_scale_f32 v41, vcc, 1.0, v21, 1.0
	v_fma_f32 v42, -v39, v40, 1.0
	v_fmac_f32_e32 v40, v42, v40
	v_mul_f32_e32 v42, v41, v40
	v_fma_f32 v43, -v39, v42, v41
	v_fmac_f32_e32 v42, v43, v40
	v_fma_f32 v39, -v39, v42, v41
	v_div_fmas_f32 v39, v39, v40, v42
	v_div_fixup_f32 v21, v39, v21, 1.0
	ds_write_b32 v251, v21
.LBB41_76:
	s_or_b64 exec, exec, s[2:3]
	s_waitcnt lgkmcnt(0)
	s_barrier
	ds_read_b32 v150, v251
	v_cmp_lt_u32_e32 vcc, 14, v250
	s_mov_b64 s[2:3], exec
	scratch_load_dwordx4 v[166:169], off, off offset:256 ; 16-byte Folded Reload
	scratch_load_dwordx4 v[170:173], off, off offset:272 ; 16-byte Folded Reload
	;; [unrolled: 1-line block ×8, first 2 shown]
	s_and_b64 s[4:5], s[2:3], vcc
	s_mov_b64 exec, s[4:5]
	s_cbranch_execz .LBB41_78
; %bb.77:
	scratch_load_dwordx4 v[118:121], off, off offset:384 ; 16-byte Folded Reload
	scratch_load_dwordx4 v[122:125], off, off offset:400 ; 16-byte Folded Reload
	;; [unrolled: 1-line block ×8, first 2 shown]
	ds_read2_b32 v[0:1], v252 offset0:15 offset1:16
	ds_read2_b32 v[4:5], v252 offset0:17 offset1:18
	;; [unrolled: 1-line block ×3, first 2 shown]
	s_waitcnt vmcnt(4) lgkmcnt(3)
	v_mul_f32_e32 v132, v56, v150
	v_mov_b32_e32 v2, v15
	v_mov_b32_e32 v3, v16
	;; [unrolled: 1-line block ×8, first 2 shown]
	s_waitcnt lgkmcnt(2)
	v_pk_fma_f32 v[40:41], v[132:133], v[0:1], v[2:3] op_sel_hi:[0,1,1] neg_lo:[1,0,0] neg_hi:[1,0,0]
	v_mov_b32_e32 v0, v17
	v_mov_b32_e32 v1, v18
	s_waitcnt lgkmcnt(1)
	v_pk_fma_f32 v[42:43], v[132:133], v[4:5], v[0:1] op_sel_hi:[0,1,1] neg_lo:[1,0,0] neg_hi:[1,0,0]
	v_mov_b32_e32 v0, v19
	v_mov_b32_e32 v1, v20
	;; [unrolled: 4-line block ×3, first 2 shown]
	v_mov_b32_e32 v27, v123
	v_mov_b32_e32 v28, v124
	;; [unrolled: 1-line block ×23, first 2 shown]
	scratch_store_dwordx4 off, v[0:3], off offset:128 ; 16-byte Folded Spill
	s_nop 0
	scratch_store_dwordx4 off, v[4:7], off offset:144 ; 16-byte Folded Spill
	scratch_store_dwordx4 off, v[8:11], off offset:160 ; 16-byte Folded Spill
	;; [unrolled: 1-line block ×7, first 2 shown]
	v_mov_b32_e32 v133, v40
	s_waitcnt vmcnt(8)
	v_mov_b64_e32 v[244:245], v[148:149]
	v_mov_b32_e32 v32, v128
	v_mov_b32_e32 v33, v129
	;; [unrolled: 1-line block ×25, first 2 shown]
	v_mov_b64_e32 v[228:229], v[132:133]
	v_mov_b64_e32 v[226:227], v[130:131]
	;; [unrolled: 1-line block ×8, first 2 shown]
	v_mov_b32_e32 v55, v40
	v_mov_b32_e32 v54, v41
	;; [unrolled: 1-line block ×4, first 2 shown]
	v_mov_b64_e32 v[242:243], v[146:147]
	v_mov_b64_e32 v[240:241], v[144:145]
	;; [unrolled: 1-line block ×7, first 2 shown]
	scratch_store_dwordx4 off, v[22:25], off ; 16-byte Folded Spill
	s_nop 0
	scratch_store_dwordx4 off, v[26:29], off offset:16 ; 16-byte Folded Spill
	scratch_store_dwordx4 off, v[30:33], off offset:32 ; 16-byte Folded Spill
	;; [unrolled: 1-line block ×7, first 2 shown]
.LBB41_78:
	s_or_b64 exec, exec, s[2:3]
	v_cmp_eq_u32_e32 vcc, 15, v250
	s_waitcnt lgkmcnt(0)
	s_barrier
	s_and_saveexec_b64 s[2:3], vcc
	s_cbranch_execz .LBB41_81
; %bb.79:
	ds_write_b32 v251, v55
	ds_write2_b32 v252, v16, v17 offset0:16 offset1:17
	ds_write2_b32 v252, v18, v19 offset0:18 offset1:19
	ds_write_b32 v252, v249 offset:80
	ds_read_b32 v21, v251
	s_waitcnt lgkmcnt(0)
	v_cmp_neq_f32_e32 vcc, 0, v21
	s_and_b64 exec, exec, vcc
	s_cbranch_execz .LBB41_81
; %bb.80:
	v_div_scale_f32 v39, s[4:5], v21, v21, 1.0
	v_rcp_f32_e32 v40, v39
	v_div_scale_f32 v41, vcc, 1.0, v21, 1.0
	v_fma_f32 v42, -v39, v40, 1.0
	v_fmac_f32_e32 v40, v42, v40
	v_mul_f32_e32 v42, v41, v40
	v_fma_f32 v43, -v39, v42, v41
	v_fmac_f32_e32 v42, v43, v40
	v_fma_f32 v39, -v39, v42, v41
	v_div_fmas_f32 v39, v39, v40, v42
	v_div_fixup_f32 v21, v39, v21, 1.0
	ds_write_b32 v251, v21
.LBB41_81:
	s_or_b64 exec, exec, s[2:3]
	s_waitcnt lgkmcnt(0)
	s_barrier
	ds_read_b32 v134, v251
	v_cmp_lt_u32_e32 vcc, 15, v250
	s_and_saveexec_b64 s[2:3], vcc
	s_cbranch_execz .LBB41_83
; %bb.82:
	ds_read2_b32 v[0:1], v252 offset0:16 offset1:17
	ds_read2_b32 v[2:3], v252 offset0:18 offset1:19
	ds_read_b32 v4, v252 offset:80
	s_waitcnt lgkmcnt(3)
	v_mul_f32_e32 v40, v55, v134
	v_mov_b32_e32 v133, v40
	s_waitcnt lgkmcnt(2)
	v_pk_fma_f32 v[38:39], v[40:41], v[0:1], v[16:17] op_sel_hi:[0,1,1] neg_lo:[1,0,0] neg_hi:[1,0,0]
	s_waitcnt lgkmcnt(1)
	v_pk_fma_f32 v[106:107], v[40:41], v[2:3], v[18:19] op_sel_hi:[0,1,1] neg_lo:[1,0,0] neg_hi:[1,0,0]
	v_mov_b32_e32 v102, v132
	v_mov_b32_e32 v103, v40
	v_mov_b64_e32 v[244:245], v[148:149]
	s_waitcnt lgkmcnt(0)
	v_fma_f32 v20, -v40, v4, v249
	v_mov_b32_e32 v22, v118
	v_mov_b32_e32 v23, v119
	;; [unrolled: 1-line block ×15, first 2 shown]
	s_waitcnt vmcnt(7)
	v_mov_b32_e32 v166, v118
	v_mov_b32_e32 v167, v119
	v_mov_b32_e32 v168, v120
	v_mov_b32_e32 v169, v121
	s_waitcnt vmcnt(6)
	v_mov_b32_e32 v170, v122
	v_mov_b32_e32 v171, v123
	v_mov_b32_e32 v172, v124
	v_mov_b32_e32 v173, v125
	;; [unrolled: 5-line block ×4, first 2 shown]
	v_mov_b32_e32 v89, v119
	v_mov_b32_e32 v90, v120
	;; [unrolled: 1-line block ×30, first 2 shown]
	v_mov_b64_e32 v[242:243], v[146:147]
	v_mov_b64_e32 v[240:241], v[144:145]
	;; [unrolled: 1-line block ×16, first 2 shown]
	v_mov_b32_e32 v132, v106
	v_mov_b32_e32 v37, v40
	;; [unrolled: 1-line block ×3, first 2 shown]
	s_waitcnt vmcnt(3)
	v_mov_b32_e32 v182, v38
	v_mov_b32_e32 v183, v39
	;; [unrolled: 1-line block ×11, first 2 shown]
	v_mov_b64_e32 v[126:127], v[100:101]
	v_mov_b64_e32 v[124:125], v[98:99]
	;; [unrolled: 1-line block ×7, first 2 shown]
	v_mov_b32_e32 v131, v105
	v_mov_b32_e32 v130, v104
	;; [unrolled: 1-line block ×3, first 2 shown]
	scratch_store_dwordx4 off, v[114:117], off offset:128 ; 16-byte Folded Spill
	s_nop 0
	scratch_store_dwordx4 off, v[118:121], off offset:144 ; 16-byte Folded Spill
	scratch_store_dwordx4 off, v[122:125], off offset:160 ; 16-byte Folded Spill
	;; [unrolled: 1-line block ×7, first 2 shown]
	scratch_store_dwordx4 off, v[22:25], off ; 16-byte Folded Spill
	s_nop 0
	scratch_store_dwordx4 off, v[26:29], off offset:16 ; 16-byte Folded Spill
	scratch_store_dwordx4 off, v[30:33], off offset:32 ; 16-byte Folded Spill
	;; [unrolled: 1-line block ×7, first 2 shown]
.LBB41_83:
	s_or_b64 exec, exec, s[2:3]
	v_cmp_eq_u32_e32 vcc, 16, v250
	s_waitcnt lgkmcnt(0)
	s_barrier
	s_and_saveexec_b64 s[2:3], vcc
	s_cbranch_execz .LBB41_86
; %bb.84:
	ds_write_b32 v251, v54
	ds_write2_b32 v252, v17, v18 offset0:17 offset1:18
	ds_write2_b32 v252, v19, v20 offset0:19 offset1:20
	ds_read_b32 v21, v251
	s_waitcnt lgkmcnt(0)
	v_cmp_neq_f32_e32 vcc, 0, v21
	s_and_b64 exec, exec, vcc
	s_cbranch_execz .LBB41_86
; %bb.85:
	v_div_scale_f32 v39, s[4:5], v21, v21, 1.0
	v_rcp_f32_e32 v40, v39
	v_div_scale_f32 v41, vcc, 1.0, v21, 1.0
	v_fma_f32 v42, -v39, v40, 1.0
	v_fmac_f32_e32 v40, v42, v40
	v_mul_f32_e32 v42, v41, v40
	v_fma_f32 v43, -v39, v42, v41
	v_fmac_f32_e32 v42, v43, v40
	v_fma_f32 v39, -v39, v42, v41
	v_div_fmas_f32 v39, v39, v40, v42
	v_div_fixup_f32 v21, v39, v21, 1.0
	ds_write_b32 v251, v21
.LBB41_86:
	s_or_b64 exec, exec, s[2:3]
	s_waitcnt lgkmcnt(0)
	s_barrier
	ds_read_b32 v118, v251
	v_cmp_lt_u32_e32 vcc, 16, v250
	s_and_saveexec_b64 s[2:3], vcc
	s_cbranch_execz .LBB41_88
; %bb.87:
	ds_read2_b32 v[0:1], v252 offset0:17 offset1:18
	ds_read2_b32 v[4:5], v252 offset0:19 offset1:20
	s_waitcnt lgkmcnt(2)
	v_mul_f32_e32 v230, v54, v118
	v_mov_b32_e32 v2, v17
	v_mov_b32_e32 v3, v18
	s_waitcnt lgkmcnt(1)
	v_pk_fma_f32 v[106:107], v[230:231], v[0:1], v[2:3] op_sel_hi:[0,1,1] neg_lo:[1,0,0] neg_hi:[1,0,0]
	v_mov_b32_e32 v0, v19
	v_mov_b32_e32 v1, v20
	s_waitcnt lgkmcnt(0)
	v_pk_fma_f32 v[248:249], v[230:231], v[4:5], v[0:1] op_sel_hi:[0,1,1] neg_lo:[1,0,0] neg_hi:[1,0,0]
	v_mov_b32_e32 v0, v214
	v_mov_b32_e32 v1, v215
	;; [unrolled: 1-line block ×19, first 2 shown]
	scratch_store_dwordx4 off, v[0:3], off offset:128 ; 16-byte Folded Spill
	s_nop 0
	scratch_store_dwordx4 off, v[4:7], off offset:144 ; 16-byte Folded Spill
	scratch_store_dwordx4 off, v[8:11], off offset:160 ; 16-byte Folded Spill
	;; [unrolled: 1-line block ×7, first 2 shown]
	v_mov_b32_e32 v231, v106
	v_mov_b32_e32 v21, v52
	;; [unrolled: 1-line block ×3, first 2 shown]
	v_mov_b64_e32 v[22:23], v[214:215]
	s_waitcnt vmcnt(8)
	v_mov_b64_e32 v[166:167], v[214:215]
	v_mov_b64_e32 v[40:41], v[232:233]
	;; [unrolled: 1-line block ×3, first 2 shown]
	v_mov_b32_e32 v19, v248
	v_mov_b32_e32 v20, v249
	v_mov_b64_e32 v[168:169], v[216:217]
	v_mov_b64_e32 v[170:171], v[218:219]
	;; [unrolled: 1-line block ×28, first 2 shown]
	v_mov_b32_e32 v53, v72
	v_mov_b32_e32 v52, v21
	;; [unrolled: 1-line block ×4, first 2 shown]
	scratch_store_dwordx4 off, v[22:25], off ; 16-byte Folded Spill
	s_nop 0
	scratch_store_dwordx4 off, v[26:29], off offset:16 ; 16-byte Folded Spill
	scratch_store_dwordx4 off, v[30:33], off offset:32 ; 16-byte Folded Spill
	;; [unrolled: 1-line block ×7, first 2 shown]
.LBB41_88:
	s_or_b64 exec, exec, s[2:3]
	v_cmp_eq_u32_e32 vcc, 17, v250
	s_waitcnt lgkmcnt(0)
	s_barrier
	s_and_saveexec_b64 s[2:3], vcc
	s_cbranch_execz .LBB41_91
; %bb.89:
	ds_write_b32 v251, v75
	ds_write2_b32 v252, v18, v19 offset0:18 offset1:19
	ds_write_b32 v252, v249 offset:80
	ds_read_b32 v21, v251
	s_waitcnt lgkmcnt(0)
	v_cmp_neq_f32_e32 vcc, 0, v21
	s_and_b64 exec, exec, vcc
	s_cbranch_execz .LBB41_91
; %bb.90:
	v_div_scale_f32 v39, s[4:5], v21, v21, 1.0
	v_rcp_f32_e32 v40, v39
	v_div_scale_f32 v41, vcc, 1.0, v21, 1.0
	v_fma_f32 v42, -v39, v40, 1.0
	v_fmac_f32_e32 v40, v42, v40
	v_mul_f32_e32 v42, v41, v40
	v_fma_f32 v43, -v39, v42, v41
	v_fmac_f32_e32 v42, v43, v40
	v_fma_f32 v39, -v39, v42, v41
	v_div_fmas_f32 v39, v39, v40, v42
	v_div_fixup_f32 v21, v39, v21, 1.0
	ds_write_b32 v251, v21
.LBB41_91:
	s_or_b64 exec, exec, s[2:3]
	s_waitcnt lgkmcnt(0)
	s_barrier
	ds_read_b32 v40, v251
	v_cmp_lt_u32_e32 vcc, 17, v250
	s_mov_b64 s[2:3], exec
	scratch_load_dwordx4 v[198:201], off, off offset:128 ; 16-byte Folded Reload
	scratch_load_dwordx4 v[202:205], off, off offset:144 ; 16-byte Folded Reload
	;; [unrolled: 1-line block ×8, first 2 shown]
	s_and_b64 s[4:5], s[2:3], vcc
	s_mov_b64 exec, s[4:5]
	s_cbranch_execz .LBB41_93
; %bb.92:
	ds_read2_b32 v[0:1], v252 offset0:18 offset1:19
	ds_read_b32 v2, v252 offset:80
	s_waitcnt lgkmcnt(2)
	v_mul_f32_e32 v42, v75, v40
	v_mov_b32_e32 v39, v42
	s_waitcnt vmcnt(8)
	v_mov_b64_e32 v[196:197], v[52:53]
	s_waitcnt vmcnt(3) lgkmcnt(1)
	v_pk_fma_f32 v[216:217], v[42:43], v[0:1], v[18:19] op_sel_hi:[0,1,1] neg_lo:[1,0,0] neg_hi:[1,0,0]
	s_waitcnt lgkmcnt(0)
	v_fma_f32 v20, -v42, v2, v249
	v_mov_b32_e32 v198, v22
	v_mov_b32_e32 v0, v22
	v_mov_b32_e32 v4, v26
	v_mov_b32_e32 v5, v27
	v_mov_b32_e32 v6, v28
	v_mov_b32_e32 v7, v29
	v_mov_b32_e32 v8, v30
	v_mov_b32_e32 v9, v31
	v_mov_b32_e32 v10, v32
	v_mov_b32_e32 v11, v33
	v_mov_b32_e32 v12, v34
	v_mov_b32_e32 v13, v35
	v_mov_b32_e32 v14, v36
	v_mov_b32_e32 v15, v37
	v_mov_b32_e32 v16, v38
	v_mov_b32_e32 v17, v42
	v_mov_b32_e32 v18, v216
	v_mov_b32_e32 v19, v217
	v_mov_b64_e32 v[194:195], v[50:51]
	v_mov_b64_e32 v[192:193], v[48:49]
	;; [unrolled: 1-line block ×15, first 2 shown]
	v_mov_b32_e32 v22, v216
	v_mov_b32_e32 v199, v23
	;; [unrolled: 1-line block ×17, first 2 shown]
	scratch_store_dwordx4 off, v[4:7], off  ; 16-byte Folded Spill
	s_nop 0
	scratch_store_dwordx4 off, v[8:11], off offset:16 ; 16-byte Folded Spill
	scratch_store_dwordx4 off, v[12:15], off offset:32 ; 16-byte Folded Spill
	;; [unrolled: 1-line block ×7, first 2 shown]
	v_mov_b32_e32 v212, v36
	v_mov_b32_e32 v213, v37
	;; [unrolled: 1-line block ×6, first 2 shown]
.LBB41_93:
	s_or_b64 exec, exec, s[2:3]
	v_cmp_eq_u32_e32 vcc, 18, v250
	s_waitcnt lgkmcnt(0)
	s_barrier
	s_and_saveexec_b64 s[2:3], vcc
	s_cbranch_execz .LBB41_96
; %bb.94:
	s_waitcnt vmcnt(12)
	v_mov_b64_e32 v[22:23], v[166:167]
	v_mov_b64_e32 v[24:25], v[168:169]
	;; [unrolled: 1-line block ×8, first 2 shown]
	s_waitcnt vmcnt(11)
	v_mov_b64_e32 v[38:39], v[182:183]
	scratch_load_dwordx4 v[166:169], off, off ; 16-byte Folded Reload
	scratch_load_dwordx4 v[170:173], off, off offset:16 ; 16-byte Folded Reload
	scratch_load_dwordx4 v[174:177], off, off offset:32 ; 16-byte Folded Reload
	scratch_load_dwordx4 v[178:181], off, off offset:48 ; 16-byte Folded Reload
	scratch_load_dwordx4 v[182:185], off, off offset:64 ; 16-byte Folded Reload
	scratch_load_dwordx4 v[186:189], off, off offset:80 ; 16-byte Folded Reload
	scratch_load_dwordx4 v[190:193], off, off offset:96 ; 16-byte Folded Reload
	scratch_load_dwordx4 v[194:197], off, off offset:112 ; 16-byte Folded Reload
	s_waitcnt vmcnt(4)
	v_mov_b64_e32 v[180:181], v[36:37]
	v_mov_b64_e32 v[178:179], v[34:35]
	;; [unrolled: 1-line block ×7, first 2 shown]
	s_waitcnt vmcnt(0)
	v_mov_b64_e32 v[166:167], v[22:23]
	v_mov_b64_e32 v[182:183], v[38:39]
	ds_write_b32 v251, v184
	ds_write2_b32 v252, v19, v20 offset0:19 offset1:20
	ds_read_b32 v21, v251
	s_waitcnt lgkmcnt(0)
	v_cmp_neq_f32_e32 vcc, 0, v21
	s_and_b64 exec, exec, vcc
	s_cbranch_execz .LBB41_96
; %bb.95:
	v_div_scale_f32 v22, s[4:5], v21, v21, 1.0
	v_rcp_f32_e32 v23, v22
	v_div_scale_f32 v24, vcc, 1.0, v21, 1.0
	v_fma_f32 v25, -v22, v23, 1.0
	v_fmac_f32_e32 v23, v25, v23
	v_mul_f32_e32 v25, v24, v23
	v_fma_f32 v26, -v22, v25, v24
	v_fmac_f32_e32 v25, v26, v23
	v_fma_f32 v22, -v22, v25, v24
	v_div_fmas_f32 v22, v22, v23, v25
	v_div_fixup_f32 v21, v22, v21, 1.0
	ds_write_b32 v251, v21
.LBB41_96:
	s_or_b64 exec, exec, s[2:3]
	s_waitcnt lgkmcnt(0)
	s_barrier
	ds_read_b32 v32, v251
	v_cmp_lt_u32_e32 vcc, 18, v250
	s_and_saveexec_b64 s[2:3], vcc
	s_cbranch_execz .LBB41_98
; %bb.97:
	ds_read2_b32 v[0:1], v252 offset0:19 offset1:20
	scratch_load_dwordx4 v[72:75], off, off ; 16-byte Folded Reload
	scratch_load_dwordx4 v[76:79], off, off offset:16 ; 16-byte Folded Reload
	scratch_load_dwordx4 v[80:83], off, off offset:32 ; 16-byte Folded Reload
	;; [unrolled: 1-line block ×7, first 2 shown]
	v_mov_b32_e32 v2, v19
	v_mov_b32_e32 v3, v20
	s_waitcnt vmcnt(3) lgkmcnt(1)
	v_mul_f32_e32 v184, v90, v32
	s_waitcnt lgkmcnt(0)
	v_pk_fma_f32 v[248:249], v[184:185], v[0:1], v[2:3] op_sel_hi:[0,1,1] neg_lo:[1,0,0] neg_hi:[1,0,0]
	v_mov_b32_e32 v185, v248
	v_mov_b32_e32 v186, v249
	v_mov_b64_e32 v[0:1], v[166:167]
	v_mov_b64_e32 v[22:23], v[188:189]
	;; [unrolled: 1-line block ×3, first 2 shown]
	v_mov_b32_e32 v23, v110
	v_mov_b32_e32 v24, v111
	v_mov_b64_e32 v[228:229], v[196:197]
	v_mov_b64_e32 v[2:3], v[168:169]
	;; [unrolled: 1-line block ×26, first 2 shown]
	v_mov_b32_e32 v111, v24
	v_mov_b32_e32 v110, v23
	v_mov_b64_e32 v[26:27], v[192:193]
	v_mov_b64_e32 v[28:29], v[194:195]
	;; [unrolled: 1-line block ×3, first 2 shown]
.LBB41_98:
	s_or_b64 exec, exec, s[2:3]
	v_cmp_eq_u32_e32 vcc, 19, v250
	s_waitcnt lgkmcnt(0)
	s_barrier
	s_and_saveexec_b64 s[2:3], vcc
	s_cbranch_execz .LBB41_101
; %bb.99:
	ds_write_b32 v251, v248
	ds_write_b32 v252, v249 offset:80
	ds_read_b32 v21, v251
	s_waitcnt lgkmcnt(0)
	v_cmp_neq_f32_e32 vcc, 0, v21
	s_and_b64 exec, exec, vcc
	s_cbranch_execz .LBB41_101
; %bb.100:
	v_div_scale_f32 v22, s[4:5], v21, v21, 1.0
	v_rcp_f32_e32 v23, v22
	v_div_scale_f32 v24, vcc, 1.0, v21, 1.0
	v_fma_f32 v25, -v22, v23, 1.0
	v_fmac_f32_e32 v23, v25, v23
	v_mul_f32_e32 v25, v24, v23
	v_fma_f32 v26, -v22, v25, v24
	v_fmac_f32_e32 v25, v26, v23
	v_fma_f32 v22, -v22, v25, v24
	v_div_fmas_f32 v22, v22, v23, v25
	v_div_fixup_f32 v21, v22, v21, 1.0
	ds_write_b32 v251, v21
.LBB41_101:
	s_or_b64 exec, exec, s[2:3]
	s_waitcnt lgkmcnt(0)
	s_barrier
	ds_read_b32 v33, v251
	v_cmp_lt_u32_e32 vcc, 19, v250
	s_and_saveexec_b64 s[2:3], vcc
	s_cbranch_execz .LBB41_103
; %bb.102:
	ds_read_b32 v0, v252 offset:80
	s_waitcnt vmcnt(3) lgkmcnt(1)
	v_mul_f32_e32 v217, v248, v33
	s_waitcnt vmcnt(2) lgkmcnt(0)
	v_fma_f32 v218, -v217, v0, v249
	s_waitcnt vmcnt(0)
	v_mov_b64_e32 v[0:1], v[198:199]
	v_mov_b64_e32 v[2:3], v[200:201]
	;; [unrolled: 1-line block ×11, first 2 shown]
	v_mov_b32_e32 v249, v218
	v_mov_b64_e32 v[22:23], v[220:221]
	v_mov_b64_e32 v[24:25], v[222:223]
	;; [unrolled: 1-line block ×5, first 2 shown]
.LBB41_103:
	s_or_b64 exec, exec, s[2:3]
	v_cmp_eq_u32_e32 vcc, 20, v250
	s_waitcnt lgkmcnt(0)
	s_barrier
	s_and_saveexec_b64 s[2:3], vcc
	s_cbranch_execz .LBB41_106
; %bb.104:
	v_cmp_neq_f32_e32 vcc, 0, v249
	ds_write_b32 v251, v249
	s_and_b64 exec, exec, vcc
	s_cbranch_execz .LBB41_106
; %bb.105:
	v_div_scale_f32 v21, s[4:5], v249, v249, 1.0
	v_rcp_f32_e32 v22, v21
	v_div_scale_f32 v23, vcc, 1.0, v249, 1.0
	v_fma_f32 v24, -v21, v22, 1.0
	v_fmac_f32_e32 v22, v24, v22
	v_mul_f32_e32 v24, v23, v22
	v_fma_f32 v25, -v21, v24, v23
	v_fmac_f32_e32 v24, v25, v22
	v_fma_f32 v21, -v21, v24, v23
	v_div_fmas_f32 v21, v21, v22, v24
	v_div_fixup_f32 v21, v21, v249, 1.0
	ds_write_b32 v251, v21
.LBB41_106:
	s_or_b64 exec, exec, s[2:3]
	s_waitcnt lgkmcnt(0)
	s_barrier
	ds_read_b32 v21, v251
	s_waitcnt lgkmcnt(0)
	s_barrier
	s_and_saveexec_b64 s[2:3], s[0:1]
	s_cbranch_execz .LBB41_109
; %bb.107:
	scratch_load_dword v22, off, off offset:2344 ; 4-byte Folded Reload
	v_mov_b32_e32 v23, s7
	s_waitcnt vmcnt(0)
	v_cmp_eq_f32_e32 vcc, 0, v22
	v_mov_b32_e32 v22, s6
	v_lshl_add_u64 v[22:23], v[254:255], 2, v[22:23]
	global_load_dword v25, v[22:23], off
	scratch_load_dword v26, off, off offset:1792 ; 4-byte Folded Reload
	v_cndmask_b32_e64 v24, 0, 1, vcc
	s_waitcnt vmcnt(0)
	v_cmp_neq_f32_e64 s[0:1], 0, v26
	scratch_load_dword v26, off, off offset:1536 ; 4-byte Folded Reload
	s_or_b64 vcc, s[0:1], vcc
	v_cndmask_b32_e32 v24, 2, v24, vcc
	v_cmp_eq_u32_e64 s[0:1], 0, v24
	s_waitcnt vmcnt(0)
	v_cmp_eq_f32_e32 vcc, 0, v26
	scratch_load_dword v26, off, off offset:1664 ; 4-byte Folded Reload
	s_and_b64 s[0:1], vcc, s[0:1]
	v_cndmask_b32_e64 v24, v24, 3, s[0:1]
	v_cmp_eq_u32_e64 s[0:1], 0, v24
	s_waitcnt vmcnt(0)
	v_cmp_eq_f32_e32 vcc, 0, v26
	s_and_b64 s[0:1], vcc, s[0:1]
	v_cndmask_b32_e64 v24, v24, 4, s[0:1]
	v_cmp_eq_f32_e32 vcc, 0, v110
	v_cmp_eq_u32_e64 s[0:1], 0, v24
	s_and_b64 s[0:1], vcc, s[0:1]
	v_cmp_eq_f32_e32 vcc, 0, v52
	v_cndmask_b32_e64 v24, v24, 5, s[0:1]
	v_cmp_eq_u32_e64 s[0:1], 0, v24
	s_and_b64 s[0:1], vcc, s[0:1]
	v_cmp_eq_f32_e32 vcc, 0, v53
	v_cndmask_b32_e64 v24, v24, 6, s[0:1]
	;; [unrolled: 4-line block ×16, first 2 shown]
	v_cmp_eq_u32_e64 s[0:1], 0, v24
	s_and_b64 s[0:1], vcc, s[0:1]
	v_cmp_eq_u32_e32 vcc, 0, v25
	v_cndmask_b32_e64 v24, v24, 21, s[0:1]
	v_cmp_ne_u32_e64 s[0:1], 0, v24
	s_and_b64 s[0:1], vcc, s[0:1]
	s_and_b64 exec, exec, s[0:1]
	s_cbranch_execz .LBB41_109
; %bb.108:
	v_add_u32_e32 v24, s9, v24
	global_store_dword v[22:23], v24, off
.LBB41_109:
	s_or_b64 exec, exec, s[2:3]
	scratch_load_dwordx2 v[22:23], off, off offset:2176 ; 8-byte Folded Reload
	v_mul_f32_e32 v21, v249, v21
	v_cmp_lt_u32_e32 vcc, 20, v250
	s_waitcnt vmcnt(0)
	global_store_dword v[22:23], v0, off
	scratch_load_dwordx2 v[22:23], off, off offset:2184 ; 8-byte Folded Reload
	v_cndmask_b32_e32 v20, v20, v21, vcc
	s_waitcnt vmcnt(0)
	global_store_dword v[22:23], v1, off
	scratch_load_dwordx2 v[0:1], off, off offset:2192 ; 8-byte Folded Reload
	s_waitcnt vmcnt(0)
	global_store_dword v[0:1], v2, off
	scratch_load_dwordx2 v[0:1], off, off offset:2200 ; 8-byte Folded Reload
	;; [unrolled: 3-line block ×19, first 2 shown]
	s_waitcnt vmcnt(0)
	global_store_dword v[0:1], v20, off
.LBB41_110:
	s_endpgm
	.section	.rodata,"a",@progbits
	.p2align	6, 0x0
	.amdhsa_kernel _ZN9rocsolver6v33100L23getf2_npvt_small_kernelILi21EfiiPfEEvT1_T3_lS3_lPT2_S3_S3_
		.amdhsa_group_segment_fixed_size 0
		.amdhsa_private_segment_fixed_size 2608
		.amdhsa_kernarg_size 312
		.amdhsa_user_sgpr_count 2
		.amdhsa_user_sgpr_dispatch_ptr 0
		.amdhsa_user_sgpr_queue_ptr 0
		.amdhsa_user_sgpr_kernarg_segment_ptr 1
		.amdhsa_user_sgpr_dispatch_id 0
		.amdhsa_user_sgpr_kernarg_preload_length 0
		.amdhsa_user_sgpr_kernarg_preload_offset 0
		.amdhsa_user_sgpr_private_segment_size 0
		.amdhsa_uses_dynamic_stack 0
		.amdhsa_enable_private_segment 1
		.amdhsa_system_sgpr_workgroup_id_x 1
		.amdhsa_system_sgpr_workgroup_id_y 1
		.amdhsa_system_sgpr_workgroup_id_z 0
		.amdhsa_system_sgpr_workgroup_info 0
		.amdhsa_system_vgpr_workitem_id 1
		.amdhsa_next_free_vgpr 256
		.amdhsa_next_free_sgpr 16
		.amdhsa_accum_offset 256
		.amdhsa_reserve_vcc 1
		.amdhsa_float_round_mode_32 0
		.amdhsa_float_round_mode_16_64 0
		.amdhsa_float_denorm_mode_32 3
		.amdhsa_float_denorm_mode_16_64 3
		.amdhsa_dx10_clamp 1
		.amdhsa_ieee_mode 1
		.amdhsa_fp16_overflow 0
		.amdhsa_tg_split 0
		.amdhsa_exception_fp_ieee_invalid_op 0
		.amdhsa_exception_fp_denorm_src 0
		.amdhsa_exception_fp_ieee_div_zero 0
		.amdhsa_exception_fp_ieee_overflow 0
		.amdhsa_exception_fp_ieee_underflow 0
		.amdhsa_exception_fp_ieee_inexact 0
		.amdhsa_exception_int_div_zero 0
	.end_amdhsa_kernel
	.section	.text._ZN9rocsolver6v33100L23getf2_npvt_small_kernelILi21EfiiPfEEvT1_T3_lS3_lPT2_S3_S3_,"axG",@progbits,_ZN9rocsolver6v33100L23getf2_npvt_small_kernelILi21EfiiPfEEvT1_T3_lS3_lPT2_S3_S3_,comdat
.Lfunc_end41:
	.size	_ZN9rocsolver6v33100L23getf2_npvt_small_kernelILi21EfiiPfEEvT1_T3_lS3_lPT2_S3_S3_, .Lfunc_end41-_ZN9rocsolver6v33100L23getf2_npvt_small_kernelILi21EfiiPfEEvT1_T3_lS3_lPT2_S3_S3_
                                        ; -- End function
	.set _ZN9rocsolver6v33100L23getf2_npvt_small_kernelILi21EfiiPfEEvT1_T3_lS3_lPT2_S3_S3_.num_vgpr, 256
	.set _ZN9rocsolver6v33100L23getf2_npvt_small_kernelILi21EfiiPfEEvT1_T3_lS3_lPT2_S3_S3_.num_agpr, 0
	.set _ZN9rocsolver6v33100L23getf2_npvt_small_kernelILi21EfiiPfEEvT1_T3_lS3_lPT2_S3_S3_.numbered_sgpr, 16
	.set _ZN9rocsolver6v33100L23getf2_npvt_small_kernelILi21EfiiPfEEvT1_T3_lS3_lPT2_S3_S3_.num_named_barrier, 0
	.set _ZN9rocsolver6v33100L23getf2_npvt_small_kernelILi21EfiiPfEEvT1_T3_lS3_lPT2_S3_S3_.private_seg_size, 2608
	.set _ZN9rocsolver6v33100L23getf2_npvt_small_kernelILi21EfiiPfEEvT1_T3_lS3_lPT2_S3_S3_.uses_vcc, 1
	.set _ZN9rocsolver6v33100L23getf2_npvt_small_kernelILi21EfiiPfEEvT1_T3_lS3_lPT2_S3_S3_.uses_flat_scratch, 0
	.set _ZN9rocsolver6v33100L23getf2_npvt_small_kernelILi21EfiiPfEEvT1_T3_lS3_lPT2_S3_S3_.has_dyn_sized_stack, 0
	.set _ZN9rocsolver6v33100L23getf2_npvt_small_kernelILi21EfiiPfEEvT1_T3_lS3_lPT2_S3_S3_.has_recursion, 0
	.set _ZN9rocsolver6v33100L23getf2_npvt_small_kernelILi21EfiiPfEEvT1_T3_lS3_lPT2_S3_S3_.has_indirect_call, 0
	.section	.AMDGPU.csdata,"",@progbits
; Kernel info:
; codeLenInByte = 29928
; TotalNumSgprs: 22
; NumVgprs: 256
; NumAgprs: 0
; TotalNumVgprs: 256
; ScratchSize: 2608
; MemoryBound: 0
; FloatMode: 240
; IeeeMode: 1
; LDSByteSize: 0 bytes/workgroup (compile time only)
; SGPRBlocks: 2
; VGPRBlocks: 31
; NumSGPRsForWavesPerEU: 22
; NumVGPRsForWavesPerEU: 256
; AccumOffset: 256
; Occupancy: 2
; WaveLimiterHint : 0
; COMPUTE_PGM_RSRC2:SCRATCH_EN: 1
; COMPUTE_PGM_RSRC2:USER_SGPR: 2
; COMPUTE_PGM_RSRC2:TRAP_HANDLER: 0
; COMPUTE_PGM_RSRC2:TGID_X_EN: 1
; COMPUTE_PGM_RSRC2:TGID_Y_EN: 1
; COMPUTE_PGM_RSRC2:TGID_Z_EN: 0
; COMPUTE_PGM_RSRC2:TIDIG_COMP_CNT: 1
; COMPUTE_PGM_RSRC3_GFX90A:ACCUM_OFFSET: 63
; COMPUTE_PGM_RSRC3_GFX90A:TG_SPLIT: 0
	.section	.text._ZN9rocsolver6v33100L18getf2_small_kernelILi22EfiiPfEEvT1_T3_lS3_lPS3_llPT2_S3_S3_S5_l,"axG",@progbits,_ZN9rocsolver6v33100L18getf2_small_kernelILi22EfiiPfEEvT1_T3_lS3_lPS3_llPT2_S3_S3_S5_l,comdat
	.globl	_ZN9rocsolver6v33100L18getf2_small_kernelILi22EfiiPfEEvT1_T3_lS3_lPS3_llPT2_S3_S3_S5_l ; -- Begin function _ZN9rocsolver6v33100L18getf2_small_kernelILi22EfiiPfEEvT1_T3_lS3_lPS3_llPT2_S3_S3_S5_l
	.p2align	8
	.type	_ZN9rocsolver6v33100L18getf2_small_kernelILi22EfiiPfEEvT1_T3_lS3_lPS3_llPT2_S3_S3_S5_l,@function
_ZN9rocsolver6v33100L18getf2_small_kernelILi22EfiiPfEEvT1_T3_lS3_lPS3_llPT2_S3_S3_S5_l: ; @_ZN9rocsolver6v33100L18getf2_small_kernelILi22EfiiPfEEvT1_T3_lS3_lPS3_llPT2_S3_S3_S5_l
; %bb.0:
	s_load_dword s2, s[0:1], 0x6c
	s_load_dwordx2 s[14:15], s[0:1], 0x48
	v_bfe_u32 v4, v0, 10, 10
	s_waitcnt lgkmcnt(0)
	s_lshr_b32 s2, s2, 16
	s_mul_i32 s3, s3, s2
	v_add_u32_e32 v248, s3, v4
	v_cmp_gt_i32_e32 vcc, s14, v248
	s_and_saveexec_b64 s[2:3], vcc
	s_cbranch_execz .LBB42_374
; %bb.1:
	s_load_dwordx4 s[4:7], s[0:1], 0x50
	v_ashrrev_i32_e32 v249, 31, v248
	v_mov_b64_e32 v[2:3], 0
	scratch_store_dwordx2 off, v[2:3], off offset:1416 ; 8-byte Folded Spill
	s_waitcnt lgkmcnt(0)
	s_cmp_eq_u64 s[4:5], 0
	s_cselect_b64 s[16:17], -1, 0
	s_and_b64 vcc, exec, s[16:17]
	s_cbranch_vccnz .LBB42_3
; %bb.2:
	v_mul_lo_u32 v1, s7, v248
	v_mul_lo_u32 v5, s6, v249
	v_mad_u64_u32 v[2:3], s[2:3], s6, v248, 0
	v_add3_u32 v3, v3, v5, v1
	v_lshl_add_u64 v[2:3], v[2:3], 2, s[4:5]
	scratch_store_dwordx2 off, v[2:3], off offset:1416 ; 8-byte Folded Spill
.LBB42_3:
	s_load_dwordx4 s[24:27], s[0:1], 0x8
	s_load_dwordx8 s[4:11], s[0:1], 0x20
	s_load_dword s12, s[0:1], 0x18
	s_load_dword s22, s[0:1], 0x0
	s_waitcnt lgkmcnt(0)
	v_mov_b32_e32 v2, s24
	v_mul_lo_u32 v1, s5, v248
	v_mul_lo_u32 v5, s4, v249
	v_mad_u64_u32 v[6:7], s[2:3], s4, v248, 0
	v_mov_b32_e32 v3, s25
	v_add3_u32 v7, v7, v5, v1
	v_lshl_add_u64 v[2:3], v[6:7], 2, v[2:3]
	v_and_b32_e32 v1, 0x3ff, v0
	v_lshl_add_u64 v[246:247], s[26:27], 2, v[2:3]
	v_lshlrev_b32_e32 v2, 2, v1
	v_mov_b32_e32 v3, 0
	v_lshl_add_u64 v[6:7], v[246:247], 0, v[2:3]
	global_load_dword v0, v[6:7], off
	s_max_i32 s2, s22, 22
	s_add_i32 s14, s12, s12
	v_mul_lo_u32 v32, s2, v4
	v_add_u32_e32 v4, s14, v1
	v_add_u32_e32 v8, s12, v4
	;; [unrolled: 1-line block ×5, first 2 shown]
	s_ashr_i32 s13, s12, 31
	v_ashrrev_i32_e32 v5, 31, v4
	v_add_u32_e32 v16, s12, v14
	v_ashrrev_i32_e32 v9, 31, v8
	v_lshl_add_u64 v[4:5], v[4:5], 2, v[246:247]
	v_ashrrev_i32_e32 v11, 31, v10
	v_lshl_add_u64 v[6:7], s[12:13], 2, v[6:7]
	v_ashrrev_i32_e32 v13, 31, v12
	v_ashrrev_i32_e32 v15, 31, v14
	;; [unrolled: 1-line block ×3, first 2 shown]
	v_lshl_add_u64 v[8:9], v[8:9], 2, v[246:247]
	v_lshl_add_u64 v[10:11], v[10:11], 2, v[246:247]
	;; [unrolled: 1-line block ×5, first 2 shown]
	global_load_dword v33, v[6:7], off
	global_load_dword v36, v[4:5], off
	global_load_dword v35, v[8:9], off
	global_load_dword v114, v[10:11], off
	global_load_dword v181, v[12:13], off
	global_load_dword v34, v[14:15], off
	global_load_dword v83, v[18:19], off
	v_add_u32_e32 v4, s12, v16
	v_add_u32_e32 v6, s12, v4
	;; [unrolled: 1-line block ×13, first 2 shown]
	v_lshl_add_u32 v250, v32, 2, 0
	v_ashrrev_i32_e32 v29, 31, v28
	v_add_u32_e32 v2, v250, v2
	v_lshl_add_u64 v[30:31], v[28:29], 2, v[246:247]
	v_add_u32_e32 v28, s12, v28
	v_ashrrev_i32_e32 v5, 31, v4
	v_ashrrev_i32_e32 v7, 31, v6
	v_ashrrev_i32_e32 v9, 31, v8
	v_ashrrev_i32_e32 v11, 31, v10
	v_ashrrev_i32_e32 v13, 31, v12
	v_ashrrev_i32_e32 v15, 31, v14
	v_ashrrev_i32_e32 v17, 31, v16
	v_ashrrev_i32_e32 v19, 31, v18
	v_ashrrev_i32_e32 v21, 31, v20
	v_ashrrev_i32_e32 v23, 31, v22
	v_ashrrev_i32_e32 v25, 31, v24
	v_ashrrev_i32_e32 v27, 31, v26
	v_ashrrev_i32_e32 v29, 31, v28
	v_lshl_add_u64 v[4:5], v[4:5], 2, v[246:247]
	v_lshl_add_u64 v[6:7], v[6:7], 2, v[246:247]
	;; [unrolled: 1-line block ×13, first 2 shown]
	s_load_dwordx2 s[4:5], s[0:1], 0x40
	s_cmp_lt_i32 s22, 2
	v_lshlrev_b32_e32 v254, 2, v32
	s_waitcnt vmcnt(7)
	ds_write_b32 v2, v0
	global_load_dword v255, v[30:31], off
	global_load_dword v253, v[28:29], off
	;; [unrolled: 1-line block ×14, first 2 shown]
	s_waitcnt lgkmcnt(0)
	s_barrier
	ds_read_b32 v2, v250
	s_cbranch_scc1 .LBB42_6
; %bb.4:
	v_add3_u32 v4, v254, 0, 4
	v_mov_b32_e32 v3, 0
	s_mov_b32 s0, 1
.LBB42_5:                               ; =>This Inner Loop Header: Depth=1
	ds_read_b32 v5, v4
	v_mov_b32_e32 v6, s0
	s_add_i32 s0, s0, 1
	v_add_u32_e32 v4, 4, v4
	s_cmp_eq_u32 s22, s0
	s_waitcnt lgkmcnt(0)
	v_cmp_lt_f32_e64 vcc, |v2|, |v5|
	s_nop 1
	v_cndmask_b32_e32 v2, v2, v5, vcc
	v_cndmask_b32_e32 v3, v3, v6, vcc
	s_cbranch_scc0 .LBB42_5
.LBB42_6:
	s_waitcnt vmcnt(10)
	v_mov_b32_e32 v17, v135
	v_cmp_ne_u32_e32 vcc, v1, v3
                                        ; implicit-def: $vgpr251
	s_and_saveexec_b64 s[0:1], vcc
	s_xor_b64 s[0:1], exec, s[0:1]
	s_cbranch_execz .LBB42_12
; %bb.7:
	v_cmp_eq_u32_e32 vcc, 0, v1
	s_and_saveexec_b64 s[2:3], vcc
	s_cbranch_execz .LBB42_11
; %bb.8:
	v_cmp_ne_u32_e32 vcc, 0, v3
	s_xor_b64 s[18:19], s[16:17], -1
	s_and_b64 s[20:21], s[18:19], vcc
	s_and_saveexec_b64 s[18:19], s[20:21]
	s_cbranch_execz .LBB42_10
; %bb.9:
	scratch_load_dwordx2 v[8:9], off, off offset:1416 ; 8-byte Folded Reload
	v_ashrrev_i32_e32 v5, 31, v3
	v_mov_b32_e32 v4, v3
	v_mov_b32_e32 v17, v135
	s_waitcnt vmcnt(0)
	v_lshl_add_u64 v[4:5], v[4:5], 2, v[8:9]
	global_load_dword v1, v[4:5], off
	global_load_dword v6, v[8:9], off
	s_waitcnt vmcnt(1)
	global_store_dword v[8:9], v1, off
	s_waitcnt vmcnt(1)
	global_store_dword v[4:5], v6, off
.LBB42_10:
	s_or_b64 exec, exec, s[18:19]
	v_mov_b32_e32 v1, v3
.LBB42_11:
	s_or_b64 exec, exec, s[2:3]
	v_mov_b32_e32 v251, v1
                                        ; implicit-def: $vgpr1
.LBB42_12:
	s_or_saveexec_b64 s[0:1], s[0:1]
	scratch_store_dword off, v251, off offset:640 ; 4-byte Folded Spill
	s_xor_b64 exec, exec, s[0:1]
	s_cbranch_execz .LBB42_14
; %bb.13:
	v_mov_b32_e32 v251, 0
	ds_write2_b32 v250, v33, v36 offset0:1 offset1:2
	ds_write2_b32 v250, v35, v114 offset0:3 offset1:4
	;; [unrolled: 1-line block ×3, first 2 shown]
	s_waitcnt vmcnt(8)
	ds_write2_b32 v250, v83, v174 offset0:7 offset1:8
	s_waitcnt vmcnt(6)
	ds_write2_b32 v250, v223, v106 offset0:9 offset1:10
	;; [unrolled: 2-line block ×5, first 2 shown]
	ds_write2_b32 v250, v17, v40 offset0:17 offset1:18
	ds_write2_b32 v250, v243, v255 offset0:19 offset1:20
	ds_write_b32 v250, v253 offset:84
	scratch_store_dword off, v1, off offset:640 ; 4-byte Folded Spill
.LBB42_14:
	s_or_b64 exec, exec, s[0:1]
	s_waitcnt lgkmcnt(0)
	v_cmp_eq_f32_e64 s[0:1], 0, v2
	v_cmp_gt_i32_e32 vcc, 1, v251
	s_barrier
	s_and_saveexec_b64 s[2:3], vcc
	s_xor_b64 s[2:3], exec, s[2:3]
; %bb.15:
                                        ; implicit-def: $vgpr2
; %bb.16:
	s_or_saveexec_b64 s[2:3], s[2:3]
	scratch_store_dword off, v254, off offset:1156 ; 4-byte Folded Spill
	s_xor_b64 exec, exec, s[2:3]
	s_cbranch_execz .LBB42_18
; %bb.17:
	v_div_scale_f32 v1, s[18:19], v2, v2, 1.0
	v_rcp_f32_e32 v3, v1
	v_mov_b32_e32 v4, v33
	v_mov_b32_e32 v5, v36
	;; [unrolled: 1-line block ×3, first 2 shown]
	v_fma_f32 v22, -v1, v3, 1.0
	v_fmac_f32_e32 v3, v22, v3
	v_div_scale_f32 v22, vcc, 1.0, v2, 1.0
	v_mul_f32_e32 v23, v22, v3
	v_fma_f32 v24, -v1, v23, v22
	v_fmac_f32_e32 v23, v24, v3
	v_fma_f32 v1, -v1, v23, v22
	v_div_fmas_f32 v1, v1, v3, v23
	v_div_fixup_f32 v1, v1, v2, 1.0
	v_cndmask_b32_e64 v1, v1, v2, s[0:1]
	ds_read2_b32 v[2:3], v250 offset0:1 offset1:2
	ds_read2_b32 v[22:23], v250 offset0:3 offset1:4
	;; [unrolled: 1-line block ×3, first 2 shown]
	v_mov_b32_e32 v7, v114
	v_mov_b32_e32 v8, v181
	;; [unrolled: 1-line block ×3, first 2 shown]
	v_mul_f32_e32 v0, v0, v1
	ds_read2_b32 v[26:27], v250 offset0:7 offset1:8
	s_waitcnt lgkmcnt(3)
	v_pk_fma_f32 v[2:3], v[0:1], v[2:3], v[4:5] op_sel_hi:[0,1,1] neg_lo:[1,0,0] neg_hi:[1,0,0]
	s_waitcnt lgkmcnt(2)
	v_pk_fma_f32 v[4:5], v[0:1], v[22:23], v[6:7] op_sel_hi:[0,1,1] neg_lo:[1,0,0] neg_hi:[1,0,0]
	;; [unrolled: 2-line block ×3, first 2 shown]
	ds_read2_b32 v[8:9], v250 offset0:9 offset1:10
	ds_read2_b32 v[22:23], v250 offset0:11 offset1:12
	v_mov_b32_e32 v10, v83
	s_waitcnt vmcnt(9)
	v_mov_b32_e32 v11, v174
	s_waitcnt vmcnt(8)
	;; [unrolled: 2-line block ×5, first 2 shown]
	v_mov_b32_e32 v15, v194
	s_waitcnt lgkmcnt(2)
	v_pk_fma_f32 v[10:11], v[0:1], v[26:27], v[10:11] op_sel_hi:[0,1,1] neg_lo:[1,0,0] neg_hi:[1,0,0]
	ds_read2_b32 v[24:25], v250 offset0:13 offset1:14
	ds_read2_b32 v[26:27], v250 offset0:15 offset1:16
	s_waitcnt lgkmcnt(3)
	v_pk_fma_f32 v[8:9], v[0:1], v[8:9], v[12:13] op_sel_hi:[0,1,1] neg_lo:[1,0,0] neg_hi:[1,0,0]
	s_waitcnt lgkmcnt(2)
	v_pk_fma_f32 v[12:13], v[0:1], v[22:23], v[14:15] op_sel_hi:[0,1,1] neg_lo:[1,0,0] neg_hi:[1,0,0]
	ds_read2_b32 v[14:15], v250 offset0:17 offset1:18
	ds_read2_b32 v[22:23], v250 offset0:19 offset1:20
	ds_read_b32 v1, v250 offset:84
	v_mov_b32_e32 v254, v243
	s_waitcnt vmcnt(4)
	v_mov_b32_e32 v16, v209
	s_waitcnt vmcnt(3)
	v_mov_b32_e32 v17, v74
	s_waitcnt vmcnt(2)
	v_mov_b32_e32 v18, v165
	s_waitcnt lgkmcnt(0)
	v_pk_fma_f32 v[254:255], v[0:1], v[22:23], v[254:255] op_sel_hi:[0,1,1] neg_lo:[1,0,0] neg_hi:[1,0,0]
	v_mov_b32_e32 v243, v254
	scratch_load_dword v254, off, off offset:1156 ; 4-byte Folded Reload
	v_mov_b32_e32 v19, v58
	v_mov_b32_e32 v20, v135
	v_mov_b32_e32 v21, v40
	v_pk_fma_f32 v[16:17], v[0:1], v[24:25], v[16:17] op_sel_hi:[0,1,1] neg_lo:[1,0,0] neg_hi:[1,0,0]
	v_pk_fma_f32 v[18:19], v[0:1], v[26:27], v[18:19] op_sel_hi:[0,1,1] neg_lo:[1,0,0] neg_hi:[1,0,0]
	v_pk_fma_f32 v[14:15], v[0:1], v[14:15], v[20:21] op_sel_hi:[0,1,1] neg_lo:[1,0,0] neg_hi:[1,0,0]
	v_fma_f32 v253, -v0, v1, v253
	v_mov_b32_e32 v33, v2
	v_mov_b32_e32 v36, v3
	v_mov_b32_e32 v35, v4
	v_mov_b32_e32 v114, v5
	v_mov_b32_e32 v181, v6
	v_mov_b32_e32 v34, v7
	v_mov_b32_e32 v83, v10
	v_mov_b32_e32 v174, v11
	v_mov_b32_e32 v223, v8
	v_mov_b32_e32 v106, v9
	v_mov_b32_e32 v95, v12
	v_mov_b32_e32 v194, v13
	v_mov_b32_e32 v209, v16
	v_mov_b32_e32 v74, v17
	v_mov_b32_e32 v165, v18
	v_mov_b32_e32 v58, v19
	v_mov_b32_e32 v135, v14
	v_mov_b32_e32 v40, v15
.LBB42_18:
	s_or_b64 exec, exec, s[2:3]
	v_lshl_add_u32 v1, v251, 2, v250
	s_barrier
	ds_write_b32 v1, v33
	s_waitcnt lgkmcnt(0)
	s_barrier
	ds_read_b32 v252, v250 offset:4
	s_mov_b32 s2, 2
	s_cmp_lt_i32 s22, 3
	v_mov_b32_e32 v2, 1
	s_cbranch_scc1 .LBB42_21
; %bb.19:
	s_waitcnt vmcnt(0)
	v_add3_u32 v1, v254, 0, 8
	v_mov_b32_e32 v2, 1
.LBB42_20:                              ; =>This Inner Loop Header: Depth=1
	ds_read_b32 v3, v1
	v_mov_b32_e32 v4, s2
	s_add_i32 s2, s2, 1
	v_add_u32_e32 v1, 4, v1
	s_cmp_lg_u32 s22, s2
	s_waitcnt lgkmcnt(0)
	v_cmp_lt_f32_e64 vcc, |v252|, |v3|
	s_nop 1
	v_cndmask_b32_e32 v252, v252, v3, vcc
	v_cndmask_b32_e32 v2, v2, v4, vcc
	s_cbranch_scc1 .LBB42_20
.LBB42_21:
	v_cmp_ne_u32_e32 vcc, v251, v2
	s_and_saveexec_b64 s[2:3], vcc
	s_xor_b64 s[2:3], exec, s[2:3]
	s_cbranch_execz .LBB42_27
; %bb.22:
	v_cmp_eq_u32_e32 vcc, 1, v251
	s_and_saveexec_b64 s[18:19], vcc
	s_cbranch_execz .LBB42_26
; %bb.23:
	v_cmp_ne_u32_e32 vcc, 1, v2
	s_xor_b64 s[20:21], s[16:17], -1
	s_and_b64 s[24:25], s[20:21], vcc
	s_and_saveexec_b64 s[20:21], s[24:25]
	s_cbranch_execz .LBB42_25
; %bb.24:
	scratch_load_dwordx2 v[6:7], off, off offset:1416 ; 8-byte Folded Reload
	v_ashrrev_i32_e32 v3, 31, v2
	s_waitcnt vmcnt(0)
	v_lshl_add_u64 v[4:5], v[2:3], 2, v[6:7]
	global_load_dword v1, v[4:5], off
	global_load_dword v3, v[6:7], off offset:4
	s_waitcnt vmcnt(1)
	global_store_dword v[6:7], v1, off offset:4
	s_waitcnt vmcnt(1)
	global_store_dword v[4:5], v3, off
.LBB42_25:
	s_or_b64 exec, exec, s[20:21]
	v_mov_b32_e32 v1, v2
	v_mov_b32_e32 v251, v2
	scratch_store_dword off, v1, off offset:640 ; 4-byte Folded Spill
.LBB42_26:
	s_or_b64 exec, exec, s[18:19]
.LBB42_27:
	s_or_saveexec_b64 s[2:3], s[2:3]
	v_mov_b32_e32 v1, v33
	v_mov_b32_e32 v2, v36
	;; [unrolled: 1-line block ×9, first 2 shown]
	s_waitcnt vmcnt(9)
	v_mov_b32_e32 v8, v174
	s_waitcnt vmcnt(8)
	v_mov_b32_e32 v9, v223
	s_waitcnt vmcnt(7)
	v_mov_b32_e32 v10, v106
	s_waitcnt vmcnt(6)
	v_mov_b32_e32 v11, v95
	s_waitcnt vmcnt(5)
	v_mov_b32_e32 v12, v194
	s_waitcnt vmcnt(4)
	v_mov_b32_e32 v13, v209
	s_waitcnt vmcnt(3)
	v_mov_b32_e32 v14, v74
	s_waitcnt vmcnt(2)
	v_mov_b32_e32 v15, v165
	v_mov_b32_e32 v16, v58
	v_mov_b32_e32 v17, v135
	;; [unrolled: 1-line block ×6, first 2 shown]
	s_xor_b64 exec, exec, s[2:3]
	s_cbranch_execz .LBB42_29
; %bb.28:
	v_mov_b32_e32 v251, 1
	ds_write2_b32 v250, v22, v23 offset0:2 offset1:3
	ds_write2_b32 v250, v114, v181 offset0:4 offset1:5
	;; [unrolled: 1-line block ×10, first 2 shown]
.LBB42_29:
	s_or_b64 exec, exec, s[2:3]
	v_mov_b32_e32 v24, v0
	v_mov_b32_e32 v26, v22
	;; [unrolled: 1-line block ×43, first 2 shown]
	v_mov_b64_e32 v[138:139], v[38:39]
	v_mov_b32_e32 v166, v0
	v_mov_b32_e32 v167, v109
	;; [unrolled: 1-line block ×25, first 2 shown]
	v_mov_b64_e32 v[136:137], v[36:37]
	v_mov_b32_e32 v57, v165
	v_mov_b32_e32 v133, v165
	scratch_store_dwordx4 off, v[224:227], off offset:2064 ; 16-byte Folded Spill
	s_nop 0
	scratch_store_dwordx4 off, v[228:231], off offset:2080 ; 16-byte Folded Spill
	scratch_store_dwordx4 off, v[232:235], off offset:2096 ; 16-byte Folded Spill
	scratch_store_dwordx4 off, v[236:239], off offset:2112 ; 16-byte Folded Spill
	scratch_store_dwordx4 off, v[240:243], off offset:2128 ; 16-byte Folded Spill
	scratch_store_dwordx4 off, v[244:247], off offset:2144 ; 16-byte Folded Spill
	scratch_store_dwordx4 off, v[248:251], off offset:2160 ; 16-byte Folded Spill
	s_waitcnt vmcnt(7) lgkmcnt(0)
	scratch_store_dwordx4 off, v[252:255], off offset:2176 ; 16-byte Folded Spill
	scratch_store_dwordx4 off, v[136:139], off offset:2192 ; 16-byte Folded Spill
	s_nop 0
	scratch_store_dwordx4 off, v[140:143], off offset:2208 ; 16-byte Folded Spill
	scratch_store_dwordx4 off, v[144:147], off offset:2224 ; 16-byte Folded Spill
	;; [unrolled: 1-line block ×7, first 2 shown]
	v_mov_b32_e32 v170, v114
	v_mov_b32_e32 v171, v181
	;; [unrolled: 1-line block ×5, first 2 shown]
	scratch_store_dwordx4 off, v[140:143], off offset:2320 ; 16-byte Folded Spill
	s_nop 0
	scratch_store_dwordx4 off, v[144:147], off offset:2336 ; 16-byte Folded Spill
	scratch_store_dwordx4 off, v[148:151], off offset:2352 ; 16-byte Folded Spill
	;; [unrolled: 1-line block ×7, first 2 shown]
	v_mov_b32_e32 v120, v28
	v_mov_b32_e32 v121, v39
	;; [unrolled: 1-line block ×14, first 2 shown]
	v_mov_b64_e32 v[116:117], v[108:109]
	v_mov_b32_e32 v86, v24
	v_mov_b32_e32 v87, v39
	;; [unrolled: 1-line block ×58, first 2 shown]
	scratch_store_dwordx4 off, v[116:119], off offset:1936 ; 16-byte Folded Spill
	s_nop 0
	scratch_store_dwordx4 off, v[120:123], off offset:1952 ; 16-byte Folded Spill
	scratch_store_dwordx4 off, v[124:127], off offset:1968 ; 16-byte Folded Spill
	;; [unrolled: 1-line block ×7, first 2 shown]
	v_mov_b32_e32 v37, v165
	v_mov_b32_e32 v239, v165
	;; [unrolled: 1-line block ×4, first 2 shown]
	v_cmp_neq_f32_e64 s[2:3], 0, v252
	s_barrier
	v_cmp_lt_i32_e32 vcc, 1, v251
	v_mov_b32_e32 v96, v0
	v_mov_b32_e32 v97, v109
	;; [unrolled: 1-line block ×65, first 2 shown]
	scratch_store_dwordx4 off, v[22:25], off ; 16-byte Folded Spill
	s_nop 0
	scratch_store_dwordx4 off, v[26:29], off offset:16 ; 16-byte Folded Spill
	scratch_store_dwordx4 off, v[30:33], off offset:32 ; 16-byte Folded Spill
	;; [unrolled: 1-line block ×8, first 2 shown]
	s_nop 0
	scratch_store_dwordx4 off, v[228:231], off offset:1824 ; 16-byte Folded Spill
	scratch_store_dwordx4 off, v[232:235], off offset:1840 ; 16-byte Folded Spill
	;; [unrolled: 1-line block ×7, first 2 shown]
	v_mov_b32_e32 v234, v106
	v_mov_b32_e32 v233, v105
	;; [unrolled: 1-line block ×16, first 2 shown]
	scratch_store_dwordx4 off, v[22:25], off offset:128 ; 16-byte Folded Spill
	s_nop 0
	scratch_store_dwordx4 off, v[26:29], off offset:144 ; 16-byte Folded Spill
	scratch_store_dwordx4 off, v[30:33], off offset:160 ; 16-byte Folded Spill
	;; [unrolled: 1-line block ×8, first 2 shown]
	s_nop 0
	scratch_store_dwordx4 off, v[154:157], off offset:400 ; 16-byte Folded Spill
	scratch_store_dwordx4 off, v[158:161], off offset:416 ; 16-byte Folded Spill
	;; [unrolled: 1-line block ×7, first 2 shown]
	v_mov_b64_e32 v[22:23], v[42:43]
	v_mov_b64_e32 v[24:25], v[44:45]
	;; [unrolled: 1-line block ×16, first 2 shown]
	scratch_store_dwordx4 off, v[60:63], off offset:256 ; 16-byte Folded Spill
	s_nop 0
	scratch_store_dwordx4 off, v[64:67], off offset:272 ; 16-byte Folded Spill
	scratch_store_dwordx4 off, v[68:71], off offset:288 ; 16-byte Folded Spill
	scratch_store_dwordx4 off, v[72:75], off offset:304 ; 16-byte Folded Spill
	scratch_store_dwordx4 off, v[76:79], off offset:320 ; 16-byte Folded Spill
	scratch_store_dwordx4 off, v[80:83], off offset:336 ; 16-byte Folded Spill
	scratch_store_dwordx4 off, v[84:87], off offset:352 ; 16-byte Folded Spill
	scratch_store_dwordx4 off, v[88:91], off offset:368 ; 16-byte Folded Spill
	scratch_store_dwordx4 off, v[196:199], off offset:512 ; 16-byte Folded Spill
	s_nop 0
	scratch_store_dwordx4 off, v[200:203], off offset:528 ; 16-byte Folded Spill
	scratch_store_dwordx4 off, v[204:207], off offset:544 ; 16-byte Folded Spill
	scratch_store_dwordx4 off, v[208:211], off offset:560 ; 16-byte Folded Spill
	scratch_store_dwordx4 off, v[212:215], off offset:576 ; 16-byte Folded Spill
	scratch_store_dwordx4 off, v[216:219], off offset:592 ; 16-byte Folded Spill
	scratch_store_dwordx4 off, v[220:223], off offset:608 ; 16-byte Folded Spill
	scratch_store_dwordx4 off, v[224:227], off offset:624 ; 16-byte Folded Spill
	;; [unrolled: 9-line block ×3, first 2 shown]
	v_mov_b32_e32 v102, v234
	scratch_store_dwordx4 off, v[224:227], off offset:772 ; 16-byte Folded Spill
	s_nop 0
	scratch_store_dwordx4 off, v[228:231], off offset:788 ; 16-byte Folded Spill
	scratch_store_dwordx4 off, v[232:235], off offset:804 ; 16-byte Folded Spill
	scratch_store_dwordx4 off, v[236:239], off offset:820 ; 16-byte Folded Spill
	scratch_store_dwordx4 off, v[240:243], off offset:836 ; 16-byte Folded Spill
	scratch_store_dwordx4 off, v[244:247], off offset:852 ; 16-byte Folded Spill
	scratch_store_dwordx4 off, v[248:251], off offset:868 ; 16-byte Folded Spill
	scratch_store_dwordx4 off, v[252:255], off offset:884 ; 16-byte Folded Spill
	scratch_store_dwordx4 off, v[214:217], off offset:900 ; 16-byte Folded Spill
	s_nop 0
	scratch_store_dwordx4 off, v[218:221], off offset:916 ; 16-byte Folded Spill
	scratch_store_dwordx4 off, v[222:225], off offset:932 ; 16-byte Folded Spill
	scratch_store_dwordx4 off, v[226:229], off offset:948 ; 16-byte Folded Spill
	scratch_store_dwordx4 off, v[230:233], off offset:964 ; 16-byte Folded Spill
	scratch_store_dwordx4 off, v[234:237], off offset:980 ; 16-byte Folded Spill
	scratch_store_dwordx4 off, v[238:241], off offset:996 ; 16-byte Folded Spill
	scratch_store_dwordx4 off, v[242:245], off offset:1012 ; 16-byte Folded Spill
	;; [unrolled: 9-line block ×4, first 2 shown]
	scratch_load_dwordx4 v[136:139], off, off offset:2320 ; 16-byte Folded Reload
	scratch_load_dwordx4 v[140:143], off, off offset:2336 ; 16-byte Folded Reload
	;; [unrolled: 1-line block ×8, first 2 shown]
	s_waitcnt vmcnt(6)
	v_mov_b32_e32 v40, v136
	v_mov_b32_e32 v46, v142
	;; [unrolled: 1-line block ×8, first 2 shown]
	scratch_store_dwordx4 off, v[40:43], off offset:1288 ; 16-byte Folded Spill
	s_nop 0
	scratch_store_dwordx4 off, v[44:47], off offset:1304 ; 16-byte Folded Spill
	scratch_store_dwordx4 off, v[48:51], off offset:1320 ; 16-byte Folded Spill
	scratch_store_dwordx4 off, v[52:55], off offset:1336 ; 16-byte Folded Spill
	scratch_store_dwordx4 off, v[56:59], off offset:1352 ; 16-byte Folded Spill
	scratch_store_dwordx4 off, v[60:63], off offset:1368 ; 16-byte Folded Spill
	scratch_store_dwordx4 off, v[64:67], off offset:1384 ; 16-byte Folded Spill
	scratch_store_dwordx4 off, v[68:71], off offset:1400 ; 16-byte Folded Spill
	scratch_store_dwordx4 off, v[176:179], off offset:1424 ; 16-byte Folded Spill
	s_nop 0
	scratch_store_dwordx4 off, v[180:183], off offset:1440 ; 16-byte Folded Spill
	scratch_store_dwordx4 off, v[184:187], off offset:1456 ; 16-byte Folded Spill
	scratch_store_dwordx4 off, v[188:191], off offset:1472 ; 16-byte Folded Spill
	scratch_store_dwordx4 off, v[192:195], off offset:1488 ; 16-byte Folded Spill
	scratch_store_dwordx4 off, v[196:199], off offset:1504 ; 16-byte Folded Spill
	scratch_store_dwordx4 off, v[200:203], off offset:1520 ; 16-byte Folded Spill
	scratch_store_dwordx4 off, v[204:207], off offset:1536 ; 16-byte Folded Spill
	;; [unrolled: 9-line block ×3, first 2 shown]
	scratch_load_dwordx4 v[136:139], off, off offset:2192 ; 16-byte Folded Reload
	s_nop 0
	scratch_load_dwordx4 v[140:143], off, off offset:2208 ; 16-byte Folded Reload
	scratch_load_dwordx4 v[144:147], off, off offset:2224 ; 16-byte Folded Reload
	;; [unrolled: 1-line block ×7, first 2 shown]
	s_waitcnt vmcnt(7)
	v_mov_b64_e32 v[54:55], v[136:137]
	v_mov_b64_e32 v[56:57], v[138:139]
	scratch_store_dwordx4 off, v[54:57], off offset:1680 ; 16-byte Folded Spill
	s_nop 0
	scratch_store_dwordx4 off, v[58:61], off offset:1696 ; 16-byte Folded Spill
	scratch_store_dwordx4 off, v[62:65], off offset:1712 ; 16-byte Folded Spill
	;; [unrolled: 1-line block ×7, first 2 shown]
	scratch_load_dwordx4 v[136:139], off, off offset:2064 ; 16-byte Folded Reload
	scratch_load_dwordx4 v[140:143], off, off offset:2080 ; 16-byte Folded Reload
	;; [unrolled: 1-line block ×8, first 2 shown]
	s_waitcnt vmcnt(7)
	v_mov_b32_e32 v54, v136
	v_mov_b32_e32 v55, v137
	;; [unrolled: 1-line block ×3, first 2 shown]
	s_waitcnt vmcnt(0)
	v_mov_b64_e32 v[166:167], v[84:85]
	v_mov_b64_e32 v[138:139], v[56:57]
	;; [unrolled: 1-line block ×16, first 2 shown]
	s_mov_b64 s[18:19], exec
	s_and_b64 s[20:21], s[18:19], vcc
	v_mov_b32_e32 v175, v223
	s_mov_b64 exec, s[20:21]
	s_cbranch_execz .LBB42_31
; %bb.30:
	scratch_load_dwordx4 v[2:5], off, off   ; 16-byte Folded Reload
	scratch_load_dwordx4 v[6:9], off, off offset:16 ; 16-byte Folded Reload
	scratch_load_dwordx4 v[10:13], off, off offset:32 ; 16-byte Folded Reload
	;; [unrolled: 1-line block ×7, first 2 shown]
	v_div_scale_f32 v1, s[20:21], v252, v252, 1.0
	s_waitcnt vmcnt(7)
	v_rcp_f32_e32 v2, v1
	v_mov_b32_e32 v115, v181
	v_mov_b32_e32 v54, v68
	;; [unrolled: 1-line block ×3, first 2 shown]
	v_fma_f32 v3, -v1, v2, 1.0
	v_fmac_f32_e32 v2, v3, v2
	v_div_scale_f32 v3, vcc, 1.0, v252, 1.0
	v_mul_f32_e32 v4, v3, v2
	v_fma_f32 v5, -v1, v4, v3
	v_fmac_f32_e32 v4, v5, v2
	v_fma_f32 v1, -v1, v4, v3
	v_div_fmas_f32 v1, v1, v2, v4
	v_div_fixup_f32 v1, v1, v252, 1.0
	v_cndmask_b32_e64 v1, v252, v1, s[2:3]
	v_mov_b32_e32 v94, v102
	v_mov_b32_e32 v90, v72
	;; [unrolled: 1-line block ×7, first 2 shown]
	s_waitcnt vmcnt(3)
	v_mov_b32_e32 v109, v21
	scratch_load_dwordx4 v[2:5], off, off offset:1936 ; 16-byte Folded Reload
	scratch_load_dwordx4 v[6:9], off, off offset:1952 ; 16-byte Folded Reload
	;; [unrolled: 1-line block ×8, first 2 shown]
	s_waitcnt vmcnt(3)
	v_mul_f32_e32 v20, v3, v1
	ds_read2_b32 v[2:3], v250 offset0:2 offset1:3
	ds_read2_b32 v[4:5], v250 offset0:4 offset1:5
	;; [unrolled: 1-line block ×4, first 2 shown]
	v_mov_b32_e32 v1, v20
	s_waitcnt lgkmcnt(3)
	v_pk_fma_f32 v[56:57], v[20:21], v[2:3], v[56:57] op_sel_hi:[0,1,1] neg_lo:[1,0,0] neg_hi:[1,0,0]
	s_waitcnt lgkmcnt(2)
	v_pk_fma_f32 v[114:115], v[20:21], v[4:5], v[114:115] op_sel_hi:[0,1,1] neg_lo:[1,0,0] neg_hi:[1,0,0]
	;; [unrolled: 2-line block ×4, first 2 shown]
	ds_read2_b32 v[2:3], v250 offset0:10 offset1:11
	ds_read2_b32 v[4:5], v250 offset0:12 offset1:13
	;; [unrolled: 1-line block ×4, first 2 shown]
	v_mov_b32_e32 v181, v115
	s_waitcnt lgkmcnt(3)
	v_pk_fma_f32 v[94:95], v[20:21], v[2:3], v[94:95] op_sel_hi:[0,1,1] neg_lo:[1,0,0] neg_hi:[1,0,0]
	s_waitcnt lgkmcnt(2)
	v_pk_fma_f32 v[90:91], v[20:21], v[4:5], v[90:91] op_sel_hi:[0,1,1] neg_lo:[1,0,0] neg_hi:[1,0,0]
	ds_read2_b32 v[2:3], v250 offset0:18 offset1:19
	ds_read2_b32 v[4:5], v250 offset0:20 offset1:21
	s_waitcnt lgkmcnt(3)
	v_pk_fma_f32 v[98:99], v[20:21], v[6:7], v[98:99] op_sel_hi:[0,1,1] neg_lo:[1,0,0] neg_hi:[1,0,0]
	s_waitcnt lgkmcnt(2)
	v_pk_fma_f32 v[92:93], v[20:21], v[8:9], v[92:93] op_sel_hi:[0,1,1] neg_lo:[1,0,0] neg_hi:[1,0,0]
	v_mov_b32_e32 v102, v94
	s_waitcnt lgkmcnt(1)
	v_pk_fma_f32 v[108:109], v[20:21], v[2:3], v[108:109] op_sel_hi:[0,1,1] neg_lo:[1,0,0] neg_hi:[1,0,0]
	s_waitcnt lgkmcnt(0)
	v_pk_fma_f32 v[252:253], v[20:21], v[4:5], v[252:253] op_sel_hi:[0,1,1] neg_lo:[1,0,0] neg_hi:[1,0,0]
	scratch_store_dwordx4 off, v[0:3], off offset:1936 ; 16-byte Folded Spill
	s_nop 0
	scratch_store_dwordx4 off, v[4:7], off offset:1952 ; 16-byte Folded Spill
	scratch_store_dwordx4 off, v[8:11], off offset:1968 ; 16-byte Folded Spill
	;; [unrolled: 1-line block ×4, first 2 shown]
	s_waitcnt vmcnt(7)
	scratch_store_dwordx4 off, v[20:23], off offset:2016 ; 16-byte Folded Spill
	s_waitcnt vmcnt(7)
	scratch_store_dwordx4 off, v[24:27], off offset:2032 ; 16-byte Folded Spill
	;; [unrolled: 2-line block ×3, first 2 shown]
	v_mov_b32_e32 v2, v56
	v_mov_b32_e32 v255, v252
	v_mov_b32_e32 v97, v99
	v_mov_b32_e32 v96, v92
	v_mov_b64_e32 v[88:89], v[30:31]
	v_mov_b64_e32 v[86:87], v[28:29]
	;; [unrolled: 1-line block ×16, first 2 shown]
	v_mov_b32_e32 v3, v57
	scratch_store_dwordx4 off, v[0:3], off offset:1680 ; 16-byte Folded Spill
	s_nop 0
	scratch_store_dwordx4 off, v[4:7], off offset:1696 ; 16-byte Folded Spill
	scratch_store_dwordx4 off, v[8:11], off offset:1712 ; 16-byte Folded Spill
	;; [unrolled: 1-line block ×7, first 2 shown]
	v_mov_b32_e32 v4, v114
	v_mov_b32_e32 v68, v54
	;; [unrolled: 1-line block ×5, first 2 shown]
	scratch_store_dwordx4 off, v[0:3], off offset:1552 ; 16-byte Folded Spill
	s_nop 0
	scratch_store_dwordx4 off, v[4:7], off offset:1568 ; 16-byte Folded Spill
	scratch_store_dwordx4 off, v[8:11], off offset:1584 ; 16-byte Folded Spill
	scratch_store_dwordx4 off, v[12:15], off offset:1600 ; 16-byte Folded Spill
	scratch_store_dwordx4 off, v[16:19], off offset:1616 ; 16-byte Folded Spill
	scratch_store_dwordx4 off, v[20:23], off offset:1632 ; 16-byte Folded Spill
	scratch_store_dwordx4 off, v[24:27], off offset:1648 ; 16-byte Folded Spill
	scratch_store_dwordx4 off, v[28:31], off offset:1664 ; 16-byte Folded Spill
	v_mov_b32_e32 v5, v115
	scratch_store_dwordx4 off, v[0:3], off offset:1424 ; 16-byte Folded Spill
	s_nop 0
	scratch_store_dwordx4 off, v[4:7], off offset:1440 ; 16-byte Folded Spill
	scratch_store_dwordx4 off, v[8:11], off offset:1456 ; 16-byte Folded Spill
	scratch_store_dwordx4 off, v[12:15], off offset:1472 ; 16-byte Folded Spill
	scratch_store_dwordx4 off, v[16:19], off offset:1488 ; 16-byte Folded Spill
	scratch_store_dwordx4 off, v[20:23], off offset:1504 ; 16-byte Folded Spill
	scratch_store_dwordx4 off, v[24:27], off offset:1520 ; 16-byte Folded Spill
	scratch_store_dwordx4 off, v[28:31], off offset:1536 ; 16-byte Folded Spill
	v_mov_b32_e32 v6, v54
	;; [unrolled: 10-line block ×8, first 2 shown]
	v_mov_b64_e32 v[212:213], v[30:31]
	v_mov_b64_e32 v[210:211], v[28:29]
	;; [unrolled: 1-line block ×16, first 2 shown]
	v_mov_b32_e32 v13, v91
	scratch_store_dwordx4 off, v[0:3], off offset:512 ; 16-byte Folded Spill
	s_nop 0
	scratch_store_dwordx4 off, v[4:7], off offset:528 ; 16-byte Folded Spill
	scratch_store_dwordx4 off, v[8:11], off offset:544 ; 16-byte Folded Spill
	scratch_store_dwordx4 off, v[12:15], off offset:560 ; 16-byte Folded Spill
	scratch_store_dwordx4 off, v[16:19], off offset:576 ; 16-byte Folded Spill
	scratch_store_dwordx4 off, v[20:23], off offset:592 ; 16-byte Folded Spill
	scratch_store_dwordx4 off, v[24:27], off offset:608 ; 16-byte Folded Spill
	scratch_store_dwordx4 off, v[28:31], off offset:624 ; 16-byte Folded Spill
	v_mov_b32_e32 v14, v98
	scratch_store_dwordx4 off, v[0:3], off offset:256 ; 16-byte Folded Spill
	s_nop 0
	scratch_store_dwordx4 off, v[4:7], off offset:272 ; 16-byte Folded Spill
	scratch_store_dwordx4 off, v[8:11], off offset:288 ; 16-byte Folded Spill
	scratch_store_dwordx4 off, v[12:15], off offset:304 ; 16-byte Folded Spill
	scratch_store_dwordx4 off, v[16:19], off offset:320 ; 16-byte Folded Spill
	scratch_store_dwordx4 off, v[20:23], off offset:336 ; 16-byte Folded Spill
	scratch_store_dwordx4 off, v[24:27], off offset:352 ; 16-byte Folded Spill
	scratch_store_dwordx4 off, v[28:31], off offset:368 ; 16-byte Folded Spill
	;; [unrolled: 10-line block ×3, first 2 shown]
	v_mov_b32_e32 v16, v92
	v_mov_b64_e32 v[52:53], v[30:31]
	v_mov_b64_e32 v[50:51], v[28:29]
	;; [unrolled: 1-line block ×16, first 2 shown]
	v_mov_b32_e32 v17, v93
	v_mov_b64_e32 v[148:149], v[30:31]
	v_mov_b64_e32 v[146:147], v[28:29]
	;; [unrolled: 1-line block ×16, first 2 shown]
	v_mov_b32_e32 v18, v108
	scratch_store_dwordx4 off, v[0:3], off offset:128 ; 16-byte Folded Spill
	s_nop 0
	scratch_store_dwordx4 off, v[4:7], off offset:144 ; 16-byte Folded Spill
	scratch_store_dwordx4 off, v[8:11], off offset:160 ; 16-byte Folded Spill
	scratch_store_dwordx4 off, v[12:15], off offset:176 ; 16-byte Folded Spill
	scratch_store_dwordx4 off, v[16:19], off offset:192 ; 16-byte Folded Spill
	scratch_store_dwordx4 off, v[20:23], off offset:208 ; 16-byte Folded Spill
	scratch_store_dwordx4 off, v[24:27], off offset:224 ; 16-byte Folded Spill
	scratch_store_dwordx4 off, v[28:31], off offset:240 ; 16-byte Folded Spill
	v_mov_b32_e32 v19, v109
	v_mov_b32_e32 v138, v60
	;; [unrolled: 1-line block ×6, first 2 shown]
	scratch_store_dwordx4 off, v[0:3], off offset:1808 ; 16-byte Folded Spill
	s_nop 0
	scratch_store_dwordx4 off, v[4:7], off offset:1824 ; 16-byte Folded Spill
	scratch_store_dwordx4 off, v[8:11], off offset:1840 ; 16-byte Folded Spill
	;; [unrolled: 1-line block ×7, first 2 shown]
	v_mov_b32_e32 v20, v252
	v_mov_b32_e32 v21, v253
	scratch_store_dwordx4 off, v[20:23], off ; 16-byte Folded Spill
	s_nop 0
	scratch_store_dwordx4 off, v[24:27], off offset:16 ; 16-byte Folded Spill
	scratch_store_dwordx4 off, v[28:31], off offset:32 ; 16-byte Folded Spill
	scratch_store_dwordx4 off, v[32:35], off offset:48 ; 16-byte Folded Spill
	scratch_store_dwordx4 off, v[36:39], off offset:64 ; 16-byte Folded Spill
	scratch_store_dwordx4 off, v[40:43], off offset:80 ; 16-byte Folded Spill
	scratch_store_dwordx4 off, v[44:47], off offset:96 ; 16-byte Folded Spill
	scratch_store_dwordx4 off, v[48:51], off offset:112 ; 16-byte Folded Spill
.LBB42_31:
	s_or_b64 exec, exec, s[18:19]
	v_lshl_add_u32 v39, v251, 2, v250
	s_waitcnt vmcnt(63) expcnt(7) lgkmcnt(15)
	s_barrier
	ds_write_b32 v39, v56
	s_waitcnt lgkmcnt(0)
	s_barrier
	ds_read_b32 v39, v250 offset:8
	s_cmp_lt_i32 s22, 4
	v_mov_b32_e32 v40, 2
	s_cbranch_scc1 .LBB42_34
; %bb.32:
	scratch_load_dwordx4 v[214:217], off, off offset:1808 ; 16-byte Folded Reload
	scratch_load_dwordx4 v[218:221], off, off offset:1824 ; 16-byte Folded Reload
	scratch_load_dwordx4 v[222:225], off, off offset:1840 ; 16-byte Folded Reload
	scratch_load_dwordx4 v[226:229], off, off offset:1856 ; 16-byte Folded Reload
	scratch_load_dwordx4 v[230:233], off, off offset:1872 ; 16-byte Folded Reload
	scratch_load_dwordx4 v[234:237], off, off offset:1888 ; 16-byte Folded Reload
	scratch_load_dwordx4 v[238:241], off, off offset:1904 ; 16-byte Folded Reload
	scratch_load_dwordx4 v[242:245], off, off offset:1920 ; 16-byte Folded Reload
	v_mov_b32_e32 v40, 2
	v_add3_u32 v41, v254, 0, 12
	s_mov_b32 s18, 3
.LBB42_33:                              ; =>This Inner Loop Header: Depth=1
	ds_read_b32 v42, v41
	v_add_u32_e32 v41, 4, v41
	s_waitcnt lgkmcnt(0)
	v_cmp_lt_f32_e64 vcc, |v39|, |v42|
	s_nop 1
	v_cndmask_b32_e32 v39, v39, v42, vcc
	v_mov_b32_e32 v42, s18
	s_add_i32 s18, s18, 1
	v_cndmask_b32_e32 v40, v40, v42, vcc
	s_cmp_lg_u32 s22, s18
	s_cbranch_scc1 .LBB42_33
	s_branch .LBB42_35
.LBB42_34:
	scratch_load_dwordx4 v[214:217], off, off offset:1808 ; 16-byte Folded Reload
	scratch_load_dwordx4 v[218:221], off, off offset:1824 ; 16-byte Folded Reload
	;; [unrolled: 1-line block ×8, first 2 shown]
.LBB42_35:
	v_cndmask_b32_e64 v41, 2, 1, s[0:1]
	v_cndmask_b32_e64 v42, 0, 1, s[0:1]
	;; [unrolled: 1-line block ×3, first 2 shown]
	s_waitcnt lgkmcnt(0)
	v_cmp_eq_f32_e32 vcc, 0, v39
	s_and_saveexec_b64 s[0:1], vcc
	s_xor_b64 s[0:1], exec, s[0:1]
; %bb.36:
	v_cmp_ne_u32_e32 vcc, 0, v252
	s_nop 1
	v_cndmask_b32_e32 v252, 3, v252, vcc
; %bb.37:
	s_andn2_saveexec_b64 s[0:1], s[0:1]
	s_cbranch_execz .LBB42_39
; %bb.38:
	v_div_scale_f32 v41, s[2:3], v39, v39, 1.0
	v_rcp_f32_e32 v42, v41
	v_div_scale_f32 v43, vcc, 1.0, v39, 1.0
	v_fma_f32 v44, -v41, v42, 1.0
	v_fmac_f32_e32 v42, v44, v42
	v_mul_f32_e32 v44, v43, v42
	v_fma_f32 v45, -v41, v44, v43
	v_fmac_f32_e32 v44, v45, v42
	v_fma_f32 v41, -v41, v44, v43
	v_div_fmas_f32 v41, v41, v42, v44
	v_div_fixup_f32 v39, v41, v39, 1.0
.LBB42_39:
	s_or_b64 exec, exec, s[0:1]
	v_cmp_ne_u32_e32 vcc, v251, v40
	s_and_saveexec_b64 s[0:1], vcc
	s_xor_b64 s[0:1], exec, s[0:1]
	s_cbranch_execz .LBB42_45
; %bb.40:
	v_cmp_eq_u32_e32 vcc, 2, v251
	s_and_saveexec_b64 s[2:3], vcc
	s_cbranch_execz .LBB42_44
; %bb.41:
	v_cmp_ne_u32_e32 vcc, 2, v40
	s_xor_b64 s[18:19], s[16:17], -1
	s_and_b64 s[20:21], s[18:19], vcc
	s_and_saveexec_b64 s[18:19], s[20:21]
	s_cbranch_execz .LBB42_43
; %bb.42:
	scratch_load_dwordx2 v[46:47], off, off offset:1416 ; 8-byte Folded Reload
	v_ashrrev_i32_e32 v41, 31, v40
	s_waitcnt vmcnt(0)
	v_lshl_add_u64 v[42:43], v[40:41], 2, v[46:47]
	global_load_dword v41, v[42:43], off
	global_load_dword v44, v[46:47], off offset:8
	s_waitcnt vmcnt(1)
	global_store_dword v[46:47], v41, off offset:8
	s_waitcnt vmcnt(1)
	global_store_dword v[42:43], v44, off
.LBB42_43:
	s_or_b64 exec, exec, s[18:19]
	v_mov_b32_e32 v41, v40
	v_mov_b32_e32 v251, v40
	scratch_store_dword off, v41, off offset:640 ; 4-byte Folded Spill
.LBB42_44:
	s_or_b64 exec, exec, s[2:3]
.LBB42_45:
	s_andn2_saveexec_b64 s[0:1], s[0:1]
	s_cbranch_execz .LBB42_47
; %bb.46:
	v_mov_b32_e32 v251, 2
	ds_write2_b32 v250, v3, v4 offset0:3 offset1:4
	ds_write2_b32 v250, v5, v6 offset0:5 offset1:6
	;; [unrolled: 1-line block ×9, first 2 shown]
	ds_write_b32 v250, v253 offset:84
.LBB42_47:
	s_or_b64 exec, exec, s[0:1]
	v_cmp_lt_i32_e32 vcc, 2, v251
	s_waitcnt lgkmcnt(0)
	s_barrier
	s_and_saveexec_b64 s[0:1], vcc
	s_cbranch_execz .LBB42_49
; %bb.48:
	scratch_load_dwordx4 v[136:139], off, off offset:1936 ; 16-byte Folded Reload
	scratch_load_dwordx4 v[140:143], off, off offset:1952 ; 16-byte Folded Reload
	;; [unrolled: 1-line block ×8, first 2 shown]
	ds_read2_b32 v[0:1], v250 offset0:3 offset1:4
	ds_read2_b32 v[22:23], v250 offset0:5 offset1:6
	;; [unrolled: 1-line block ×4, first 2 shown]
	s_waitcnt vmcnt(7)
	v_mul_f32_e32 v138, v56, v39
	v_mov_b32_e32 v2, v3
	v_mov_b32_e32 v3, v4
	;; [unrolled: 1-line block ×6, first 2 shown]
	s_waitcnt lgkmcnt(3)
	v_pk_fma_f32 v[40:41], v[138:139], v[0:1], v[2:3] op_sel_hi:[0,1,1] neg_lo:[1,0,0] neg_hi:[1,0,0]
	v_mov_b32_e32 v0, v5
	v_mov_b32_e32 v1, v6
	s_waitcnt lgkmcnt(2)
	v_pk_fma_f32 v[42:43], v[138:139], v[22:23], v[0:1] op_sel_hi:[0,1,1] neg_lo:[1,0,0] neg_hi:[1,0,0]
	v_mov_b32_e32 v0, v7
	v_mov_b32_e32 v1, v8
	;; [unrolled: 4-line block ×3, first 2 shown]
	s_waitcnt lgkmcnt(0)
	v_pk_fma_f32 v[46:47], v[138:139], v[26:27], v[0:1] op_sel_hi:[0,1,1] neg_lo:[1,0,0] neg_hi:[1,0,0]
	ds_read2_b32 v[0:1], v250 offset0:11 offset1:12
	ds_read2_b32 v[4:5], v250 offset0:13 offset1:14
	ds_read2_b32 v[6:7], v250 offset0:15 offset1:16
	ds_read2_b32 v[8:9], v250 offset0:17 offset1:18
	v_mov_b32_e32 v2, v11
	v_mov_b32_e32 v3, v12
	;; [unrolled: 1-line block ×3, first 2 shown]
	s_waitcnt lgkmcnt(3)
	v_pk_fma_f32 v[48:49], v[138:139], v[0:1], v[2:3] op_sel_hi:[0,1,1] neg_lo:[1,0,0] neg_hi:[1,0,0]
	v_mov_b32_e32 v0, v13
	v_mov_b32_e32 v1, v14
	s_waitcnt lgkmcnt(2)
	v_pk_fma_f32 v[50:51], v[138:139], v[4:5], v[0:1] op_sel_hi:[0,1,1] neg_lo:[1,0,0] neg_hi:[1,0,0]
	v_mov_b32_e32 v0, v15
	v_mov_b32_e32 v1, v16
	;; [unrolled: 4-line block ×4, first 2 shown]
	v_mov_b32_e32 v8, v138
	v_mov_b32_e32 v9, v40
	ds_read2_b32 v[2:3], v250 offset0:19 offset1:20
	ds_read_b32 v4, v250 offset:84
	v_mov_b32_e32 v0, v19
	v_mov_b32_e32 v1, v20
	scratch_store_dwordx4 off, v[6:9], off offset:1552 ; 16-byte Folded Spill
	s_nop 0
	scratch_store_dwordx4 off, v[10:13], off offset:1568 ; 16-byte Folded Spill
	scratch_store_dwordx4 off, v[14:17], off offset:1584 ; 16-byte Folded Spill
	;; [unrolled: 1-line block ×7, first 2 shown]
	v_mov_b32_e32 v11, v42
	s_waitcnt lgkmcnt(1)
	v_pk_fma_f32 v[254:255], v[138:139], v[2:3], v[0:1] op_sel_hi:[0,1,1] neg_lo:[1,0,0] neg_hi:[1,0,0]
	v_mov_b32_e32 v72, v136
	v_mov_b32_e32 v73, v137
	;; [unrolled: 1-line block ×49, first 2 shown]
	scratch_store_dwordx4 off, v[6:9], off offset:1424 ; 16-byte Folded Spill
	s_nop 0
	scratch_store_dwordx4 off, v[10:13], off offset:1440 ; 16-byte Folded Spill
	scratch_store_dwordx4 off, v[14:17], off offset:1456 ; 16-byte Folded Spill
	;; [unrolled: 1-line block ×7, first 2 shown]
	v_mov_b32_e32 v12, v43
	v_mov_b32_e32 v217, v40
	;; [unrolled: 1-line block ×34, first 2 shown]
	scratch_store_dwordx4 off, v[6:9], off offset:1288 ; 16-byte Folded Spill
	s_nop 0
	scratch_store_dwordx4 off, v[10:13], off offset:1304 ; 16-byte Folded Spill
	scratch_store_dwordx4 off, v[14:17], off offset:1320 ; 16-byte Folded Spill
	scratch_store_dwordx4 off, v[18:21], off offset:1336 ; 16-byte Folded Spill
	scratch_store_dwordx4 off, v[22:25], off offset:1352 ; 16-byte Folded Spill
	scratch_store_dwordx4 off, v[26:29], off offset:1368 ; 16-byte Folded Spill
	scratch_store_dwordx4 off, v[30:33], off offset:1384 ; 16-byte Folded Spill
	scratch_store_dwordx4 off, v[34:37], off offset:1400 ; 16-byte Folded Spill
	v_mov_b32_e32 v13, v44
	scratch_store_dwordx4 off, v[6:9], off offset:1160 ; 16-byte Folded Spill
	s_nop 0
	scratch_store_dwordx4 off, v[10:13], off offset:1176 ; 16-byte Folded Spill
	scratch_store_dwordx4 off, v[14:17], off offset:1192 ; 16-byte Folded Spill
	scratch_store_dwordx4 off, v[18:21], off offset:1208 ; 16-byte Folded Spill
	scratch_store_dwordx4 off, v[22:25], off offset:1224 ; 16-byte Folded Spill
	scratch_store_dwordx4 off, v[26:29], off offset:1240 ; 16-byte Folded Spill
	scratch_store_dwordx4 off, v[30:33], off offset:1256 ; 16-byte Folded Spill
	scratch_store_dwordx4 off, v[34:37], off offset:1272 ; 16-byte Folded Spill
	v_mov_b32_e32 v14, v45
	;; [unrolled: 10-line block ×6, first 2 shown]
	v_mov_b32_e32 v19, v50
	scratch_store_dwordx4 off, v[6:9], off offset:512 ; 16-byte Folded Spill
	s_nop 0
	scratch_store_dwordx4 off, v[10:13], off offset:528 ; 16-byte Folded Spill
	scratch_store_dwordx4 off, v[14:17], off offset:544 ; 16-byte Folded Spill
	scratch_store_dwordx4 off, v[18:21], off offset:560 ; 16-byte Folded Spill
	scratch_store_dwordx4 off, v[22:25], off offset:576 ; 16-byte Folded Spill
	scratch_store_dwordx4 off, v[26:29], off offset:592 ; 16-byte Folded Spill
	scratch_store_dwordx4 off, v[30:33], off offset:608 ; 16-byte Folded Spill
	scratch_store_dwordx4 off, v[34:37], off offset:624 ; 16-byte Folded Spill
	v_mov_b32_e32 v20, v51
	scratch_store_dwordx4 off, v[6:9], off offset:256 ; 16-byte Folded Spill
	s_nop 0
	scratch_store_dwordx4 off, v[10:13], off offset:272 ; 16-byte Folded Spill
	scratch_store_dwordx4 off, v[14:17], off offset:288 ; 16-byte Folded Spill
	scratch_store_dwordx4 off, v[18:21], off offset:304 ; 16-byte Folded Spill
	scratch_store_dwordx4 off, v[22:25], off offset:320 ; 16-byte Folded Spill
	scratch_store_dwordx4 off, v[26:29], off offset:336 ; 16-byte Folded Spill
	scratch_store_dwordx4 off, v[30:33], off offset:352 ; 16-byte Folded Spill
	scratch_store_dwordx4 off, v[34:37], off offset:368 ; 16-byte Folded Spill
	;; [unrolled: 10-line block ×3, first 2 shown]
	v_mov_b32_e32 v22, v136
	v_mov_b32_e32 v23, v137
	;; [unrolled: 1-line block ×16, first 2 shown]
	scratch_store_dwordx4 off, v[72:75], off offset:128 ; 16-byte Folded Spill
	s_nop 0
	scratch_store_dwordx4 off, v[76:79], off offset:144 ; 16-byte Folded Spill
	scratch_store_dwordx4 off, v[80:83], off offset:160 ; 16-byte Folded Spill
	;; [unrolled: 1-line block ×7, first 2 shown]
	s_waitcnt lgkmcnt(0)
	v_fma_f32 v21, -v138, v4, v253
	v_mov_b32_e32 v20, v255
	v_mov_b32_e32 v4, v41
	;; [unrolled: 1-line block ×11, first 2 shown]
	scratch_store_dwordx4 off, v[136:139], off offset:1680 ; 16-byte Folded Spill
	s_waitcnt vmcnt(62)
	scratch_store_dwordx4 off, v[140:143], off offset:1696 ; 16-byte Folded Spill
	scratch_store_dwordx4 off, v[144:147], off offset:1712 ; 16-byte Folded Spill
	;; [unrolled: 1-line block ×7, first 2 shown]
	v_mov_b32_e32 v253, v21
	v_mov_b32_e32 v83, v44
	;; [unrolled: 1-line block ×7, first 2 shown]
	scratch_store_dwordx4 off, v[20:23], off ; 16-byte Folded Spill
	s_nop 0
	scratch_store_dwordx4 off, v[24:27], off offset:16 ; 16-byte Folded Spill
	scratch_store_dwordx4 off, v[28:31], off offset:32 ; 16-byte Folded Spill
	;; [unrolled: 1-line block ×7, first 2 shown]
	v_mov_b32_e32 v19, v254
	scratch_load_dword v254, off, off offset:1156 ; 4-byte Folded Reload
	v_mov_b32_e32 v15, v52
	v_mov_b32_e32 v16, v53
	;; [unrolled: 1-line block ×6, first 2 shown]
.LBB42_49:
	s_or_b64 exec, exec, s[0:1]
	v_lshl_add_u32 v39, v251, 2, v250
	s_waitcnt vmcnt(63) expcnt(7) lgkmcnt(15)
	s_barrier
	ds_write_b32 v39, v57
	s_waitcnt lgkmcnt(0)
	s_barrier
	ds_read_b32 v39, v250 offset:12
	s_cmp_lt_i32 s22, 5
	v_mov_b32_e32 v40, 3
	s_cbranch_scc1 .LBB42_52
; %bb.50:
	s_waitcnt vmcnt(0)
	v_add3_u32 v41, v254, 0, 16
	v_mov_b32_e32 v40, 3
	s_mov_b32 s0, 4
.LBB42_51:                              ; =>This Inner Loop Header: Depth=1
	ds_read_b32 v42, v41
	v_add_u32_e32 v41, 4, v41
	s_waitcnt lgkmcnt(0)
	v_cmp_lt_f32_e64 vcc, |v39|, |v42|
	s_nop 1
	v_cndmask_b32_e32 v39, v39, v42, vcc
	v_mov_b32_e32 v42, s0
	s_add_i32 s0, s0, 1
	v_cndmask_b32_e32 v40, v40, v42, vcc
	s_cmp_lg_u32 s22, s0
	s_cbranch_scc1 .LBB42_51
.LBB42_52:
	s_waitcnt lgkmcnt(0)
	v_cmp_eq_f32_e32 vcc, 0, v39
	s_and_saveexec_b64 s[0:1], vcc
	s_xor_b64 s[0:1], exec, s[0:1]
; %bb.53:
	v_cmp_ne_u32_e32 vcc, 0, v252
	s_nop 1
	v_cndmask_b32_e32 v252, 4, v252, vcc
; %bb.54:
	s_andn2_saveexec_b64 s[0:1], s[0:1]
	s_cbranch_execz .LBB42_56
; %bb.55:
	v_div_scale_f32 v41, s[2:3], v39, v39, 1.0
	v_rcp_f32_e32 v42, v41
	v_div_scale_f32 v43, vcc, 1.0, v39, 1.0
	v_fma_f32 v44, -v41, v42, 1.0
	v_fmac_f32_e32 v42, v44, v42
	v_mul_f32_e32 v44, v43, v42
	v_fma_f32 v45, -v41, v44, v43
	v_fmac_f32_e32 v44, v45, v42
	v_fma_f32 v41, -v41, v44, v43
	v_div_fmas_f32 v41, v41, v42, v44
	v_div_fixup_f32 v39, v41, v39, 1.0
.LBB42_56:
	s_or_b64 exec, exec, s[0:1]
	v_cmp_ne_u32_e32 vcc, v251, v40
	s_and_saveexec_b64 s[0:1], vcc
	s_xor_b64 s[0:1], exec, s[0:1]
	s_cbranch_execz .LBB42_62
; %bb.57:
	v_cmp_eq_u32_e32 vcc, 3, v251
	s_and_saveexec_b64 s[2:3], vcc
	s_cbranch_execz .LBB42_61
; %bb.58:
	v_cmp_ne_u32_e32 vcc, 3, v40
	s_xor_b64 s[18:19], s[16:17], -1
	s_and_b64 s[20:21], s[18:19], vcc
	s_and_saveexec_b64 s[18:19], s[20:21]
	s_cbranch_execz .LBB42_60
; %bb.59:
	scratch_load_dwordx2 v[46:47], off, off offset:1416 ; 8-byte Folded Reload
	v_ashrrev_i32_e32 v41, 31, v40
	s_waitcnt vmcnt(0)
	v_lshl_add_u64 v[42:43], v[40:41], 2, v[46:47]
	global_load_dword v41, v[42:43], off
	global_load_dword v44, v[46:47], off offset:12
	s_waitcnt vmcnt(1)
	global_store_dword v[46:47], v41, off offset:12
	s_waitcnt vmcnt(1)
	global_store_dword v[42:43], v44, off
.LBB42_60:
	s_or_b64 exec, exec, s[18:19]
	v_mov_b32_e32 v41, v40
	v_mov_b32_e32 v251, v40
	scratch_store_dword off, v41, off offset:640 ; 4-byte Folded Spill
.LBB42_61:
	s_or_b64 exec, exec, s[2:3]
.LBB42_62:
	s_andn2_saveexec_b64 s[0:1], s[0:1]
	s_cbranch_execz .LBB42_64
; %bb.63:
	v_mov_b32_e32 v251, 3
	ds_write2_b32 v250, v4, v5 offset0:4 offset1:5
	ds_write2_b32 v250, v6, v7 offset0:6 offset1:7
	;; [unrolled: 1-line block ×9, first 2 shown]
.LBB42_64:
	s_or_b64 exec, exec, s[0:1]
	v_cmp_lt_i32_e32 vcc, 3, v251
	s_waitcnt lgkmcnt(0)
	s_barrier
	s_and_saveexec_b64 s[0:1], vcc
	s_cbranch_execz .LBB42_66
; %bb.65:
	ds_read2_b32 v[2:3], v250 offset0:4 offset1:5
	ds_read2_b32 v[22:23], v250 offset0:6 offset1:7
	;; [unrolled: 1-line block ×5, first 2 shown]
	v_mul_f32_e32 v0, v57, v39
	s_waitcnt lgkmcnt(4)
	v_pk_fma_f32 v[84:85], v[0:1], v[2:3], v[4:5] op_sel_hi:[0,1,1] neg_lo:[1,0,0] neg_hi:[1,0,0]
	s_waitcnt lgkmcnt(3)
	v_pk_fma_f32 v[112:113], v[0:1], v[22:23], v[6:7] op_sel_hi:[0,1,1] neg_lo:[1,0,0] neg_hi:[1,0,0]
	;; [unrolled: 2-line block ×3, first 2 shown]
	v_mov_b32_e32 v2, v136
	v_mov_b32_e32 v3, v137
	;; [unrolled: 1-line block ×6, first 2 shown]
	v_pk_fma_f32 v[78:79], v[0:1], v[24:25], v[8:9] op_sel_hi:[0,1,1] neg_lo:[1,0,0] neg_hi:[1,0,0]
	scratch_store_dwordx4 off, v[2:5], off offset:1424 ; 16-byte Folded Spill
	s_nop 0
	scratch_store_dwordx4 off, v[6:9], off offset:1440 ; 16-byte Folded Spill
	scratch_store_dwordx4 off, v[10:13], off offset:1456 ; 16-byte Folded Spill
	scratch_store_dwordx4 off, v[14:17], off offset:1472 ; 16-byte Folded Spill
	scratch_store_dwordx4 off, v[18:21], off offset:1488 ; 16-byte Folded Spill
	scratch_store_dwordx4 off, v[22:25], off offset:1504 ; 16-byte Folded Spill
	s_waitcnt lgkmcnt(0)
	scratch_store_dwordx4 off, v[26:29], off offset:1520 ; 16-byte Folded Spill
	scratch_store_dwordx4 off, v[30:33], off offset:1536 ; 16-byte Folded Spill
	v_mov_b32_e32 v8, v112
	v_mov_b32_e32 v9, v113
	;; [unrolled: 1-line block ×9, first 2 shown]
	v_mov_b64_e32 v[86:87], v[136:137]
	v_mov_b32_e32 v106, v136
	v_mov_b32_e32 v107, v137
	;; [unrolled: 1-line block ×6, first 2 shown]
	v_mov_b64_e32 v[88:89], v[138:139]
	v_mov_b32_e32 v83, v0
	v_mov_b32_e32 v73, v0
	;; [unrolled: 1-line block ×12, first 2 shown]
	s_waitcnt vmcnt(15)
	v_mov_b32_e32 v217, v0
	v_mov_b32_e32 v214, v86
	v_mov_b32_e32 v215, v87
	v_mov_b32_e32 v216, v88
	s_waitcnt vmcnt(14)
	v_mov_b32_e32 v220, v112
	v_mov_b32_e32 v221, v113
	;; [unrolled: 1-line block ×29, first 2 shown]
	s_waitcnt vmcnt(13)
	v_mov_b32_e32 v222, v78
	v_mov_b32_e32 v223, v79
	;; [unrolled: 1-line block ×3, first 2 shown]
	scratch_store_dwordx4 off, v[2:5], off offset:1160 ; 16-byte Folded Spill
	s_nop 0
	scratch_store_dwordx4 off, v[6:9], off offset:1176 ; 16-byte Folded Spill
	scratch_store_dwordx4 off, v[10:13], off offset:1192 ; 16-byte Folded Spill
	;; [unrolled: 1-line block ×7, first 2 shown]
	s_nop 1
	v_mov_b32_e32 v30, v136
	v_mov_b32_e32 v31, v137
	;; [unrolled: 1-line block ×4, first 2 shown]
	scratch_store_dwordx4 off, v[30:33], off offset:900 ; 16-byte Folded Spill
	s_nop 0
	scratch_store_dwordx4 off, v[34:37], off offset:916 ; 16-byte Folded Spill
	scratch_store_dwordx4 off, v[38:41], off offset:932 ; 16-byte Folded Spill
	;; [unrolled: 1-line block ×7, first 2 shown]
	v_mov_b32_e32 v40, v136
	v_mov_b32_e32 v41, v137
	;; [unrolled: 1-line block ×27, first 2 shown]
	v_pk_fma_f32 v[50:51], v[0:1], v[28:29], v[10:11] op_sel_hi:[0,1,1] neg_lo:[1,0,0] neg_hi:[1,0,0]
	v_mov_b32_e32 v28, v112
	v_mov_b32_e32 v29, v113
	;; [unrolled: 1-line block ×4, first 2 shown]
	scratch_store_dwordx4 off, v[22:25], off offset:644 ; 16-byte Folded Spill
	s_nop 0
	scratch_store_dwordx4 off, v[26:29], off offset:660 ; 16-byte Folded Spill
	scratch_store_dwordx4 off, v[30:33], off offset:676 ; 16-byte Folded Spill
	;; [unrolled: 1-line block ×7, first 2 shown]
	ds_read2_b32 v[2:3], v250 offset0:12 offset1:13
	ds_read2_b32 v[4:5], v250 offset0:14 offset1:15
	;; [unrolled: 1-line block ×4, first 2 shown]
	v_mov_b32_e32 v255, v20
	s_waitcnt lgkmcnt(3)
	v_pk_fma_f32 v[194:195], v[0:1], v[2:3], v[12:13] op_sel_hi:[0,1,1] neg_lo:[1,0,0] neg_hi:[1,0,0]
	v_mov_b32_e32 v34, v194
	v_mov_b32_e32 v35, v195
	s_waitcnt lgkmcnt(2)
	v_pk_fma_f32 v[66:67], v[0:1], v[4:5], v[14:15] op_sel_hi:[0,1,1] neg_lo:[1,0,0] neg_hi:[1,0,0]
	s_waitcnt lgkmcnt(0)
	v_pk_fma_f32 v[154:155], v[0:1], v[8:9], v[18:19] op_sel_hi:[0,1,1] neg_lo:[1,0,0] neg_hi:[1,0,0]
	v_mov_b32_e32 v3, v0
	v_mov_b32_e32 v2, v88
	v_mov_b32_e32 v4, v84
	v_mov_b32_e32 v5, v85
	v_mov_b32_e32 v130, v194
	v_mov_b32_e32 v131, v195
	v_mov_b32_e32 v132, v66
	v_mov_b32_e32 v133, v67
	v_mov_b32_e32 v8, v78
	v_mov_b32_e32 v9, v79
	v_mov_b32_e32 v64, v194
	v_mov_b32_e32 v65, v195
	v_mov_b32_e32 v150, v66
	v_mov_b32_e32 v151, v67
	s_waitcnt vmcnt(36)
	v_mov_b32_e32 v228, v66
	v_mov_b32_e32 v229, v67
	;; [unrolled: 1-line block ×6, first 2 shown]
	s_waitcnt vmcnt(35)
	v_mov_b32_e32 v232, v154
	v_mov_b32_e32 v233, v155
	;; [unrolled: 1-line block ×11, first 2 shown]
	scratch_store_dwordx4 off, v[22:25], off offset:512 ; 16-byte Folded Spill
	s_nop 0
	scratch_store_dwordx4 off, v[26:29], off offset:528 ; 16-byte Folded Spill
	scratch_store_dwordx4 off, v[30:33], off offset:544 ; 16-byte Folded Spill
	;; [unrolled: 1-line block ×7, first 2 shown]
	v_mov_b32_e32 v36, v66
	v_mov_b32_e32 v37, v67
	;; [unrolled: 1-line block ×6, first 2 shown]
	scratch_store_dwordx4 off, v[22:25], off offset:384 ; 16-byte Folded Spill
	s_nop 0
	scratch_store_dwordx4 off, v[26:29], off offset:400 ; 16-byte Folded Spill
	scratch_store_dwordx4 off, v[30:33], off offset:416 ; 16-byte Folded Spill
	;; [unrolled: 1-line block ×7, first 2 shown]
	v_pk_fma_f32 v[38:39], v[0:1], v[6:7], v[16:17] op_sel_hi:[0,1,1] neg_lo:[1,0,0] neg_hi:[1,0,0]
	v_mov_b32_e32 v0, v86
	v_mov_b32_e32 v1, v87
	;; [unrolled: 1-line block ×4, first 2 shown]
	scratch_store_dwordx4 off, v[86:89], off offset:1680 ; 16-byte Folded Spill
	s_nop 0
	scratch_store_dwordx4 off, v[90:93], off offset:1696 ; 16-byte Folded Spill
	scratch_store_dwordx4 off, v[94:97], off offset:1712 ; 16-byte Folded Spill
	scratch_store_dwordx4 off, v[98:101], off offset:1728 ; 16-byte Folded Spill
	scratch_store_dwordx4 off, v[102:105], off offset:1744 ; 16-byte Folded Spill
	scratch_store_dwordx4 off, v[106:109], off offset:1760 ; 16-byte Folded Spill
	scratch_store_dwordx4 off, v[110:113], off offset:1776 ; 16-byte Folded Spill
	scratch_store_dwordx4 off, v[114:117], off offset:1792 ; 16-byte Folded Spill
	v_mov_b32_e32 v134, v38
	v_mov_b32_e32 v135, v39
	;; [unrolled: 1-line block ×9, first 2 shown]
	scratch_store_dwordx4 off, v[80:83], off offset:1552 ; 16-byte Folded Spill
	s_nop 0
	scratch_store_dwordx4 off, v[84:87], off offset:1568 ; 16-byte Folded Spill
	scratch_store_dwordx4 off, v[88:91], off offset:1584 ; 16-byte Folded Spill
	;; [unrolled: 1-line block ×7, first 2 shown]
	v_mov_b32_e32 v128, v50
	v_mov_b32_e32 v129, v51
	;; [unrolled: 1-line block ×10, first 2 shown]
	scratch_store_dwordx4 off, v[106:109], off offset:1288 ; 16-byte Folded Spill
	s_nop 0
	scratch_store_dwordx4 off, v[110:113], off offset:1304 ; 16-byte Folded Spill
	scratch_store_dwordx4 off, v[114:117], off offset:1320 ; 16-byte Folded Spill
	;; [unrolled: 1-line block ×7, first 2 shown]
	v_mov_b32_e32 v181, v85
	v_mov_b32_e32 v108, v154
	;; [unrolled: 1-line block ×3, first 2 shown]
	scratch_store_dwordx4 off, v[70:73], off offset:1028 ; 16-byte Folded Spill
	s_nop 0
	scratch_store_dwordx4 off, v[74:77], off offset:1044 ; 16-byte Folded Spill
	scratch_store_dwordx4 off, v[78:81], off offset:1060 ; 16-byte Folded Spill
	;; [unrolled: 1-line block ×7, first 2 shown]
	v_mov_b32_e32 v72, v194
	v_mov_b32_e32 v73, v195
	;; [unrolled: 1-line block ×3, first 2 shown]
	scratch_store_dwordx4 off, v[40:43], off offset:772 ; 16-byte Folded Spill
	s_nop 0
	scratch_store_dwordx4 off, v[44:47], off offset:788 ; 16-byte Folded Spill
	scratch_store_dwordx4 off, v[48:51], off offset:804 ; 16-byte Folded Spill
	;; [unrolled: 1-line block ×7, first 2 shown]
	v_mov_b32_e32 v175, v79
	v_mov_b32_e32 v98, v66
	scratch_store_dwordx4 off, v[52:55], off offset:256 ; 16-byte Folded Spill
	s_nop 0
	scratch_store_dwordx4 off, v[56:59], off offset:272 ; 16-byte Folded Spill
	scratch_store_dwordx4 off, v[60:63], off offset:288 ; 16-byte Folded Spill
	;; [unrolled: 1-line block ×8, first 2 shown]
	s_nop 0
	scratch_store_dwordx4 off, v[140:143], off offset:144 ; 16-byte Folded Spill
	scratch_store_dwordx4 off, v[144:147], off offset:160 ; 16-byte Folded Spill
	;; [unrolled: 1-line block ×7, first 2 shown]
	v_mov_b32_e32 v95, v51
	v_mov_b32_e32 v59, v39
	;; [unrolled: 1-line block ×4, first 2 shown]
	scratch_store_dwordx4 off, v[86:89], off ; 16-byte Folded Spill
	s_nop 0
	scratch_store_dwordx4 off, v[90:93], off offset:16 ; 16-byte Folded Spill
	scratch_store_dwordx4 off, v[94:97], off offset:32 ; 16-byte Folded Spill
	;; [unrolled: 1-line block ×7, first 2 shown]
.LBB42_66:
	s_or_b64 exec, exec, s[0:1]
	v_lshl_add_u32 v39, v251, 2, v250
	s_waitcnt vmcnt(63) expcnt(7) lgkmcnt(15)
	s_barrier
	ds_write_b32 v39, v114
	s_waitcnt lgkmcnt(0)
	s_barrier
	ds_read_b32 v39, v250 offset:16
	s_cmp_lt_i32 s22, 6
	v_mov_b32_e32 v40, 4
	s_cbranch_scc1 .LBB42_375
; %bb.67:
	s_waitcnt vmcnt(0)
	v_add3_u32 v41, v254, 0, 20
	v_mov_b32_e32 v40, 4
	s_mov_b32 s0, 5
	v_mov_b32_e32 v55, v175
.LBB42_68:                              ; =>This Inner Loop Header: Depth=1
	ds_read_b32 v42, v41
	v_add_u32_e32 v41, 4, v41
	s_waitcnt lgkmcnt(0)
	v_cmp_lt_f32_e64 vcc, |v39|, |v42|
	s_nop 1
	v_cndmask_b32_e32 v39, v39, v42, vcc
	v_mov_b32_e32 v42, s0
	s_add_i32 s0, s0, 1
	v_cndmask_b32_e32 v40, v40, v42, vcc
	s_cmp_lg_u32 s22, s0
	s_cbranch_scc1 .LBB42_68
; %bb.69:
	v_cmp_eq_f32_e32 vcc, 0, v39
	s_and_saveexec_b64 s[0:1], vcc
	s_xor_b64 s[0:1], exec, s[0:1]
.LBB42_70:
	v_cmp_ne_u32_e32 vcc, 0, v252
	s_nop 1
	v_cndmask_b32_e32 v252, 5, v252, vcc
.LBB42_71:
	s_andn2_saveexec_b64 s[0:1], s[0:1]
	s_cbranch_execz .LBB42_73
; %bb.72:
	v_div_scale_f32 v41, s[2:3], v39, v39, 1.0
	v_rcp_f32_e32 v42, v41
	v_div_scale_f32 v43, vcc, 1.0, v39, 1.0
	v_fma_f32 v44, -v41, v42, 1.0
	v_fmac_f32_e32 v42, v44, v42
	v_mul_f32_e32 v44, v43, v42
	v_fma_f32 v45, -v41, v44, v43
	v_fmac_f32_e32 v44, v45, v42
	v_fma_f32 v41, -v41, v44, v43
	v_div_fmas_f32 v41, v41, v42, v44
	v_div_fixup_f32 v39, v41, v39, 1.0
.LBB42_73:
	s_or_b64 exec, exec, s[0:1]
	v_cmp_ne_u32_e32 vcc, v251, v40
	s_and_saveexec_b64 s[0:1], vcc
	s_xor_b64 s[0:1], exec, s[0:1]
	s_cbranch_execz .LBB42_79
; %bb.74:
	v_cmp_eq_u32_e32 vcc, 4, v251
	s_and_saveexec_b64 s[2:3], vcc
	s_cbranch_execz .LBB42_78
; %bb.75:
	v_cmp_ne_u32_e32 vcc, 4, v40
	s_xor_b64 s[18:19], s[16:17], -1
	s_and_b64 s[20:21], s[18:19], vcc
	s_and_saveexec_b64 s[18:19], s[20:21]
	s_cbranch_execz .LBB42_77
; %bb.76:
	scratch_load_dwordx2 v[46:47], off, off offset:1416 ; 8-byte Folded Reload
	v_ashrrev_i32_e32 v41, 31, v40
	s_waitcnt vmcnt(0)
	v_lshl_add_u64 v[42:43], v[40:41], 2, v[46:47]
	global_load_dword v41, v[42:43], off
	global_load_dword v44, v[46:47], off offset:16
	s_waitcnt vmcnt(1)
	global_store_dword v[46:47], v41, off offset:16
	s_waitcnt vmcnt(1)
	global_store_dword v[42:43], v44, off
.LBB42_77:
	s_or_b64 exec, exec, s[18:19]
	v_mov_b32_e32 v41, v40
	v_mov_b32_e32 v251, v40
	scratch_store_dword off, v41, off offset:640 ; 4-byte Folded Spill
.LBB42_78:
	s_or_b64 exec, exec, s[2:3]
.LBB42_79:
	s_andn2_saveexec_b64 s[0:1], s[0:1]
	s_cbranch_execz .LBB42_81
; %bb.80:
	v_mov_b32_e32 v251, 4
	ds_write2_b32 v250, v5, v6 offset0:5 offset1:6
	ds_write2_b32 v250, v7, v8 offset0:7 offset1:8
	;; [unrolled: 1-line block ×8, first 2 shown]
	ds_write_b32 v250, v253 offset:84
.LBB42_81:
	s_or_b64 exec, exec, s[0:1]
	v_cmp_lt_i32_e32 vcc, 4, v251
	s_waitcnt lgkmcnt(0)
	s_barrier
	s_and_saveexec_b64 s[0:1], vcc
	s_cbranch_execz .LBB42_83
; %bb.82:
	scratch_load_dwordx4 v[54:57], off, off offset:1680 ; 16-byte Folded Reload
	scratch_load_dwordx4 v[58:61], off, off offset:1696 ; 16-byte Folded Reload
	;; [unrolled: 1-line block ×8, first 2 shown]
	ds_read2_b32 v[0:1], v250 offset0:5 offset1:6
	v_mov_b32_e32 v2, v5
	ds_read2_b32 v[4:5], v250 offset0:7 offset1:8
	ds_read2_b32 v[22:23], v250 offset0:9 offset1:10
	;; [unrolled: 1-line block ×3, first 2 shown]
	s_waitcnt vmcnt(6)
	v_mul_f32_e32 v58, v114, v39
	v_mov_b32_e32 v3, v6
	v_mov_b32_e32 v186, v58
	;; [unrolled: 1-line block ×5, first 2 shown]
	s_waitcnt lgkmcnt(3)
	v_pk_fma_f32 v[40:41], v[58:59], v[0:1], v[2:3] op_sel_hi:[0,1,1] neg_lo:[1,0,0] neg_hi:[1,0,0]
	v_mov_b32_e32 v0, v7
	v_mov_b32_e32 v1, v8
	s_waitcnt lgkmcnt(2)
	v_pk_fma_f32 v[42:43], v[58:59], v[4:5], v[0:1] op_sel_hi:[0,1,1] neg_lo:[1,0,0] neg_hi:[1,0,0]
	v_mov_b32_e32 v0, v9
	v_mov_b32_e32 v1, v10
	s_waitcnt lgkmcnt(1)
	v_pk_fma_f32 v[44:45], v[58:59], v[22:23], v[0:1] op_sel_hi:[0,1,1] neg_lo:[1,0,0] neg_hi:[1,0,0]
	v_mov_b32_e32 v0, v11
	v_mov_b32_e32 v1, v12
	s_waitcnt lgkmcnt(0)
	v_pk_fma_f32 v[46:47], v[58:59], v[24:25], v[0:1] op_sel_hi:[0,1,1] neg_lo:[1,0,0] neg_hi:[1,0,0]
	ds_read2_b32 v[0:1], v250 offset0:13 offset1:14
	ds_read2_b32 v[4:5], v250 offset0:15 offset1:16
	;; [unrolled: 1-line block ×4, first 2 shown]
	v_mov_b32_e32 v2, v13
	v_mov_b32_e32 v3, v14
	v_mov_b32_e32 v183, v55
	s_waitcnt lgkmcnt(3)
	v_pk_fma_f32 v[48:49], v[58:59], v[0:1], v[2:3] op_sel_hi:[0,1,1] neg_lo:[1,0,0] neg_hi:[1,0,0]
	v_mov_b32_e32 v0, v15
	v_mov_b32_e32 v1, v16
	s_waitcnt lgkmcnt(2)
	v_pk_fma_f32 v[50:51], v[58:59], v[4:5], v[0:1] op_sel_hi:[0,1,1] neg_lo:[1,0,0] neg_hi:[1,0,0]
	v_mov_b32_e32 v0, v17
	v_mov_b32_e32 v1, v18
	;; [unrolled: 4-line block ×4, first 2 shown]
	v_mov_b32_e32 v2, v56
	v_mov_b32_e32 v3, v57
	;; [unrolled: 1-line block ×5, first 2 shown]
	scratch_store_dwordx4 off, v[0:3], off offset:1288 ; 16-byte Folded Spill
	s_nop 0
	scratch_store_dwordx4 off, v[4:7], off offset:1304 ; 16-byte Folded Spill
	scratch_store_dwordx4 off, v[8:11], off offset:1320 ; 16-byte Folded Spill
	;; [unrolled: 1-line block ×7, first 2 shown]
	v_mov_b32_e32 v7, v42
	v_mov_b32_e32 v59, v40
	;; [unrolled: 1-line block ×52, first 2 shown]
	scratch_store_dwordx4 off, v[0:3], off offset:1160 ; 16-byte Folded Spill
	s_nop 0
	scratch_store_dwordx4 off, v[4:7], off offset:1176 ; 16-byte Folded Spill
	scratch_store_dwordx4 off, v[8:11], off offset:1192 ; 16-byte Folded Spill
	;; [unrolled: 1-line block ×7, first 2 shown]
	v_mov_b32_e32 v8, v43
	v_mov_b32_e32 v181, v40
	;; [unrolled: 1-line block ×13, first 2 shown]
	scratch_store_dwordx4 off, v[0:3], off offset:1028 ; 16-byte Folded Spill
	s_nop 0
	scratch_store_dwordx4 off, v[4:7], off offset:1044 ; 16-byte Folded Spill
	scratch_store_dwordx4 off, v[8:11], off offset:1060 ; 16-byte Folded Spill
	scratch_store_dwordx4 off, v[12:15], off offset:1076 ; 16-byte Folded Spill
	scratch_store_dwordx4 off, v[16:19], off offset:1092 ; 16-byte Folded Spill
	scratch_store_dwordx4 off, v[20:23], off offset:1108 ; 16-byte Folded Spill
	scratch_store_dwordx4 off, v[24:27], off offset:1124 ; 16-byte Folded Spill
	scratch_store_dwordx4 off, v[28:31], off offset:1140 ; 16-byte Folded Spill
	v_mov_b32_e32 v9, v44
	scratch_store_dwordx4 off, v[0:3], off offset:900 ; 16-byte Folded Spill
	s_nop 0
	scratch_store_dwordx4 off, v[4:7], off offset:916 ; 16-byte Folded Spill
	scratch_store_dwordx4 off, v[8:11], off offset:932 ; 16-byte Folded Spill
	scratch_store_dwordx4 off, v[12:15], off offset:948 ; 16-byte Folded Spill
	scratch_store_dwordx4 off, v[16:19], off offset:964 ; 16-byte Folded Spill
	scratch_store_dwordx4 off, v[20:23], off offset:980 ; 16-byte Folded Spill
	scratch_store_dwordx4 off, v[24:27], off offset:996 ; 16-byte Folded Spill
	scratch_store_dwordx4 off, v[28:31], off offset:1012 ; 16-byte Folded Spill
	v_mov_b32_e32 v10, v45
	scratch_store_dwordx4 off, v[0:3], off offset:772 ; 16-byte Folded Spill
	s_nop 0
	scratch_store_dwordx4 off, v[4:7], off offset:788 ; 16-byte Folded Spill
	scratch_store_dwordx4 off, v[8:11], off offset:804 ; 16-byte Folded Spill
	scratch_store_dwordx4 off, v[12:15], off offset:820 ; 16-byte Folded Spill
	scratch_store_dwordx4 off, v[16:19], off offset:836 ; 16-byte Folded Spill
	scratch_store_dwordx4 off, v[20:23], off offset:852 ; 16-byte Folded Spill
	scratch_store_dwordx4 off, v[24:27], off offset:868 ; 16-byte Folded Spill
	scratch_store_dwordx4 off, v[28:31], off offset:884 ; 16-byte Folded Spill
	v_mov_b32_e32 v11, v46
	scratch_store_dwordx4 off, v[0:3], off offset:644 ; 16-byte Folded Spill
	s_nop 0
	scratch_store_dwordx4 off, v[4:7], off offset:660 ; 16-byte Folded Spill
	scratch_store_dwordx4 off, v[8:11], off offset:676 ; 16-byte Folded Spill
	scratch_store_dwordx4 off, v[12:15], off offset:692 ; 16-byte Folded Spill
	scratch_store_dwordx4 off, v[16:19], off offset:708 ; 16-byte Folded Spill
	scratch_store_dwordx4 off, v[20:23], off offset:724 ; 16-byte Folded Spill
	scratch_store_dwordx4 off, v[24:27], off offset:740 ; 16-byte Folded Spill
	scratch_store_dwordx4 off, v[28:31], off offset:756 ; 16-byte Folded Spill
	v_mov_b32_e32 v12, v47
	v_mov_b32_e32 v13, v48
	scratch_store_dwordx4 off, v[0:3], off offset:512 ; 16-byte Folded Spill
	s_nop 0
	scratch_store_dwordx4 off, v[4:7], off offset:528 ; 16-byte Folded Spill
	scratch_store_dwordx4 off, v[8:11], off offset:544 ; 16-byte Folded Spill
	scratch_store_dwordx4 off, v[12:15], off offset:560 ; 16-byte Folded Spill
	scratch_store_dwordx4 off, v[16:19], off offset:576 ; 16-byte Folded Spill
	scratch_store_dwordx4 off, v[20:23], off offset:592 ; 16-byte Folded Spill
	scratch_store_dwordx4 off, v[24:27], off offset:608 ; 16-byte Folded Spill
	scratch_store_dwordx4 off, v[28:31], off offset:624 ; 16-byte Folded Spill
	v_mov_b32_e32 v14, v49
	scratch_store_dwordx4 off, v[0:3], off offset:256 ; 16-byte Folded Spill
	s_nop 0
	scratch_store_dwordx4 off, v[4:7], off offset:272 ; 16-byte Folded Spill
	scratch_store_dwordx4 off, v[8:11], off offset:288 ; 16-byte Folded Spill
	scratch_store_dwordx4 off, v[12:15], off offset:304 ; 16-byte Folded Spill
	scratch_store_dwordx4 off, v[16:19], off offset:320 ; 16-byte Folded Spill
	scratch_store_dwordx4 off, v[20:23], off offset:336 ; 16-byte Folded Spill
	scratch_store_dwordx4 off, v[24:27], off offset:352 ; 16-byte Folded Spill
	scratch_store_dwordx4 off, v[28:31], off offset:368 ; 16-byte Folded Spill
	;; [unrolled: 10-line block ×3, first 2 shown]
	v_mov_b32_e32 v22, v54
	v_mov_b32_e32 v23, v55
	;; [unrolled: 1-line block ×13, first 2 shown]
	scratch_store_dwordx4 off, v[0:3], off offset:128 ; 16-byte Folded Spill
	s_nop 0
	scratch_store_dwordx4 off, v[4:7], off offset:144 ; 16-byte Folded Spill
	scratch_store_dwordx4 off, v[8:11], off offset:160 ; 16-byte Folded Spill
	;; [unrolled: 1-line block ×7, first 2 shown]
	ds_read_b32 v0, v250 offset:84
	v_mov_b32_e32 v20, v255
	v_mov_b32_e32 v19, v254
	s_waitcnt lgkmcnt(0)
	v_fma_f32 v21, -v58, v0, v253
	v_mov_b32_e32 v0, v54
	scratch_store_dwordx4 off, v[54:57], off offset:1424 ; 16-byte Folded Spill
	s_nop 0
	scratch_store_dwordx4 off, v[58:61], off offset:1440 ; 16-byte Folded Spill
	s_waitcnt vmcnt(62)
	scratch_store_dwordx4 off, v[62:65], off offset:1456 ; 16-byte Folded Spill
	scratch_store_dwordx4 off, v[66:69], off offset:1472 ; 16-byte Folded Spill
	;; [unrolled: 1-line block ×7, first 2 shown]
	s_nop 0
	scratch_store_dwordx4 off, v[58:61], off offset:1568 ; 16-byte Folded Spill
	scratch_store_dwordx4 off, v[62:65], off offset:1584 ; 16-byte Folded Spill
	scratch_store_dwordx4 off, v[66:69], off offset:1600 ; 16-byte Folded Spill
	scratch_store_dwordx4 off, v[70:73], off offset:1616 ; 16-byte Folded Spill
	scratch_store_dwordx4 off, v[74:77], off offset:1632 ; 16-byte Folded Spill
	scratch_store_dwordx4 off, v[78:81], off offset:1648 ; 16-byte Folded Spill
	scratch_store_dwordx4 off, v[82:85], off offset:1664 ; 16-byte Folded Spill
	v_mov_b32_e32 v253, v21
	v_mov_b32_e32 v68, v41
	;; [unrolled: 1-line block ×7, first 2 shown]
	scratch_store_dwordx4 off, v[20:23], off ; 16-byte Folded Spill
	s_nop 0
	scratch_store_dwordx4 off, v[24:27], off offset:16 ; 16-byte Folded Spill
	scratch_store_dwordx4 off, v[28:31], off offset:32 ; 16-byte Folded Spill
	;; [unrolled: 1-line block ×7, first 2 shown]
	scratch_load_dword v254, off, off offset:1156 ; 4-byte Folded Reload
.LBB42_83:
	s_or_b64 exec, exec, s[0:1]
	v_lshl_add_u32 v39, v251, 2, v250
	s_waitcnt vmcnt(63) expcnt(7) lgkmcnt(15)
	s_barrier
	ds_write_b32 v39, v181
	s_waitcnt lgkmcnt(0)
	s_barrier
	ds_read_b32 v39, v250 offset:20
	s_cmp_lt_i32 s22, 7
	v_mov_b32_e32 v40, 5
	s_cbranch_scc1 .LBB42_86
; %bb.84:
	s_waitcnt vmcnt(0)
	v_add3_u32 v41, v254, 0, 24
	v_mov_b32_e32 v40, 5
	s_mov_b32 s0, 6
.LBB42_85:                              ; =>This Inner Loop Header: Depth=1
	ds_read_b32 v42, v41
	v_mov_b32_e32 v43, s0
	s_add_i32 s0, s0, 1
	v_add_u32_e32 v41, 4, v41
	s_cmp_lg_u32 s22, s0
	s_waitcnt lgkmcnt(0)
	v_cmp_lt_f32_e64 vcc, |v39|, |v42|
	s_nop 1
	v_cndmask_b32_e32 v39, v39, v42, vcc
	v_cndmask_b32_e32 v40, v40, v43, vcc
	s_cbranch_scc1 .LBB42_85
.LBB42_86:
	s_waitcnt lgkmcnt(0)
	v_cmp_eq_f32_e32 vcc, 0, v39
	s_and_saveexec_b64 s[0:1], vcc
	s_xor_b64 s[0:1], exec, s[0:1]
; %bb.87:
	v_cmp_ne_u32_e32 vcc, 0, v252
	s_nop 1
	v_cndmask_b32_e32 v252, 6, v252, vcc
; %bb.88:
	s_andn2_saveexec_b64 s[0:1], s[0:1]
	s_cbranch_execz .LBB42_90
; %bb.89:
	v_div_scale_f32 v41, s[2:3], v39, v39, 1.0
	v_rcp_f32_e32 v42, v41
	v_div_scale_f32 v43, vcc, 1.0, v39, 1.0
	v_fma_f32 v44, -v41, v42, 1.0
	v_fmac_f32_e32 v42, v44, v42
	v_mul_f32_e32 v44, v43, v42
	v_fma_f32 v45, -v41, v44, v43
	v_fmac_f32_e32 v44, v45, v42
	v_fma_f32 v41, -v41, v44, v43
	v_div_fmas_f32 v41, v41, v42, v44
	v_div_fixup_f32 v39, v41, v39, 1.0
.LBB42_90:
	s_or_b64 exec, exec, s[0:1]
	v_cmp_ne_u32_e32 vcc, v251, v40
	s_and_saveexec_b64 s[0:1], vcc
	s_xor_b64 s[0:1], exec, s[0:1]
	s_cbranch_execz .LBB42_96
; %bb.91:
	v_cmp_eq_u32_e32 vcc, 5, v251
	s_and_saveexec_b64 s[2:3], vcc
	s_cbranch_execz .LBB42_95
; %bb.92:
	v_cmp_ne_u32_e32 vcc, 5, v40
	s_xor_b64 s[18:19], s[16:17], -1
	s_and_b64 s[20:21], s[18:19], vcc
	s_and_saveexec_b64 s[18:19], s[20:21]
	s_cbranch_execz .LBB42_94
; %bb.93:
	scratch_load_dwordx2 v[46:47], off, off offset:1416 ; 8-byte Folded Reload
	v_ashrrev_i32_e32 v41, 31, v40
	s_waitcnt vmcnt(0)
	v_lshl_add_u64 v[42:43], v[40:41], 2, v[46:47]
	global_load_dword v41, v[42:43], off
	global_load_dword v44, v[46:47], off offset:20
	s_waitcnt vmcnt(1)
	global_store_dword v[46:47], v41, off offset:20
	s_waitcnt vmcnt(1)
	global_store_dword v[42:43], v44, off
.LBB42_94:
	s_or_b64 exec, exec, s[18:19]
	v_mov_b32_e32 v41, v40
	v_mov_b32_e32 v251, v40
	scratch_store_dword off, v41, off offset:640 ; 4-byte Folded Spill
.LBB42_95:
	s_or_b64 exec, exec, s[2:3]
.LBB42_96:
	s_or_saveexec_b64 s[0:1], s[0:1]
	v_mov_b32_e32 v79, v55
	s_xor_b64 exec, exec, s[0:1]
	s_cbranch_execz .LBB42_98
; %bb.97:
	v_mov_b32_e32 v251, 5
	ds_write2_b32 v250, v6, v7 offset0:6 offset1:7
	ds_write2_b32 v250, v8, v9 offset0:8 offset1:9
	;; [unrolled: 1-line block ×8, first 2 shown]
.LBB42_98:
	s_or_b64 exec, exec, s[0:1]
	v_cmp_lt_i32_e32 vcc, 5, v251
	s_waitcnt lgkmcnt(0)
	s_barrier
	s_and_saveexec_b64 s[0:1], vcc
	s_cbranch_execz .LBB42_100
; %bb.99:
	v_mul_f32_e32 v0, v181, v39
	ds_read2_b32 v[2:3], v250 offset0:6 offset1:7
	ds_read2_b32 v[4:5], v250 offset0:8 offset1:9
	;; [unrolled: 1-line block ×5, first 2 shown]
	s_waitcnt lgkmcnt(4)
	v_pk_fma_f32 v[112:113], v[0:1], v[2:3], v[6:7] op_sel_hi:[0,1,1] neg_lo:[1,0,0] neg_hi:[1,0,0]
	ds_read2_b32 v[2:3], v250 offset0:18 offset1:19
	scratch_load_dwordx4 v[80:83], off, off offset:1552 ; 16-byte Folded Reload
	scratch_load_dwordx4 v[84:87], off, off offset:1568 ; 16-byte Folded Reload
	;; [unrolled: 1-line block ×8, first 2 shown]
	s_waitcnt lgkmcnt(4)
	v_pk_fma_f32 v[78:79], v[0:1], v[4:5], v[8:9] op_sel_hi:[0,1,1] neg_lo:[1,0,0] neg_hi:[1,0,0]
	s_waitcnt lgkmcnt(3)
	v_pk_fma_f32 v[50:51], v[0:1], v[22:23], v[10:11] op_sel_hi:[0,1,1] neg_lo:[1,0,0] neg_hi:[1,0,0]
	;; [unrolled: 2-line block ×3, first 2 shown]
	v_mov_b32_e32 v9, v0
	v_mov_b32_e32 v10, v112
	;; [unrolled: 1-line block ×5, first 2 shown]
	s_waitcnt vmcnt(6)
	v_mov_b32_e32 v85, v0
	s_waitcnt vmcnt(0)
	v_mov_b32_e32 v111, v0
	v_mov_b32_e32 v75, v0
	;; [unrolled: 1-line block ×33, first 2 shown]
	scratch_store_dwordx4 off, v[4:7], off offset:1160 ; 16-byte Folded Spill
	s_nop 0
	scratch_store_dwordx4 off, v[8:11], off offset:1176 ; 16-byte Folded Spill
	scratch_store_dwordx4 off, v[12:15], off offset:1192 ; 16-byte Folded Spill
	;; [unrolled: 1-line block ×4, first 2 shown]
	s_waitcnt lgkmcnt(1)
	scratch_store_dwordx4 off, v[24:27], off offset:1240 ; 16-byte Folded Spill
	scratch_store_dwordx4 off, v[28:31], off offset:1256 ; 16-byte Folded Spill
	;; [unrolled: 1-line block ×3, first 2 shown]
	v_mov_b32_e32 v22, v80
	v_mov_b32_e32 v28, v80
	;; [unrolled: 1-line block ×9, first 2 shown]
	scratch_store_dwordx4 off, v[28:31], off offset:900 ; 16-byte Folded Spill
	s_nop 0
	scratch_store_dwordx4 off, v[32:35], off offset:916 ; 16-byte Folded Spill
	scratch_store_dwordx4 off, v[36:39], off offset:932 ; 16-byte Folded Spill
	;; [unrolled: 1-line block ×7, first 2 shown]
	v_mov_b32_e32 v40, v80
	v_mov_b32_e32 v41, v81
	;; [unrolled: 1-line block ×45, first 2 shown]
	v_pk_fma_f32 v[194:195], v[0:1], v[26:27], v[12:13] op_sel_hi:[0,1,1] neg_lo:[1,0,0] neg_hi:[1,0,0]
	v_mov_b32_e32 v26, v84
	v_mov_b32_e32 v27, v0
	s_waitcnt lgkmcnt(0)
	v_pk_fma_f32 v[154:155], v[0:1], v[2:3], v[18:19] op_sel_hi:[0,1,1] neg_lo:[1,0,0] neg_hi:[1,0,0]
	v_mov_b32_e32 v2, v82
	v_mov_b32_e32 v3, v83
	;; [unrolled: 1-line block ×8, first 2 shown]
	scratch_store_dwordx4 off, v[28:31], off offset:644 ; 16-byte Folded Spill
	s_nop 0
	scratch_store_dwordx4 off, v[32:35], off offset:660 ; 16-byte Folded Spill
	scratch_store_dwordx4 off, v[36:39], off offset:676 ; 16-byte Folded Spill
	;; [unrolled: 1-line block ×7, first 2 shown]
	v_mov_b32_e32 v28, v112
	v_mov_b32_e32 v29, v113
	;; [unrolled: 1-line block ×28, first 2 shown]
	scratch_store_dwordx4 off, v[22:25], off offset:512 ; 16-byte Folded Spill
	s_nop 0
	scratch_store_dwordx4 off, v[26:29], off offset:528 ; 16-byte Folded Spill
	scratch_store_dwordx4 off, v[30:33], off offset:544 ; 16-byte Folded Spill
	;; [unrolled: 1-line block ×7, first 2 shown]
	ds_read2_b32 v[4:5], v250 offset0:14 offset1:15
	ds_read2_b32 v[6:7], v250 offset0:16 offset1:17
	v_mov_b32_e32 v52, v80
	v_mov_b32_e32 v53, v81
	s_waitcnt lgkmcnt(1)
	v_pk_fma_f32 v[66:67], v[0:1], v[4:5], v[14:15] op_sel_hi:[0,1,1] neg_lo:[1,0,0] neg_hi:[1,0,0]
	v_mov_b32_e32 v36, v66
	v_mov_b32_e32 v37, v67
	;; [unrolled: 1-line block ×14, first 2 shown]
	scratch_store_dwordx4 off, v[22:25], off offset:384 ; 16-byte Folded Spill
	s_nop 0
	scratch_store_dwordx4 off, v[26:29], off offset:400 ; 16-byte Folded Spill
	scratch_store_dwordx4 off, v[30:33], off offset:416 ; 16-byte Folded Spill
	;; [unrolled: 1-line block ×7, first 2 shown]
	s_waitcnt lgkmcnt(0)
	v_pk_fma_f32 v[38:39], v[0:1], v[6:7], v[16:17] op_sel_hi:[0,1,1] neg_lo:[1,0,0] neg_hi:[1,0,0]
	v_mov_b32_e32 v0, v80
	v_mov_b32_e32 v1, v81
	scratch_store_dwordx4 off, v[80:83], off offset:1424 ; 16-byte Folded Spill
	s_nop 0
	scratch_store_dwordx4 off, v[84:87], off offset:1440 ; 16-byte Folded Spill
	scratch_store_dwordx4 off, v[88:91], off offset:1456 ; 16-byte Folded Spill
	;; [unrolled: 1-line block ×7, first 2 shown]
	v_mov_b32_e32 v134, v38
	v_mov_b32_e32 v135, v39
	;; [unrolled: 1-line block ×12, first 2 shown]
	scratch_store_dwordx4 off, v[106:109], off offset:1288 ; 16-byte Folded Spill
	s_nop 0
	scratch_store_dwordx4 off, v[110:113], off offset:1304 ; 16-byte Folded Spill
	scratch_store_dwordx4 off, v[114:117], off offset:1320 ; 16-byte Folded Spill
	;; [unrolled: 1-line block ×7, first 2 shown]
	v_mov_b32_e32 v146, v50
	v_mov_b32_e32 v147, v51
	;; [unrolled: 1-line block ×9, first 2 shown]
	scratch_store_dwordx4 off, v[70:73], off offset:1028 ; 16-byte Folded Spill
	s_nop 0
	scratch_store_dwordx4 off, v[74:77], off offset:1044 ; 16-byte Folded Spill
	scratch_store_dwordx4 off, v[78:81], off offset:1060 ; 16-byte Folded Spill
	scratch_store_dwordx4 off, v[82:85], off offset:1076 ; 16-byte Folded Spill
	scratch_store_dwordx4 off, v[86:89], off offset:1092 ; 16-byte Folded Spill
	scratch_store_dwordx4 off, v[90:93], off offset:1108 ; 16-byte Folded Spill
	scratch_store_dwordx4 off, v[94:97], off offset:1124 ; 16-byte Folded Spill
	scratch_store_dwordx4 off, v[98:101], off offset:1140 ; 16-byte Folded Spill
	v_mov_b32_e32 v72, v194
	v_mov_b32_e32 v73, v195
	;; [unrolled: 1-line block ×3, first 2 shown]
	scratch_store_dwordx4 off, v[40:43], off offset:772 ; 16-byte Folded Spill
	s_nop 0
	scratch_store_dwordx4 off, v[44:47], off offset:788 ; 16-byte Folded Spill
	scratch_store_dwordx4 off, v[48:51], off offset:804 ; 16-byte Folded Spill
	;; [unrolled: 1-line block ×7, first 2 shown]
	v_mov_b32_e32 v98, v66
	scratch_store_dwordx4 off, v[52:55], off offset:256 ; 16-byte Folded Spill
	s_nop 0
	scratch_store_dwordx4 off, v[56:59], off offset:272 ; 16-byte Folded Spill
	scratch_store_dwordx4 off, v[60:63], off offset:288 ; 16-byte Folded Spill
	;; [unrolled: 1-line block ×8, first 2 shown]
	s_nop 0
	scratch_store_dwordx4 off, v[140:143], off offset:144 ; 16-byte Folded Spill
	scratch_store_dwordx4 off, v[144:147], off offset:160 ; 16-byte Folded Spill
	;; [unrolled: 1-line block ×7, first 2 shown]
	v_mov_b32_e32 v95, v51
	v_mov_b32_e32 v59, v39
	;; [unrolled: 1-line block ×4, first 2 shown]
	scratch_store_dwordx4 off, v[86:89], off ; 16-byte Folded Spill
	s_nop 0
	scratch_store_dwordx4 off, v[90:93], off offset:16 ; 16-byte Folded Spill
	scratch_store_dwordx4 off, v[94:97], off offset:32 ; 16-byte Folded Spill
	;; [unrolled: 1-line block ×7, first 2 shown]
.LBB42_100:
	s_or_b64 exec, exec, s[0:1]
	v_lshl_add_u32 v39, v251, 2, v250
	s_waitcnt vmcnt(63) expcnt(7) lgkmcnt(15)
	s_barrier
	ds_write_b32 v39, v68
	s_waitcnt lgkmcnt(0)
	s_barrier
	ds_read_b32 v39, v250 offset:24
	s_cmp_lt_i32 s22, 8
	v_mov_b32_e32 v40, 6
	s_cbranch_scc1 .LBB42_376
; %bb.101:
	s_waitcnt vmcnt(0)
	v_add3_u32 v41, v254, 0, 28
	v_mov_b32_e32 v40, 6
	s_mov_b32 s0, 7
	v_mov_b32_e32 v53, v79
.LBB42_102:                             ; =>This Inner Loop Header: Depth=1
	ds_read_b32 v42, v41
	v_mov_b32_e32 v43, s0
	s_add_i32 s0, s0, 1
	v_add_u32_e32 v41, 4, v41
	s_cmp_lg_u32 s22, s0
	s_waitcnt lgkmcnt(0)
	v_cmp_lt_f32_e64 vcc, |v39|, |v42|
	s_nop 1
	v_cndmask_b32_e32 v39, v39, v42, vcc
	v_cndmask_b32_e32 v40, v40, v43, vcc
	s_cbranch_scc1 .LBB42_102
; %bb.103:
	v_cmp_eq_f32_e32 vcc, 0, v39
	s_and_saveexec_b64 s[0:1], vcc
	s_xor_b64 s[0:1], exec, s[0:1]
.LBB42_104:
	v_cmp_ne_u32_e32 vcc, 0, v252
	s_nop 1
	v_cndmask_b32_e32 v252, 7, v252, vcc
.LBB42_105:
	s_andn2_saveexec_b64 s[0:1], s[0:1]
	s_cbranch_execz .LBB42_107
; %bb.106:
	v_div_scale_f32 v41, s[2:3], v39, v39, 1.0
	v_rcp_f32_e32 v42, v41
	v_div_scale_f32 v43, vcc, 1.0, v39, 1.0
	v_fma_f32 v44, -v41, v42, 1.0
	v_fmac_f32_e32 v42, v44, v42
	v_mul_f32_e32 v44, v43, v42
	v_fma_f32 v45, -v41, v44, v43
	v_fmac_f32_e32 v44, v45, v42
	v_fma_f32 v41, -v41, v44, v43
	v_div_fmas_f32 v41, v41, v42, v44
	v_div_fixup_f32 v39, v41, v39, 1.0
.LBB42_107:
	s_or_b64 exec, exec, s[0:1]
	v_cmp_ne_u32_e32 vcc, v251, v40
	s_and_saveexec_b64 s[0:1], vcc
	s_xor_b64 s[0:1], exec, s[0:1]
	s_cbranch_execz .LBB42_113
; %bb.108:
	v_cmp_eq_u32_e32 vcc, 6, v251
	s_and_saveexec_b64 s[2:3], vcc
	s_cbranch_execz .LBB42_112
; %bb.109:
	v_cmp_ne_u32_e32 vcc, 6, v40
	s_xor_b64 s[18:19], s[16:17], -1
	s_and_b64 s[20:21], s[18:19], vcc
	s_and_saveexec_b64 s[18:19], s[20:21]
	s_cbranch_execz .LBB42_111
; %bb.110:
	scratch_load_dwordx2 v[46:47], off, off offset:1416 ; 8-byte Folded Reload
	v_ashrrev_i32_e32 v41, 31, v40
	s_waitcnt vmcnt(0)
	v_lshl_add_u64 v[42:43], v[40:41], 2, v[46:47]
	global_load_dword v41, v[42:43], off
	global_load_dword v44, v[46:47], off offset:24
	s_waitcnt vmcnt(1)
	global_store_dword v[46:47], v41, off offset:24
	s_waitcnt vmcnt(1)
	global_store_dword v[42:43], v44, off
.LBB42_111:
	s_or_b64 exec, exec, s[18:19]
	v_mov_b32_e32 v41, v40
	v_mov_b32_e32 v251, v40
	scratch_store_dword off, v41, off offset:640 ; 4-byte Folded Spill
.LBB42_112:
	s_or_b64 exec, exec, s[2:3]
.LBB42_113:
	s_andn2_saveexec_b64 s[0:1], s[0:1]
	s_cbranch_execz .LBB42_115
; %bb.114:
	v_mov_b32_e32 v251, 6
	ds_write2_b32 v250, v7, v8 offset0:7 offset1:8
	ds_write2_b32 v250, v9, v10 offset0:9 offset1:10
	;; [unrolled: 1-line block ×7, first 2 shown]
	ds_write_b32 v250, v253 offset:84
.LBB42_115:
	s_or_b64 exec, exec, s[0:1]
	v_cmp_lt_i32_e32 vcc, 6, v251
	s_waitcnt lgkmcnt(0)
	s_barrier
	s_and_saveexec_b64 s[0:1], vcc
	s_cbranch_execz .LBB42_117
; %bb.116:
	scratch_load_dwordx4 v[72:75], off, off offset:1424 ; 16-byte Folded Reload
	scratch_load_dwordx4 v[76:79], off, off offset:1440 ; 16-byte Folded Reload
	;; [unrolled: 1-line block ×8, first 2 shown]
	ds_read2_b32 v[0:1], v250 offset0:7 offset1:8
	v_mov_b32_e32 v2, v7
	ds_read2_b32 v[4:5], v250 offset0:9 offset1:10
	ds_read2_b32 v[6:7], v250 offset0:11 offset1:12
	;; [unrolled: 1-line block ×3, first 2 shown]
	s_waitcnt vmcnt(6)
	v_mul_f32_e32 v78, v68, v39
	v_mov_b32_e32 v3, v8
	v_mov_b32_e32 v58, v78
	;; [unrolled: 1-line block ×5, first 2 shown]
	s_waitcnt lgkmcnt(3)
	v_pk_fma_f32 v[40:41], v[78:79], v[0:1], v[2:3] op_sel_hi:[0,1,1] neg_lo:[1,0,0] neg_hi:[1,0,0]
	v_mov_b32_e32 v0, v9
	v_mov_b32_e32 v1, v10
	s_waitcnt lgkmcnt(2)
	v_pk_fma_f32 v[42:43], v[78:79], v[4:5], v[0:1] op_sel_hi:[0,1,1] neg_lo:[1,0,0] neg_hi:[1,0,0]
	v_mov_b32_e32 v0, v11
	v_mov_b32_e32 v1, v12
	;; [unrolled: 4-line block ×3, first 2 shown]
	s_waitcnt lgkmcnt(0)
	v_pk_fma_f32 v[46:47], v[78:79], v[22:23], v[0:1] op_sel_hi:[0,1,1] neg_lo:[1,0,0] neg_hi:[1,0,0]
	ds_read2_b32 v[0:1], v250 offset0:15 offset1:16
	ds_read2_b32 v[4:5], v250 offset0:17 offset1:18
	;; [unrolled: 1-line block ×3, first 2 shown]
	ds_read_b32 v8, v250 offset:84
	v_mov_b32_e32 v2, v15
	v_mov_b32_e32 v3, v16
	;; [unrolled: 1-line block ×3, first 2 shown]
	s_waitcnt lgkmcnt(3)
	v_pk_fma_f32 v[48:49], v[78:79], v[0:1], v[2:3] op_sel_hi:[0,1,1] neg_lo:[1,0,0] neg_hi:[1,0,0]
	v_mov_b32_e32 v0, v17
	v_mov_b32_e32 v1, v18
	s_waitcnt lgkmcnt(2)
	v_pk_fma_f32 v[50:51], v[78:79], v[4:5], v[0:1] op_sel_hi:[0,1,1] neg_lo:[1,0,0] neg_hi:[1,0,0]
	v_mov_b32_e32 v0, v19
	v_mov_b32_e32 v1, v20
	;; [unrolled: 1-line block ×10, first 2 shown]
	s_waitcnt lgkmcnt(1)
	v_pk_fma_f32 v[254:255], v[78:79], v[6:7], v[0:1] op_sel_hi:[0,1,1] neg_lo:[1,0,0] neg_hi:[1,0,0]
	v_mov_b32_e32 v79, v40
	scratch_store_dwordx4 off, v[10:13], off offset:1028 ; 16-byte Folded Spill
	s_nop 0
	scratch_store_dwordx4 off, v[14:17], off offset:1044 ; 16-byte Folded Spill
	scratch_store_dwordx4 off, v[18:21], off offset:1060 ; 16-byte Folded Spill
	;; [unrolled: 1-line block ×7, first 2 shown]
	v_mov_b32_e32 v19, v42
	v_mov_b32_e32 v53, v73
	;; [unrolled: 1-line block ×51, first 2 shown]
	scratch_store_dwordx4 off, v[10:13], off offset:900 ; 16-byte Folded Spill
	s_nop 0
	scratch_store_dwordx4 off, v[14:17], off offset:916 ; 16-byte Folded Spill
	scratch_store_dwordx4 off, v[18:21], off offset:932 ; 16-byte Folded Spill
	;; [unrolled: 1-line block ×7, first 2 shown]
	v_mov_b32_e32 v20, v43
	v_mov_b32_e32 v9, v42
	;; [unrolled: 1-line block ×4, first 2 shown]
	scratch_store_dwordx4 off, v[10:13], off offset:772 ; 16-byte Folded Spill
	s_nop 0
	scratch_store_dwordx4 off, v[14:17], off offset:788 ; 16-byte Folded Spill
	scratch_store_dwordx4 off, v[18:21], off offset:804 ; 16-byte Folded Spill
	;; [unrolled: 1-line block ×7, first 2 shown]
	v_mov_b32_e32 v21, v44
	scratch_store_dwordx4 off, v[10:13], off offset:644 ; 16-byte Folded Spill
	s_nop 0
	scratch_store_dwordx4 off, v[14:17], off offset:660 ; 16-byte Folded Spill
	scratch_store_dwordx4 off, v[18:21], off offset:676 ; 16-byte Folded Spill
	;; [unrolled: 1-line block ×7, first 2 shown]
	v_mov_b32_e32 v22, v45
	v_mov_b32_e32 v23, v46
	;; [unrolled: 1-line block ×4, first 2 shown]
	scratch_store_dwordx4 off, v[10:13], off offset:512 ; 16-byte Folded Spill
	s_nop 0
	scratch_store_dwordx4 off, v[14:17], off offset:528 ; 16-byte Folded Spill
	scratch_store_dwordx4 off, v[18:21], off offset:544 ; 16-byte Folded Spill
	scratch_store_dwordx4 off, v[22:25], off offset:560 ; 16-byte Folded Spill
	scratch_store_dwordx4 off, v[26:29], off offset:576 ; 16-byte Folded Spill
	scratch_store_dwordx4 off, v[30:33], off offset:592 ; 16-byte Folded Spill
	scratch_store_dwordx4 off, v[34:37], off offset:608 ; 16-byte Folded Spill
	scratch_store_dwordx4 off, v[38:41], off offset:624 ; 16-byte Folded Spill
	v_mov_b32_e32 v24, v47
	scratch_store_dwordx4 off, v[10:13], off offset:256 ; 16-byte Folded Spill
	s_nop 0
	scratch_store_dwordx4 off, v[14:17], off offset:272 ; 16-byte Folded Spill
	scratch_store_dwordx4 off, v[18:21], off offset:288 ; 16-byte Folded Spill
	scratch_store_dwordx4 off, v[22:25], off offset:304 ; 16-byte Folded Spill
	scratch_store_dwordx4 off, v[26:29], off offset:320 ; 16-byte Folded Spill
	scratch_store_dwordx4 off, v[30:33], off offset:336 ; 16-byte Folded Spill
	scratch_store_dwordx4 off, v[34:37], off offset:352 ; 16-byte Folded Spill
	scratch_store_dwordx4 off, v[38:41], off offset:368 ; 16-byte Folded Spill
	v_mov_b32_e32 v25, v48
	;; [unrolled: 10-line block ×3, first 2 shown]
	v_mov_b32_e32 v23, v73
	v_mov_b32_e32 v24, v74
	;; [unrolled: 1-line block ×28, first 2 shown]
	scratch_store_dwordx4 off, v[52:55], off offset:128 ; 16-byte Folded Spill
	s_nop 0
	scratch_store_dwordx4 off, v[56:59], off offset:144 ; 16-byte Folded Spill
	scratch_store_dwordx4 off, v[60:63], off offset:160 ; 16-byte Folded Spill
	scratch_store_dwordx4 off, v[64:67], off offset:176 ; 16-byte Folded Spill
	scratch_store_dwordx4 off, v[68:71], off offset:192 ; 16-byte Folded Spill
	scratch_store_dwordx4 off, v[72:75], off offset:208 ; 16-byte Folded Spill
	scratch_store_dwordx4 off, v[76:79], off offset:224 ; 16-byte Folded Spill
	s_waitcnt vmcnt(62)
	scratch_store_dwordx4 off, v[80:83], off offset:240 ; 16-byte Folded Spill
	v_mov_b32_e32 v29, v40
	v_mov_b32_e32 v30, v41
	;; [unrolled: 1-line block ×17, first 2 shown]
	s_waitcnt lgkmcnt(0)
	v_fma_f32 v21, -v78, v8, v253
	v_mov_b32_e32 v0, v72
	v_mov_b32_e32 v1, v73
	;; [unrolled: 1-line block ×7, first 2 shown]
	scratch_store_dwordx4 off, v[72:75], off offset:1160 ; 16-byte Folded Spill
	s_nop 0
	scratch_store_dwordx4 off, v[76:79], off offset:1176 ; 16-byte Folded Spill
	scratch_store_dwordx4 off, v[80:83], off offset:1192 ; 16-byte Folded Spill
	;; [unrolled: 1-line block ×8, first 2 shown]
	s_nop 0
	scratch_store_dwordx4 off, v[76:79], off offset:1304 ; 16-byte Folded Spill
	scratch_store_dwordx4 off, v[80:83], off offset:1320 ; 16-byte Folded Spill
	;; [unrolled: 1-line block ×7, first 2 shown]
	v_mov_b32_e32 v8, v41
	v_mov_b32_e32 v253, v21
	;; [unrolled: 1-line block ×10, first 2 shown]
	scratch_store_dwordx4 off, v[20:23], off ; 16-byte Folded Spill
	s_nop 0
	scratch_store_dwordx4 off, v[24:27], off offset:16 ; 16-byte Folded Spill
	scratch_store_dwordx4 off, v[28:31], off offset:32 ; 16-byte Folded Spill
	;; [unrolled: 1-line block ×7, first 2 shown]
	scratch_load_dword v254, off, off offset:1156 ; 4-byte Folded Reload
.LBB42_117:
	s_or_b64 exec, exec, s[0:1]
	v_lshl_add_u32 v39, v251, 2, v250
	s_waitcnt vmcnt(63) expcnt(7) lgkmcnt(15)
	s_barrier
	ds_write_b32 v39, v83
	s_waitcnt lgkmcnt(0)
	s_barrier
	ds_read_b32 v39, v250 offset:28
	s_cmp_lt_i32 s22, 9
	v_mov_b32_e32 v40, 7
	s_cbranch_scc1 .LBB42_120
; %bb.118:
	s_waitcnt vmcnt(0)
	v_add3_u32 v41, v254, 0, 32
	v_mov_b32_e32 v40, 7
	s_mov_b32 s0, 8
.LBB42_119:                             ; =>This Inner Loop Header: Depth=1
	ds_read_b32 v42, v41
	v_mov_b32_e32 v43, s0
	s_add_i32 s0, s0, 1
	v_add_u32_e32 v41, 4, v41
	s_cmp_lg_u32 s22, s0
	s_waitcnt lgkmcnt(0)
	v_cmp_lt_f32_e64 vcc, |v39|, |v42|
	s_nop 1
	v_cndmask_b32_e32 v39, v39, v42, vcc
	v_cndmask_b32_e32 v40, v40, v43, vcc
	s_cbranch_scc1 .LBB42_119
.LBB42_120:
	s_waitcnt lgkmcnt(0)
	v_cmp_eq_f32_e32 vcc, 0, v39
	s_and_saveexec_b64 s[0:1], vcc
	s_xor_b64 s[0:1], exec, s[0:1]
; %bb.121:
	v_cmp_ne_u32_e32 vcc, 0, v252
	s_nop 1
	v_cndmask_b32_e32 v252, 8, v252, vcc
; %bb.122:
	s_andn2_saveexec_b64 s[0:1], s[0:1]
	s_cbranch_execz .LBB42_124
; %bb.123:
	v_div_scale_f32 v41, s[2:3], v39, v39, 1.0
	v_rcp_f32_e32 v42, v41
	v_div_scale_f32 v43, vcc, 1.0, v39, 1.0
	v_fma_f32 v44, -v41, v42, 1.0
	v_fmac_f32_e32 v42, v44, v42
	v_mul_f32_e32 v44, v43, v42
	v_fma_f32 v45, -v41, v44, v43
	v_fmac_f32_e32 v44, v45, v42
	v_fma_f32 v41, -v41, v44, v43
	v_div_fmas_f32 v41, v41, v42, v44
	v_div_fixup_f32 v39, v41, v39, 1.0
.LBB42_124:
	s_or_b64 exec, exec, s[0:1]
	v_cmp_ne_u32_e32 vcc, v251, v40
	s_and_saveexec_b64 s[0:1], vcc
	s_xor_b64 s[0:1], exec, s[0:1]
	s_cbranch_execz .LBB42_130
; %bb.125:
	v_cmp_eq_u32_e32 vcc, 7, v251
	s_and_saveexec_b64 s[2:3], vcc
	s_cbranch_execz .LBB42_129
; %bb.126:
	v_cmp_ne_u32_e32 vcc, 7, v40
	s_xor_b64 s[18:19], s[16:17], -1
	s_and_b64 s[20:21], s[18:19], vcc
	s_and_saveexec_b64 s[18:19], s[20:21]
	s_cbranch_execz .LBB42_128
; %bb.127:
	scratch_load_dwordx2 v[46:47], off, off offset:1416 ; 8-byte Folded Reload
	v_ashrrev_i32_e32 v41, 31, v40
	s_waitcnt vmcnt(0)
	v_lshl_add_u64 v[42:43], v[40:41], 2, v[46:47]
	global_load_dword v41, v[42:43], off
	global_load_dword v44, v[46:47], off offset:28
	s_waitcnt vmcnt(1)
	global_store_dword v[46:47], v41, off offset:28
	s_waitcnt vmcnt(1)
	global_store_dword v[42:43], v44, off
.LBB42_128:
	s_or_b64 exec, exec, s[18:19]
	v_mov_b32_e32 v41, v40
	v_mov_b32_e32 v251, v40
	scratch_store_dword off, v41, off offset:640 ; 4-byte Folded Spill
.LBB42_129:
	s_or_b64 exec, exec, s[2:3]
.LBB42_130:
	s_or_saveexec_b64 s[0:1], s[0:1]
	v_mov_b32_e32 v79, v53
	s_xor_b64 exec, exec, s[0:1]
	s_cbranch_execz .LBB42_132
; %bb.131:
	v_mov_b32_e32 v251, 7
	ds_write2_b32 v250, v8, v9 offset0:8 offset1:9
	ds_write2_b32 v250, v10, v11 offset0:10 offset1:11
	;; [unrolled: 1-line block ×7, first 2 shown]
.LBB42_132:
	s_or_b64 exec, exec, s[0:1]
	v_cmp_lt_i32_e32 vcc, 7, v251
	s_waitcnt lgkmcnt(0)
	s_barrier
	s_and_saveexec_b64 s[0:1], vcc
	s_cbranch_execz .LBB42_134
; %bb.133:
	v_mul_f32_e32 v0, v83, v39
	ds_read2_b32 v[2:3], v250 offset0:8 offset1:9
	ds_read2_b32 v[4:5], v250 offset0:10 offset1:11
	;; [unrolled: 1-line block ×5, first 2 shown]
	s_waitcnt lgkmcnt(4)
	v_pk_fma_f32 v[78:79], v[0:1], v[2:3], v[8:9] op_sel_hi:[0,1,1] neg_lo:[1,0,0] neg_hi:[1,0,0]
	ds_read2_b32 v[2:3], v250 offset0:18 offset1:19
	scratch_load_dwordx4 v[106:109], off, off offset:1288 ; 16-byte Folded Reload
	scratch_load_dwordx4 v[110:113], off, off offset:1304 ; 16-byte Folded Reload
	;; [unrolled: 1-line block ×8, first 2 shown]
	s_waitcnt lgkmcnt(4)
	v_pk_fma_f32 v[94:95], v[0:1], v[4:5], v[10:11] op_sel_hi:[0,1,1] neg_lo:[1,0,0] neg_hi:[1,0,0]
	s_waitcnt lgkmcnt(3)
	v_pk_fma_f32 v[194:195], v[0:1], v[6:7], v[12:13] op_sel_hi:[0,1,1] neg_lo:[1,0,0] neg_hi:[1,0,0]
	s_waitcnt lgkmcnt(2)
	v_pk_fma_f32 v[20:21], v[0:1], v[22:23], v[20:21] op_sel_hi:[0,1,1] neg_lo:[1,0,0] neg_hi:[1,0,0]
	v_mov_b32_e32 v11, v0
	v_mov_b32_e32 v12, v78
	;; [unrolled: 1-line block ×5, first 2 shown]
	s_waitcnt vmcnt(6)
	v_mov_b32_e32 v113, v0
	v_mov_b32_e32 v77, v0
	;; [unrolled: 1-line block ×5, first 2 shown]
	s_waitcnt vmcnt(3)
	v_mov_b32_e32 v125, v0
	s_waitcnt vmcnt(2)
	v_mov_b32_e32 v126, v78
	v_mov_b32_e32 v127, v79
	;; [unrolled: 1-line block ×4, first 2 shown]
	s_waitcnt vmcnt(1)
	v_mov_b32_e32 v130, v194
	v_mov_b32_e32 v131, v195
	;; [unrolled: 1-line block ×36, first 2 shown]
	scratch_store_dwordx4 off, v[4:7], off offset:900 ; 16-byte Folded Spill
	s_nop 0
	scratch_store_dwordx4 off, v[8:11], off offset:916 ; 16-byte Folded Spill
	scratch_store_dwordx4 off, v[12:15], off offset:932 ; 16-byte Folded Spill
	;; [unrolled: 1-line block ×4, first 2 shown]
	s_waitcnt lgkmcnt(1)
	scratch_store_dwordx4 off, v[24:27], off offset:980 ; 16-byte Folded Spill
	scratch_store_dwordx4 off, v[28:31], off offset:996 ; 16-byte Folded Spill
	;; [unrolled: 1-line block ×3, first 2 shown]
	v_mov_b32_e32 v26, v106
	v_mov_b32_e32 v27, v107
	v_mov_b32_e32 v28, v108
	v_mov_b32_e32 v29, v109
	v_mov_b32_e32 v30, v110
	v_mov_b32_e32 v31, v111
	v_mov_b32_e32 v32, v112
	v_mov_b32_e32 v33, v0
	v_mov_b32_e32 v34, v78
	v_mov_b32_e32 v35, v79
	scratch_store_dwordx4 off, v[26:29], off offset:644 ; 16-byte Folded Spill
	s_nop 0
	scratch_store_dwordx4 off, v[30:33], off offset:660 ; 16-byte Folded Spill
	scratch_store_dwordx4 off, v[34:37], off offset:676 ; 16-byte Folded Spill
	;; [unrolled: 1-line block ×7, first 2 shown]
	v_mov_b32_e32 v38, v194
	v_mov_b32_e32 v39, v195
	;; [unrolled: 1-line block ×55, first 2 shown]
	scratch_store_dwordx4 off, v[26:29], off offset:512 ; 16-byte Folded Spill
	s_nop 0
	scratch_store_dwordx4 off, v[30:33], off offset:528 ; 16-byte Folded Spill
	scratch_store_dwordx4 off, v[34:37], off offset:544 ; 16-byte Folded Spill
	;; [unrolled: 1-line block ×7, first 2 shown]
	v_pk_fma_f32 v[66:67], v[0:1], v[24:25], v[14:15] op_sel_hi:[0,1,1] neg_lo:[1,0,0] neg_hi:[1,0,0]
	v_mov_b32_e32 v52, v106
	v_mov_b32_e32 v53, v107
	;; [unrolled: 1-line block ×22, first 2 shown]
	s_waitcnt lgkmcnt(0)
	v_pk_fma_f32 v[168:169], v[0:1], v[2:3], v[18:19] op_sel_hi:[0,1,1] neg_lo:[1,0,0] neg_hi:[1,0,0]
	v_mov_b32_e32 v2, v108
	v_mov_b32_e32 v3, v109
	;; [unrolled: 1-line block ×14, first 2 shown]
	scratch_store_dwordx4 off, v[22:25], off offset:384 ; 16-byte Folded Spill
	s_nop 0
	scratch_store_dwordx4 off, v[26:29], off offset:400 ; 16-byte Folded Spill
	scratch_store_dwordx4 off, v[30:33], off offset:416 ; 16-byte Folded Spill
	;; [unrolled: 1-line block ×7, first 2 shown]
	ds_read2_b32 v[4:5], v250 offset0:16 offset1:17
	s_waitcnt lgkmcnt(0)
	v_pk_fma_f32 v[38:39], v[0:1], v[4:5], v[16:17] op_sel_hi:[0,1,1] neg_lo:[1,0,0] neg_hi:[1,0,0]
	s_waitcnt vmcnt(32)
	v_mov_b32_e32 v134, v38
	v_mov_b32_e32 v135, v39
	v_mov_b32_e32 v0, v106
	v_mov_b32_e32 v1, v107
	v_mov_b32_e32 v4, v110
	v_mov_b32_e32 v5, v111
	scratch_store_dwordx4 off, v[106:109], off offset:1160 ; 16-byte Folded Spill
	s_nop 0
	scratch_store_dwordx4 off, v[110:113], off offset:1176 ; 16-byte Folded Spill
	scratch_store_dwordx4 off, v[114:117], off offset:1192 ; 16-byte Folded Spill
	;; [unrolled: 1-line block ×8, first 2 shown]
	s_nop 0
	scratch_store_dwordx4 off, v[74:77], off offset:1044 ; 16-byte Folded Spill
	scratch_store_dwordx4 off, v[78:81], off offset:1060 ; 16-byte Folded Spill
	;; [unrolled: 1-line block ×7, first 2 shown]
	v_mov_b32_e32 v72, v194
	v_mov_b32_e32 v73, v195
	;; [unrolled: 1-line block ×9, first 2 shown]
	scratch_store_dwordx4 off, v[84:87], off offset:772 ; 16-byte Folded Spill
	s_nop 0
	scratch_store_dwordx4 off, v[88:91], off offset:788 ; 16-byte Folded Spill
	scratch_store_dwordx4 off, v[92:95], off offset:804 ; 16-byte Folded Spill
	;; [unrolled: 1-line block ×7, first 2 shown]
	v_mov_b32_e32 v98, v66
	scratch_store_dwordx4 off, v[52:55], off offset:256 ; 16-byte Folded Spill
	s_nop 0
	scratch_store_dwordx4 off, v[56:59], off offset:272 ; 16-byte Folded Spill
	scratch_store_dwordx4 off, v[60:63], off offset:288 ; 16-byte Folded Spill
	;; [unrolled: 1-line block ×7, first 2 shown]
	v_mov_b32_e32 v96, v38
	v_mov_b32_e32 v59, v39
	;; [unrolled: 1-line block ×3, first 2 shown]
	scratch_store_dwordx4 off, v[150:153], off offset:128 ; 16-byte Folded Spill
	s_nop 0
	scratch_store_dwordx4 off, v[154:157], off offset:144 ; 16-byte Folded Spill
	scratch_store_dwordx4 off, v[158:161], off offset:160 ; 16-byte Folded Spill
	scratch_store_dwordx4 off, v[162:165], off offset:176 ; 16-byte Folded Spill
	scratch_store_dwordx4 off, v[166:169], off offset:192 ; 16-byte Folded Spill
	scratch_store_dwordx4 off, v[170:173], off offset:208 ; 16-byte Folded Spill
	scratch_store_dwordx4 off, v[174:177], off offset:224 ; 16-byte Folded Spill
	scratch_store_dwordx4 off, v[178:181], off offset:240 ; 16-byte Folded Spill
	scratch_store_dwordx4 off, v[150:153], off ; 16-byte Folded Spill
	s_nop 0
	scratch_store_dwordx4 off, v[154:157], off offset:16 ; 16-byte Folded Spill
	scratch_store_dwordx4 off, v[158:161], off offset:32 ; 16-byte Folded Spill
	;; [unrolled: 1-line block ×7, first 2 shown]
	v_mov_b32_e32 v97, v67
.LBB42_134:
	s_or_b64 exec, exec, s[0:1]
	v_lshl_add_u32 v39, v251, 2, v250
	s_waitcnt vmcnt(63) expcnt(7) lgkmcnt(15)
	s_barrier
	ds_write_b32 v39, v174
	s_waitcnt lgkmcnt(0)
	s_barrier
	ds_read_b32 v39, v250 offset:32
	s_cmp_lt_i32 s22, 10
	v_mov_b32_e32 v40, 8
	s_cbranch_scc1 .LBB42_377
; %bb.135:
	s_waitcnt vmcnt(0)
	v_add3_u32 v41, v254, 0, 36
	v_mov_b32_e32 v40, 8
	s_mov_b32 s0, 9
	v_mov_b32_e32 v51, v79
.LBB42_136:                             ; =>This Inner Loop Header: Depth=1
	ds_read_b32 v42, v41
	v_mov_b32_e32 v43, s0
	s_add_i32 s0, s0, 1
	v_add_u32_e32 v41, 4, v41
	s_cmp_lg_u32 s22, s0
	s_waitcnt lgkmcnt(0)
	v_cmp_lt_f32_e64 vcc, |v39|, |v42|
	s_nop 1
	v_cndmask_b32_e32 v39, v39, v42, vcc
	v_cndmask_b32_e32 v40, v40, v43, vcc
	s_cbranch_scc1 .LBB42_136
; %bb.137:
	v_cmp_eq_f32_e32 vcc, 0, v39
	s_and_saveexec_b64 s[0:1], vcc
	s_xor_b64 s[0:1], exec, s[0:1]
.LBB42_138:
	v_cmp_ne_u32_e32 vcc, 0, v252
	s_nop 1
	v_cndmask_b32_e32 v252, 9, v252, vcc
.LBB42_139:
	s_andn2_saveexec_b64 s[0:1], s[0:1]
	s_cbranch_execz .LBB42_141
; %bb.140:
	v_div_scale_f32 v41, s[2:3], v39, v39, 1.0
	v_rcp_f32_e32 v42, v41
	v_div_scale_f32 v43, vcc, 1.0, v39, 1.0
	v_fma_f32 v44, -v41, v42, 1.0
	v_fmac_f32_e32 v42, v44, v42
	v_mul_f32_e32 v44, v43, v42
	v_fma_f32 v45, -v41, v44, v43
	v_fmac_f32_e32 v44, v45, v42
	v_fma_f32 v41, -v41, v44, v43
	v_div_fmas_f32 v41, v41, v42, v44
	v_div_fixup_f32 v39, v41, v39, 1.0
.LBB42_141:
	s_or_b64 exec, exec, s[0:1]
	v_cmp_ne_u32_e32 vcc, v251, v40
	s_and_saveexec_b64 s[0:1], vcc
	s_xor_b64 s[0:1], exec, s[0:1]
	s_cbranch_execz .LBB42_147
; %bb.142:
	v_cmp_eq_u32_e32 vcc, 8, v251
	s_and_saveexec_b64 s[2:3], vcc
	s_cbranch_execz .LBB42_146
; %bb.143:
	v_cmp_ne_u32_e32 vcc, 8, v40
	s_xor_b64 s[18:19], s[16:17], -1
	s_and_b64 s[20:21], s[18:19], vcc
	s_and_saveexec_b64 s[18:19], s[20:21]
	s_cbranch_execz .LBB42_145
; %bb.144:
	scratch_load_dwordx2 v[46:47], off, off offset:1416 ; 8-byte Folded Reload
	v_ashrrev_i32_e32 v41, 31, v40
	s_waitcnt vmcnt(0)
	v_lshl_add_u64 v[42:43], v[40:41], 2, v[46:47]
	global_load_dword v41, v[42:43], off
	global_load_dword v44, v[46:47], off offset:32
	s_waitcnt vmcnt(1)
	global_store_dword v[46:47], v41, off offset:32
	s_waitcnt vmcnt(1)
	global_store_dword v[42:43], v44, off
.LBB42_145:
	s_or_b64 exec, exec, s[18:19]
	v_mov_b32_e32 v41, v40
	v_mov_b32_e32 v251, v40
	scratch_store_dword off, v41, off offset:640 ; 4-byte Folded Spill
.LBB42_146:
	s_or_b64 exec, exec, s[2:3]
.LBB42_147:
	s_andn2_saveexec_b64 s[0:1], s[0:1]
	s_cbranch_execz .LBB42_149
; %bb.148:
	v_mov_b32_e32 v251, 8
	ds_write2_b32 v250, v9, v10 offset0:9 offset1:10
	ds_write2_b32 v250, v11, v12 offset0:11 offset1:12
	;; [unrolled: 1-line block ×6, first 2 shown]
	ds_write_b32 v250, v253 offset:84
.LBB42_149:
	s_or_b64 exec, exec, s[0:1]
	v_cmp_lt_i32_e32 vcc, 8, v251
	s_waitcnt lgkmcnt(0)
	s_barrier
	s_and_saveexec_b64 s[0:1], vcc
	s_cbranch_execz .LBB42_151
; %bb.150:
	scratch_load_dwordx4 v[70:73], off, off offset:1160 ; 16-byte Folded Reload
	scratch_load_dwordx4 v[74:77], off, off offset:1176 ; 16-byte Folded Reload
	scratch_load_dwordx4 v[78:81], off, off offset:1192 ; 16-byte Folded Reload
	scratch_load_dwordx4 v[82:85], off, off offset:1208 ; 16-byte Folded Reload
	scratch_load_dwordx4 v[86:89], off, off offset:1224 ; 16-byte Folded Reload
	scratch_load_dwordx4 v[90:93], off, off offset:1240 ; 16-byte Folded Reload
	scratch_load_dwordx4 v[94:97], off, off offset:1256 ; 16-byte Folded Reload
	scratch_load_dwordx4 v[98:101], off, off offset:1272 ; 16-byte Folded Reload
	ds_read2_b32 v[0:1], v250 offset0:9 offset1:10
	v_mov_b32_e32 v2, v9
	ds_read2_b32 v[4:5], v250 offset0:11 offset1:12
	ds_read2_b32 v[6:7], v250 offset0:13 offset1:14
	;; [unrolled: 1-line block ×3, first 2 shown]
	s_waitcnt vmcnt(5)
	v_mul_f32_e32 v78, v174, v39
	v_mov_b32_e32 v3, v10
	v_mov_b32_e32 v58, v78
	;; [unrolled: 1-line block ×6, first 2 shown]
	s_waitcnt lgkmcnt(3)
	v_pk_fma_f32 v[40:41], v[78:79], v[0:1], v[2:3] op_sel_hi:[0,1,1] neg_lo:[1,0,0] neg_hi:[1,0,0]
	v_mov_b32_e32 v0, v11
	v_mov_b32_e32 v1, v12
	s_waitcnt lgkmcnt(2)
	v_pk_fma_f32 v[42:43], v[78:79], v[4:5], v[0:1] op_sel_hi:[0,1,1] neg_lo:[1,0,0] neg_hi:[1,0,0]
	v_mov_b32_e32 v0, v13
	v_mov_b32_e32 v1, v14
	;; [unrolled: 4-line block ×3, first 2 shown]
	s_waitcnt lgkmcnt(0)
	v_pk_fma_f32 v[46:47], v[78:79], v[8:9], v[0:1] op_sel_hi:[0,1,1] neg_lo:[1,0,0] neg_hi:[1,0,0]
	ds_read2_b32 v[0:1], v250 offset0:17 offset1:18
	v_mov_b32_e32 v2, v17
	v_mov_b32_e32 v3, v18
	;; [unrolled: 1-line block ×12, first 2 shown]
	ds_read2_b32 v[4:5], v250 offset0:19 offset1:20
	ds_read_b32 v6, v250 offset:84
	s_waitcnt lgkmcnt(2)
	v_pk_fma_f32 v[48:49], v[78:79], v[0:1], v[2:3] op_sel_hi:[0,1,1] neg_lo:[1,0,0] neg_hi:[1,0,0]
	v_mov_b32_e32 v0, v19
	v_mov_b32_e32 v1, v20
	scratch_store_dwordx4 off, v[8:11], off offset:772 ; 16-byte Folded Spill
	s_nop 0
	scratch_store_dwordx4 off, v[12:15], off offset:788 ; 16-byte Folded Spill
	scratch_store_dwordx4 off, v[16:19], off offset:804 ; 16-byte Folded Spill
	;; [unrolled: 1-line block ×7, first 2 shown]
	v_mov_b32_e32 v19, v42
	s_waitcnt lgkmcnt(1)
	v_pk_fma_f32 v[254:255], v[78:79], v[4:5], v[0:1] op_sel_hi:[0,1,1] neg_lo:[1,0,0] neg_hi:[1,0,0]
	v_mov_b32_e32 v79, v40
	v_mov_b32_e32 v51, v71
	;; [unrolled: 1-line block ×51, first 2 shown]
	scratch_store_dwordx4 off, v[8:11], off offset:644 ; 16-byte Folded Spill
	s_nop 0
	scratch_store_dwordx4 off, v[12:15], off offset:660 ; 16-byte Folded Spill
	scratch_store_dwordx4 off, v[16:19], off offset:676 ; 16-byte Folded Spill
	scratch_store_dwordx4 off, v[20:23], off offset:692 ; 16-byte Folded Spill
	scratch_store_dwordx4 off, v[24:27], off offset:708 ; 16-byte Folded Spill
	scratch_store_dwordx4 off, v[28:31], off offset:724 ; 16-byte Folded Spill
	scratch_store_dwordx4 off, v[32:35], off offset:740 ; 16-byte Folded Spill
	scratch_store_dwordx4 off, v[36:39], off offset:756 ; 16-byte Folded Spill
	v_mov_b32_e32 v20, v43
	v_mov_b32_e32 v21, v44
	;; [unrolled: 1-line block ×11, first 2 shown]
	scratch_store_dwordx4 off, v[8:11], off offset:512 ; 16-byte Folded Spill
	s_nop 0
	scratch_store_dwordx4 off, v[12:15], off offset:528 ; 16-byte Folded Spill
	scratch_store_dwordx4 off, v[16:19], off offset:544 ; 16-byte Folded Spill
	scratch_store_dwordx4 off, v[20:23], off offset:560 ; 16-byte Folded Spill
	scratch_store_dwordx4 off, v[24:27], off offset:576 ; 16-byte Folded Spill
	scratch_store_dwordx4 off, v[28:31], off offset:592 ; 16-byte Folded Spill
	scratch_store_dwordx4 off, v[32:35], off offset:608 ; 16-byte Folded Spill
	scratch_store_dwordx4 off, v[36:39], off offset:624 ; 16-byte Folded Spill
	v_mov_b32_e32 v22, v45
	scratch_store_dwordx4 off, v[8:11], off offset:256 ; 16-byte Folded Spill
	s_nop 0
	scratch_store_dwordx4 off, v[12:15], off offset:272 ; 16-byte Folded Spill
	scratch_store_dwordx4 off, v[16:19], off offset:288 ; 16-byte Folded Spill
	scratch_store_dwordx4 off, v[20:23], off offset:304 ; 16-byte Folded Spill
	scratch_store_dwordx4 off, v[24:27], off offset:320 ; 16-byte Folded Spill
	scratch_store_dwordx4 off, v[28:31], off offset:336 ; 16-byte Folded Spill
	scratch_store_dwordx4 off, v[32:35], off offset:352 ; 16-byte Folded Spill
	scratch_store_dwordx4 off, v[36:39], off offset:368 ; 16-byte Folded Spill
	v_mov_b32_e32 v23, v46
	;; [unrolled: 10-line block ×3, first 2 shown]
	v_mov_b32_e32 v23, v71
	v_mov_b32_e32 v24, v72
	;; [unrolled: 1-line block ×8, first 2 shown]
	scratch_store_dwordx4 off, v[50:53], off offset:128 ; 16-byte Folded Spill
	s_nop 0
	scratch_store_dwordx4 off, v[54:57], off offset:144 ; 16-byte Folded Spill
	scratch_store_dwordx4 off, v[58:61], off offset:160 ; 16-byte Folded Spill
	scratch_store_dwordx4 off, v[62:65], off offset:176 ; 16-byte Folded Spill
	scratch_store_dwordx4 off, v[66:69], off offset:192 ; 16-byte Folded Spill
	scratch_store_dwordx4 off, v[70:73], off offset:208 ; 16-byte Folded Spill
	scratch_store_dwordx4 off, v[74:77], off offset:224 ; 16-byte Folded Spill
	scratch_store_dwordx4 off, v[78:81], off offset:240 ; 16-byte Folded Spill
	v_mov_b32_e32 v31, v40
	v_mov_b32_e32 v32, v41
	;; [unrolled: 1-line block ×32, first 2 shown]
	s_waitcnt lgkmcnt(0)
	v_fma_f32 v21, -v78, v6, v253
	v_mov_b32_e32 v0, v70
	v_mov_b32_e32 v1, v71
	;; [unrolled: 1-line block ×9, first 2 shown]
	scratch_store_dwordx4 off, v[70:73], off offset:900 ; 16-byte Folded Spill
	s_nop 0
	scratch_store_dwordx4 off, v[74:77], off offset:916 ; 16-byte Folded Spill
	scratch_store_dwordx4 off, v[78:81], off offset:932 ; 16-byte Folded Spill
	s_waitcnt vmcnt(55)
	scratch_store_dwordx4 off, v[82:85], off offset:948 ; 16-byte Folded Spill
	s_waitcnt vmcnt(55)
	;; [unrolled: 2-line block ×5, first 2 shown]
	scratch_store_dwordx4 off, v[98:101], off offset:1012 ; 16-byte Folded Spill
	scratch_store_dwordx4 off, v[70:73], off offset:1028 ; 16-byte Folded Spill
	s_nop 0
	scratch_store_dwordx4 off, v[74:77], off offset:1044 ; 16-byte Folded Spill
	scratch_store_dwordx4 off, v[78:81], off offset:1060 ; 16-byte Folded Spill
	;; [unrolled: 1-line block ×7, first 2 shown]
	v_mov_b32_e32 v253, v21
	v_mov_b32_e32 v95, v42
	;; [unrolled: 1-line block ×7, first 2 shown]
	scratch_store_dwordx4 off, v[20:23], off ; 16-byte Folded Spill
	s_nop 0
	scratch_store_dwordx4 off, v[24:27], off offset:16 ; 16-byte Folded Spill
	scratch_store_dwordx4 off, v[28:31], off offset:32 ; 16-byte Folded Spill
	;; [unrolled: 1-line block ×7, first 2 shown]
	scratch_load_dword v254, off, off offset:1156 ; 4-byte Folded Reload
.LBB42_151:
	s_or_b64 exec, exec, s[0:1]
	v_lshl_add_u32 v39, v251, 2, v250
	s_waitcnt vmcnt(63) expcnt(7) lgkmcnt(15)
	s_barrier
	ds_write_b32 v39, v51
	s_waitcnt lgkmcnt(0)
	s_barrier
	ds_read_b32 v39, v250 offset:36
	s_cmp_lt_i32 s22, 11
	v_mov_b32_e32 v40, 9
	s_cbranch_scc1 .LBB42_154
; %bb.152:
	s_waitcnt vmcnt(0)
	v_add3_u32 v41, v254, 0, 40
	v_mov_b32_e32 v40, 9
	s_mov_b32 s0, 10
.LBB42_153:                             ; =>This Inner Loop Header: Depth=1
	ds_read_b32 v42, v41
	v_mov_b32_e32 v43, s0
	s_add_i32 s0, s0, 1
	v_add_u32_e32 v41, 4, v41
	s_cmp_lg_u32 s22, s0
	s_waitcnt lgkmcnt(0)
	v_cmp_lt_f32_e64 vcc, |v39|, |v42|
	s_nop 1
	v_cndmask_b32_e32 v39, v39, v42, vcc
	v_cndmask_b32_e32 v40, v40, v43, vcc
	s_cbranch_scc1 .LBB42_153
.LBB42_154:
	s_waitcnt lgkmcnt(0)
	v_cmp_eq_f32_e32 vcc, 0, v39
	s_and_saveexec_b64 s[0:1], vcc
	s_xor_b64 s[0:1], exec, s[0:1]
; %bb.155:
	v_cmp_ne_u32_e32 vcc, 0, v252
	s_nop 1
	v_cndmask_b32_e32 v252, 10, v252, vcc
; %bb.156:
	s_andn2_saveexec_b64 s[0:1], s[0:1]
	s_cbranch_execz .LBB42_158
; %bb.157:
	v_div_scale_f32 v41, s[2:3], v39, v39, 1.0
	v_rcp_f32_e32 v42, v41
	v_div_scale_f32 v43, vcc, 1.0, v39, 1.0
	v_fma_f32 v44, -v41, v42, 1.0
	v_fmac_f32_e32 v42, v44, v42
	v_mul_f32_e32 v44, v43, v42
	v_fma_f32 v45, -v41, v44, v43
	v_fmac_f32_e32 v44, v45, v42
	v_fma_f32 v41, -v41, v44, v43
	v_div_fmas_f32 v41, v41, v42, v44
	v_div_fixup_f32 v39, v41, v39, 1.0
.LBB42_158:
	s_or_b64 exec, exec, s[0:1]
	v_cmp_ne_u32_e32 vcc, v251, v40
	s_and_saveexec_b64 s[0:1], vcc
	s_xor_b64 s[0:1], exec, s[0:1]
	s_cbranch_execz .LBB42_164
; %bb.159:
	v_cmp_eq_u32_e32 vcc, 9, v251
	s_and_saveexec_b64 s[2:3], vcc
	s_cbranch_execz .LBB42_163
; %bb.160:
	v_cmp_ne_u32_e32 vcc, 9, v40
	s_xor_b64 s[18:19], s[16:17], -1
	s_and_b64 s[20:21], s[18:19], vcc
	s_and_saveexec_b64 s[18:19], s[20:21]
	s_cbranch_execz .LBB42_162
; %bb.161:
	scratch_load_dwordx2 v[46:47], off, off offset:1416 ; 8-byte Folded Reload
	v_ashrrev_i32_e32 v41, 31, v40
	s_waitcnt vmcnt(0)
	v_lshl_add_u64 v[42:43], v[40:41], 2, v[46:47]
	global_load_dword v41, v[42:43], off
	global_load_dword v44, v[46:47], off offset:36
	s_waitcnt vmcnt(1)
	global_store_dword v[46:47], v41, off offset:36
	s_waitcnt vmcnt(1)
	global_store_dword v[42:43], v44, off
.LBB42_162:
	s_or_b64 exec, exec, s[18:19]
	v_mov_b32_e32 v41, v40
	v_mov_b32_e32 v251, v40
	scratch_store_dword off, v41, off offset:640 ; 4-byte Folded Spill
.LBB42_163:
	s_or_b64 exec, exec, s[2:3]
.LBB42_164:
	s_andn2_saveexec_b64 s[0:1], s[0:1]
	s_cbranch_execz .LBB42_166
; %bb.165:
	v_mov_b32_e32 v251, 9
	ds_write2_b32 v250, v10, v11 offset0:10 offset1:11
	ds_write2_b32 v250, v12, v13 offset0:12 offset1:13
	;; [unrolled: 1-line block ×6, first 2 shown]
.LBB42_166:
	s_or_b64 exec, exec, s[0:1]
	v_cmp_lt_i32_e32 vcc, 9, v251
	s_waitcnt lgkmcnt(0)
	s_barrier
	s_and_saveexec_b64 s[0:1], vcc
	s_cbranch_execz .LBB42_168
; %bb.167:
	v_mul_f32_e32 v0, v51, v39
	ds_read2_b32 v[2:3], v250 offset0:10 offset1:11
	ds_read2_b32 v[4:5], v250 offset0:12 offset1:13
	;; [unrolled: 1-line block ×5, first 2 shown]
	s_waitcnt lgkmcnt(4)
	v_pk_fma_f32 v[50:51], v[0:1], v[2:3], v[10:11] op_sel_hi:[0,1,1] neg_lo:[1,0,0] neg_hi:[1,0,0]
	ds_read2_b32 v[2:3], v250 offset0:18 offset1:19
	scratch_load_dwordx4 v[70:73], off, off offset:1028 ; 16-byte Folded Reload
	scratch_load_dwordx4 v[74:77], off, off offset:1044 ; 16-byte Folded Reload
	;; [unrolled: 1-line block ×8, first 2 shown]
	s_waitcnt lgkmcnt(4)
	v_pk_fma_f32 v[194:195], v[0:1], v[4:5], v[12:13] op_sel_hi:[0,1,1] neg_lo:[1,0,0] neg_hi:[1,0,0]
	s_waitcnt lgkmcnt(3)
	v_pk_fma_f32 v[66:67], v[0:1], v[6:7], v[14:15] op_sel_hi:[0,1,1] neg_lo:[1,0,0] neg_hi:[1,0,0]
	;; [unrolled: 2-line block ×3, first 2 shown]
	v_mov_b32_e32 v13, v0
	v_mov_b32_e32 v14, v50
	;; [unrolled: 1-line block ×8, first 2 shown]
	s_waitcnt vmcnt(5)
	v_mov_b32_e32 v79, v0
	v_mov_b32_e32 v191, v0
	;; [unrolled: 1-line block ×29, first 2 shown]
	scratch_store_dwordx4 off, v[4:7], off offset:644 ; 16-byte Folded Spill
	s_nop 0
	scratch_store_dwordx4 off, v[8:11], off offset:660 ; 16-byte Folded Spill
	scratch_store_dwordx4 off, v[12:15], off offset:676 ; 16-byte Folded Spill
	;; [unrolled: 1-line block ×3, first 2 shown]
	s_waitcnt lgkmcnt(1)
	scratch_store_dwordx4 off, v[20:23], off offset:708 ; 16-byte Folded Spill
	scratch_store_dwordx4 off, v[24:27], off offset:724 ; 16-byte Folded Spill
	;; [unrolled: 1-line block ×4, first 2 shown]
	v_mov_b32_e32 v40, v70
	v_mov_b32_e32 v41, v71
	;; [unrolled: 1-line block ×21, first 2 shown]
	scratch_store_dwordx4 off, v[24:27], off offset:512 ; 16-byte Folded Spill
	s_nop 0
	scratch_store_dwordx4 off, v[28:31], off offset:528 ; 16-byte Folded Spill
	scratch_store_dwordx4 off, v[32:35], off offset:544 ; 16-byte Folded Spill
	;; [unrolled: 1-line block ×7, first 2 shown]
	v_mov_b32_e32 v38, v66
	v_mov_b32_e32 v39, v67
	;; [unrolled: 1-line block ×50, first 2 shown]
	s_waitcnt lgkmcnt(0)
	v_pk_fma_f32 v[154:155], v[0:1], v[2:3], v[18:19] op_sel_hi:[0,1,1] neg_lo:[1,0,0] neg_hi:[1,0,0]
	v_mov_b32_e32 v2, v72
	v_mov_b32_e32 v3, v73
	;; [unrolled: 1-line block ×18, first 2 shown]
	scratch_store_dwordx4 off, v[24:27], off offset:384 ; 16-byte Folded Spill
	s_nop 0
	scratch_store_dwordx4 off, v[28:31], off offset:400 ; 16-byte Folded Spill
	scratch_store_dwordx4 off, v[32:35], off offset:416 ; 16-byte Folded Spill
	;; [unrolled: 1-line block ×7, first 2 shown]
	v_pk_fma_f32 v[38:39], v[0:1], v[22:23], v[16:17] op_sel_hi:[0,1,1] neg_lo:[1,0,0] neg_hi:[1,0,0]
	v_mov_b32_e32 v22, v70
	v_mov_b32_e32 v23, v71
	;; [unrolled: 1-line block ×12, first 2 shown]
	scratch_store_dwordx4 off, v[70:73], off offset:900 ; 16-byte Folded Spill
	s_nop 0
	scratch_store_dwordx4 off, v[74:77], off offset:916 ; 16-byte Folded Spill
	scratch_store_dwordx4 off, v[78:81], off offset:932 ; 16-byte Folded Spill
	s_waitcnt vmcnt(31)
	scratch_store_dwordx4 off, v[82:85], off offset:948 ; 16-byte Folded Spill
	s_waitcnt vmcnt(31)
	;; [unrolled: 2-line block ×5, first 2 shown]
	scratch_store_dwordx4 off, v[98:101], off offset:1012 ; 16-byte Folded Spill
	v_mov_b32_e32 v36, v66
	v_mov_b32_e32 v37, v67
	;; [unrolled: 1-line block ×26, first 2 shown]
	scratch_store_dwordx4 off, v[40:43], off offset:772 ; 16-byte Folded Spill
	s_nop 0
	scratch_store_dwordx4 off, v[44:47], off offset:788 ; 16-byte Folded Spill
	scratch_store_dwordx4 off, v[48:51], off offset:804 ; 16-byte Folded Spill
	;; [unrolled: 1-line block ×7, first 2 shown]
	v_mov_b32_e32 v98, v66
	scratch_store_dwordx4 off, v[52:55], off offset:256 ; 16-byte Folded Spill
	s_nop 0
	scratch_store_dwordx4 off, v[56:59], off offset:272 ; 16-byte Folded Spill
	scratch_store_dwordx4 off, v[60:63], off offset:288 ; 16-byte Folded Spill
	;; [unrolled: 1-line block ×8, first 2 shown]
	s_nop 0
	scratch_store_dwordx4 off, v[140:143], off offset:144 ; 16-byte Folded Spill
	scratch_store_dwordx4 off, v[144:147], off offset:160 ; 16-byte Folded Spill
	;; [unrolled: 1-line block ×7, first 2 shown]
	v_mov_b32_e32 v95, v51
	v_mov_b32_e32 v59, v39
	;; [unrolled: 1-line block ×4, first 2 shown]
	scratch_store_dwordx4 off, v[86:89], off ; 16-byte Folded Spill
	s_nop 0
	scratch_store_dwordx4 off, v[90:93], off offset:16 ; 16-byte Folded Spill
	scratch_store_dwordx4 off, v[94:97], off offset:32 ; 16-byte Folded Spill
	;; [unrolled: 1-line block ×7, first 2 shown]
.LBB42_168:
	s_or_b64 exec, exec, s[0:1]
	v_lshl_add_u32 v39, v251, 2, v250
	s_waitcnt vmcnt(63) expcnt(7) lgkmcnt(15)
	s_barrier
	ds_write_b32 v39, v102
	s_waitcnt lgkmcnt(0)
	s_barrier
	ds_read_b32 v39, v250 offset:40
	s_cmp_lt_i32 s22, 12
	v_mov_b32_e32 v40, 10
	s_cbranch_scc1 .LBB42_171
; %bb.169:
	s_waitcnt vmcnt(0)
	v_add3_u32 v41, v254, 0, 44
	v_mov_b32_e32 v40, 10
	s_mov_b32 s0, 11
.LBB42_170:                             ; =>This Inner Loop Header: Depth=1
	ds_read_b32 v42, v41
	v_mov_b32_e32 v43, s0
	s_add_i32 s0, s0, 1
	v_add_u32_e32 v41, 4, v41
	s_cmp_lg_u32 s22, s0
	s_waitcnt lgkmcnt(0)
	v_cmp_lt_f32_e64 vcc, |v39|, |v42|
	s_nop 1
	v_cndmask_b32_e32 v39, v39, v42, vcc
	v_cndmask_b32_e32 v40, v40, v43, vcc
	s_cbranch_scc1 .LBB42_170
.LBB42_171:
	s_waitcnt lgkmcnt(0)
	v_cmp_eq_f32_e32 vcc, 0, v39
	s_and_saveexec_b64 s[0:1], vcc
	s_xor_b64 s[0:1], exec, s[0:1]
; %bb.172:
	v_cmp_ne_u32_e32 vcc, 0, v252
	s_nop 1
	v_cndmask_b32_e32 v252, 11, v252, vcc
; %bb.173:
	s_andn2_saveexec_b64 s[0:1], s[0:1]
	s_cbranch_execz .LBB42_175
; %bb.174:
	v_div_scale_f32 v41, s[2:3], v39, v39, 1.0
	v_rcp_f32_e32 v42, v41
	v_div_scale_f32 v43, vcc, 1.0, v39, 1.0
	v_fma_f32 v44, -v41, v42, 1.0
	v_fmac_f32_e32 v42, v44, v42
	v_mul_f32_e32 v44, v43, v42
	v_fma_f32 v45, -v41, v44, v43
	v_fmac_f32_e32 v44, v45, v42
	v_fma_f32 v41, -v41, v44, v43
	v_div_fmas_f32 v41, v41, v42, v44
	v_div_fixup_f32 v39, v41, v39, 1.0
.LBB42_175:
	s_or_b64 exec, exec, s[0:1]
	v_cmp_ne_u32_e32 vcc, v251, v40
	s_and_saveexec_b64 s[0:1], vcc
	s_xor_b64 s[0:1], exec, s[0:1]
	s_cbranch_execz .LBB42_181
; %bb.176:
	v_cmp_eq_u32_e32 vcc, 10, v251
	s_and_saveexec_b64 s[2:3], vcc
	s_cbranch_execz .LBB42_180
; %bb.177:
	v_cmp_ne_u32_e32 vcc, 10, v40
	s_xor_b64 s[18:19], s[16:17], -1
	s_and_b64 s[20:21], s[18:19], vcc
	s_and_saveexec_b64 s[18:19], s[20:21]
	s_cbranch_execz .LBB42_179
; %bb.178:
	scratch_load_dwordx2 v[46:47], off, off offset:1416 ; 8-byte Folded Reload
	v_ashrrev_i32_e32 v41, 31, v40
	s_waitcnt vmcnt(0)
	v_lshl_add_u64 v[42:43], v[40:41], 2, v[46:47]
	global_load_dword v41, v[42:43], off
	global_load_dword v44, v[46:47], off offset:40
	s_waitcnt vmcnt(1)
	global_store_dword v[46:47], v41, off offset:40
	s_waitcnt vmcnt(1)
	global_store_dword v[42:43], v44, off
.LBB42_179:
	s_or_b64 exec, exec, s[18:19]
	v_mov_b32_e32 v41, v40
	v_mov_b32_e32 v251, v40
	scratch_store_dword off, v41, off offset:640 ; 4-byte Folded Spill
.LBB42_180:
	s_or_b64 exec, exec, s[2:3]
.LBB42_181:
	s_andn2_saveexec_b64 s[0:1], s[0:1]
	s_cbranch_execz .LBB42_183
; %bb.182:
	v_mov_b32_e32 v251, 10
	ds_write2_b32 v250, v11, v12 offset0:11 offset1:12
	ds_write2_b32 v250, v13, v14 offset0:13 offset1:14
	;; [unrolled: 1-line block ×5, first 2 shown]
	ds_write_b32 v250, v253 offset:84
.LBB42_183:
	s_or_b64 exec, exec, s[0:1]
	v_cmp_lt_i32_e32 vcc, 10, v251
	s_waitcnt lgkmcnt(0)
	s_barrier
	s_and_saveexec_b64 s[0:1], vcc
	s_cbranch_execz .LBB42_185
; %bb.184:
	scratch_load_dwordx4 v[70:73], off, off offset:900 ; 16-byte Folded Reload
	scratch_load_dwordx4 v[74:77], off, off offset:916 ; 16-byte Folded Reload
	;; [unrolled: 1-line block ×8, first 2 shown]
	ds_read2_b32 v[0:1], v250 offset0:11 offset1:12
	ds_read2_b32 v[4:5], v250 offset0:13 offset1:14
	;; [unrolled: 1-line block ×4, first 2 shown]
	s_waitcnt vmcnt(5)
	v_mul_f32_e32 v80, v102, v39
	v_mov_b32_e32 v2, v11
	v_mov_b32_e32 v3, v12
	;; [unrolled: 1-line block ×8, first 2 shown]
	s_waitcnt lgkmcnt(3)
	v_pk_fma_f32 v[40:41], v[80:81], v[0:1], v[2:3] op_sel_hi:[0,1,1] neg_lo:[1,0,0] neg_hi:[1,0,0]
	v_mov_b32_e32 v0, v13
	v_mov_b32_e32 v1, v14
	s_waitcnt lgkmcnt(2)
	v_pk_fma_f32 v[42:43], v[80:81], v[4:5], v[0:1] op_sel_hi:[0,1,1] neg_lo:[1,0,0] neg_hi:[1,0,0]
	v_mov_b32_e32 v0, v15
	v_mov_b32_e32 v1, v16
	;; [unrolled: 4-line block ×4, first 2 shown]
	v_mov_b32_e32 v7, v71
	v_mov_b32_e32 v8, v72
	;; [unrolled: 1-line block ×12, first 2 shown]
	ds_read2_b32 v[2:3], v250 offset0:19 offset1:20
	ds_read_b32 v4, v250 offset:84
	v_mov_b32_e32 v1, v20
	scratch_store_dwordx4 off, v[6:9], off offset:512 ; 16-byte Folded Spill
	s_nop 0
	scratch_store_dwordx4 off, v[10:13], off offset:528 ; 16-byte Folded Spill
	scratch_store_dwordx4 off, v[14:17], off offset:544 ; 16-byte Folded Spill
	;; [unrolled: 1-line block ×7, first 2 shown]
	v_mov_b32_e32 v20, v43
	v_mov_b32_e32 v49, v71
	;; [unrolled: 1-line block ×38, first 2 shown]
	s_waitcnt lgkmcnt(1)
	v_pk_fma_f32 v[254:255], v[80:81], v[2:3], v[0:1] op_sel_hi:[0,1,1] neg_lo:[1,0,0] neg_hi:[1,0,0]
	v_mov_b32_e32 v81, v40
	v_mov_b32_e32 v38, v45
	;; [unrolled: 1-line block ×10, first 2 shown]
	scratch_store_dwordx4 off, v[6:9], off offset:256 ; 16-byte Folded Spill
	s_nop 0
	scratch_store_dwordx4 off, v[10:13], off offset:272 ; 16-byte Folded Spill
	scratch_store_dwordx4 off, v[14:17], off offset:288 ; 16-byte Folded Spill
	;; [unrolled: 1-line block ×7, first 2 shown]
	v_mov_b32_e32 v21, v44
	v_mov_b32_e32 v134, v45
	;; [unrolled: 1-line block ×13, first 2 shown]
	scratch_store_dwordx4 off, v[6:9], off offset:384 ; 16-byte Folded Spill
	s_nop 0
	scratch_store_dwordx4 off, v[10:13], off offset:400 ; 16-byte Folded Spill
	scratch_store_dwordx4 off, v[14:17], off offset:416 ; 16-byte Folded Spill
	;; [unrolled: 1-line block ×7, first 2 shown]
	v_mov_b32_e32 v22, v70
	v_mov_b32_e32 v23, v71
	;; [unrolled: 1-line block ×10, first 2 shown]
	scratch_store_dwordx4 off, v[48:51], off offset:128 ; 16-byte Folded Spill
	s_nop 0
	scratch_store_dwordx4 off, v[52:55], off offset:144 ; 16-byte Folded Spill
	scratch_store_dwordx4 off, v[56:59], off offset:160 ; 16-byte Folded Spill
	scratch_store_dwordx4 off, v[60:63], off offset:176 ; 16-byte Folded Spill
	scratch_store_dwordx4 off, v[64:67], off offset:192 ; 16-byte Folded Spill
	scratch_store_dwordx4 off, v[68:71], off offset:208 ; 16-byte Folded Spill
	scratch_store_dwordx4 off, v[72:75], off offset:224 ; 16-byte Folded Spill
	scratch_store_dwordx4 off, v[76:79], off offset:240 ; 16-byte Folded Spill
	v_mov_b32_e32 v32, v80
	v_mov_b32_e32 v33, v40
	v_mov_b32_e32 v34, v41
	v_mov_b32_e32 v35, v42
	v_mov_b32_e32 v36, v43
	v_mov_b32_e32 v37, v44
	s_waitcnt lgkmcnt(0)
	v_fma_f32 v21, -v80, v4, v253
	v_mov_b32_e32 v10, v80
	v_mov_b32_e32 v20, v255
	;; [unrolled: 1-line block ×33, first 2 shown]
	scratch_store_dwordx4 off, v[70:73], off offset:644 ; 16-byte Folded Spill
	s_nop 0
	scratch_store_dwordx4 off, v[74:77], off offset:660 ; 16-byte Folded Spill
	scratch_store_dwordx4 off, v[78:81], off offset:676 ; 16-byte Folded Spill
	s_waitcnt vmcnt(39)
	scratch_store_dwordx4 off, v[82:85], off offset:692 ; 16-byte Folded Spill
	s_waitcnt vmcnt(39)
	;; [unrolled: 2-line block ×5, first 2 shown]
	scratch_store_dwordx4 off, v[98:101], off offset:756 ; 16-byte Folded Spill
	scratch_store_dwordx4 off, v[70:73], off offset:772 ; 16-byte Folded Spill
	s_nop 0
	scratch_store_dwordx4 off, v[74:77], off offset:788 ; 16-byte Folded Spill
	scratch_store_dwordx4 off, v[78:81], off offset:804 ; 16-byte Folded Spill
	;; [unrolled: 1-line block ×7, first 2 shown]
	v_mov_b32_e32 v72, v41
	v_mov_b32_e32 v95, v40
	;; [unrolled: 1-line block ×6, first 2 shown]
	scratch_store_dwordx4 off, v[20:23], off ; 16-byte Folded Spill
	s_nop 0
	scratch_store_dwordx4 off, v[24:27], off offset:16 ; 16-byte Folded Spill
	scratch_store_dwordx4 off, v[28:31], off offset:32 ; 16-byte Folded Spill
	;; [unrolled: 1-line block ×7, first 2 shown]
	scratch_load_dword v254, off, off offset:1156 ; 4-byte Folded Reload
.LBB42_185:
	s_or_b64 exec, exec, s[0:1]
	v_lshl_add_u32 v39, v251, 2, v250
	s_barrier
	ds_write_b32 v39, v95
	s_waitcnt lgkmcnt(0)
	s_barrier
	ds_read_b32 v39, v250 offset:44
	s_cmp_lt_i32 s22, 13
	v_mov_b32_e32 v40, 11
	s_cbranch_scc1 .LBB42_188
; %bb.186:
	s_waitcnt vmcnt(0)
	v_add3_u32 v41, v254, 0, 48
	v_mov_b32_e32 v40, 11
	s_mov_b32 s0, 12
.LBB42_187:                             ; =>This Inner Loop Header: Depth=1
	ds_read_b32 v42, v41
	v_mov_b32_e32 v43, s0
	s_add_i32 s0, s0, 1
	v_add_u32_e32 v41, 4, v41
	s_cmp_lg_u32 s22, s0
	s_waitcnt lgkmcnt(0)
	v_cmp_lt_f32_e64 vcc, |v39|, |v42|
	s_nop 1
	v_cndmask_b32_e32 v39, v39, v42, vcc
	v_cndmask_b32_e32 v40, v40, v43, vcc
	s_cbranch_scc1 .LBB42_187
.LBB42_188:
	s_waitcnt lgkmcnt(0)
	v_cmp_eq_f32_e32 vcc, 0, v39
	s_and_saveexec_b64 s[0:1], vcc
	s_xor_b64 s[0:1], exec, s[0:1]
; %bb.189:
	v_cmp_ne_u32_e32 vcc, 0, v252
	s_nop 1
	v_cndmask_b32_e32 v252, 12, v252, vcc
; %bb.190:
	s_andn2_saveexec_b64 s[0:1], s[0:1]
	s_cbranch_execz .LBB42_192
; %bb.191:
	v_div_scale_f32 v41, s[2:3], v39, v39, 1.0
	v_rcp_f32_e32 v42, v41
	v_div_scale_f32 v43, vcc, 1.0, v39, 1.0
	v_fma_f32 v44, -v41, v42, 1.0
	v_fmac_f32_e32 v42, v44, v42
	v_mul_f32_e32 v44, v43, v42
	v_fma_f32 v45, -v41, v44, v43
	v_fmac_f32_e32 v44, v45, v42
	v_fma_f32 v41, -v41, v44, v43
	v_div_fmas_f32 v41, v41, v42, v44
	v_div_fixup_f32 v39, v41, v39, 1.0
.LBB42_192:
	s_or_b64 exec, exec, s[0:1]
	v_cmp_ne_u32_e32 vcc, v251, v40
	s_and_saveexec_b64 s[0:1], vcc
	s_xor_b64 s[0:1], exec, s[0:1]
	s_cbranch_execz .LBB42_198
; %bb.193:
	v_cmp_eq_u32_e32 vcc, 11, v251
	s_and_saveexec_b64 s[2:3], vcc
	s_cbranch_execz .LBB42_197
; %bb.194:
	v_cmp_ne_u32_e32 vcc, 11, v40
	s_xor_b64 s[18:19], s[16:17], -1
	s_and_b64 s[20:21], s[18:19], vcc
	s_and_saveexec_b64 s[18:19], s[20:21]
	s_cbranch_execz .LBB42_196
; %bb.195:
	scratch_load_dwordx2 v[46:47], off, off offset:1416 ; 8-byte Folded Reload
	v_ashrrev_i32_e32 v41, 31, v40
	s_waitcnt vmcnt(0)
	v_lshl_add_u64 v[42:43], v[40:41], 2, v[46:47]
	global_load_dword v41, v[42:43], off
	global_load_dword v44, v[46:47], off offset:44
	s_waitcnt vmcnt(1)
	global_store_dword v[46:47], v41, off offset:44
	s_waitcnt vmcnt(1)
	global_store_dword v[42:43], v44, off
.LBB42_196:
	s_or_b64 exec, exec, s[18:19]
	v_mov_b32_e32 v41, v40
	v_mov_b32_e32 v251, v40
	scratch_store_dword off, v41, off offset:640 ; 4-byte Folded Spill
.LBB42_197:
	s_or_b64 exec, exec, s[2:3]
.LBB42_198:
	s_andn2_saveexec_b64 s[0:1], s[0:1]
	s_cbranch_execz .LBB42_200
; %bb.199:
	v_mov_b32_e32 v251, 11
	ds_write2_b32 v250, v12, v13 offset0:12 offset1:13
	ds_write2_b32 v250, v14, v15 offset0:14 offset1:15
	;; [unrolled: 1-line block ×5, first 2 shown]
.LBB42_200:
	s_or_b64 exec, exec, s[0:1]
	v_cmp_lt_i32_e32 vcc, 11, v251
	s_waitcnt lgkmcnt(0)
	s_barrier
	s_and_saveexec_b64 s[0:1], vcc
	s_cbranch_execz .LBB42_202
; %bb.201:
	v_mul_f32_e32 v0, v95, v39
	ds_read2_b32 v[2:3], v250 offset0:12 offset1:13
	ds_read2_b32 v[4:5], v250 offset0:14 offset1:15
	;; [unrolled: 1-line block ×5, first 2 shown]
	scratch_load_dwordx4 v[70:73], off, off offset:772 ; 16-byte Folded Reload
	scratch_load_dwordx4 v[74:77], off, off offset:788 ; 16-byte Folded Reload
	;; [unrolled: 1-line block ×8, first 2 shown]
	s_waitcnt lgkmcnt(4)
	v_pk_fma_f32 v[194:195], v[0:1], v[2:3], v[12:13] op_sel_hi:[0,1,1] neg_lo:[1,0,0] neg_hi:[1,0,0]
	s_waitcnt lgkmcnt(2)
	v_pk_fma_f32 v[38:39], v[0:1], v[6:7], v[16:17] op_sel_hi:[0,1,1] neg_lo:[1,0,0] neg_hi:[1,0,0]
	v_mov_b32_e32 v51, v0
	v_mov_b32_e32 v33, v0
	;; [unrolled: 1-line block ×4, first 2 shown]
	v_pk_fma_f32 v[66:67], v[0:1], v[4:5], v[14:15] op_sel_hi:[0,1,1] neg_lo:[1,0,0] neg_hi:[1,0,0]
	v_mov_b32_e32 v63, v0
	v_mov_b32_e32 v64, v194
	;; [unrolled: 1-line block ×3, first 2 shown]
	s_waitcnt lgkmcnt(1)
	v_pk_fma_f32 v[20:21], v[0:1], v[8:9], v[20:21] op_sel_hi:[0,1,1] neg_lo:[1,0,0] neg_hi:[1,0,0]
	v_mov_b32_e32 v193, v0
	v_mov_b32_e32 v129, v0
	;; [unrolled: 1-line block ×4, first 2 shown]
	s_waitcnt lgkmcnt(0)
	v_pk_fma_f32 v[154:155], v[0:1], v[10:11], v[18:19] op_sel_hi:[0,1,1] neg_lo:[1,0,0] neg_hi:[1,0,0]
	v_mov_b32_e32 v147, v0
	v_mov_b32_e32 v150, v66
	;; [unrolled: 1-line block ×4, first 2 shown]
	s_waitcnt vmcnt(13)
	v_mov_b32_e32 v225, v0
	s_waitcnt vmcnt(12)
	v_mov_b32_e32 v228, v66
	v_mov_b32_e32 v229, v67
	;; [unrolled: 1-line block ×6, first 2 shown]
	s_waitcnt vmcnt(11)
	v_mov_b32_e32 v232, v154
	v_mov_b32_e32 v233, v155
	;; [unrolled: 1-line block ×13, first 2 shown]
	s_waitcnt vmcnt(5)
	v_mov_b32_e32 v40, v70
	v_mov_b32_e32 v41, v71
	;; [unrolled: 1-line block ×33, first 2 shown]
	scratch_store_dwordx4 off, v[22:25], off offset:512 ; 16-byte Folded Spill
	s_nop 0
	scratch_store_dwordx4 off, v[26:29], off offset:528 ; 16-byte Folded Spill
	scratch_store_dwordx4 off, v[30:33], off offset:544 ; 16-byte Folded Spill
	scratch_store_dwordx4 off, v[34:37], off offset:560 ; 16-byte Folded Spill
	scratch_store_dwordx4 off, v[38:41], off offset:576 ; 16-byte Folded Spill
	scratch_store_dwordx4 off, v[42:45], off offset:592 ; 16-byte Folded Spill
	scratch_store_dwordx4 off, v[46:49], off offset:608 ; 16-byte Folded Spill
	scratch_store_dwordx4 off, v[50:53], off offset:624 ; 16-byte Folded Spill
	v_mov_b32_e32 v36, v66
	v_mov_b32_e32 v37, v67
	;; [unrolled: 1-line block ×15, first 2 shown]
	scratch_store_dwordx4 off, v[22:25], off offset:384 ; 16-byte Folded Spill
	s_nop 0
	scratch_store_dwordx4 off, v[26:29], off offset:400 ; 16-byte Folded Spill
	scratch_store_dwordx4 off, v[30:33], off offset:416 ; 16-byte Folded Spill
	;; [unrolled: 1-line block ×7, first 2 shown]
	v_mov_b32_e32 v118, v40
	v_mov_b32_e32 v119, v41
	;; [unrolled: 1-line block ×44, first 2 shown]
	scratch_store_dwordx4 off, v[40:43], off offset:644 ; 16-byte Folded Spill
	s_nop 0
	scratch_store_dwordx4 off, v[44:47], off offset:660 ; 16-byte Folded Spill
	scratch_store_dwordx4 off, v[48:51], off offset:676 ; 16-byte Folded Spill
	;; [unrolled: 1-line block ×7, first 2 shown]
	v_mov_b32_e32 v152, v38
	v_mov_b32_e32 v153, v39
	;; [unrolled: 1-line block ×8, first 2 shown]
	s_waitcnt vmcnt(25)
	v_mov_b32_e32 v96, v38
	s_waitcnt vmcnt(24)
	v_mov_b32_e32 v98, v66
	scratch_store_dwordx4 off, v[52:55], off offset:256 ; 16-byte Folded Spill
	s_nop 0
	scratch_store_dwordx4 off, v[56:59], off offset:272 ; 16-byte Folded Spill
	scratch_store_dwordx4 off, v[60:63], off offset:288 ; 16-byte Folded Spill
	;; [unrolled: 1-line block ×8, first 2 shown]
	s_nop 0
	scratch_store_dwordx4 off, v[140:143], off offset:144 ; 16-byte Folded Spill
	scratch_store_dwordx4 off, v[144:147], off offset:160 ; 16-byte Folded Spill
	;; [unrolled: 1-line block ×7, first 2 shown]
	v_mov_b32_e32 v59, v39
	v_mov_b32_e32 v97, v67
	;; [unrolled: 1-line block ×3, first 2 shown]
	scratch_store_dwordx4 off, v[86:89], off ; 16-byte Folded Spill
	s_nop 0
	scratch_store_dwordx4 off, v[90:93], off offset:16 ; 16-byte Folded Spill
	scratch_store_dwordx4 off, v[94:97], off offset:32 ; 16-byte Folded Spill
	;; [unrolled: 1-line block ×7, first 2 shown]
.LBB42_202:
	s_or_b64 exec, exec, s[0:1]
	v_lshl_add_u32 v39, v251, 2, v250
	s_barrier
	ds_write_b32 v39, v72
	s_waitcnt lgkmcnt(0)
	s_barrier
	ds_read_b32 v39, v250 offset:48
	s_cmp_lt_i32 s22, 14
	v_mov_b32_e32 v40, 12
	s_cbranch_scc1 .LBB42_205
; %bb.203:
	s_waitcnt vmcnt(0)
	v_add3_u32 v41, v254, 0, 52
	v_mov_b32_e32 v40, 12
	s_mov_b32 s0, 13
.LBB42_204:                             ; =>This Inner Loop Header: Depth=1
	ds_read_b32 v42, v41
	v_mov_b32_e32 v43, s0
	s_add_i32 s0, s0, 1
	v_add_u32_e32 v41, 4, v41
	s_cmp_lg_u32 s22, s0
	s_waitcnt lgkmcnt(0)
	v_cmp_lt_f32_e64 vcc, |v39|, |v42|
	s_nop 1
	v_cndmask_b32_e32 v39, v39, v42, vcc
	v_cndmask_b32_e32 v40, v40, v43, vcc
	s_cbranch_scc1 .LBB42_204
.LBB42_205:
	s_waitcnt lgkmcnt(0)
	v_cmp_eq_f32_e32 vcc, 0, v39
	s_and_saveexec_b64 s[0:1], vcc
	s_xor_b64 s[0:1], exec, s[0:1]
; %bb.206:
	v_cmp_ne_u32_e32 vcc, 0, v252
	s_nop 1
	v_cndmask_b32_e32 v252, 13, v252, vcc
; %bb.207:
	s_andn2_saveexec_b64 s[0:1], s[0:1]
	s_cbranch_execz .LBB42_209
; %bb.208:
	v_div_scale_f32 v41, s[2:3], v39, v39, 1.0
	v_rcp_f32_e32 v42, v41
	v_div_scale_f32 v43, vcc, 1.0, v39, 1.0
	v_fma_f32 v44, -v41, v42, 1.0
	v_fmac_f32_e32 v42, v44, v42
	v_mul_f32_e32 v44, v43, v42
	v_fma_f32 v45, -v41, v44, v43
	v_fmac_f32_e32 v44, v45, v42
	v_fma_f32 v41, -v41, v44, v43
	v_div_fmas_f32 v41, v41, v42, v44
	v_div_fixup_f32 v39, v41, v39, 1.0
.LBB42_209:
	s_or_b64 exec, exec, s[0:1]
	v_cmp_ne_u32_e32 vcc, v251, v40
	s_and_saveexec_b64 s[0:1], vcc
	s_xor_b64 s[0:1], exec, s[0:1]
	s_cbranch_execz .LBB42_215
; %bb.210:
	v_cmp_eq_u32_e32 vcc, 12, v251
	s_and_saveexec_b64 s[2:3], vcc
	s_cbranch_execz .LBB42_214
; %bb.211:
	v_cmp_ne_u32_e32 vcc, 12, v40
	s_xor_b64 s[18:19], s[16:17], -1
	s_and_b64 s[20:21], s[18:19], vcc
	s_and_saveexec_b64 s[18:19], s[20:21]
	s_cbranch_execz .LBB42_213
; %bb.212:
	scratch_load_dwordx2 v[46:47], off, off offset:1416 ; 8-byte Folded Reload
	v_ashrrev_i32_e32 v41, 31, v40
	s_waitcnt vmcnt(0)
	v_lshl_add_u64 v[42:43], v[40:41], 2, v[46:47]
	global_load_dword v41, v[42:43], off
	global_load_dword v44, v[46:47], off offset:48
	s_waitcnt vmcnt(1)
	global_store_dword v[46:47], v41, off offset:48
	s_waitcnt vmcnt(1)
	global_store_dword v[42:43], v44, off
.LBB42_213:
	s_or_b64 exec, exec, s[18:19]
	v_mov_b32_e32 v41, v40
	v_mov_b32_e32 v251, v40
	scratch_store_dword off, v41, off offset:640 ; 4-byte Folded Spill
.LBB42_214:
	s_or_b64 exec, exec, s[2:3]
.LBB42_215:
	s_andn2_saveexec_b64 s[0:1], s[0:1]
	s_cbranch_execz .LBB42_217
; %bb.216:
	v_mov_b32_e32 v251, 12
	ds_write2_b32 v250, v13, v14 offset0:13 offset1:14
	ds_write2_b32 v250, v15, v16 offset0:15 offset1:16
	;; [unrolled: 1-line block ×4, first 2 shown]
	ds_write_b32 v250, v253 offset:84
.LBB42_217:
	s_or_b64 exec, exec, s[0:1]
	v_cmp_lt_i32_e32 vcc, 12, v251
	s_waitcnt lgkmcnt(0)
	s_barrier
	s_and_saveexec_b64 s[0:1], vcc
	s_cbranch_execz .LBB42_219
; %bb.218:
	scratch_load_dwordx4 v[182:185], off, off offset:644 ; 16-byte Folded Reload
	scratch_load_dwordx4 v[186:189], off, off offset:660 ; 16-byte Folded Reload
	;; [unrolled: 1-line block ×8, first 2 shown]
	ds_read2_b32 v[0:1], v250 offset0:13 offset1:14
	ds_read2_b32 v[4:5], v250 offset0:15 offset1:16
	;; [unrolled: 1-line block ×4, first 2 shown]
	s_waitcnt vmcnt(4)
	v_mul_f32_e32 v194, v72, v39
	v_mov_b32_e32 v2, v13
	v_mov_b32_e32 v3, v14
	;; [unrolled: 1-line block ×9, first 2 shown]
	s_waitcnt lgkmcnt(3)
	v_pk_fma_f32 v[40:41], v[194:195], v[0:1], v[2:3] op_sel_hi:[0,1,1] neg_lo:[1,0,0] neg_hi:[1,0,0]
	v_mov_b32_e32 v0, v15
	v_mov_b32_e32 v1, v16
	s_waitcnt lgkmcnt(2)
	v_pk_fma_f32 v[42:43], v[194:195], v[4:5], v[0:1] op_sel_hi:[0,1,1] neg_lo:[1,0,0] neg_hi:[1,0,0]
	v_mov_b32_e32 v0, v17
	v_mov_b32_e32 v1, v18
	s_waitcnt lgkmcnt(1)
	v_pk_fma_f32 v[44:45], v[194:195], v[6:7], v[0:1] op_sel_hi:[0,1,1] neg_lo:[1,0,0] neg_hi:[1,0,0]
	v_mov_b32_e32 v0, v19
	v_mov_b32_e32 v1, v20
	s_waitcnt lgkmcnt(0)
	v_pk_fma_f32 v[254:255], v[194:195], v[8:9], v[0:1] op_sel_hi:[0,1,1] neg_lo:[1,0,0] neg_hi:[1,0,0]
	v_mov_b32_e32 v2, v182
	v_mov_b32_e32 v3, v183
	v_mov_b32_e32 v4, v184
	v_mov_b32_e32 v5, v185
	;; [unrolled: 1-line block ×11, first 2 shown]
	ds_read_b32 v0, v250 offset:84
	scratch_store_dwordx4 off, v[2:5], off offset:256 ; 16-byte Folded Spill
	s_nop 0
	scratch_store_dwordx4 off, v[6:9], off offset:272 ; 16-byte Folded Spill
	scratch_store_dwordx4 off, v[10:13], off offset:288 ; 16-byte Folded Spill
	;; [unrolled: 1-line block ×7, first 2 shown]
	v_mov_b32_e32 v17, v42
	v_mov_b32_e32 v195, v40
	;; [unrolled: 1-line block ×48, first 2 shown]
	scratch_store_dwordx4 off, v[2:5], off offset:384 ; 16-byte Folded Spill
	s_nop 0
	scratch_store_dwordx4 off, v[6:9], off offset:400 ; 16-byte Folded Spill
	scratch_store_dwordx4 off, v[10:13], off offset:416 ; 16-byte Folded Spill
	;; [unrolled: 1-line block ×7, first 2 shown]
	v_mov_b32_e32 v22, v182
	v_mov_b32_e32 v23, v183
	;; [unrolled: 1-line block ×15, first 2 shown]
	scratch_store_dwordx4 off, v[2:5], off offset:128 ; 16-byte Folded Spill
	s_nop 0
	scratch_store_dwordx4 off, v[6:9], off offset:144 ; 16-byte Folded Spill
	scratch_store_dwordx4 off, v[10:13], off offset:160 ; 16-byte Folded Spill
	;; [unrolled: 1-line block ×7, first 2 shown]
	s_waitcnt lgkmcnt(0)
	v_fma_f32 v21, -v194, v0, v253
	v_mov_b32_e32 v20, v255
	v_mov_b32_e32 v0, v182
	;; [unrolled: 1-line block ×19, first 2 shown]
	scratch_store_dwordx4 off, v[182:185], off offset:512 ; 16-byte Folded Spill
	s_nop 0
	scratch_store_dwordx4 off, v[186:189], off offset:528 ; 16-byte Folded Spill
	scratch_store_dwordx4 off, v[190:193], off offset:544 ; 16-byte Folded Spill
	scratch_store_dwordx4 off, v[194:197], off offset:560 ; 16-byte Folded Spill
	s_waitcnt vmcnt(31)
	scratch_store_dwordx4 off, v[198:201], off offset:576 ; 16-byte Folded Spill
	s_waitcnt vmcnt(31)
	scratch_store_dwordx4 off, v[202:205], off offset:592 ; 16-byte Folded Spill
	;; [unrolled: 2-line block ×4, first 2 shown]
	v_mov_b32_e32 v253, v21
	v_mov_b32_e32 v19, v254
	scratch_store_dwordx4 off, v[20:23], off ; 16-byte Folded Spill
	s_nop 0
	scratch_store_dwordx4 off, v[24:27], off offset:16 ; 16-byte Folded Spill
	scratch_store_dwordx4 off, v[28:31], off offset:32 ; 16-byte Folded Spill
	scratch_store_dwordx4 off, v[32:35], off offset:48 ; 16-byte Folded Spill
	scratch_store_dwordx4 off, v[36:39], off offset:64 ; 16-byte Folded Spill
	scratch_store_dwordx4 off, v[40:43], off offset:80 ; 16-byte Folded Spill
	scratch_store_dwordx4 off, v[44:47], off offset:96 ; 16-byte Folded Spill
	scratch_store_dwordx4 off, v[48:51], off offset:112 ; 16-byte Folded Spill
	scratch_load_dword v254, off, off offset:1156 ; 4-byte Folded Reload
.LBB42_219:
	s_or_b64 exec, exec, s[0:1]
	v_lshl_add_u32 v39, v251, 2, v250
	s_barrier
	ds_write_b32 v39, v73
	s_waitcnt lgkmcnt(0)
	s_barrier
	ds_read_b32 v39, v250 offset:52
	s_cmp_lt_i32 s22, 15
	v_mov_b32_e32 v40, 13
	s_cbranch_scc1 .LBB42_222
; %bb.220:
	s_waitcnt vmcnt(0)
	v_add3_u32 v41, v254, 0, 56
	v_mov_b32_e32 v40, 13
	s_mov_b32 s0, 14
.LBB42_221:                             ; =>This Inner Loop Header: Depth=1
	ds_read_b32 v42, v41
	v_mov_b32_e32 v43, s0
	s_add_i32 s0, s0, 1
	v_add_u32_e32 v41, 4, v41
	s_cmp_lg_u32 s22, s0
	s_waitcnt lgkmcnt(0)
	v_cmp_lt_f32_e64 vcc, |v39|, |v42|
	s_nop 1
	v_cndmask_b32_e32 v39, v39, v42, vcc
	v_cndmask_b32_e32 v40, v40, v43, vcc
	s_cbranch_scc1 .LBB42_221
.LBB42_222:
	s_waitcnt lgkmcnt(0)
	v_cmp_eq_f32_e32 vcc, 0, v39
	s_and_saveexec_b64 s[0:1], vcc
	s_xor_b64 s[0:1], exec, s[0:1]
; %bb.223:
	v_cmp_ne_u32_e32 vcc, 0, v252
	s_nop 1
	v_cndmask_b32_e32 v252, 14, v252, vcc
; %bb.224:
	s_andn2_saveexec_b64 s[0:1], s[0:1]
	s_cbranch_execz .LBB42_226
; %bb.225:
	v_div_scale_f32 v41, s[2:3], v39, v39, 1.0
	v_rcp_f32_e32 v42, v41
	v_div_scale_f32 v43, vcc, 1.0, v39, 1.0
	v_fma_f32 v44, -v41, v42, 1.0
	v_fmac_f32_e32 v42, v44, v42
	v_mul_f32_e32 v44, v43, v42
	v_fma_f32 v45, -v41, v44, v43
	v_fmac_f32_e32 v44, v45, v42
	v_fma_f32 v41, -v41, v44, v43
	v_div_fmas_f32 v41, v41, v42, v44
	v_div_fixup_f32 v39, v41, v39, 1.0
.LBB42_226:
	s_or_b64 exec, exec, s[0:1]
	v_cmp_ne_u32_e32 vcc, v251, v40
	s_and_saveexec_b64 s[0:1], vcc
	s_xor_b64 s[0:1], exec, s[0:1]
	s_cbranch_execz .LBB42_232
; %bb.227:
	v_cmp_eq_u32_e32 vcc, 13, v251
	s_and_saveexec_b64 s[2:3], vcc
	s_cbranch_execz .LBB42_231
; %bb.228:
	v_cmp_ne_u32_e32 vcc, 13, v40
	s_xor_b64 s[18:19], s[16:17], -1
	s_and_b64 s[20:21], s[18:19], vcc
	s_and_saveexec_b64 s[18:19], s[20:21]
	s_cbranch_execz .LBB42_230
; %bb.229:
	scratch_load_dwordx2 v[46:47], off, off offset:1416 ; 8-byte Folded Reload
	v_ashrrev_i32_e32 v41, 31, v40
	s_waitcnt vmcnt(0)
	v_lshl_add_u64 v[42:43], v[40:41], 2, v[46:47]
	global_load_dword v41, v[42:43], off
	global_load_dword v44, v[46:47], off offset:52
	s_waitcnt vmcnt(1)
	global_store_dword v[46:47], v41, off offset:52
	s_waitcnt vmcnt(1)
	global_store_dword v[42:43], v44, off
.LBB42_230:
	s_or_b64 exec, exec, s[18:19]
	v_mov_b32_e32 v41, v40
	v_mov_b32_e32 v251, v40
	scratch_store_dword off, v41, off offset:640 ; 4-byte Folded Spill
.LBB42_231:
	s_or_b64 exec, exec, s[2:3]
.LBB42_232:
	s_andn2_saveexec_b64 s[0:1], s[0:1]
	s_cbranch_execz .LBB42_234
; %bb.233:
	v_mov_b32_e32 v251, 13
	ds_write2_b32 v250, v14, v15 offset0:14 offset1:15
	ds_write2_b32 v250, v16, v17 offset0:16 offset1:17
	;; [unrolled: 1-line block ×4, first 2 shown]
.LBB42_234:
	s_or_b64 exec, exec, s[0:1]
	v_cmp_lt_i32_e32 vcc, 13, v251
	s_waitcnt lgkmcnt(0)
	s_barrier
	s_and_saveexec_b64 s[0:1], vcc
	s_cbranch_execz .LBB42_236
; %bb.235:
	ds_read2_b32 v[0:1], v250 offset0:14 offset1:15
	ds_read2_b32 v[2:3], v250 offset0:16 offset1:17
	;; [unrolled: 1-line block ×4, first 2 shown]
	v_mul_f32_e32 v8, v73, v39
	s_waitcnt lgkmcnt(3)
	v_pk_fma_f32 v[54:55], v[8:9], v[0:1], v[14:15] op_sel_hi:[0,1,1] neg_lo:[1,0,0] neg_hi:[1,0,0]
	s_waitcnt lgkmcnt(2)
	v_pk_fma_f32 v[38:39], v[8:9], v[2:3], v[16:17] op_sel_hi:[0,1,1] neg_lo:[1,0,0] neg_hi:[1,0,0]
	v_mov_b32_e32 v40, v182
	v_mov_b32_e32 v41, v183
	v_mov_b32_e32 v42, v184
	v_mov_b32_e32 v43, v185
	v_mov_b32_e32 v44, v186
	v_mov_b32_e32 v45, v187
	v_mov_b32_e32 v46, v188
	v_mov_b32_e32 v47, v189
	v_mov_b32_e32 v48, v190
	v_mov_b32_e32 v49, v191
	v_mov_b32_e32 v50, v192
	v_mov_b32_e32 v51, v193
	v_mov_b32_e32 v52, v194
	v_mov_b32_e32 v53, v8
	v_mov_b32_e32 v22, v182
	v_mov_b32_e32 v23, v183
	v_mov_b32_e32 v24, v184
	v_mov_b32_e32 v25, v185
	v_mov_b32_e32 v26, v186
	v_mov_b32_e32 v27, v187
	v_mov_b32_e32 v28, v188
	v_mov_b32_e32 v29, v189
	v_mov_b32_e32 v30, v190
	v_mov_b32_e32 v31, v191
	v_mov_b32_e32 v32, v192
	v_mov_b32_e32 v33, v193
	v_mov_b32_e32 v34, v194
	v_mov_b32_e32 v35, v8
	v_mov_b32_e32 v36, v54
	v_mov_b32_e32 v37, v55
	scratch_store_dwordx4 off, v[22:25], off offset:384 ; 16-byte Folded Spill
	s_nop 0
	scratch_store_dwordx4 off, v[26:29], off offset:400 ; 16-byte Folded Spill
	scratch_store_dwordx4 off, v[30:33], off offset:416 ; 16-byte Folded Spill
	;; [unrolled: 1-line block ×7, first 2 shown]
	v_mov_b32_e32 v195, v8
	v_mov_b32_e32 v60, v182
	;; [unrolled: 1-line block ×13, first 2 shown]
	s_waitcnt lgkmcnt(1)
	v_pk_fma_f32 v[78:79], v[8:9], v[4:5], v[18:19] op_sel_hi:[0,1,1] neg_lo:[1,0,0] neg_hi:[1,0,0]
	s_waitcnt lgkmcnt(0)
	v_pk_fma_f32 v[20:21], v[8:9], v[6:7], v[20:21] op_sel_hi:[0,1,1] neg_lo:[1,0,0] neg_hi:[1,0,0]
	v_mov_b32_e32 v118, v182
	v_mov_b32_e32 v119, v183
	;; [unrolled: 1-line block ×21, first 2 shown]
	s_waitcnt vmcnt(12)
	v_mov_b32_e32 v227, v8
	v_mov_b32_e32 v214, v182
	;; [unrolled: 1-line block ×31, first 2 shown]
	scratch_store_dwordx4 off, v[182:185], off offset:512 ; 16-byte Folded Spill
	s_nop 0
	scratch_store_dwordx4 off, v[186:189], off offset:528 ; 16-byte Folded Spill
	scratch_store_dwordx4 off, v[190:193], off offset:544 ; 16-byte Folded Spill
	;; [unrolled: 1-line block ×7, first 2 shown]
	v_mov_b32_e32 v98, v54
	scratch_store_dwordx4 off, v[40:43], off offset:256 ; 16-byte Folded Spill
	s_nop 0
	scratch_store_dwordx4 off, v[44:47], off offset:272 ; 16-byte Folded Spill
	scratch_store_dwordx4 off, v[48:51], off offset:288 ; 16-byte Folded Spill
	;; [unrolled: 1-line block ×7, first 2 shown]
	v_mov_b32_e32 v76, v38
	v_mov_b32_e32 v77, v39
	s_waitcnt vmcnt(27)
	v_mov_b32_e32 v232, v78
	v_mov_b32_e32 v233, v79
	;; [unrolled: 1-line block ×15, first 2 shown]
	scratch_store_dwordx4 off, v[60:63], off offset:128 ; 16-byte Folded Spill
	s_nop 0
	scratch_store_dwordx4 off, v[64:67], off offset:144 ; 16-byte Folded Spill
	scratch_store_dwordx4 off, v[68:71], off offset:160 ; 16-byte Folded Spill
	;; [unrolled: 1-line block ×7, first 2 shown]
	v_mov_b32_e32 v97, v55
	v_mov_b32_e32 v105, v79
	scratch_store_dwordx4 off, v[86:89], off ; 16-byte Folded Spill
	s_nop 0
	scratch_store_dwordx4 off, v[90:93], off offset:16 ; 16-byte Folded Spill
	scratch_store_dwordx4 off, v[94:97], off offset:32 ; 16-byte Folded Spill
	;; [unrolled: 1-line block ×7, first 2 shown]
.LBB42_236:
	s_or_b64 exec, exec, s[0:1]
	v_lshl_add_u32 v39, v251, 2, v250
	s_barrier
	ds_write_b32 v39, v98
	s_waitcnt lgkmcnt(0)
	s_barrier
	ds_read_b32 v39, v250 offset:56
	s_cmp_lt_i32 s22, 16
	v_mov_b32_e32 v40, 14
	s_cbranch_scc1 .LBB42_378
; %bb.237:
	scratch_load_dwordx4 v[150:153], off, off offset:384 ; 16-byte Folded Reload
	scratch_load_dwordx4 v[154:157], off, off offset:400 ; 16-byte Folded Reload
	scratch_load_dwordx4 v[158:161], off, off offset:416 ; 16-byte Folded Reload
	scratch_load_dwordx4 v[162:165], off, off offset:432 ; 16-byte Folded Reload
	scratch_load_dwordx4 v[166:169], off, off offset:448 ; 16-byte Folded Reload
	scratch_load_dwordx4 v[170:173], off, off offset:464 ; 16-byte Folded Reload
	scratch_load_dwordx4 v[174:177], off, off offset:480 ; 16-byte Folded Reload
	scratch_load_dwordx4 v[178:181], off, off offset:496 ; 16-byte Folded Reload
	s_waitcnt vmcnt(8)
	v_add3_u32 v41, v254, 0, 60
	v_mov_b32_e32 v40, 14
	s_mov_b32 s0, 15
.LBB42_238:                             ; =>This Inner Loop Header: Depth=1
	ds_read_b32 v42, v41
	v_mov_b32_e32 v43, s0
	s_add_i32 s0, s0, 1
	v_add_u32_e32 v41, 4, v41
	s_cmp_lg_u32 s22, s0
	s_waitcnt lgkmcnt(0)
	v_cmp_lt_f32_e64 vcc, |v39|, |v42|
	s_nop 1
	v_cndmask_b32_e32 v39, v39, v42, vcc
	v_cndmask_b32_e32 v40, v40, v43, vcc
	s_cbranch_scc1 .LBB42_238
; %bb.239:
	v_cmp_eq_f32_e32 vcc, 0, v39
	s_and_saveexec_b64 s[0:1], vcc
	s_xor_b64 s[0:1], exec, s[0:1]
.LBB42_240:
	v_cmp_ne_u32_e32 vcc, 0, v252
	s_nop 1
	v_cndmask_b32_e32 v252, 15, v252, vcc
.LBB42_241:
	s_andn2_saveexec_b64 s[0:1], s[0:1]
	s_cbranch_execz .LBB42_243
; %bb.242:
	v_div_scale_f32 v41, s[2:3], v39, v39, 1.0
	v_rcp_f32_e32 v42, v41
	v_div_scale_f32 v43, vcc, 1.0, v39, 1.0
	v_fma_f32 v44, -v41, v42, 1.0
	v_fmac_f32_e32 v42, v44, v42
	v_mul_f32_e32 v44, v43, v42
	v_fma_f32 v45, -v41, v44, v43
	v_fmac_f32_e32 v44, v45, v42
	v_fma_f32 v41, -v41, v44, v43
	v_div_fmas_f32 v41, v41, v42, v44
	v_div_fixup_f32 v39, v41, v39, 1.0
.LBB42_243:
	s_or_b64 exec, exec, s[0:1]
	v_cmp_ne_u32_e32 vcc, v251, v40
	s_and_saveexec_b64 s[0:1], vcc
	s_xor_b64 s[0:1], exec, s[0:1]
	s_cbranch_execz .LBB42_249
; %bb.244:
	v_cmp_eq_u32_e32 vcc, 14, v251
	s_and_saveexec_b64 s[2:3], vcc
	s_cbranch_execz .LBB42_248
; %bb.245:
	v_cmp_ne_u32_e32 vcc, 14, v40
	s_xor_b64 s[18:19], s[16:17], -1
	s_and_b64 s[20:21], s[18:19], vcc
	s_and_saveexec_b64 s[18:19], s[20:21]
	s_cbranch_execz .LBB42_247
; %bb.246:
	scratch_load_dwordx2 v[46:47], off, off offset:1416 ; 8-byte Folded Reload
	v_ashrrev_i32_e32 v41, 31, v40
	s_waitcnt vmcnt(0)
	v_lshl_add_u64 v[42:43], v[40:41], 2, v[46:47]
	global_load_dword v41, v[42:43], off
	global_load_dword v44, v[46:47], off offset:56
	s_waitcnt vmcnt(1)
	global_store_dword v[46:47], v41, off offset:56
	s_waitcnt vmcnt(1)
	global_store_dword v[42:43], v44, off
.LBB42_247:
	s_or_b64 exec, exec, s[18:19]
	v_mov_b32_e32 v41, v40
	v_mov_b32_e32 v251, v40
	scratch_store_dword off, v41, off offset:640 ; 4-byte Folded Spill
.LBB42_248:
	s_or_b64 exec, exec, s[2:3]
.LBB42_249:
	s_andn2_saveexec_b64 s[0:1], s[0:1]
	s_cbranch_execz .LBB42_251
; %bb.250:
	v_mov_b32_e32 v251, 14
	ds_write2_b32 v250, v15, v16 offset0:15 offset1:16
	ds_write2_b32 v250, v17, v18 offset0:17 offset1:18
	;; [unrolled: 1-line block ×3, first 2 shown]
	ds_write_b32 v250, v253 offset:84
.LBB42_251:
	s_or_b64 exec, exec, s[0:1]
	v_cmp_lt_i32_e32 vcc, 14, v251
	s_waitcnt lgkmcnt(0)
	s_barrier
	s_and_saveexec_b64 s[0:1], vcc
	s_cbranch_execz .LBB42_253
; %bb.252:
	scratch_load_dwordx4 v[54:57], off, off offset:512 ; 16-byte Folded Reload
	scratch_load_dwordx4 v[58:61], off, off offset:528 ; 16-byte Folded Reload
	;; [unrolled: 1-line block ×8, first 2 shown]
	ds_read2_b32 v[0:1], v250 offset0:15 offset1:16
	ds_read2_b32 v[4:5], v250 offset0:17 offset1:18
	;; [unrolled: 1-line block ×3, first 2 shown]
	ds_read_b32 v8, v250 offset:84
	s_waitcnt vmcnt(4)
	v_mul_f32_e32 v68, v98, v39
	v_mov_b32_e32 v2, v15
	v_mov_b32_e32 v3, v16
	;; [unrolled: 1-line block ×3, first 2 shown]
	s_waitcnt lgkmcnt(0)
	v_fma_f32 v21, -v68, v8, v253
	v_mov_b32_e32 v36, v68
	v_mov_b32_e32 v132, v68
	;; [unrolled: 1-line block ×6, first 2 shown]
	v_pk_fma_f32 v[40:41], v[68:69], v[0:1], v[2:3] op_sel_hi:[0,1,1] neg_lo:[1,0,0] neg_hi:[1,0,0]
	v_mov_b32_e32 v0, v17
	v_mov_b32_e32 v1, v18
	v_pk_fma_f32 v[42:43], v[68:69], v[4:5], v[0:1] op_sel_hi:[0,1,1] neg_lo:[1,0,0] neg_hi:[1,0,0]
	v_mov_b32_e32 v0, v19
	v_mov_b32_e32 v1, v20
	;; [unrolled: 3-line block ×3, first 2 shown]
	v_mov_b32_e32 v27, v59
	v_mov_b32_e32 v28, v60
	;; [unrolled: 1-line block ×23, first 2 shown]
	scratch_store_dwordx4 off, v[0:3], off offset:128 ; 16-byte Folded Spill
	s_nop 0
	scratch_store_dwordx4 off, v[4:7], off offset:144 ; 16-byte Folded Spill
	scratch_store_dwordx4 off, v[8:11], off offset:160 ; 16-byte Folded Spill
	;; [unrolled: 1-line block ×7, first 2 shown]
	v_mov_b32_e32 v69, v40
	s_waitcnt vmcnt(8)
	v_mov_b64_e32 v[180:181], v[84:85]
	v_mov_b32_e32 v32, v64
	v_mov_b32_e32 v33, v65
	;; [unrolled: 1-line block ×35, first 2 shown]
	v_mov_b64_e32 v[178:179], v[82:83]
	v_mov_b64_e32 v[176:177], v[80:81]
	;; [unrolled: 1-line block ×15, first 2 shown]
	scratch_store_dwordx4 off, v[54:57], off offset:256 ; 16-byte Folded Spill
	s_nop 0
	scratch_store_dwordx4 off, v[58:61], off offset:272 ; 16-byte Folded Spill
	scratch_store_dwordx4 off, v[62:65], off offset:288 ; 16-byte Folded Spill
	;; [unrolled: 1-line block ×7, first 2 shown]
	v_mov_b32_e32 v39, v254
	v_mov_b32_e32 v133, v40
	;; [unrolled: 1-line block ×15, first 2 shown]
	scratch_store_dwordx4 off, v[20:23], off ; 16-byte Folded Spill
	s_nop 0
	scratch_store_dwordx4 off, v[24:27], off offset:16 ; 16-byte Folded Spill
	scratch_store_dwordx4 off, v[28:31], off offset:32 ; 16-byte Folded Spill
	;; [unrolled: 1-line block ×7, first 2 shown]
	scratch_load_dword v254, off, off offset:1156 ; 4-byte Folded Reload
.LBB42_253:
	s_or_b64 exec, exec, s[0:1]
	v_lshl_add_u32 v39, v251, 2, v250
	s_barrier
	ds_write_b32 v39, v97
	s_waitcnt lgkmcnt(0)
	s_barrier
	ds_read_b32 v39, v250 offset:60
	s_cmp_lt_i32 s22, 17
	v_mov_b32_e32 v40, 15
	s_cbranch_scc1 .LBB42_256
; %bb.254:
	s_waitcnt vmcnt(0)
	v_add3_u32 v41, v254, 0, 64
	v_mov_b32_e32 v40, 15
	s_mov_b32 s0, 16
.LBB42_255:                             ; =>This Inner Loop Header: Depth=1
	ds_read_b32 v42, v41
	v_mov_b32_e32 v43, s0
	s_add_i32 s0, s0, 1
	v_add_u32_e32 v41, 4, v41
	s_cmp_lg_u32 s22, s0
	s_waitcnt lgkmcnt(0)
	v_cmp_lt_f32_e64 vcc, |v39|, |v42|
	s_nop 1
	v_cndmask_b32_e32 v39, v39, v42, vcc
	v_cndmask_b32_e32 v40, v40, v43, vcc
	s_cbranch_scc1 .LBB42_255
.LBB42_256:
	s_waitcnt lgkmcnt(0)
	v_cmp_eq_f32_e32 vcc, 0, v39
	s_and_saveexec_b64 s[0:1], vcc
	s_xor_b64 s[0:1], exec, s[0:1]
; %bb.257:
	v_cmp_ne_u32_e32 vcc, 0, v252
	s_nop 1
	v_cndmask_b32_e32 v252, 16, v252, vcc
; %bb.258:
	s_andn2_saveexec_b64 s[0:1], s[0:1]
	s_cbranch_execz .LBB42_260
; %bb.259:
	v_div_scale_f32 v41, s[2:3], v39, v39, 1.0
	v_rcp_f32_e32 v42, v41
	v_div_scale_f32 v43, vcc, 1.0, v39, 1.0
	v_fma_f32 v44, -v41, v42, 1.0
	v_fmac_f32_e32 v42, v44, v42
	v_mul_f32_e32 v44, v43, v42
	v_fma_f32 v45, -v41, v44, v43
	v_fmac_f32_e32 v44, v45, v42
	v_fma_f32 v41, -v41, v44, v43
	v_div_fmas_f32 v41, v41, v42, v44
	v_div_fixup_f32 v39, v41, v39, 1.0
.LBB42_260:
	s_or_b64 exec, exec, s[0:1]
	v_cmp_ne_u32_e32 vcc, v251, v40
	s_and_saveexec_b64 s[0:1], vcc
	s_xor_b64 s[0:1], exec, s[0:1]
	s_cbranch_execz .LBB42_266
; %bb.261:
	v_cmp_eq_u32_e32 vcc, 15, v251
	s_and_saveexec_b64 s[2:3], vcc
	s_cbranch_execz .LBB42_265
; %bb.262:
	v_cmp_ne_u32_e32 vcc, 15, v40
	s_xor_b64 s[18:19], s[16:17], -1
	s_and_b64 s[20:21], s[18:19], vcc
	s_and_saveexec_b64 s[18:19], s[20:21]
	s_cbranch_execz .LBB42_264
; %bb.263:
	scratch_load_dwordx2 v[46:47], off, off offset:1416 ; 8-byte Folded Reload
	v_ashrrev_i32_e32 v41, 31, v40
	s_waitcnt vmcnt(0)
	v_lshl_add_u64 v[42:43], v[40:41], 2, v[46:47]
	global_load_dword v41, v[42:43], off
	global_load_dword v44, v[46:47], off offset:60
	s_waitcnt vmcnt(1)
	global_store_dword v[46:47], v41, off offset:60
	s_waitcnt vmcnt(1)
	global_store_dword v[42:43], v44, off
.LBB42_264:
	s_or_b64 exec, exec, s[18:19]
	v_mov_b32_e32 v41, v40
	v_mov_b32_e32 v251, v40
	scratch_store_dword off, v41, off offset:640 ; 4-byte Folded Spill
.LBB42_265:
	s_or_b64 exec, exec, s[2:3]
.LBB42_266:
	s_andn2_saveexec_b64 s[0:1], s[0:1]
	s_cbranch_execz .LBB42_268
; %bb.267:
	v_mov_b32_e32 v251, 15
	ds_write2_b32 v250, v16, v17 offset0:16 offset1:17
	ds_write2_b32 v250, v18, v19 offset0:18 offset1:19
	;; [unrolled: 1-line block ×3, first 2 shown]
.LBB42_268:
	s_or_b64 exec, exec, s[0:1]
	v_cmp_lt_i32_e32 vcc, 15, v251
	s_waitcnt lgkmcnt(0)
	s_barrier
	s_and_saveexec_b64 s[0:1], vcc
	s_cbranch_execz .LBB42_270
; %bb.269:
	ds_read2_b32 v[0:1], v250 offset0:16 offset1:17
	ds_read2_b32 v[2:3], v250 offset0:18 offset1:19
	;; [unrolled: 1-line block ×3, first 2 shown]
	scratch_load_dwordx4 v[42:45], off, off offset:256 ; 16-byte Folded Reload
	scratch_load_dwordx4 v[46:49], off, off offset:272 ; 16-byte Folded Reload
	;; [unrolled: 1-line block ×8, first 2 shown]
	v_mul_f32_e32 v40, v97, v39
	s_waitcnt lgkmcnt(2)
	v_pk_fma_f32 v[38:39], v[40:41], v[0:1], v[16:17] op_sel_hi:[0,1,1] neg_lo:[1,0,0] neg_hi:[1,0,0]
	s_waitcnt lgkmcnt(1)
	v_pk_fma_f32 v[78:79], v[40:41], v[2:3], v[18:19] op_sel_hi:[0,1,1] neg_lo:[1,0,0] neg_hi:[1,0,0]
	s_waitcnt vmcnt(4)
	v_mov_b32_e32 v57, v40
	v_mov_b32_e32 v75, v40
	;; [unrolled: 1-line block ×9, first 2 shown]
	s_waitcnt lgkmcnt(0)
	v_pk_fma_f32 v[20:21], v[40:41], v[4:5], v[20:21] op_sel_hi:[0,1,1] neg_lo:[1,0,0] neg_hi:[1,0,0]
	v_mov_b32_e32 v37, v40
	v_mov_b32_e32 v133, v40
	;; [unrolled: 1-line block ×13, first 2 shown]
	s_waitcnt vmcnt(3)
	v_mov_b32_e32 v60, v42
	v_mov_b32_e32 v61, v43
	s_waitcnt vmcnt(2)
	v_mov_b32_e32 v62, v44
	s_waitcnt vmcnt(0)
	v_mov_b32_e32 v72, v54
	v_mov_b32_e32 v73, v55
	;; [unrolled: 1-line block ×12, first 2 shown]
	v_mov_b64_e32 v[180:181], v[72:73]
	v_mov_b64_e32 v[178:179], v[70:71]
	;; [unrolled: 1-line block ×16, first 2 shown]
	scratch_store_dwordx4 off, v[60:63], off offset:128 ; 16-byte Folded Spill
	s_nop 0
	scratch_store_dwordx4 off, v[64:67], off offset:144 ; 16-byte Folded Spill
	scratch_store_dwordx4 off, v[68:71], off offset:160 ; 16-byte Folded Spill
	;; [unrolled: 1-line block ×7, first 2 shown]
	v_mov_b32_e32 v22, v42
	v_mov_b32_e32 v23, v43
	;; [unrolled: 1-line block ×62, first 2 shown]
	scratch_store_dwordx4 off, v[86:89], off ; 16-byte Folded Spill
	s_nop 0
	scratch_store_dwordx4 off, v[90:93], off offset:16 ; 16-byte Folded Spill
	scratch_store_dwordx4 off, v[94:97], off offset:32 ; 16-byte Folded Spill
	scratch_store_dwordx4 off, v[98:101], off offset:48 ; 16-byte Folded Spill
	scratch_store_dwordx4 off, v[102:105], off offset:64 ; 16-byte Folded Spill
	scratch_store_dwordx4 off, v[106:109], off offset:80 ; 16-byte Folded Spill
	scratch_store_dwordx4 off, v[110:113], off offset:96 ; 16-byte Folded Spill
	scratch_store_dwordx4 off, v[114:117], off offset:112 ; 16-byte Folded Spill
.LBB42_270:
	s_or_b64 exec, exec, s[0:1]
	v_lshl_add_u32 v39, v251, 2, v250
	s_barrier
	ds_write_b32 v39, v96
	s_waitcnt lgkmcnt(0)
	s_barrier
	ds_read_b32 v39, v250 offset:64
	s_cmp_lt_i32 s22, 18
	v_mov_b32_e32 v40, 16
	s_cbranch_scc1 .LBB42_273
; %bb.271:
	v_add_u32_e32 v41, 0x44, v250
	v_mov_b32_e32 v40, 16
	s_mov_b32 s0, 17
.LBB42_272:                             ; =>This Inner Loop Header: Depth=1
	ds_read_b32 v42, v41
	v_mov_b32_e32 v43, s0
	s_add_i32 s0, s0, 1
	v_add_u32_e32 v41, 4, v41
	s_cmp_lg_u32 s22, s0
	s_waitcnt lgkmcnt(0)
	v_cmp_lt_f32_e64 vcc, |v39|, |v42|
	s_nop 1
	v_cndmask_b32_e32 v39, v39, v42, vcc
	v_cndmask_b32_e32 v40, v40, v43, vcc
	s_cbranch_scc1 .LBB42_272
.LBB42_273:
	s_waitcnt lgkmcnt(0)
	v_cmp_eq_f32_e32 vcc, 0, v39
	s_and_saveexec_b64 s[0:1], vcc
	s_xor_b64 s[0:1], exec, s[0:1]
; %bb.274:
	v_cmp_ne_u32_e32 vcc, 0, v252
	s_nop 1
	v_cndmask_b32_e32 v252, 17, v252, vcc
; %bb.275:
	s_andn2_saveexec_b64 s[0:1], s[0:1]
	s_cbranch_execz .LBB42_277
; %bb.276:
	v_div_scale_f32 v41, s[2:3], v39, v39, 1.0
	v_rcp_f32_e32 v42, v41
	v_div_scale_f32 v43, vcc, 1.0, v39, 1.0
	v_fma_f32 v44, -v41, v42, 1.0
	v_fmac_f32_e32 v42, v44, v42
	v_mul_f32_e32 v44, v43, v42
	v_fma_f32 v45, -v41, v44, v43
	v_fmac_f32_e32 v44, v45, v42
	v_fma_f32 v41, -v41, v44, v43
	v_div_fmas_f32 v41, v41, v42, v44
	v_div_fixup_f32 v39, v41, v39, 1.0
.LBB42_277:
	s_or_b64 exec, exec, s[0:1]
	v_cmp_ne_u32_e32 vcc, v251, v40
	s_and_saveexec_b64 s[0:1], vcc
	s_xor_b64 s[0:1], exec, s[0:1]
	s_cbranch_execz .LBB42_283
; %bb.278:
	v_cmp_eq_u32_e32 vcc, 16, v251
	s_and_saveexec_b64 s[2:3], vcc
	s_cbranch_execz .LBB42_282
; %bb.279:
	v_cmp_ne_u32_e32 vcc, 16, v40
	s_xor_b64 s[18:19], s[16:17], -1
	s_and_b64 s[20:21], s[18:19], vcc
	s_and_saveexec_b64 s[18:19], s[20:21]
	s_cbranch_execz .LBB42_281
; %bb.280:
	scratch_load_dwordx2 v[46:47], off, off offset:1416 ; 8-byte Folded Reload
	v_ashrrev_i32_e32 v41, 31, v40
	s_waitcnt vmcnt(0)
	v_lshl_add_u64 v[42:43], v[40:41], 2, v[46:47]
	global_load_dword v41, v[42:43], off
	global_load_dword v44, v[46:47], off offset:64
	s_waitcnt vmcnt(1)
	global_store_dword v[46:47], v41, off offset:64
	s_waitcnt vmcnt(1)
	global_store_dword v[42:43], v44, off
.LBB42_281:
	s_or_b64 exec, exec, s[18:19]
	v_mov_b32_e32 v41, v40
	v_mov_b32_e32 v251, v40
	scratch_store_dword off, v41, off offset:640 ; 4-byte Folded Spill
.LBB42_282:
	s_or_b64 exec, exec, s[2:3]
.LBB42_283:
	s_andn2_saveexec_b64 s[0:1], s[0:1]
	s_cbranch_execz .LBB42_285
; %bb.284:
	v_mov_b32_e32 v251, 16
	ds_write2_b32 v250, v17, v18 offset0:17 offset1:18
	ds_write2_b32 v250, v19, v20 offset0:19 offset1:20
	ds_write_b32 v250, v253 offset:84
.LBB42_285:
	s_or_b64 exec, exec, s[0:1]
	v_cmp_lt_i32_e32 vcc, 16, v251
	s_waitcnt lgkmcnt(0)
	s_barrier
	s_and_saveexec_b64 s[0:1], vcc
	s_cbranch_execz .LBB42_287
; %bb.286:
	ds_read2_b32 v[0:1], v250 offset0:17 offset1:18
	ds_read2_b32 v[4:5], v250 offset0:19 offset1:20
	ds_read_b32 v6, v250 offset:84
	s_waitcnt vmcnt(3)
	v_mul_f32_e32 v166, v96, v39
	v_mov_b32_e32 v2, v17
	v_mov_b32_e32 v3, v18
	s_waitcnt lgkmcnt(2)
	v_pk_fma_f32 v[54:55], v[166:167], v[0:1], v[2:3] op_sel_hi:[0,1,1] neg_lo:[1,0,0] neg_hi:[1,0,0]
	v_mov_b32_e32 v0, v19
	v_mov_b32_e32 v1, v20
	s_waitcnt vmcnt(0) lgkmcnt(1)
	v_pk_fma_f32 v[254:255], v[166:167], v[4:5], v[0:1] op_sel_hi:[0,1,1] neg_lo:[1,0,0] neg_hi:[1,0,0]
	s_waitcnt lgkmcnt(0)
	v_fma_f32 v21, -v166, v6, v253
	v_mov_b32_e32 v0, v150
	v_mov_b32_e32 v1, v151
	;; [unrolled: 1-line block ×19, first 2 shown]
	scratch_store_dwordx4 off, v[0:3], off offset:128 ; 16-byte Folded Spill
	s_nop 0
	scratch_store_dwordx4 off, v[4:7], off offset:144 ; 16-byte Folded Spill
	scratch_store_dwordx4 off, v[8:11], off offset:160 ; 16-byte Folded Spill
	;; [unrolled: 1-line block ×7, first 2 shown]
	v_mov_b32_e32 v167, v54
	v_mov_b64_e32 v[22:23], v[150:151]
	v_mov_b64_e32 v[118:119], v[150:151]
	;; [unrolled: 1-line block ×3, first 2 shown]
	v_mov_b32_e32 v214, v150
	v_mov_b32_e32 v215, v151
	;; [unrolled: 1-line block ×22, first 2 shown]
	v_mov_b64_e32 v[120:121], v[152:153]
	v_mov_b64_e32 v[122:123], v[154:155]
	;; [unrolled: 1-line block ×21, first 2 shown]
	v_mov_b32_e32 v59, v54
	v_mov_b32_e32 v108, v55
	v_mov_b32_e32 v39, v254
	v_mov_b64_e32 v[136:137], v[168:169]
	v_mov_b64_e32 v[138:139], v[170:171]
	v_mov_b64_e32 v[140:141], v[172:173]
	v_mov_b64_e32 v[142:143], v[174:175]
	v_mov_b64_e32 v[144:145], v[176:177]
	v_mov_b64_e32 v[146:147], v[178:179]
	v_mov_b64_e32 v[148:149], v[180:181]
	v_mov_b64_e32 v[52:53], v[180:181]
	v_mov_b32_e32 v253, v21
	scratch_store_dwordx4 off, v[20:23], off ; 16-byte Folded Spill
	s_nop 0
	scratch_store_dwordx4 off, v[24:27], off offset:16 ; 16-byte Folded Spill
	scratch_store_dwordx4 off, v[28:31], off offset:32 ; 16-byte Folded Spill
	;; [unrolled: 1-line block ×7, first 2 shown]
.LBB42_287:
	s_or_b64 exec, exec, s[0:1]
	v_lshl_add_u32 v39, v251, 2, v250
	s_barrier
	ds_write_b32 v39, v59
	s_waitcnt lgkmcnt(0)
	s_barrier
	ds_read_b32 v39, v250 offset:68
	s_cmp_lt_i32 s22, 19
	v_mov_b32_e32 v40, 17
	s_cbranch_scc1 .LBB42_290
; %bb.288:
	v_add_u32_e32 v41, 0x48, v250
	v_mov_b32_e32 v40, 17
	s_mov_b32 s0, 18
.LBB42_289:                             ; =>This Inner Loop Header: Depth=1
	ds_read_b32 v42, v41
	v_mov_b32_e32 v43, s0
	s_add_i32 s0, s0, 1
	v_add_u32_e32 v41, 4, v41
	s_cmp_lg_u32 s22, s0
	s_waitcnt lgkmcnt(0)
	v_cmp_lt_f32_e64 vcc, |v39|, |v42|
	s_nop 1
	v_cndmask_b32_e32 v39, v39, v42, vcc
	v_cndmask_b32_e32 v40, v40, v43, vcc
	s_cbranch_scc1 .LBB42_289
.LBB42_290:
	s_waitcnt lgkmcnt(0)
	v_cmp_eq_f32_e32 vcc, 0, v39
	s_and_saveexec_b64 s[0:1], vcc
	s_xor_b64 s[0:1], exec, s[0:1]
; %bb.291:
	v_cmp_ne_u32_e32 vcc, 0, v252
	s_nop 1
	v_cndmask_b32_e32 v252, 18, v252, vcc
; %bb.292:
	s_andn2_saveexec_b64 s[0:1], s[0:1]
	s_cbranch_execz .LBB42_294
; %bb.293:
	v_div_scale_f32 v41, s[2:3], v39, v39, 1.0
	v_rcp_f32_e32 v42, v41
	v_div_scale_f32 v43, vcc, 1.0, v39, 1.0
	v_fma_f32 v44, -v41, v42, 1.0
	v_fmac_f32_e32 v42, v44, v42
	v_mul_f32_e32 v44, v43, v42
	v_fma_f32 v45, -v41, v44, v43
	v_fmac_f32_e32 v44, v45, v42
	v_fma_f32 v41, -v41, v44, v43
	v_div_fmas_f32 v41, v41, v42, v44
	v_div_fixup_f32 v39, v41, v39, 1.0
.LBB42_294:
	s_or_b64 exec, exec, s[0:1]
	v_cmp_ne_u32_e32 vcc, v251, v40
	s_and_saveexec_b64 s[0:1], vcc
	s_xor_b64 s[0:1], exec, s[0:1]
	s_cbranch_execz .LBB42_300
; %bb.295:
	v_cmp_eq_u32_e32 vcc, 17, v251
	s_and_saveexec_b64 s[2:3], vcc
	s_cbranch_execz .LBB42_299
; %bb.296:
	v_cmp_ne_u32_e32 vcc, 17, v40
	s_xor_b64 s[18:19], s[16:17], -1
	s_and_b64 s[20:21], s[18:19], vcc
	s_and_saveexec_b64 s[18:19], s[20:21]
	s_cbranch_execz .LBB42_298
; %bb.297:
	scratch_load_dwordx2 v[46:47], off, off offset:1416 ; 8-byte Folded Reload
	v_ashrrev_i32_e32 v41, 31, v40
	s_waitcnt vmcnt(0)
	v_lshl_add_u64 v[42:43], v[40:41], 2, v[46:47]
	global_load_dword v41, v[42:43], off
	global_load_dword v44, v[46:47], off offset:68
	s_waitcnt vmcnt(1)
	global_store_dword v[46:47], v41, off offset:68
	s_waitcnt vmcnt(1)
	global_store_dword v[42:43], v44, off
.LBB42_298:
	s_or_b64 exec, exec, s[18:19]
	v_mov_b32_e32 v41, v40
	v_mov_b32_e32 v251, v40
	scratch_store_dword off, v41, off offset:640 ; 4-byte Folded Spill
.LBB42_299:
	s_or_b64 exec, exec, s[2:3]
.LBB42_300:
	s_andn2_saveexec_b64 s[0:1], s[0:1]
	s_cbranch_execz .LBB42_302
; %bb.301:
	v_mov_b32_e32 v251, 17
	ds_write2_b32 v250, v18, v19 offset0:18 offset1:19
	ds_write2_b32 v250, v20, v21 offset0:20 offset1:21
.LBB42_302:
	s_or_b64 exec, exec, s[0:1]
	v_cmp_lt_i32_e32 vcc, 17, v251
	s_waitcnt lgkmcnt(0)
	s_barrier
	s_and_saveexec_b64 s[0:1], vcc
	s_cbranch_execz .LBB42_304
; %bb.303:
	ds_read2_b32 v[0:1], v250 offset0:18 offset1:19
	ds_read2_b32 v[2:3], v250 offset0:20 offset1:21
	v_mul_f32_e32 v40, v59, v39
	v_mov_b32_e32 v39, v40
	v_mov_b64_e32 v[148:149], v[52:53]
	s_waitcnt lgkmcnt(1)
	v_pk_fma_f32 v[104:105], v[40:41], v[0:1], v[18:19] op_sel_hi:[0,1,1] neg_lo:[1,0,0] neg_hi:[1,0,0]
	s_waitcnt lgkmcnt(0)
	v_pk_fma_f32 v[20:21], v[40:41], v[2:3], v[20:21] op_sel_hi:[0,1,1] neg_lo:[1,0,0] neg_hi:[1,0,0]
	v_mov_b32_e32 v86, v22
	v_mov_b32_e32 v87, v23
	;; [unrolled: 1-line block ×18, first 2 shown]
	s_waitcnt vmcnt(15)
	v_mov_b32_e32 v214, v22
	v_mov_b32_e32 v215, v23
	v_mov_b32_e32 v216, v24
	v_mov_b32_e32 v217, v25
	s_waitcnt vmcnt(14)
	v_mov_b32_e32 v218, v26
	v_mov_b32_e32 v219, v27
	v_mov_b32_e32 v220, v28
	v_mov_b32_e32 v221, v29
	;; [unrolled: 5-line block ×5, first 2 shown]
	v_mov_b32_e32 v0, v22
	v_mov_b32_e32 v1, v23
	v_mov_b32_e32 v2, v24
	v_mov_b32_e32 v3, v25
	v_mov_b32_e32 v4, v26
	v_mov_b32_e32 v5, v27
	v_mov_b32_e32 v6, v28
	v_mov_b32_e32 v7, v29
	v_mov_b32_e32 v8, v30
	v_mov_b32_e32 v9, v31
	v_mov_b32_e32 v10, v32
	v_mov_b32_e32 v11, v33
	v_mov_b32_e32 v12, v34
	v_mov_b32_e32 v13, v35
	v_mov_b32_e32 v14, v36
	v_mov_b32_e32 v15, v37
	v_mov_b32_e32 v16, v38
	v_mov_b32_e32 v17, v40
	v_mov_b32_e32 v18, v104
	v_mov_b32_e32 v19, v105
	v_mov_b64_e32 v[134:135], v[38:39]
	v_mov_b64_e32 v[132:133], v[36:37]
	;; [unrolled: 1-line block ×9, first 2 shown]
	v_mov_b32_e32 v108, v104
	v_mov_b32_e32 v255, v20
	;; [unrolled: 1-line block ×3, first 2 shown]
	v_mov_b64_e32 v[146:147], v[50:51]
	v_mov_b64_e32 v[144:145], v[48:49]
	;; [unrolled: 1-line block ×6, first 2 shown]
	scratch_store_dwordx4 off, v[86:89], off offset:128 ; 16-byte Folded Spill
	s_nop 0
	scratch_store_dwordx4 off, v[90:93], off offset:144 ; 16-byte Folded Spill
	scratch_store_dwordx4 off, v[94:97], off offset:160 ; 16-byte Folded Spill
	;; [unrolled: 1-line block ×7, first 2 shown]
	scratch_store_dwordx4 off, v[86:89], off ; 16-byte Folded Spill
	s_nop 0
	scratch_store_dwordx4 off, v[90:93], off offset:16 ; 16-byte Folded Spill
	scratch_store_dwordx4 off, v[94:97], off offset:32 ; 16-byte Folded Spill
	;; [unrolled: 1-line block ×7, first 2 shown]
.LBB42_304:
	s_or_b64 exec, exec, s[0:1]
	v_lshl_add_u32 v22, v251, 2, v250
	s_barrier
	ds_write_b32 v22, v108
	s_waitcnt lgkmcnt(0)
	s_barrier
	ds_read_b32 v24, v250 offset:72
	s_cmp_lt_i32 s22, 20
	v_mov_b32_e32 v22, 18
	s_cbranch_scc1 .LBB42_307
; %bb.305:
	v_add_u32_e32 v23, 0x4c, v250
	v_mov_b32_e32 v22, 18
	s_mov_b32 s0, 19
.LBB42_306:                             ; =>This Inner Loop Header: Depth=1
	ds_read_b32 v25, v23
	v_mov_b32_e32 v26, s0
	s_add_i32 s0, s0, 1
	v_add_u32_e32 v23, 4, v23
	s_cmp_lg_u32 s22, s0
	s_waitcnt lgkmcnt(0)
	v_cmp_lt_f32_e64 vcc, |v24|, |v25|
	s_nop 1
	v_cndmask_b32_e32 v24, v24, v25, vcc
	v_cndmask_b32_e32 v22, v22, v26, vcc
	s_cbranch_scc1 .LBB42_306
.LBB42_307:
	s_waitcnt lgkmcnt(0)
	v_cmp_eq_f32_e32 vcc, 0, v24
	s_and_saveexec_b64 s[0:1], vcc
	s_xor_b64 s[0:1], exec, s[0:1]
; %bb.308:
	v_cmp_ne_u32_e32 vcc, 0, v252
	s_nop 1
	v_cndmask_b32_e32 v252, 19, v252, vcc
; %bb.309:
	s_andn2_saveexec_b64 s[0:1], s[0:1]
	s_cbranch_execz .LBB42_311
; %bb.310:
	v_div_scale_f32 v23, s[2:3], v24, v24, 1.0
	v_rcp_f32_e32 v25, v23
	v_div_scale_f32 v26, vcc, 1.0, v24, 1.0
	v_fma_f32 v27, -v23, v25, 1.0
	v_fmac_f32_e32 v25, v27, v25
	v_mul_f32_e32 v27, v26, v25
	v_fma_f32 v28, -v23, v27, v26
	v_fmac_f32_e32 v27, v28, v25
	v_fma_f32 v23, -v23, v27, v26
	v_div_fmas_f32 v23, v23, v25, v27
	v_div_fixup_f32 v24, v23, v24, 1.0
.LBB42_311:
	s_or_b64 exec, exec, s[0:1]
	v_cmp_ne_u32_e32 vcc, v251, v22
	s_and_saveexec_b64 s[0:1], vcc
	s_xor_b64 s[0:1], exec, s[0:1]
	s_cbranch_execz .LBB42_317
; %bb.312:
	v_cmp_eq_u32_e32 vcc, 18, v251
	s_and_saveexec_b64 s[2:3], vcc
	s_cbranch_execz .LBB42_316
; %bb.313:
	v_cmp_ne_u32_e32 vcc, 18, v22
	s_xor_b64 s[18:19], s[16:17], -1
	s_and_b64 s[20:21], s[18:19], vcc
	s_and_saveexec_b64 s[18:19], s[20:21]
	s_cbranch_execz .LBB42_315
; %bb.314:
	scratch_load_dwordx2 v[28:29], off, off offset:1416 ; 8-byte Folded Reload
	v_ashrrev_i32_e32 v23, 31, v22
	s_waitcnt vmcnt(0)
	v_lshl_add_u64 v[26:27], v[22:23], 2, v[28:29]
	global_load_dword v23, v[26:27], off
	global_load_dword v25, v[28:29], off offset:72
	s_waitcnt vmcnt(1)
	global_store_dword v[28:29], v23, off offset:72
	s_waitcnt vmcnt(1)
	global_store_dword v[26:27], v25, off
.LBB42_315:
	s_or_b64 exec, exec, s[18:19]
	v_mov_b32_e32 v23, v22
	v_mov_b32_e32 v251, v22
	scratch_store_dword off, v23, off offset:640 ; 4-byte Folded Spill
.LBB42_316:
	s_or_b64 exec, exec, s[2:3]
.LBB42_317:
	s_andn2_saveexec_b64 s[0:1], s[0:1]
	s_cbranch_execz .LBB42_319
; %bb.318:
	v_mov_b32_e32 v251, 18
	ds_write2_b32 v250, v19, v20 offset0:19 offset1:20
	ds_write_b32 v250, v253 offset:84
.LBB42_319:
	s_or_b64 exec, exec, s[0:1]
	v_cmp_lt_i32_e32 vcc, 18, v251
	s_waitcnt lgkmcnt(0)
	s_barrier
	s_and_saveexec_b64 s[0:1], vcc
	s_cbranch_execz .LBB42_321
; %bb.320:
	ds_read2_b32 v[0:1], v250 offset0:19 offset1:20
	ds_read_b32 v4, v250 offset:84
	v_mul_f32_e32 v136, v108, v24
	v_mov_b32_e32 v2, v19
	v_mov_b32_e32 v3, v20
	s_waitcnt vmcnt(0) lgkmcnt(1)
	v_pk_fma_f32 v[254:255], v[136:137], v[0:1], v[2:3] op_sel_hi:[0,1,1] neg_lo:[1,0,0] neg_hi:[1,0,0]
	s_waitcnt lgkmcnt(0)
	v_fma_f32 v21, -v136, v4, v253
	v_mov_b32_e32 v137, v254
	v_mov_b32_e32 v4, v122
	;; [unrolled: 1-line block ×18, first 2 shown]
	v_mov_b64_e32 v[244:245], v[148:149]
	v_mov_b32_e32 v23, v254
	v_mov_b32_e32 v0, v118
	;; [unrolled: 1-line block ×5, first 2 shown]
	v_mov_b64_e32 v[242:243], v[146:147]
	v_mov_b64_e32 v[240:241], v[144:145]
	;; [unrolled: 1-line block ×15, first 2 shown]
	scratch_store_dwordx4 off, v[118:121], off offset:128 ; 16-byte Folded Spill
	s_nop 0
	scratch_store_dwordx4 off, v[122:125], off offset:144 ; 16-byte Folded Spill
	scratch_store_dwordx4 off, v[126:129], off offset:160 ; 16-byte Folded Spill
	;; [unrolled: 1-line block ×7, first 2 shown]
	scratch_store_dwordx4 off, v[4:7], off  ; 16-byte Folded Spill
	s_nop 0
	scratch_store_dwordx4 off, v[8:11], off offset:16 ; 16-byte Folded Spill
	scratch_store_dwordx4 off, v[12:15], off offset:32 ; 16-byte Folded Spill
	;; [unrolled: 1-line block ×7, first 2 shown]
	v_mov_b32_e32 v253, v21
.LBB42_321:
	s_or_b64 exec, exec, s[0:1]
	s_barrier
	scratch_load_dwordx4 v[24:27], off, off ; 16-byte Folded Reload
	scratch_load_dwordx4 v[28:31], off, off offset:16 ; 16-byte Folded Reload
	scratch_load_dwordx4 v[32:35], off, off offset:32 ; 16-byte Folded Reload
	;; [unrolled: 1-line block ×7, first 2 shown]
	v_lshl_add_u32 v22, v251, 2, v250
	s_cmp_lt_i32 s22, 21
	s_waitcnt vmcnt(3)
	ds_write_b32 v22, v43
	s_waitcnt lgkmcnt(0)
	s_barrier
	ds_read_b32 v24, v250 offset:76
	v_mov_b32_e32 v22, 19
	s_cbranch_scc1 .LBB42_324
; %bb.322:
	v_add_u32_e32 v23, 0x50, v250
	v_mov_b32_e32 v22, 19
	s_mov_b32 s0, 20
.LBB42_323:                             ; =>This Inner Loop Header: Depth=1
	ds_read_b32 v25, v23
	v_mov_b32_e32 v26, s0
	s_add_i32 s0, s0, 1
	v_add_u32_e32 v23, 4, v23
	s_cmp_lg_u32 s22, s0
	s_waitcnt lgkmcnt(0)
	v_cmp_lt_f32_e64 vcc, |v24|, |v25|
	s_nop 1
	v_cndmask_b32_e32 v24, v24, v25, vcc
	v_cndmask_b32_e32 v22, v22, v26, vcc
	s_cbranch_scc1 .LBB42_323
.LBB42_324:
	s_waitcnt lgkmcnt(0)
	v_cmp_eq_f32_e32 vcc, 0, v24
	s_and_saveexec_b64 s[0:1], vcc
	s_xor_b64 s[0:1], exec, s[0:1]
; %bb.325:
	v_cmp_ne_u32_e32 vcc, 0, v252
	s_nop 1
	v_cndmask_b32_e32 v252, 20, v252, vcc
; %bb.326:
	s_andn2_saveexec_b64 s[0:1], s[0:1]
	s_cbranch_execz .LBB42_328
; %bb.327:
	v_div_scale_f32 v23, s[2:3], v24, v24, 1.0
	v_rcp_f32_e32 v25, v23
	v_div_scale_f32 v26, vcc, 1.0, v24, 1.0
	v_fma_f32 v27, -v23, v25, 1.0
	v_fmac_f32_e32 v25, v27, v25
	v_mul_f32_e32 v27, v26, v25
	v_fma_f32 v28, -v23, v27, v26
	v_fmac_f32_e32 v27, v28, v25
	v_fma_f32 v23, -v23, v27, v26
	v_div_fmas_f32 v23, v23, v25, v27
	v_div_fixup_f32 v24, v23, v24, 1.0
.LBB42_328:
	s_or_b64 exec, exec, s[0:1]
	v_cmp_ne_u32_e32 vcc, v251, v22
	s_and_saveexec_b64 s[0:1], vcc
	s_xor_b64 s[0:1], exec, s[0:1]
	s_cbranch_execz .LBB42_334
; %bb.329:
	v_cmp_eq_u32_e32 vcc, 19, v251
	s_and_saveexec_b64 s[2:3], vcc
	s_cbranch_execz .LBB42_333
; %bb.330:
	v_cmp_ne_u32_e32 vcc, 19, v22
	s_xor_b64 s[18:19], s[16:17], -1
	s_and_b64 s[20:21], s[18:19], vcc
	s_and_saveexec_b64 s[18:19], s[20:21]
	s_cbranch_execz .LBB42_332
; %bb.331:
	scratch_load_dwordx2 v[28:29], off, off offset:1416 ; 8-byte Folded Reload
	v_ashrrev_i32_e32 v23, 31, v22
	s_waitcnt vmcnt(0)
	v_lshl_add_u64 v[26:27], v[22:23], 2, v[28:29]
	global_load_dword v23, v[26:27], off
	global_load_dword v25, v[28:29], off offset:76
	s_waitcnt vmcnt(1)
	global_store_dword v[28:29], v23, off offset:76
	s_waitcnt vmcnt(1)
	global_store_dword v[26:27], v25, off
.LBB42_332:
	s_or_b64 exec, exec, s[18:19]
	v_mov_b32_e32 v23, v22
	v_mov_b32_e32 v251, v22
	scratch_store_dword off, v23, off offset:640 ; 4-byte Folded Spill
.LBB42_333:
	s_or_b64 exec, exec, s[2:3]
.LBB42_334:
	s_andn2_saveexec_b64 s[0:1], s[0:1]
; %bb.335:
	v_mov_b32_e32 v251, 19
	ds_write2_b32 v250, v20, v21 offset0:20 offset1:21
; %bb.336:
	s_or_b64 exec, exec, s[0:1]
	v_cmp_lt_i32_e32 vcc, 19, v251
	s_waitcnt lgkmcnt(0)
	s_barrier
	s_and_saveexec_b64 s[0:1], vcc
	s_cbranch_execz .LBB42_338
; %bb.337:
	ds_read2_b32 v[2:3], v250 offset0:20 offset1:21
	scratch_load_dwordx4 v[26:29], off, off ; 16-byte Folded Reload
	scratch_load_dwordx4 v[30:33], off, off offset:16 ; 16-byte Folded Reload
	scratch_load_dwordx4 v[34:37], off, off offset:32 ; 16-byte Folded Reload
	;; [unrolled: 1-line block ×15, first 2 shown]
	s_waitcnt vmcnt(7)
	v_mov_b32_e32 v0, v214
	v_mov_b32_e32 v1, v215
	s_waitcnt vmcnt(6)
	v_mov_b32_e32 v4, v218
	v_mul_f32_e32 v22, v45, v24
	s_waitcnt lgkmcnt(0)
	v_pk_fma_f32 v[20:21], v[22:23], v[2:3], v[20:21] op_sel_hi:[0,1,1] neg_lo:[1,0,0] neg_hi:[1,0,0]
	s_waitcnt vmcnt(3)
	v_mov_b32_e32 v233, v22
	v_mov_b32_e32 v2, v216
	;; [unrolled: 1-line block ×20, first 2 shown]
.LBB42_338:
	s_or_b64 exec, exec, s[0:1]
	v_lshl_add_u32 v22, v251, 2, v250
	s_barrier
	ds_write_b32 v22, v255
	s_waitcnt lgkmcnt(0)
	s_barrier
	ds_read_b32 v24, v250 offset:80
	s_cmp_lt_i32 s22, 22
	v_mov_b32_e32 v22, 20
	s_cbranch_scc1 .LBB42_341
; %bb.339:
	v_add_u32_e32 v23, 0x54, v250
	v_mov_b32_e32 v22, 20
	s_mov_b32 s0, 21
.LBB42_340:                             ; =>This Inner Loop Header: Depth=1
	ds_read_b32 v25, v23
	v_mov_b32_e32 v26, s0
	s_add_i32 s0, s0, 1
	v_add_u32_e32 v23, 4, v23
	s_cmp_lg_u32 s22, s0
	s_waitcnt lgkmcnt(0)
	v_cmp_lt_f32_e64 vcc, |v24|, |v25|
	s_nop 1
	v_cndmask_b32_e32 v24, v24, v25, vcc
	v_cndmask_b32_e32 v22, v22, v26, vcc
	s_cbranch_scc1 .LBB42_340
.LBB42_341:
	s_waitcnt lgkmcnt(0)
	v_cmp_eq_f32_e32 vcc, 0, v24
	s_and_saveexec_b64 s[0:1], vcc
	s_xor_b64 s[0:1], exec, s[0:1]
; %bb.342:
	v_cmp_ne_u32_e32 vcc, 0, v252
	s_nop 1
	v_cndmask_b32_e32 v252, 21, v252, vcc
; %bb.343:
	s_andn2_saveexec_b64 s[0:1], s[0:1]
	s_cbranch_execz .LBB42_345
; %bb.344:
	v_div_scale_f32 v23, s[2:3], v24, v24, 1.0
	v_rcp_f32_e32 v25, v23
	v_div_scale_f32 v26, vcc, 1.0, v24, 1.0
	v_fma_f32 v27, -v23, v25, 1.0
	v_fmac_f32_e32 v25, v27, v25
	v_mul_f32_e32 v27, v26, v25
	v_fma_f32 v28, -v23, v27, v26
	v_fmac_f32_e32 v27, v28, v25
	v_fma_f32 v23, -v23, v27, v26
	v_div_fmas_f32 v23, v23, v25, v27
	v_div_fixup_f32 v24, v23, v24, 1.0
.LBB42_345:
	s_or_b64 exec, exec, s[0:1]
	v_cmp_ne_u32_e32 vcc, v251, v22
	s_and_saveexec_b64 s[0:1], vcc
	s_xor_b64 s[0:1], exec, s[0:1]
	s_cbranch_execz .LBB42_351
; %bb.346:
	v_cmp_eq_u32_e32 vcc, 20, v251
	s_and_saveexec_b64 s[2:3], vcc
	s_cbranch_execz .LBB42_350
; %bb.347:
	v_cmp_ne_u32_e32 vcc, 20, v22
	s_xor_b64 s[18:19], s[16:17], -1
	s_and_b64 s[20:21], s[18:19], vcc
	s_and_saveexec_b64 s[18:19], s[20:21]
	s_cbranch_execz .LBB42_349
; %bb.348:
	scratch_load_dwordx2 v[28:29], off, off offset:1416 ; 8-byte Folded Reload
	v_ashrrev_i32_e32 v23, 31, v22
	s_waitcnt vmcnt(0)
	v_lshl_add_u64 v[26:27], v[22:23], 2, v[28:29]
	global_load_dword v23, v[26:27], off
	global_load_dword v25, v[28:29], off offset:80
	s_waitcnt vmcnt(1)
	global_store_dword v[28:29], v23, off offset:80
	s_waitcnt vmcnt(1)
	global_store_dword v[26:27], v25, off
.LBB42_349:
	s_or_b64 exec, exec, s[18:19]
	v_mov_b32_e32 v23, v22
	v_mov_b32_e32 v251, v22
	scratch_store_dword off, v23, off offset:640 ; 4-byte Folded Spill
.LBB42_350:
	s_or_b64 exec, exec, s[2:3]
.LBB42_351:
	s_andn2_saveexec_b64 s[0:1], s[0:1]
; %bb.352:
	v_mov_b32_e32 v251, 20
	ds_write_b32 v250, v253 offset:84
; %bb.353:
	s_or_b64 exec, exec, s[0:1]
	v_cmp_lt_i32_e32 vcc, 20, v251
	s_waitcnt lgkmcnt(0)
	s_barrier
	s_and_saveexec_b64 s[0:1], vcc
	s_cbranch_execz .LBB42_355
; %bb.354:
	ds_read_b32 v0, v250 offset:84
	s_waitcnt vmcnt(2)
	v_mul_f32_e32 v234, v255, v24
	s_waitcnt lgkmcnt(0)
	v_fma_f32 v235, -v234, v0, v253
	s_waitcnt vmcnt(0)
	v_mov_b64_e32 v[0:1], v[214:215]
	v_mov_b64_e32 v[2:3], v[216:217]
	;; [unrolled: 1-line block ×11, first 2 shown]
	v_mov_b32_e32 v253, v235
	v_mov_b64_e32 v[22:23], v[236:237]
	v_mov_b64_e32 v[24:25], v[238:239]
	;; [unrolled: 1-line block ×5, first 2 shown]
.LBB42_355:
	s_or_b64 exec, exec, s[0:1]
	v_lshl_add_u32 v22, v251, 2, v250
	s_barrier
	ds_write_b32 v22, v253
	s_waitcnt lgkmcnt(0)
	s_barrier
	ds_read_b32 v26, v250 offset:84
	s_cmp_lt_i32 s22, 23
	v_mov_b32_e32 v22, 21
	s_cbranch_scc1 .LBB42_358
; %bb.356:
	v_add_u32_e32 v23, 0x58, v250
	v_mov_b32_e32 v22, 21
	s_mov_b32 s0, 22
.LBB42_357:                             ; =>This Inner Loop Header: Depth=1
	ds_read_b32 v24, v23
	v_mov_b32_e32 v25, s0
	s_add_i32 s0, s0, 1
	v_add_u32_e32 v23, 4, v23
	s_cmp_lg_u32 s22, s0
	s_waitcnt lgkmcnt(0)
	v_cmp_lt_f32_e64 vcc, |v26|, |v24|
	s_nop 1
	v_cndmask_b32_e32 v26, v26, v24, vcc
	v_cndmask_b32_e32 v22, v22, v25, vcc
	s_cbranch_scc1 .LBB42_357
.LBB42_358:
	s_waitcnt lgkmcnt(0)
	v_cmp_eq_f32_e32 vcc, 0, v26
	s_and_saveexec_b64 s[0:1], vcc
	s_xor_b64 s[0:1], exec, s[0:1]
; %bb.359:
	v_cmp_ne_u32_e32 vcc, 0, v252
	s_nop 1
	v_cndmask_b32_e32 v252, 22, v252, vcc
; %bb.360:
	s_andn2_saveexec_b64 s[0:1], s[0:1]
	s_cbranch_execz .LBB42_362
; %bb.361:
	v_div_scale_f32 v23, s[2:3], v26, v26, 1.0
	v_rcp_f32_e32 v24, v23
	v_div_scale_f32 v25, vcc, 1.0, v26, 1.0
	v_fma_f32 v27, -v23, v24, 1.0
	v_fmac_f32_e32 v24, v27, v24
	v_mul_f32_e32 v27, v25, v24
	v_fma_f32 v28, -v23, v27, v25
	v_fmac_f32_e32 v27, v28, v24
	v_fma_f32 v23, -v23, v27, v25
	v_div_fmas_f32 v23, v23, v24, v27
	v_div_fixup_f32 v26, v23, v26, 1.0
.LBB42_362:
	s_or_b64 exec, exec, s[0:1]
	v_cmp_ne_u32_e32 vcc, v251, v22
	v_mov_b32_e32 v24, 21
	s_and_saveexec_b64 s[0:1], vcc
	s_cbranch_execz .LBB42_368
; %bb.363:
	v_cmp_eq_u32_e32 vcc, 21, v251
	s_and_saveexec_b64 s[2:3], vcc
	s_cbranch_execz .LBB42_367
; %bb.364:
	v_cmp_ne_u32_e32 vcc, 21, v22
	s_xor_b64 s[16:17], s[16:17], -1
	s_and_b64 s[18:19], s[16:17], vcc
	s_and_saveexec_b64 s[16:17], s[18:19]
	s_cbranch_execz .LBB42_366
; %bb.365:
	scratch_load_dwordx2 v[28:29], off, off offset:1416 ; 8-byte Folded Reload
	v_ashrrev_i32_e32 v23, 31, v22
	s_waitcnt vmcnt(0)
	v_lshl_add_u64 v[24:25], v[22:23], 2, v[28:29]
	global_load_dword v23, v[24:25], off
	global_load_dword v27, v[28:29], off offset:84
	s_waitcnt vmcnt(1)
	global_store_dword v[28:29], v23, off offset:84
	s_waitcnt vmcnt(1)
	global_store_dword v[24:25], v27, off
.LBB42_366:
	s_or_b64 exec, exec, s[16:17]
	v_mov_b32_e32 v23, v22
	v_mov_b32_e32 v251, v22
	scratch_store_dword off, v23, off offset:640 ; 4-byte Folded Spill
.LBB42_367:
	s_or_b64 exec, exec, s[2:3]
	v_mov_b32_e32 v24, v251
.LBB42_368:
	s_or_b64 exec, exec, s[0:1]
	v_cmp_gt_i32_e32 vcc, 22, v24
	v_ashrrev_i32_e32 v25, 31, v24
	s_barrier
	s_barrier
	s_and_saveexec_b64 s[0:1], vcc
	s_cbranch_execz .LBB42_370
; %bb.369:
	v_mul_lo_u32 v27, s11, v248
	v_mul_lo_u32 v30, s10, v249
	v_mad_u64_u32 v[28:29], s[2:3], s10, v248, 0
	v_add3_u32 v29, v29, v30, v27
	scratch_load_dword v27, off, off offset:640 ; 4-byte Folded Reload
	v_mov_b32_e32 v22, s6
	v_mov_b32_e32 v23, s7
	v_lshl_add_u64 v[22:23], v[28:29], 2, v[22:23]
	v_lshl_add_u64 v[22:23], s[8:9], 2, v[22:23]
	;; [unrolled: 1-line block ×3, first 2 shown]
	s_waitcnt vmcnt(0)
	v_add3_u32 v27, v27, s15, 1
	global_store_dword v[22:23], v27, off
.LBB42_370:
	s_or_b64 exec, exec, s[0:1]
	v_cmp_eq_u32_e32 vcc, 0, v24
	s_and_saveexec_b64 s[2:3], vcc
	s_cbranch_execz .LBB42_373
; %bb.371:
	v_mov_b32_e32 v22, s4
	v_mov_b32_e32 v23, s5
	v_lshl_add_u64 v[22:23], v[248:249], 2, v[22:23]
	global_load_dword v27, v[22:23], off
	v_cmp_ne_u32_e64 s[0:1], 0, v252
	s_waitcnt vmcnt(0)
	v_cmp_eq_u32_e32 vcc, 0, v27
	s_and_b64 s[0:1], vcc, s[0:1]
	s_and_b64 exec, exec, s[0:1]
	s_cbranch_execz .LBB42_373
; %bb.372:
	v_add_u32_e32 v27, s15, v252
	global_store_dword v[22:23], v27, off
.LBB42_373:
	s_or_b64 exec, exec, s[2:3]
	v_mul_f32_e32 v22, v253, v26
	v_cmp_lt_i32_e32 vcc, 21, v24
	s_nop 1
	v_cndmask_b32_e32 v21, v21, v22, vcc
	v_lshl_add_u64 v[22:23], v[24:25], 2, v[246:247]
	global_store_dword v[22:23], v0, off
	v_lshl_add_u64 v[22:23], s[12:13], 2, v[22:23]
	v_add_u32_e32 v0, s14, v24
	global_store_dword v[22:23], v1, off
	v_ashrrev_i32_e32 v1, 31, v0
	v_lshl_add_u64 v[22:23], v[0:1], 2, v[246:247]
	v_add_u32_e32 v0, s12, v0
	v_ashrrev_i32_e32 v1, 31, v0
	global_store_dword v[22:23], v2, off
	v_lshl_add_u64 v[22:23], v[0:1], 2, v[246:247]
	v_add_u32_e32 v0, s12, v0
	v_ashrrev_i32_e32 v1, 31, v0
	global_store_dword v[22:23], v3, off
	;; [unrolled: 4-line block ×18, first 2 shown]
	v_lshl_add_u64 v[2:3], v[0:1], 2, v[246:247]
	v_add_u32_e32 v0, s12, v0
	v_ashrrev_i32_e32 v1, 31, v0
	v_lshl_add_u64 v[0:1], v[0:1], 2, v[246:247]
	global_store_dword v[2:3], v20, off
	global_store_dword v[0:1], v21, off
.LBB42_374:
	s_endpgm
.LBB42_375:
	v_mov_b32_e32 v55, v175
	s_waitcnt lgkmcnt(0)
	v_cmp_eq_f32_e32 vcc, 0, v39
	s_and_saveexec_b64 s[0:1], vcc
	s_xor_b64 s[0:1], exec, s[0:1]
	s_cbranch_execnz .LBB42_70
	s_branch .LBB42_71
.LBB42_376:
	v_mov_b32_e32 v53, v79
	s_waitcnt lgkmcnt(0)
	v_cmp_eq_f32_e32 vcc, 0, v39
	s_and_saveexec_b64 s[0:1], vcc
	s_xor_b64 s[0:1], exec, s[0:1]
	s_cbranch_execnz .LBB42_104
	s_branch .LBB42_105
.LBB42_377:
	v_mov_b32_e32 v51, v79
	s_waitcnt lgkmcnt(0)
	v_cmp_eq_f32_e32 vcc, 0, v39
	s_and_saveexec_b64 s[0:1], vcc
	s_xor_b64 s[0:1], exec, s[0:1]
	s_cbranch_execnz .LBB42_138
	s_branch .LBB42_139
.LBB42_378:
	scratch_load_dwordx4 v[150:153], off, off offset:384 ; 16-byte Folded Reload
	scratch_load_dwordx4 v[154:157], off, off offset:400 ; 16-byte Folded Reload
	;; [unrolled: 1-line block ×8, first 2 shown]
	s_waitcnt lgkmcnt(0)
	v_cmp_eq_f32_e32 vcc, 0, v39
	s_and_saveexec_b64 s[0:1], vcc
	s_xor_b64 s[0:1], exec, s[0:1]
	s_cbranch_execnz .LBB42_240
	s_branch .LBB42_241
	.section	.rodata,"a",@progbits
	.p2align	6, 0x0
	.amdhsa_kernel _ZN9rocsolver6v33100L18getf2_small_kernelILi22EfiiPfEEvT1_T3_lS3_lPS3_llPT2_S3_S3_S5_l
		.amdhsa_group_segment_fixed_size 0
		.amdhsa_private_segment_fixed_size 2452
		.amdhsa_kernarg_size 352
		.amdhsa_user_sgpr_count 2
		.amdhsa_user_sgpr_dispatch_ptr 0
		.amdhsa_user_sgpr_queue_ptr 0
		.amdhsa_user_sgpr_kernarg_segment_ptr 1
		.amdhsa_user_sgpr_dispatch_id 0
		.amdhsa_user_sgpr_kernarg_preload_length 0
		.amdhsa_user_sgpr_kernarg_preload_offset 0
		.amdhsa_user_sgpr_private_segment_size 0
		.amdhsa_uses_dynamic_stack 0
		.amdhsa_enable_private_segment 1
		.amdhsa_system_sgpr_workgroup_id_x 1
		.amdhsa_system_sgpr_workgroup_id_y 1
		.amdhsa_system_sgpr_workgroup_id_z 0
		.amdhsa_system_sgpr_workgroup_info 0
		.amdhsa_system_vgpr_workitem_id 1
		.amdhsa_next_free_vgpr 256
		.amdhsa_next_free_sgpr 28
		.amdhsa_accum_offset 256
		.amdhsa_reserve_vcc 1
		.amdhsa_float_round_mode_32 0
		.amdhsa_float_round_mode_16_64 0
		.amdhsa_float_denorm_mode_32 3
		.amdhsa_float_denorm_mode_16_64 3
		.amdhsa_dx10_clamp 1
		.amdhsa_ieee_mode 1
		.amdhsa_fp16_overflow 0
		.amdhsa_tg_split 0
		.amdhsa_exception_fp_ieee_invalid_op 0
		.amdhsa_exception_fp_denorm_src 0
		.amdhsa_exception_fp_ieee_div_zero 0
		.amdhsa_exception_fp_ieee_overflow 0
		.amdhsa_exception_fp_ieee_underflow 0
		.amdhsa_exception_fp_ieee_inexact 0
		.amdhsa_exception_int_div_zero 0
	.end_amdhsa_kernel
	.section	.text._ZN9rocsolver6v33100L18getf2_small_kernelILi22EfiiPfEEvT1_T3_lS3_lPS3_llPT2_S3_S3_S5_l,"axG",@progbits,_ZN9rocsolver6v33100L18getf2_small_kernelILi22EfiiPfEEvT1_T3_lS3_lPS3_llPT2_S3_S3_S5_l,comdat
.Lfunc_end42:
	.size	_ZN9rocsolver6v33100L18getf2_small_kernelILi22EfiiPfEEvT1_T3_lS3_lPS3_llPT2_S3_S3_S5_l, .Lfunc_end42-_ZN9rocsolver6v33100L18getf2_small_kernelILi22EfiiPfEEvT1_T3_lS3_lPS3_llPT2_S3_S3_S5_l
                                        ; -- End function
	.set _ZN9rocsolver6v33100L18getf2_small_kernelILi22EfiiPfEEvT1_T3_lS3_lPS3_llPT2_S3_S3_S5_l.num_vgpr, 256
	.set _ZN9rocsolver6v33100L18getf2_small_kernelILi22EfiiPfEEvT1_T3_lS3_lPS3_llPT2_S3_S3_S5_l.num_agpr, 0
	.set _ZN9rocsolver6v33100L18getf2_small_kernelILi22EfiiPfEEvT1_T3_lS3_lPS3_llPT2_S3_S3_S5_l.numbered_sgpr, 28
	.set _ZN9rocsolver6v33100L18getf2_small_kernelILi22EfiiPfEEvT1_T3_lS3_lPS3_llPT2_S3_S3_S5_l.num_named_barrier, 0
	.set _ZN9rocsolver6v33100L18getf2_small_kernelILi22EfiiPfEEvT1_T3_lS3_lPS3_llPT2_S3_S3_S5_l.private_seg_size, 2452
	.set _ZN9rocsolver6v33100L18getf2_small_kernelILi22EfiiPfEEvT1_T3_lS3_lPS3_llPT2_S3_S3_S5_l.uses_vcc, 1
	.set _ZN9rocsolver6v33100L18getf2_small_kernelILi22EfiiPfEEvT1_T3_lS3_lPS3_llPT2_S3_S3_S5_l.uses_flat_scratch, 0
	.set _ZN9rocsolver6v33100L18getf2_small_kernelILi22EfiiPfEEvT1_T3_lS3_lPS3_llPT2_S3_S3_S5_l.has_dyn_sized_stack, 0
	.set _ZN9rocsolver6v33100L18getf2_small_kernelILi22EfiiPfEEvT1_T3_lS3_lPS3_llPT2_S3_S3_S5_l.has_recursion, 0
	.set _ZN9rocsolver6v33100L18getf2_small_kernelILi22EfiiPfEEvT1_T3_lS3_lPS3_llPT2_S3_S3_S5_l.has_indirect_call, 0
	.section	.AMDGPU.csdata,"",@progbits
; Kernel info:
; codeLenInByte = 37788
; TotalNumSgprs: 34
; NumVgprs: 256
; NumAgprs: 0
; TotalNumVgprs: 256
; ScratchSize: 2452
; MemoryBound: 0
; FloatMode: 240
; IeeeMode: 1
; LDSByteSize: 0 bytes/workgroup (compile time only)
; SGPRBlocks: 4
; VGPRBlocks: 31
; NumSGPRsForWavesPerEU: 34
; NumVGPRsForWavesPerEU: 256
; AccumOffset: 256
; Occupancy: 2
; WaveLimiterHint : 0
; COMPUTE_PGM_RSRC2:SCRATCH_EN: 1
; COMPUTE_PGM_RSRC2:USER_SGPR: 2
; COMPUTE_PGM_RSRC2:TRAP_HANDLER: 0
; COMPUTE_PGM_RSRC2:TGID_X_EN: 1
; COMPUTE_PGM_RSRC2:TGID_Y_EN: 1
; COMPUTE_PGM_RSRC2:TGID_Z_EN: 0
; COMPUTE_PGM_RSRC2:TIDIG_COMP_CNT: 1
; COMPUTE_PGM_RSRC3_GFX90A:ACCUM_OFFSET: 63
; COMPUTE_PGM_RSRC3_GFX90A:TG_SPLIT: 0
	.section	.text._ZN9rocsolver6v33100L23getf2_npvt_small_kernelILi22EfiiPfEEvT1_T3_lS3_lPT2_S3_S3_,"axG",@progbits,_ZN9rocsolver6v33100L23getf2_npvt_small_kernelILi22EfiiPfEEvT1_T3_lS3_lPT2_S3_S3_,comdat
	.globl	_ZN9rocsolver6v33100L23getf2_npvt_small_kernelILi22EfiiPfEEvT1_T3_lS3_lPT2_S3_S3_ ; -- Begin function _ZN9rocsolver6v33100L23getf2_npvt_small_kernelILi22EfiiPfEEvT1_T3_lS3_lPT2_S3_S3_
	.p2align	8
	.type	_ZN9rocsolver6v33100L23getf2_npvt_small_kernelILi22EfiiPfEEvT1_T3_lS3_lPT2_S3_S3_,@function
_ZN9rocsolver6v33100L23getf2_npvt_small_kernelILi22EfiiPfEEvT1_T3_lS3_lPT2_S3_S3_: ; @_ZN9rocsolver6v33100L23getf2_npvt_small_kernelILi22EfiiPfEEvT1_T3_lS3_lPT2_S3_S3_
; %bb.0:
	s_load_dword s2, s[0:1], 0x44
	s_load_dwordx2 s[8:9], s[0:1], 0x30
	v_bfe_u32 v1, v0, 10, 10
	s_waitcnt lgkmcnt(0)
	s_lshr_b32 s10, s2, 16
	s_mul_i32 s3, s3, s10
	v_add_u32_e32 v254, s3, v1
	v_cmp_gt_i32_e32 vcc, s8, v254
	s_and_saveexec_b64 s[2:3], vcc
	s_cbranch_execz .LBB43_115
; %bb.1:
	s_load_dwordx4 s[12:15], s[0:1], 0x8
	s_load_dword s2, s[0:1], 0x18
	s_load_dwordx4 s[4:7], s[0:1], 0x20
	v_ashrrev_i32_e32 v255, 31, v254
	v_and_b32_e32 v250, 0x3ff, v0
	s_waitcnt lgkmcnt(0)
	v_mov_b32_e32 v2, s12
	v_mov_b32_e32 v3, s13
	v_mul_lo_u32 v0, s5, v254
	v_mul_lo_u32 v6, s4, v255
	v_mad_u64_u32 v[4:5], s[0:1], s4, v254, 0
	v_add3_u32 v5, v5, v6, v0
	v_lshl_add_u64 v[2:3], v[4:5], 2, v[2:3]
	v_lshl_add_u64 v[2:3], s[14:15], 2, v[2:3]
	v_lshlrev_b32_e32 v4, 2, v250
	v_mov_b32_e32 v5, 0
	s_add_i32 s0, s2, s2
	v_lshl_add_u64 v[22:23], v[2:3], 0, v[4:5]
	v_add_u32_e32 v4, s0, v250
	v_ashrrev_i32_e32 v5, 31, v4
	v_lshl_add_u64 v[18:19], v[4:5], 2, v[2:3]
	v_add_u32_e32 v4, s2, v4
	v_ashrrev_i32_e32 v5, 31, v4
	;; [unrolled: 3-line block ×19, first 2 shown]
	v_lshl_add_u64 v[46:47], v[4:5], 2, v[2:3]
	v_add_u32_e32 v4, s2, v4
	s_ashr_i32 s3, s2, 31
	v_ashrrev_i32_e32 v5, 31, v4
	v_lshl_add_u64 v[16:17], s[2:3], 2, v[22:23]
	v_lshl_add_u64 v[48:49], v[4:5], 2, v[2:3]
	scratch_store_dwordx2 off, v[10:11], off offset:2696 ; 8-byte Folded Spill
	global_load_dword v2, v[10:11], off
	global_load_dword v3, v[42:43], off
	;; [unrolled: 1-line block ×6, first 2 shown]
	s_mulk_i32 s10, 0x58
	scratch_store_dwordx2 off, v[6:7], off offset:2688 ; 8-byte Folded Spill
	global_load_dword v7, v[6:7], off
	s_movk_i32 s0, 0x58
	scratch_store_dwordx2 off, v[8:9], off offset:2632 ; 8-byte Folded Spill
	scratch_store_dwordx2 off, v[12:13], off offset:2640 ; 8-byte Folded Spill
	;; [unrolled: 1-line block ×3, first 2 shown]
	global_load_dword v15, v[14:15], off
	s_add_i32 s1, s10, 0
	global_load_dword v10, v[8:9], off
	global_load_dword v11, v[12:13], off
	;; [unrolled: 1-line block ×3, first 2 shown]
	v_mad_u32_u24 v252, v1, s0, 0
	scratch_store_dwordx2 off, v[16:17], off offset:2568 ; 8-byte Folded Spill
	global_load_dword v16, v[16:17], off
	v_lshl_add_u32 v251, v1, 2, s1
	global_load_dword v12, v[32:33], off
	global_load_dword v9, v[38:39], off
	;; [unrolled: 1-line block ×6, first 2 shown]
	v_cmp_ne_u32_e64 s[2:3], 0, v250
	scratch_store_dwordx2 off, v[18:19], off offset:2576 ; 8-byte Folded Spill
	scratch_store_dwordx2 off, v[20:21], off offset:2584 ; 8-byte Folded Spill
	global_load_dword v18, v[20:21], off
	v_cmp_eq_u32_e64 s[0:1], 0, v250
	global_load_dword v19, v[24:25], off
	global_load_dword v20, v[26:27], off
	;; [unrolled: 1-line block ×3, first 2 shown]
	s_nop 0
	scratch_store_dwordx2 off, v[42:43], off offset:2704 ; 8-byte Folded Spill
	scratch_store_dwordx2 off, v[44:45], off offset:2712 ; 8-byte Folded Spill
	;; [unrolled: 1-line block ×14, first 2 shown]
	s_and_saveexec_b64 s[4:5], s[0:1]
	s_cbranch_execz .LBB43_4
; %bb.2:
	s_waitcnt vmcnt(40)
	ds_write_b32 v251, v0
	s_waitcnt vmcnt(23)
	ds_write2_b32 v252, v16, v17 offset0:1 offset1:2
	s_waitcnt vmcnt(16)
	ds_write2_b32 v252, v18, v19 offset0:3 offset1:4
	;; [unrolled: 2-line block ×3, first 2 shown]
	ds_write2_b32 v252, v14, v15 offset0:7 offset1:8
	ds_write2_b32 v252, v10, v11 offset0:9 offset1:10
	;; [unrolled: 1-line block ×7, first 2 shown]
	ds_write_b32 v252, v59 offset:84
	ds_read_b32 v1, v251
	s_waitcnt lgkmcnt(0)
	v_cmp_neq_f32_e32 vcc, 0, v1
	s_and_b64 exec, exec, vcc
	s_cbranch_execz .LBB43_4
; %bb.3:
	v_div_scale_f32 v22, s[10:11], v1, v1, 1.0
	v_rcp_f32_e32 v23, v22
	v_div_scale_f32 v24, vcc, 1.0, v1, 1.0
	v_fma_f32 v25, -v22, v23, 1.0
	v_fmac_f32_e32 v23, v25, v23
	v_mul_f32_e32 v25, v24, v23
	v_fma_f32 v26, -v22, v25, v24
	v_fmac_f32_e32 v25, v26, v23
	v_fma_f32 v22, -v22, v25, v24
	v_div_fmas_f32 v22, v22, v23, v25
	v_div_fixup_f32 v1, v22, v1, 1.0
	ds_write_b32 v251, v1
.LBB43_4:
	s_or_b64 exec, exec, s[4:5]
	s_waitcnt lgkmcnt(0)
	s_barrier
	ds_read_b32 v1, v251
                                        ; implicit-def: $vgpr231
                                        ; implicit-def: $vgpr135
                                        ; implicit-def: $vgpr22
                                        ; implicit-def: $vgpr164
                                        ; implicit-def: $vgpr71
                                        ; implicit-def: $vgpr196
                                        ; implicit-def: $vgpr179
                                        ; implicit-def: $vgpr108
                                        ; implicit-def: $vgpr147
                                        ; implicit-def: $vgpr32
                                        ; implicit-def: $vgpr87
                                        ; implicit-def: $vgpr42
                                        ; implicit-def: $vgpr29
                                        ; implicit-def: $vgpr102
                                        ; implicit-def: $vgpr27
                                        ; implicit-def: $vgpr76
                                        ; implicit-def: $vgpr213
                                        ; implicit-def: $vgpr54
	s_waitcnt lgkmcnt(0)
	scratch_store_dword off, v1, off offset:2736 ; 4-byte Folded Spill
	s_and_saveexec_b64 s[4:5], s[2:3]
	s_xor_b64 s[2:3], exec, s[4:5]
	s_cbranch_execz .LBB43_6
; %bb.5:
	ds_read2_b32 v[22:23], v252 offset0:1 offset1:2
	ds_read2_b32 v[24:25], v252 offset0:3 offset1:4
	;; [unrolled: 1-line block ×3, first 2 shown]
	scratch_load_dword v1, off, off offset:2736 ; 4-byte Folded Reload
	ds_read2_b32 v[28:29], v252 offset0:7 offset1:8
	s_waitcnt vmcnt(0)
	v_mul_f32_e32 v0, v0, v1
	s_waitcnt lgkmcnt(3)
	v_pk_fma_f32 v[22:23], v[0:1], v[22:23], v[16:17] op_sel_hi:[0,1,1] neg_lo:[1,0,0] neg_hi:[1,0,0]
	s_waitcnt lgkmcnt(2)
	v_pk_fma_f32 v[24:25], v[0:1], v[24:25], v[18:19] op_sel_hi:[0,1,1] neg_lo:[1,0,0] neg_hi:[1,0,0]
	ds_read2_b32 v[16:17], v252 offset0:9 offset1:10
	ds_read2_b32 v[18:19], v252 offset0:11 offset1:12
	s_waitcnt lgkmcnt(3)
	v_pk_fma_f32 v[26:27], v[0:1], v[26:27], v[20:21] op_sel_hi:[0,1,1] neg_lo:[1,0,0] neg_hi:[1,0,0]
	s_waitcnt lgkmcnt(2)
	v_pk_fma_f32 v[28:29], v[0:1], v[28:29], v[14:15] op_sel_hi:[0,1,1] neg_lo:[1,0,0] neg_hi:[1,0,0]
	ds_read2_b32 v[14:15], v252 offset0:13 offset1:14
	ds_read2_b32 v[20:21], v252 offset0:15 offset1:16
	;; [unrolled: 6-line block ×3, first 2 shown]
	ds_read_b32 v1, v252 offset:84
                                        ; implicit-def: $vgpr16
                                        ; implicit-def: $vgpr18
	v_mov_b32_e32 v108, v33
	v_mov_b32_e32 v147, v32
	;; [unrolled: 1-line block ×4, first 2 shown]
	s_waitcnt lgkmcnt(0)
	v_pk_fma_f32 v[34:35], v[0:1], v[14:15], v[8:9] op_sel_hi:[0,1,1] neg_lo:[1,0,0] neg_hi:[1,0,0]
	v_pk_fma_f32 v[36:37], v[0:1], v[20:21], v[6:7] op_sel_hi:[0,1,1] neg_lo:[1,0,0] neg_hi:[1,0,0]
	;; [unrolled: 1-line block ×4, first 2 shown]
	v_fma_f32 v59, -v0, v1, v59
	v_mov_b32_e32 v58, v41
	v_mov_b32_e32 v56, v39
                                        ; implicit-def: $vgpr20
                                        ; implicit-def: $vgpr14
                                        ; implicit-def: $vgpr10
                                        ; implicit-def: $vgpr12
                                        ; implicit-def: $vgpr8
                                        ; implicit-def: $vgpr6
                                        ; implicit-def: $vgpr2
                                        ; implicit-def: $vgpr4
	v_mov_b32_e32 v231, v40
	v_mov_b32_e32 v135, v38
	;; [unrolled: 1-line block ×13, first 2 shown]
.LBB43_6:
	s_or_saveexec_b64 s[2:3], s[2:3]
	v_mov_b32_e32 v1, v22
	s_xor_b64 exec, exec, s[2:3]
	s_cbranch_execz .LBB43_8
; %bb.7:
	s_waitcnt vmcnt(27)
	v_mov_b32_e32 v1, v16
	v_mov_b32_e32 v56, v3
	;; [unrolled: 1-line block ×3, first 2 shown]
	s_waitcnt vmcnt(24)
	v_mov_b32_e32 v54, v17
	s_waitcnt vmcnt(18)
	v_mov_b32_e32 v213, v18
	;; [unrolled: 2-line block ×5, first 2 shown]
	v_mov_b32_e32 v29, v14
	v_mov_b32_e32 v42, v15
	;; [unrolled: 1-line block ×12, first 2 shown]
.LBB43_8:
	s_or_b64 exec, exec, s[2:3]
	s_waitcnt vmcnt(43)
	v_mov_b32_e32 v2, v54
	s_waitcnt vmcnt(42)
	v_mov_b32_e32 v3, v213
	s_waitcnt vmcnt(40)
	v_mov_b32_e32 v4, v76
	v_mov_b32_e32 v65, v27
	s_waitcnt vmcnt(39)
	v_mov_b32_e32 v5, v27
	s_waitcnt vmcnt(22)
	v_mov_b32_e32 v6, v102
	v_mov_b32_e32 v95, v29
	;; [unrolled: 1-line block ×3, first 2 shown]
	s_waitcnt vmcnt(21)
	v_mov_b32_e32 v8, v42
	v_mov_b32_e32 v9, v87
	;; [unrolled: 1-line block ×10, first 2 shown]
	s_waitcnt vmcnt(18)
	v_mov_b32_e32 v18, v56
	s_waitcnt vmcnt(17)
	v_mov_b32_e32 v19, v231
	;; [unrolled: 2-line block ×4, first 2 shown]
	v_cmp_eq_u32_e32 vcc, 1, v250
	s_barrier
	s_and_saveexec_b64 s[2:3], vcc
	s_cbranch_execz .LBB43_11
; %bb.9:
	v_mov_b32_e32 v55, v213
	v_mov_b32_e32 v22, v76
	;; [unrolled: 1-line block ×3, first 2 shown]
	ds_write_b32 v251, v1
	ds_write2_b64 v252, v[54:55], v[22:23] offset0:1 offset1:2
	v_mov_b32_e32 v103, v95
	v_mov_b32_e32 v22, v42
	v_mov_b32_e32 v23, v87
	ds_write2_b64 v252, v[102:103], v[22:23] offset0:3 offset1:4
	v_mov_b32_e32 v33, v147
	v_mov_b32_e32 v22, v108
	v_mov_b32_e32 v23, v179
	;; [unrolled: 4-line block ×3, first 2 shown]
	v_mov_b32_e32 v57, v231
	ds_write2_b64 v252, v[196:197], v[22:23] offset0:7 offset1:8
	ds_write2_b64 v252, v[56:57], v[58:59] offset0:9 offset1:10
	ds_read_b32 v22, v251
	s_waitcnt lgkmcnt(0)
	v_cmp_neq_f32_e32 vcc, 0, v22
	s_and_b64 exec, exec, vcc
	s_cbranch_execz .LBB43_11
; %bb.10:
	v_div_scale_f32 v23, s[4:5], v22, v22, 1.0
	v_rcp_f32_e32 v24, v23
	v_div_scale_f32 v25, vcc, 1.0, v22, 1.0
	v_fma_f32 v26, -v23, v24, 1.0
	v_fmac_f32_e32 v24, v26, v24
	v_mul_f32_e32 v26, v25, v24
	v_fma_f32 v27, -v23, v26, v25
	v_fmac_f32_e32 v26, v27, v24
	v_fma_f32 v23, -v23, v26, v25
	v_div_fmas_f32 v23, v23, v24, v26
	v_div_fixup_f32 v22, v23, v22, 1.0
	ds_write_b32 v251, v22
.LBB43_11:
	s_or_b64 exec, exec, s[2:3]
	v_mov_b32_e32 v96, v0
	v_mov_b32_e32 v97, v1
	;; [unrolled: 1-line block ×16, first 2 shown]
	v_mov_b64_e32 v[132:133], v[106:107]
	v_mov_b32_e32 v88, v0
	v_mov_b32_e32 v89, v1
	;; [unrolled: 1-line block ×26, first 2 shown]
	v_mov_b64_e32 v[130:131], v[104:105]
	v_mov_b64_e32 v[128:129], v[102:103]
	;; [unrolled: 1-line block ×5, first 2 shown]
	v_mov_b32_e32 v106, v32
	v_mov_b32_e32 v90, v54
	;; [unrolled: 1-line block ×15, first 2 shown]
	v_mov_b64_e32 v[22:23], v[88:89]
	v_mov_b32_e32 v62, v54
	v_mov_b32_e32 v63, v213
	;; [unrolled: 1-line block ×3, first 2 shown]
	v_mov_b64_e32 v[28:29], v[94:95]
	v_mov_b32_e32 v60, v0
	v_mov_b32_e32 v61, v1
	;; [unrolled: 1-line block ×7, first 2 shown]
	v_mov_b64_e32 v[24:25], v[90:91]
	v_mov_b64_e32 v[26:27], v[92:93]
	v_mov_b32_e32 v187, v65
	v_mov_b64_e32 v[66:67], v[64:65]
	v_mov_b64_e32 v[154:155], v[28:29]
	v_mov_b32_e32 v35, v1
	v_mov_b32_e32 v36, v54
	;; [unrolled: 1-line block ×5, first 2 shown]
	v_mov_b64_e32 v[64:65], v[62:63]
	v_mov_b64_e32 v[62:63], v[60:61]
	v_mov_b32_e32 v189, v29
	v_mov_b64_e32 v[152:153], v[26:27]
	v_mov_b64_e32 v[150:151], v[24:25]
	v_mov_b64_e32 v[148:149], v[22:23]
	v_mov_b32_e32 v22, v34
	v_mov_b32_e32 v136, v0
	;; [unrolled: 1-line block ×20, first 2 shown]
	v_mov_b64_e32 v[32:33], v[62:63]
	v_mov_b32_e32 v188, v120
	v_mov_b64_e32 v[34:35], v[64:65]
	v_mov_b64_e32 v[36:37], v[66:67]
	v_mov_b32_e32 v62, v120
	scratch_store_dwordx4 off, v[114:117], off offset:1536 ; 16-byte Folded Spill
	s_nop 0
	scratch_store_dwordx4 off, v[118:121], off offset:1552 ; 16-byte Folded Spill
	scratch_store_dwordx4 off, v[122:125], off offset:1568 ; 16-byte Folded Spill
	;; [unrolled: 1-line block ×7, first 2 shown]
	v_mov_b32_e32 v210, v0
	v_mov_b32_e32 v211, v1
	;; [unrolled: 1-line block ×4, first 2 shown]
	v_mov_b64_e32 v[38:39], v[148:149]
	v_mov_b32_e32 v212, v54
	v_mov_b32_e32 v177, v147
	v_mov_b64_e32 v[48:49], v[210:211]
	v_mov_b32_e32 v193, v147
	v_mov_b64_e32 v[40:41], v[150:151]
	v_mov_b64_e32 v[42:43], v[152:153]
	v_mov_b64_e32 v[44:45], v[154:155]
	v_mov_b32_e32 v67, v147
	scratch_store_dwordx4 off, v[122:125], off offset:640 ; 16-byte Folded Spill
	s_nop 0
	scratch_store_dwordx4 off, v[126:129], off offset:656 ; 16-byte Folded Spill
	scratch_store_dwordx4 off, v[130:133], off offset:672 ; 16-byte Folded Spill
	;; [unrolled: 1-line block ×7, first 2 shown]
	v_mov_b32_e32 v75, v213
	v_mov_b32_e32 v81, v213
	;; [unrolled: 1-line block ×3, first 2 shown]
	v_mov_b64_e32 v[50:51], v[212:213]
	scratch_load_dwordx4 v[198:201], off, off offset:640 ; 16-byte Folded Reload
	scratch_load_dwordx4 v[202:205], off, off offset:656 ; 16-byte Folded Reload
	scratch_load_dwordx4 v[206:209], off, off offset:672 ; 16-byte Folded Reload
	scratch_load_dwordx4 v[210:213], off, off offset:688 ; 16-byte Folded Reload
	scratch_load_dwordx4 v[214:217], off, off offset:704 ; 16-byte Folded Reload
	scratch_load_dwordx4 v[218:221], off, off offset:720 ; 16-byte Folded Reload
	scratch_load_dwordx4 v[222:225], off, off offset:736 ; 16-byte Folded Reload
	scratch_load_dwordx4 v[226:229], off, off offset:752 ; 16-byte Folded Reload
	v_mov_b32_e32 v85, v95
	v_mov_b32_e32 v173, v95
	;; [unrolled: 1-line block ×16, first 2 shown]
	v_mov_b64_e32 v[108:109], v[36:37]
	v_mov_b64_e32 v[132:133], v[44:45]
	v_mov_b32_e32 v61, v37
	v_mov_b32_e32 v153, v37
	v_mov_b64_e32 v[106:107], v[34:35]
	v_mov_b64_e32 v[104:105], v[32:33]
	;; [unrolled: 1-line block ×5, first 2 shown]
	v_mov_b32_e32 v32, v92
	v_mov_b32_e32 v52, v0
	;; [unrolled: 1-line block ×14, first 2 shown]
	v_mov_b64_e32 v[92:93], v[104:105]
	v_mov_b64_e32 v[112:113], v[58:59]
	v_mov_b32_e32 v110, v56
	v_mov_b32_e32 v154, v120
	;; [unrolled: 1-line block ×7, first 2 shown]
	v_mov_b64_e32 v[94:95], v[106:107]
	v_mov_b64_e32 v[96:97], v[108:109]
	v_mov_b32_e32 v192, v102
	v_mov_b32_e32 v66, v102
	scratch_store_dwordx4 off, v[92:95], off offset:2048 ; 16-byte Folded Spill
	s_nop 0
	scratch_store_dwordx4 off, v[96:99], off offset:2064 ; 16-byte Folded Spill
	scratch_store_dwordx4 off, v[100:103], off offset:2080 ; 16-byte Folded Spill
	;; [unrolled: 1-line block ×7, first 2 shown]
	v_mov_b64_e32 v[98:99], v[126:127]
	v_mov_b64_e32 v[100:101], v[128:129]
	;; [unrolled: 1-line block ×4, first 2 shown]
	v_mov_b32_e32 v72, v0
	v_mov_b32_e32 v73, v1
	v_mov_b32_e32 v74, v54
	s_waitcnt vmcnt(12)
	v_mov_b32_e32 v160, v210
	scratch_load_dwordx4 v[198:201], off, off offset:1536 ; 16-byte Folded Reload
	scratch_load_dwordx4 v[202:205], off, off offset:1552 ; 16-byte Folded Reload
	;; [unrolled: 1-line block ×8, first 2 shown]
	v_mov_b32_e32 v78, v0
	v_mov_b32_e32 v79, v1
	v_mov_b32_e32 v166, v0
	v_mov_b32_e32 v167, v1
	v_mov_b32_e32 v168, v54
	v_mov_b32_e32 v170, v76
	v_mov_b32_e32 v175, v87
	v_mov_b32_e32 v182, v0
	v_mov_b32_e32 v183, v1
	v_mov_b32_e32 v184, v54
	v_mov_b32_e32 v185, v51
	v_mov_b32_e32 v186, v76
	v_mov_b32_e32 v190, v30
	v_mov_b32_e32 v191, v87
	v_mov_b32_e32 v195, v179
	v_mov_b32_e32 v56, v0
	v_mov_b32_e32 v57, v1
	v_mov_b32_e32 v58, v90
	v_mov_b32_e32 v59, v51
	v_mov_b32_e32 v60, v76
	v_mov_b32_e32 v63, v45
	v_mov_b32_e32 v64, v30
	v_mov_b32_e32 v65, v87
	v_mov_b32_e32 v69, v179
	v_mov_b32_e32 v70, v196
	v_mov_b32_e32 v80, v54
	v_mov_b32_e32 v82, v76
	v_mov_b32_e32 v89, v53
	v_mov_b32_e32 v88, v52
	v_mov_b32_e32 v151, v51
	v_mov_b32_e32 v152, v76
	v_mov_b32_e32 v161, v179
	v_mov_b32_e32 v162, v196
	v_mov_b32_e32 v163, v71
	v_mov_b32_e32 v131, v179
	v_mov_b32_e32 v132, v196
	v_mov_b32_e32 v133, v71
	v_mov_b32_e32 v156, v30
	v_mov_b32_e32 v155, v45
	v_mov_b32_e32 v158, v42
	v_mov_b32_e32 v92, v0
	v_mov_b32_e32 v93, v1
	v_mov_b32_e32 v94, v90
	v_mov_b32_e32 v148, v0
	v_mov_b32_e32 v149, v1
	v_mov_b32_e32 v150, v90
	v_mov_b32_e32 v157, v87
	v_mov_b32_e32 v159, v147
	v_mov_b32_e32 v134, v164
	v_mov_b32_e32 v123, v97
	s_waitcnt vmcnt(6)
	v_mov_b32_e32 v124, v204
	scratch_store_dwordx4 off, v[98:101], off offset:2176 ; 16-byte Folded Spill
	s_nop 0
	scratch_store_dwordx4 off, v[102:105], off offset:2192 ; 16-byte Folded Spill
	scratch_store_dwordx4 off, v[106:109], off offset:2208 ; 16-byte Folded Spill
	;; [unrolled: 1-line block ×7, first 2 shown]
	scratch_load_dwordx4 v[198:201], off, off offset:640 ; 16-byte Folded Reload
	scratch_load_dwordx4 v[202:205], off, off offset:656 ; 16-byte Folded Reload
	;; [unrolled: 1-line block ×8, first 2 shown]
	s_nop 0
	scratch_store_dwordx4 off, v[166:169], off offset:512 ; 16-byte Folded Spill
	s_nop 0
	scratch_store_dwordx4 off, v[170:173], off offset:528 ; 16-byte Folded Spill
	scratch_store_dwordx4 off, v[174:177], off offset:544 ; 16-byte Folded Spill
	scratch_store_dwordx4 off, v[178:181], off offset:560 ; 16-byte Folded Spill
	scratch_store_dwordx4 off, v[182:185], off offset:576 ; 16-byte Folded Spill
	scratch_store_dwordx4 off, v[186:189], off offset:592 ; 16-byte Folded Spill
	scratch_store_dwordx4 off, v[190:193], off offset:608 ; 16-byte Folded Spill
	scratch_store_dwordx4 off, v[194:197], off offset:624 ; 16-byte Folded Spill
	scratch_store_dwordx4 off, v[48:51], off offset:2872 ; 16-byte Folded Spill
	s_nop 0
	scratch_store_dwordx4 off, v[52:55], off offset:2888 ; 16-byte Folded Spill
	scratch_store_dwordx4 off, v[56:59], off offset:2904 ; 16-byte Folded Spill
	;; [unrolled: 1-line block ×7, first 2 shown]
	v_mov_b32_e32 v174, v30
	v_mov_b32_e32 v126, v30
	;; [unrolled: 1-line block ×32, first 2 shown]
	s_waitcnt vmcnt(20)
	v_mov_b32_e32 v130, v210
	scratch_load_dwordx4 v[198:201], off, off offset:1536 ; 16-byte Folded Reload
	scratch_load_dwordx4 v[202:205], off, off offset:1552 ; 16-byte Folded Reload
	;; [unrolled: 1-line block ×8, first 2 shown]
	s_waitcnt vmcnt(0)
	v_mov_b32_e32 v230, v32
	v_mov_b32_e32 v229, v31
	;; [unrolled: 1-line block ×11, first 2 shown]
	scratch_store_dwordx4 off, v[166:169], off offset:3000 ; 16-byte Folded Spill
	s_nop 0
	scratch_store_dwordx4 off, v[170:173], off offset:3016 ; 16-byte Folded Spill
	scratch_store_dwordx4 off, v[174:177], off offset:3032 ; 16-byte Folded Spill
	;; [unrolled: 1-line block ×8, first 2 shown]
	s_nop 0
	scratch_store_dwordx4 off, v[224:227], off offset:3144 ; 16-byte Folded Spill
	scratch_store_dwordx4 off, v[228:231], off offset:3160 ; 16-byte Folded Spill
	;; [unrolled: 1-line block ×7, first 2 shown]
	v_mov_b32_e32 v96, v76
	v_mov_b32_e32 v107, v71
	;; [unrolled: 1-line block ×3, first 2 shown]
	scratch_load_dwordx4 v[198:201], off, off offset:640 ; 16-byte Folded Reload
	scratch_load_dwordx4 v[202:205], off, off offset:656 ; 16-byte Folded Reload
	;; [unrolled: 1-line block ×8, first 2 shown]
	v_mov_b32_e32 v100, v174
	v_mov_b32_e32 v106, v196
	v_cmp_lt_u32_e32 vcc, 1, v250
	s_waitcnt vmcnt(4)
	v_mov_b32_e32 v104, v210
	scratch_load_dwordx4 v[198:201], off, off offset:512 ; 16-byte Folded Reload
	scratch_load_dwordx4 v[202:205], off, off offset:528 ; 16-byte Folded Reload
	;; [unrolled: 1-line block ×8, first 2 shown]
	s_waitcnt vmcnt(3)
	v_mov_b32_e32 v215, v51
	scratch_load_dwordx4 v[24:27], off, off offset:2048 ; 16-byte Folded Reload
	scratch_load_dwordx4 v[28:31], off, off offset:2064 ; 16-byte Folded Reload
	scratch_load_dwordx4 v[32:35], off, off offset:2080 ; 16-byte Folded Reload
	scratch_load_dwordx4 v[36:39], off, off offset:2096 ; 16-byte Folded Reload
	scratch_load_dwordx4 v[40:43], off, off offset:2112 ; 16-byte Folded Reload
	scratch_load_dwordx4 v[44:47], off, off offset:2128 ; 16-byte Folded Reload
	scratch_load_dwordx4 v[48:51], off, off offset:2144 ; 16-byte Folded Reload
	scratch_load_dwordx4 v[52:55], off, off offset:2160 ; 16-byte Folded Reload
	v_mov_b32_e32 v212, v0
	v_mov_b32_e32 v213, v1
	s_waitcnt vmcnt(8)
	v_mov_b32_e32 v228, v164
	v_mov_b32_e32 v229, v135
	;; [unrolled: 1-line block ×11, first 2 shown]
	s_waitcnt vmcnt(6)
	v_mov_b32_e32 v217, v29
	scratch_load_dwordx4 v[22:25], off, off offset:1536 ; 16-byte Folded Reload
	scratch_load_dwordx4 v[26:29], off, off offset:1552 ; 16-byte Folded Reload
	;; [unrolled: 1-line block ×8, first 2 shown]
	v_mov_b32_e32 v105, v211
	s_waitcnt vmcnt(6)
	v_mov_b32_e32 v218, v28
	scratch_load_dwordx4 v[22:25], off, off offset:2176 ; 16-byte Folded Reload
	scratch_load_dwordx4 v[26:29], off, off offset:2192 ; 16-byte Folded Reload
	scratch_load_dwordx4 v[30:33], off, off offset:2208 ; 16-byte Folded Reload
	scratch_load_dwordx4 v[34:37], off, off offset:2224 ; 16-byte Folded Reload
	scratch_load_dwordx4 v[38:41], off, off offset:2240 ; 16-byte Folded Reload
	scratch_load_dwordx4 v[42:45], off, off offset:2256 ; 16-byte Folded Reload
	scratch_load_dwordx4 v[46:49], off, off offset:2272 ; 16-byte Folded Reload
	scratch_load_dwordx4 v[50:53], off, off offset:2288 ; 16-byte Folded Reload
	s_waitcnt vmcnt(6)
	v_mov_b32_e32 v219, v29
	scratch_load_dwordx4 v[22:25], off, off offset:640 ; 16-byte Folded Reload
	scratch_load_dwordx4 v[26:29], off, off offset:656 ; 16-byte Folded Reload
	scratch_load_dwordx4 v[30:33], off, off offset:672 ; 16-byte Folded Reload
	scratch_load_dwordx4 v[34:37], off, off offset:688 ; 16-byte Folded Reload
	scratch_load_dwordx4 v[38:41], off, off offset:704 ; 16-byte Folded Reload
	scratch_load_dwordx4 v[42:45], off, off offset:720 ; 16-byte Folded Reload
	scratch_load_dwordx4 v[46:49], off, off offset:736 ; 16-byte Folded Reload
	scratch_load_dwordx4 v[50:53], off, off offset:752 ; 16-byte Folded Reload
	;; [unrolled: 10-line block ×3, first 2 shown]
	s_waitcnt lgkmcnt(0)
	s_barrier
	s_waitcnt vmcnt(7)
	ds_read_b32 v22, v251
	v_mov_b32_e32 v23, v231
	s_waitcnt vmcnt(2)
	v_mov_b64_e32 v[40:41], v[228:229]
	v_mov_b64_e32 v[42:43], v[230:231]
	s_waitcnt lgkmcnt(0)
	scratch_store_dword off, v22, off offset:2740 ; 4-byte Folded Spill
	v_mov_b32_e32 v225, v35
	scratch_store_dwordx4 off, v[4:7], off offset:128 ; 16-byte Folded Spill
	s_nop 0
	scratch_store_dwordx4 off, v[8:11], off offset:144 ; 16-byte Folded Spill
	scratch_store_dwordx4 off, v[12:15], off offset:160 ; 16-byte Folded Spill
	;; [unrolled: 1-line block ×7, first 2 shown]
	v_mov_b64_e32 v[24:25], v[212:213]
	v_mov_b64_e32 v[26:27], v[214:215]
	;; [unrolled: 1-line block ×8, first 2 shown]
	scratch_load_dwordx4 v[198:201], off, off offset:1536 ; 16-byte Folded Reload
	scratch_load_dwordx4 v[202:205], off, off offset:1552 ; 16-byte Folded Reload
	;; [unrolled: 1-line block ×8, first 2 shown]
	s_nop 0
	scratch_store_dwordx4 off, v[24:27], off offset:1024 ; 16-byte Folded Spill
	s_nop 0
	scratch_store_dwordx4 off, v[28:31], off offset:1040 ; 16-byte Folded Spill
	scratch_store_dwordx4 off, v[32:35], off offset:1056 ; 16-byte Folded Spill
	scratch_store_dwordx4 off, v[36:39], off offset:1072 ; 16-byte Folded Spill
	scratch_store_dwordx4 off, v[40:43], off offset:1088 ; 16-byte Folded Spill
	s_waitcnt vmcnt(23)
	scratch_store_dwordx4 off, v[44:47], off offset:1104 ; 16-byte Folded Spill
	s_waitcnt vmcnt(23)
	scratch_store_dwordx4 off, v[48:51], off offset:1120 ; 16-byte Folded Spill
	scratch_store_dwordx4 off, v[52:55], off offset:1136 ; 16-byte Folded Spill
	v_mov_b64_e32 v[24:25], v[112:113]
	v_mov_b32_e32 v22, v110
	scratch_store_dwordx4 off, v[4:7], off  ; 16-byte Folded Spill
	s_nop 0
	scratch_store_dwordx4 off, v[8:11], off offset:16 ; 16-byte Folded Spill
	scratch_store_dwordx4 off, v[12:15], off offset:32 ; 16-byte Folded Spill
	scratch_store_dwordx4 off, v[16:19], off offset:48 ; 16-byte Folded Spill
	scratch_store_dwordx4 off, v[20:23], off offset:64 ; 16-byte Folded Spill
	scratch_store_dwordx4 off, v[24:27], off offset:80 ; 16-byte Folded Spill
	scratch_store_dwordx4 off, v[28:31], off offset:96 ; 16-byte Folded Spill
	scratch_store_dwordx4 off, v[32:35], off offset:112 ; 16-byte Folded Spill
	scratch_store_dwordx4 off, v[92:95], off offset:2304 ; 16-byte Folded Spill
	s_nop 0
	scratch_store_dwordx4 off, v[96:99], off offset:2320 ; 16-byte Folded Spill
	scratch_store_dwordx4 off, v[100:103], off offset:2336 ; 16-byte Folded Spill
	;; [unrolled: 1-line block ×7, first 2 shown]
	v_mov_b32_e32 v106, v164
	v_mov_b32_e32 v55, v71
	;; [unrolled: 1-line block ×3, first 2 shown]
	s_waitcnt vmcnt(26)
	v_mov_b32_e32 v220, v204
	v_mov_b32_e32 v219, v203
	;; [unrolled: 1-line block ×8, first 2 shown]
	v_mov_b64_e32 v[22:23], v[118:119]
	v_mov_b64_e32 v[24:25], v[120:121]
	v_mov_b64_e32 v[26:27], v[122:123]
	v_mov_b64_e32 v[28:29], v[124:125]
	v_mov_b64_e32 v[30:31], v[126:127]
	v_mov_b64_e32 v[32:33], v[128:129]
	v_mov_b64_e32 v[34:35], v[130:131]
	v_mov_b64_e32 v[36:37], v[132:133]
	v_mov_b64_e32 v[38:39], v[134:135]
	v_mov_b64_e32 v[40:41], v[136:137]
	v_mov_b64_e32 v[42:43], v[138:139]
	v_mov_b64_e32 v[44:45], v[140:141]
	v_mov_b64_e32 v[46:47], v[142:143]
	v_mov_b64_e32 v[48:49], v[144:145]
	v_mov_b64_e32 v[50:51], v[146:147]
	v_mov_b64_e32 v[52:53], v[148:149]
	scratch_store_dwordx4 off, v[148:151], off offset:256 ; 16-byte Folded Spill
	s_nop 0
	scratch_store_dwordx4 off, v[152:155], off offset:272 ; 16-byte Folded Spill
	scratch_store_dwordx4 off, v[156:159], off offset:288 ; 16-byte Folded Spill
	;; [unrolled: 1-line block ×7, first 2 shown]
	v_mov_b64_e32 v[150:151], v[182:183]
	scratch_store_dwordx4 off, v[56:59], off offset:384 ; 16-byte Folded Spill
	s_nop 0
	scratch_store_dwordx4 off, v[60:63], off offset:400 ; 16-byte Folded Spill
	scratch_store_dwordx4 off, v[64:67], off offset:416 ; 16-byte Folded Spill
	;; [unrolled: 1-line block ×7, first 2 shown]
	v_mov_b64_e32 v[166:167], v[198:199]
	v_mov_b64_e32 v[168:169], v[200:201]
	;; [unrolled: 1-line block ×15, first 2 shown]
	scratch_load_dwordx4 v[166:169], off, off offset:512 ; 16-byte Folded Reload
	scratch_load_dwordx4 v[170:173], off, off offset:528 ; 16-byte Folded Reload
	;; [unrolled: 1-line block ×8, first 2 shown]
	s_waitcnt vmcnt(5)
	v_mov_b64_e32 v[40:41], v[166:167]
	s_waitcnt vmcnt(4)
	v_mov_b64_e32 v[52:53], v[178:179]
	v_mov_b64_e32 v[42:43], v[168:169]
	v_mov_b64_e32 v[44:45], v[170:171]
	v_mov_b64_e32 v[46:47], v[172:173]
	v_mov_b64_e32 v[48:49], v[174:175]
	v_mov_b64_e32 v[50:51], v[176:177]
	v_mov_b32_e32 v57, v53
	scratch_store_dwordx4 off, v[40:43], off offset:512 ; 16-byte Folded Spill
	s_nop 0
	scratch_store_dwordx4 off, v[44:47], off offset:528 ; 16-byte Folded Spill
	scratch_store_dwordx4 off, v[48:51], off offset:544 ; 16-byte Folded Spill
	scratch_store_dwordx4 off, v[52:55], off offset:560 ; 16-byte Folded Spill
	scratch_store_dwordx4 off, v[56:59], off offset:576 ; 16-byte Folded Spill
	scratch_store_dwordx4 off, v[60:63], off offset:592 ; 16-byte Folded Spill
	scratch_store_dwordx4 off, v[64:67], off offset:608 ; 16-byte Folded Spill
	scratch_store_dwordx4 off, v[68:71], off offset:624 ; 16-byte Folded Spill
	scratch_load_dwordx4 v[182:185], off, off offset:640 ; 16-byte Folded Reload
	scratch_load_dwordx4 v[186:189], off, off offset:656 ; 16-byte Folded Reload
	;; [unrolled: 1-line block ×8, first 2 shown]
	v_mov_b32_e32 v59, v147
	s_waitcnt vmcnt(4)
	v_mov_b32_e32 v56, v194
	scratch_store_dwordx4 off, v[182:185], off offset:640 ; 16-byte Folded Spill
	s_nop 0
	scratch_store_dwordx4 off, v[186:189], off offset:656 ; 16-byte Folded Spill
	scratch_store_dwordx4 off, v[190:193], off offset:672 ; 16-byte Folded Spill
	;; [unrolled: 1-line block ×3, first 2 shown]
	s_waitcnt vmcnt(7)
	scratch_store_dwordx4 off, v[198:201], off offset:704 ; 16-byte Folded Spill
	s_waitcnt vmcnt(7)
	scratch_store_dwordx4 off, v[202:205], off offset:720 ; 16-byte Folded Spill
	;; [unrolled: 2-line block ×4, first 2 shown]
	scratch_store_dwordx4 off, v[136:139], off offset:768 ; 16-byte Folded Spill
	s_nop 0
	scratch_store_dwordx4 off, v[140:143], off offset:784 ; 16-byte Folded Spill
	scratch_store_dwordx4 off, v[144:147], off offset:800 ; 16-byte Folded Spill
	;; [unrolled: 1-line block ×7, first 2 shown]
	scratch_load_dwordx4 v[112:115], off, off offset:3128 ; 16-byte Folded Reload
	s_nop 0
	scratch_load_dwordx4 v[116:119], off, off offset:3144 ; 16-byte Folded Reload
	scratch_load_dwordx4 v[120:123], off, off offset:3160 ; 16-byte Folded Reload
	;; [unrolled: 1-line block ×7, first 2 shown]
	s_waitcnt vmcnt(0)
	v_mov_b32_e32 v143, v87
	v_mov_b32_e32 v40, v112
	;; [unrolled: 1-line block ×13, first 2 shown]
	scratch_store_dwordx4 off, v[40:43], off offset:896 ; 16-byte Folded Spill
	s_nop 0
	scratch_store_dwordx4 off, v[44:47], off offset:912 ; 16-byte Folded Spill
	scratch_store_dwordx4 off, v[48:51], off offset:928 ; 16-byte Folded Spill
	;; [unrolled: 1-line block ×8, first 2 shown]
	s_nop 0
	scratch_store_dwordx4 off, v[82:85], off offset:1168 ; 16-byte Folded Spill
	scratch_store_dwordx4 off, v[86:89], off offset:1184 ; 16-byte Folded Spill
	;; [unrolled: 1-line block ×7, first 2 shown]
	scratch_load_dwordx4 v[166:169], off, off offset:3000 ; 16-byte Folded Reload
	scratch_load_dwordx4 v[170:173], off, off offset:3016 ; 16-byte Folded Reload
	;; [unrolled: 1-line block ×8, first 2 shown]
	v_mov_b32_e32 v114, v220
	v_mov_b32_e32 v78, v76
	s_waitcnt vmcnt(5)
	v_mov_b32_e32 v40, v166
	v_mov_b32_e32 v41, v167
	v_mov_b32_e32 v42, v168
	v_mov_b32_e32 v43, v169
	v_mov_b32_e32 v44, v170
	v_mov_b32_e32 v45, v171
	v_mov_b32_e32 v46, v172
	v_mov_b32_e32 v47, v173
	v_mov_b32_e32 v48, v174
	v_mov_b32_e32 v108, v48
	scratch_store_dwordx4 off, v[40:43], off offset:1280 ; 16-byte Folded Spill
	s_nop 0
	scratch_store_dwordx4 off, v[44:47], off offset:1296 ; 16-byte Folded Spill
	scratch_store_dwordx4 off, v[48:51], off offset:1312 ; 16-byte Folded Spill
	;; [unrolled: 1-line block ×7, first 2 shown]
	scratch_load_dwordx4 v[166:169], off, off offset:2176 ; 16-byte Folded Reload
	scratch_load_dwordx4 v[170:173], off, off offset:2192 ; 16-byte Folded Reload
	scratch_load_dwordx4 v[174:177], off, off offset:2208 ; 16-byte Folded Reload
	scratch_load_dwordx4 v[178:181], off, off offset:2224 ; 16-byte Folded Reload
	scratch_load_dwordx4 v[182:185], off, off offset:2240 ; 16-byte Folded Reload
	scratch_load_dwordx4 v[186:189], off, off offset:2256 ; 16-byte Folded Reload
	scratch_load_dwordx4 v[190:193], off, off offset:2272 ; 16-byte Folded Reload
	scratch_load_dwordx4 v[194:197], off, off offset:2288 ; 16-byte Folded Reload
	s_waitcnt vmcnt(6)
	v_mov_b64_e32 v[40:41], v[166:167]
	v_mov_b64_e32 v[42:43], v[168:169]
	;; [unrolled: 1-line block ×4, first 2 shown]
	scratch_store_dwordx4 off, v[40:43], off offset:1408 ; 16-byte Folded Spill
	s_nop 0
	scratch_store_dwordx4 off, v[44:47], off offset:1424 ; 16-byte Folded Spill
	scratch_store_dwordx4 off, v[48:51], off offset:1440 ; 16-byte Folded Spill
	;; [unrolled: 1-line block ×8, first 2 shown]
	s_nop 0
	scratch_store_dwordx4 off, v[218:221], off offset:1680 ; 16-byte Folded Spill
	scratch_store_dwordx4 off, v[222:225], off offset:1696 ; 16-byte Folded Spill
	;; [unrolled: 1-line block ×7, first 2 shown]
	scratch_load_dwordx4 v[166:169], off, off offset:2048 ; 16-byte Folded Reload
	scratch_load_dwordx4 v[170:173], off, off offset:2064 ; 16-byte Folded Reload
	;; [unrolled: 1-line block ×8, first 2 shown]
	s_waitcnt vmcnt(6)
	v_mov_b64_e32 v[40:41], v[166:167]
	v_mov_b64_e32 v[42:43], v[168:169]
	;; [unrolled: 1-line block ×3, first 2 shown]
	scratch_store_dwordx4 off, v[40:43], off offset:1792 ; 16-byte Folded Spill
	s_nop 0
	scratch_store_dwordx4 off, v[44:47], off offset:1808 ; 16-byte Folded Spill
	scratch_store_dwordx4 off, v[48:51], off offset:1824 ; 16-byte Folded Spill
	;; [unrolled: 1-line block ×8, first 2 shown]
	s_nop 0
	scratch_store_dwordx4 off, v[76:79], off offset:1936 ; 16-byte Folded Spill
	scratch_store_dwordx4 off, v[80:83], off offset:1952 ; 16-byte Folded Spill
	;; [unrolled: 1-line block ×7, first 2 shown]
	scratch_load_dwordx4 v[182:185], off, off offset:2872 ; 16-byte Folded Reload
	scratch_load_dwordx4 v[186:189], off, off offset:2888 ; 16-byte Folded Reload
	;; [unrolled: 1-line block ×8, first 2 shown]
	v_mov_b32_e32 v40, v88
	v_mov_b32_e32 v42, v90
	s_waitcnt vmcnt(7)
	v_mov_b32_e32 v65, v185
	v_mov_b32_e32 v41, v89
	;; [unrolled: 1-line block ×3, first 2 shown]
	scratch_store_dwordx4 off, v[40:43], off offset:2432 ; 16-byte Folded Spill
	s_nop 0
	scratch_store_dwordx4 off, v[44:47], off offset:2448 ; 16-byte Folded Spill
	scratch_store_dwordx4 off, v[48:51], off offset:2464 ; 16-byte Folded Spill
	;; [unrolled: 1-line block ×8, first 2 shown]
	s_nop 0
	scratch_store_dwordx4 off, v[4:7], off offset:2760 ; 16-byte Folded Spill
	scratch_store_dwordx4 off, v[8:11], off offset:2776 ; 16-byte Folded Spill
	;; [unrolled: 1-line block ×7, first 2 shown]
	s_mov_b64 s[2:3], exec
	s_and_b64 s[4:5], s[2:3], vcc
	v_mov_b32_e32 v61, v47
	v_mov_b32_e32 v63, v45
	s_mov_b64 exec, s[4:5]
	s_cbranch_execz .LBB43_13
; %bb.12:
	scratch_load_dwordx4 v[2:5], off, off   ; 16-byte Folded Reload
	scratch_load_dwordx4 v[6:9], off, off offset:16 ; 16-byte Folded Reload
	scratch_load_dwordx4 v[10:13], off, off offset:32 ; 16-byte Folded Reload
	;; [unrolled: 1-line block ×7, first 2 shown]
	v_mov_b32_e32 v62, v78
	v_mov_b32_e32 v60, v114
	;; [unrolled: 1-line block ×5, first 2 shown]
	s_waitcnt vmcnt(3)
	v_mov_b32_e32 v66, v20
	s_waitcnt vmcnt(2)
	v_mov_b64_e32 v[68:69], v[22:23]
	scratch_load_dwordx4 v[2:5], off, off offset:128 ; 16-byte Folded Reload
	scratch_load_dwordx4 v[6:9], off, off offset:144 ; 16-byte Folded Reload
	scratch_load_dwordx4 v[10:13], off, off offset:160 ; 16-byte Folded Reload
	scratch_load_dwordx4 v[14:17], off, off offset:176 ; 16-byte Folded Reload
	scratch_load_dwordx4 v[18:21], off, off offset:192 ; 16-byte Folded Reload
	scratch_load_dwordx4 v[22:25], off, off offset:208 ; 16-byte Folded Reload
	scratch_load_dwordx4 v[26:29], off, off offset:224 ; 16-byte Folded Reload
	scratch_load_dwordx4 v[30:33], off, off offset:240 ; 16-byte Folded Reload
	scratch_load_dword v2, off, off offset:2740 ; 4-byte Folded Reload
	s_waitcnt vmcnt(4)
	v_mov_b32_e32 v67, v21
	s_waitcnt vmcnt(0)
	v_mul_f32_e32 v20, v1, v2
	ds_read2_b64 v[2:5], v252 offset0:1 offset1:2
	ds_read2_b64 v[6:9], v252 offset0:3 offset1:4
	v_mov_b32_e32 v1, v20
	s_waitcnt lgkmcnt(1)
	v_pk_fma_f32 v[64:65], v[20:21], v[2:3], v[64:65] op_sel_hi:[0,1,1] neg_lo:[1,0,0] neg_hi:[1,0,0]
	v_pk_fma_f32 v[62:63], v[20:21], v[4:5], v[62:63] op_sel_hi:[0,1,1] neg_lo:[1,0,0] neg_hi:[1,0,0]
	s_waitcnt lgkmcnt(0)
	v_pk_fma_f32 v[60:61], v[20:21], v[6:7], v[60:61] op_sel_hi:[0,1,1] neg_lo:[1,0,0] neg_hi:[1,0,0]
	v_pk_fma_f32 v[214:215], v[20:21], v[8:9], v[214:215] op_sel_hi:[0,1,1] neg_lo:[1,0,0] neg_hi:[1,0,0]
	ds_read2_b64 v[2:5], v252 offset0:5 offset1:6
	ds_read2_b64 v[6:9], v252 offset0:7 offset1:8
	v_mov_b32_e32 v78, v62
	v_mov_b32_e32 v114, v60
	;; [unrolled: 1-line block ×3, first 2 shown]
	s_waitcnt lgkmcnt(1)
	v_pk_fma_f32 v[58:59], v[20:21], v[2:3], v[58:59] op_sel_hi:[0,1,1] neg_lo:[1,0,0] neg_hi:[1,0,0]
	v_pk_fma_f32 v[56:57], v[20:21], v[4:5], v[56:57] op_sel_hi:[0,1,1] neg_lo:[1,0,0] neg_hi:[1,0,0]
	ds_read2_b64 v[2:5], v252 offset0:9 offset1:10
	s_waitcnt lgkmcnt(1)
	v_pk_fma_f32 v[54:55], v[20:21], v[6:7], v[54:55] op_sel_hi:[0,1,1] neg_lo:[1,0,0] neg_hi:[1,0,0]
	v_pk_fma_f32 v[106:107], v[20:21], v[8:9], v[106:107] op_sel_hi:[0,1,1] neg_lo:[1,0,0] neg_hi:[1,0,0]
	v_mov_b32_e32 v143, v215
	v_mov_b32_e32 v111, v107
	s_waitcnt lgkmcnt(0)
	v_pk_fma_f32 v[66:67], v[20:21], v[2:3], v[66:67] op_sel_hi:[0,1,1] neg_lo:[1,0,0] neg_hi:[1,0,0]
	v_pk_fma_f32 v[68:69], v[20:21], v[4:5], v[68:69] op_sel_hi:[0,1,1] neg_lo:[1,0,0] neg_hi:[1,0,0]
	scratch_store_dwordx4 off, v[0:3], off offset:2744 ; 16-byte Folded Spill
	s_nop 0
	scratch_store_dwordx4 off, v[4:7], off offset:2760 ; 16-byte Folded Spill
	scratch_store_dwordx4 off, v[8:11], off offset:2776 ; 16-byte Folded Spill
	;; [unrolled: 1-line block ×7, first 2 shown]
	v_mov_b32_e32 v2, v64
	scratch_store_dwordx4 off, v[0:3], off offset:2432 ; 16-byte Folded Spill
	s_nop 0
	scratch_store_dwordx4 off, v[4:7], off offset:2448 ; 16-byte Folded Spill
	scratch_store_dwordx4 off, v[8:11], off offset:2464 ; 16-byte Folded Spill
	;; [unrolled: 1-line block ×7, first 2 shown]
	v_mov_b32_e32 v3, v65
	v_mov_b64_e32 v[212:213], v[30:31]
	v_mov_b64_e32 v[210:211], v[28:29]
	;; [unrolled: 1-line block ×16, first 2 shown]
	v_mov_b32_e32 v4, v62
	scratch_store_dwordx4 off, v[0:3], off offset:1920 ; 16-byte Folded Spill
	s_nop 0
	scratch_store_dwordx4 off, v[4:7], off offset:1936 ; 16-byte Folded Spill
	scratch_store_dwordx4 off, v[8:11], off offset:1952 ; 16-byte Folded Spill
	scratch_store_dwordx4 off, v[12:15], off offset:1968 ; 16-byte Folded Spill
	scratch_store_dwordx4 off, v[16:19], off offset:1984 ; 16-byte Folded Spill
	scratch_store_dwordx4 off, v[20:23], off offset:2000 ; 16-byte Folded Spill
	scratch_store_dwordx4 off, v[24:27], off offset:2016 ; 16-byte Folded Spill
	scratch_store_dwordx4 off, v[28:31], off offset:2032 ; 16-byte Folded Spill
	v_mov_b32_e32 v5, v63
	scratch_store_dwordx4 off, v[0:3], off offset:1792 ; 16-byte Folded Spill
	s_nop 0
	scratch_store_dwordx4 off, v[4:7], off offset:1808 ; 16-byte Folded Spill
	scratch_store_dwordx4 off, v[8:11], off offset:1824 ; 16-byte Folded Spill
	scratch_store_dwordx4 off, v[12:15], off offset:1840 ; 16-byte Folded Spill
	scratch_store_dwordx4 off, v[16:19], off offset:1856 ; 16-byte Folded Spill
	scratch_store_dwordx4 off, v[20:23], off offset:1872 ; 16-byte Folded Spill
	scratch_store_dwordx4 off, v[24:27], off offset:1888 ; 16-byte Folded Spill
	scratch_store_dwordx4 off, v[28:31], off offset:1904 ; 16-byte Folded Spill
	v_mov_b32_e32 v6, v60
	scratch_store_dwordx4 off, v[0:3], off offset:1664 ; 16-byte Folded Spill
	s_nop 0
	scratch_store_dwordx4 off, v[4:7], off offset:1680 ; 16-byte Folded Spill
	scratch_store_dwordx4 off, v[8:11], off offset:1696 ; 16-byte Folded Spill
	scratch_store_dwordx4 off, v[12:15], off offset:1712 ; 16-byte Folded Spill
	scratch_store_dwordx4 off, v[16:19], off offset:1728 ; 16-byte Folded Spill
	scratch_store_dwordx4 off, v[20:23], off offset:1744 ; 16-byte Folded Spill
	scratch_store_dwordx4 off, v[24:27], off offset:1760 ; 16-byte Folded Spill
	scratch_store_dwordx4 off, v[28:31], off offset:1776 ; 16-byte Folded Spill
	v_mov_b32_e32 v7, v61
	scratch_store_dwordx4 off, v[0:3], off offset:1408 ; 16-byte Folded Spill
	s_nop 0
	scratch_store_dwordx4 off, v[4:7], off offset:1424 ; 16-byte Folded Spill
	scratch_store_dwordx4 off, v[8:11], off offset:1440 ; 16-byte Folded Spill
	scratch_store_dwordx4 off, v[12:15], off offset:1456 ; 16-byte Folded Spill
	scratch_store_dwordx4 off, v[16:19], off offset:1472 ; 16-byte Folded Spill
	scratch_store_dwordx4 off, v[20:23], off offset:1488 ; 16-byte Folded Spill
	scratch_store_dwordx4 off, v[24:27], off offset:1504 ; 16-byte Folded Spill
	scratch_store_dwordx4 off, v[28:31], off offset:1520 ; 16-byte Folded Spill
	v_mov_b32_e32 v8, v214
	scratch_store_dwordx4 off, v[0:3], off offset:1280 ; 16-byte Folded Spill
	s_nop 0
	scratch_store_dwordx4 off, v[4:7], off offset:1296 ; 16-byte Folded Spill
	scratch_store_dwordx4 off, v[8:11], off offset:1312 ; 16-byte Folded Spill
	scratch_store_dwordx4 off, v[12:15], off offset:1328 ; 16-byte Folded Spill
	scratch_store_dwordx4 off, v[16:19], off offset:1344 ; 16-byte Folded Spill
	scratch_store_dwordx4 off, v[20:23], off offset:1360 ; 16-byte Folded Spill
	scratch_store_dwordx4 off, v[24:27], off offset:1376 ; 16-byte Folded Spill
	scratch_store_dwordx4 off, v[28:31], off offset:1392 ; 16-byte Folded Spill
	v_mov_b32_e32 v9, v215
	scratch_store_dwordx4 off, v[0:3], off offset:1152 ; 16-byte Folded Spill
	s_nop 0
	scratch_store_dwordx4 off, v[4:7], off offset:1168 ; 16-byte Folded Spill
	scratch_store_dwordx4 off, v[8:11], off offset:1184 ; 16-byte Folded Spill
	scratch_store_dwordx4 off, v[12:15], off offset:1200 ; 16-byte Folded Spill
	scratch_store_dwordx4 off, v[16:19], off offset:1216 ; 16-byte Folded Spill
	scratch_store_dwordx4 off, v[20:23], off offset:1232 ; 16-byte Folded Spill
	scratch_store_dwordx4 off, v[24:27], off offset:1248 ; 16-byte Folded Spill
	scratch_store_dwordx4 off, v[28:31], off offset:1264 ; 16-byte Folded Spill
	v_mov_b32_e32 v10, v58
	scratch_store_dwordx4 off, v[0:3], off offset:896 ; 16-byte Folded Spill
	s_nop 0
	scratch_store_dwordx4 off, v[4:7], off offset:912 ; 16-byte Folded Spill
	scratch_store_dwordx4 off, v[8:11], off offset:928 ; 16-byte Folded Spill
	scratch_store_dwordx4 off, v[12:15], off offset:944 ; 16-byte Folded Spill
	scratch_store_dwordx4 off, v[16:19], off offset:960 ; 16-byte Folded Spill
	scratch_store_dwordx4 off, v[20:23], off offset:976 ; 16-byte Folded Spill
	scratch_store_dwordx4 off, v[24:27], off offset:992 ; 16-byte Folded Spill
	scratch_store_dwordx4 off, v[28:31], off offset:1008 ; 16-byte Folded Spill
	v_mov_b32_e32 v11, v59
	scratch_store_dwordx4 off, v[0:3], off offset:768 ; 16-byte Folded Spill
	s_nop 0
	scratch_store_dwordx4 off, v[4:7], off offset:784 ; 16-byte Folded Spill
	scratch_store_dwordx4 off, v[8:11], off offset:800 ; 16-byte Folded Spill
	scratch_store_dwordx4 off, v[12:15], off offset:816 ; 16-byte Folded Spill
	scratch_store_dwordx4 off, v[16:19], off offset:832 ; 16-byte Folded Spill
	scratch_store_dwordx4 off, v[20:23], off offset:848 ; 16-byte Folded Spill
	scratch_store_dwordx4 off, v[24:27], off offset:864 ; 16-byte Folded Spill
	scratch_store_dwordx4 off, v[28:31], off offset:880 ; 16-byte Folded Spill
	v_mov_b32_e32 v12, v56
	scratch_store_dwordx4 off, v[0:3], off offset:640 ; 16-byte Folded Spill
	s_nop 0
	scratch_store_dwordx4 off, v[4:7], off offset:656 ; 16-byte Folded Spill
	scratch_store_dwordx4 off, v[8:11], off offset:672 ; 16-byte Folded Spill
	scratch_store_dwordx4 off, v[12:15], off offset:688 ; 16-byte Folded Spill
	scratch_store_dwordx4 off, v[16:19], off offset:704 ; 16-byte Folded Spill
	scratch_store_dwordx4 off, v[20:23], off offset:720 ; 16-byte Folded Spill
	scratch_store_dwordx4 off, v[24:27], off offset:736 ; 16-byte Folded Spill
	scratch_store_dwordx4 off, v[28:31], off offset:752 ; 16-byte Folded Spill
	v_mov_b32_e32 v13, v57
	scratch_store_dwordx4 off, v[0:3], off offset:512 ; 16-byte Folded Spill
	s_nop 0
	scratch_store_dwordx4 off, v[4:7], off offset:528 ; 16-byte Folded Spill
	scratch_store_dwordx4 off, v[8:11], off offset:544 ; 16-byte Folded Spill
	scratch_store_dwordx4 off, v[12:15], off offset:560 ; 16-byte Folded Spill
	scratch_store_dwordx4 off, v[16:19], off offset:576 ; 16-byte Folded Spill
	scratch_store_dwordx4 off, v[20:23], off offset:592 ; 16-byte Folded Spill
	scratch_store_dwordx4 off, v[24:27], off offset:608 ; 16-byte Folded Spill
	scratch_store_dwordx4 off, v[28:31], off offset:624 ; 16-byte Folded Spill
	v_mov_b32_e32 v14, v54
	v_mov_b64_e32 v[180:181], v[30:31]
	v_mov_b64_e32 v[178:179], v[28:29]
	;; [unrolled: 1-line block ×16, first 2 shown]
	v_mov_b32_e32 v15, v55
	scratch_store_dwordx4 off, v[0:3], off offset:384 ; 16-byte Folded Spill
	s_nop 0
	scratch_store_dwordx4 off, v[4:7], off offset:400 ; 16-byte Folded Spill
	scratch_store_dwordx4 off, v[8:11], off offset:416 ; 16-byte Folded Spill
	;; [unrolled: 1-line block ×7, first 2 shown]
	v_mov_b32_e32 v16, v106
	scratch_store_dwordx4 off, v[0:3], off offset:256 ; 16-byte Folded Spill
	s_nop 0
	scratch_store_dwordx4 off, v[4:7], off offset:272 ; 16-byte Folded Spill
	scratch_store_dwordx4 off, v[8:11], off offset:288 ; 16-byte Folded Spill
	;; [unrolled: 1-line block ×7, first 2 shown]
	v_mov_b32_e32 v17, v107
	v_mov_b64_e32 v[52:53], v[30:31]
	v_mov_b64_e32 v[50:51], v[28:29]
	v_mov_b64_e32 v[48:49], v[26:27]
	v_mov_b64_e32 v[46:47], v[24:25]
	v_mov_b64_e32 v[44:45], v[22:23]
	v_mov_b64_e32 v[42:43], v[20:21]
	v_mov_b64_e32 v[40:41], v[18:19]
	v_mov_b64_e32 v[38:39], v[16:17]
	v_mov_b64_e32 v[36:37], v[14:15]
	v_mov_b64_e32 v[34:35], v[12:13]
	v_mov_b64_e32 v[32:33], v[10:11]
	v_mov_b64_e32 v[30:31], v[8:9]
	v_mov_b64_e32 v[28:29], v[6:7]
	v_mov_b64_e32 v[26:27], v[4:5]
	v_mov_b64_e32 v[24:25], v[2:3]
	v_mov_b64_e32 v[22:23], v[0:1]
	v_mov_b32_e32 v18, v66
	scratch_store_dwordx4 off, v[0:3], off offset:2304 ; 16-byte Folded Spill
	s_nop 0
	scratch_store_dwordx4 off, v[4:7], off offset:2320 ; 16-byte Folded Spill
	scratch_store_dwordx4 off, v[8:11], off offset:2336 ; 16-byte Folded Spill
	;; [unrolled: 1-line block ×7, first 2 shown]
	v_mov_b32_e32 v19, v67
	v_mov_b64_e32 v[42:43], v[68:69]
	v_mov_b32_e32 v40, v66
	scratch_store_dwordx4 off, v[0:3], off offset:1024 ; 16-byte Folded Spill
	s_nop 0
	scratch_store_dwordx4 off, v[4:7], off offset:1040 ; 16-byte Folded Spill
	scratch_store_dwordx4 off, v[8:11], off offset:1056 ; 16-byte Folded Spill
	scratch_store_dwordx4 off, v[12:15], off offset:1072 ; 16-byte Folded Spill
	scratch_store_dwordx4 off, v[16:19], off offset:1088 ; 16-byte Folded Spill
	scratch_store_dwordx4 off, v[20:23], off offset:1104 ; 16-byte Folded Spill
	scratch_store_dwordx4 off, v[24:27], off offset:1120 ; 16-byte Folded Spill
	scratch_store_dwordx4 off, v[28:31], off offset:1136 ; 16-byte Folded Spill
	v_mov_b32_e32 v20, v68
	v_mov_b32_e32 v21, v69
	scratch_store_dwordx4 off, v[22:25], off ; 16-byte Folded Spill
	s_nop 0
	scratch_store_dwordx4 off, v[26:29], off offset:16 ; 16-byte Folded Spill
	scratch_store_dwordx4 off, v[30:33], off offset:32 ; 16-byte Folded Spill
	;; [unrolled: 1-line block ×7, first 2 shown]
	v_mov_b32_e32 v41, v67
	scratch_store_dwordx4 off, v[22:25], off offset:128 ; 16-byte Folded Spill
	s_nop 0
	scratch_store_dwordx4 off, v[26:29], off offset:144 ; 16-byte Folded Spill
	scratch_store_dwordx4 off, v[30:33], off offset:160 ; 16-byte Folded Spill
	;; [unrolled: 1-line block ×7, first 2 shown]
.LBB43_13:
	s_or_b64 exec, exec, s[2:3]
	v_cmp_eq_u32_e32 vcc, 2, v250
	s_waitcnt vmcnt(63) expcnt(7) lgkmcnt(15)
	s_barrier
	s_and_saveexec_b64 s[2:3], vcc
	s_cbranch_execz .LBB43_16
; %bb.14:
	ds_write_b32 v251, v64
	ds_write2_b32 v252, v3, v4 offset0:3 offset1:4
	ds_write2_b32 v252, v5, v6 offset0:5 offset1:6
	ds_write2_b32 v252, v7, v8 offset0:7 offset1:8
	ds_write2_b32 v252, v9, v10 offset0:9 offset1:10
	ds_write2_b32 v252, v11, v12 offset0:11 offset1:12
	ds_write2_b32 v252, v13, v14 offset0:13 offset1:14
	ds_write2_b32 v252, v15, v16 offset0:15 offset1:16
	ds_write2_b32 v252, v17, v18 offset0:17 offset1:18
	ds_write2_b32 v252, v19, v20 offset0:19 offset1:20
	scratch_load_dwordx4 v[186:189], off, off ; 16-byte Folded Reload
	scratch_load_dwordx4 v[190:193], off, off offset:16 ; 16-byte Folded Reload
	scratch_load_dwordx4 v[194:197], off, off offset:32 ; 16-byte Folded Reload
	;; [unrolled: 1-line block ×7, first 2 shown]
	s_waitcnt vmcnt(2)
	ds_write_b32 v252, v207 offset:84
	ds_read_b32 v40, v251
	s_waitcnt lgkmcnt(0)
	v_cmp_neq_f32_e32 vcc, 0, v40
	s_and_b64 exec, exec, vcc
	s_cbranch_execz .LBB43_16
; %bb.15:
	v_div_scale_f32 v41, s[4:5], v40, v40, 1.0
	v_rcp_f32_e32 v42, v41
	v_div_scale_f32 v43, vcc, 1.0, v40, 1.0
	v_fma_f32 v44, -v41, v42, 1.0
	v_fmac_f32_e32 v42, v44, v42
	v_mul_f32_e32 v44, v43, v42
	v_fma_f32 v45, -v41, v44, v43
	v_fmac_f32_e32 v44, v45, v42
	v_fma_f32 v41, -v41, v44, v43
	v_div_fmas_f32 v41, v41, v42, v44
	v_div_fixup_f32 v40, v41, v40, 1.0
	ds_write_b32 v251, v40
.LBB43_16:
	s_or_b64 exec, exec, s[2:3]
	s_waitcnt lgkmcnt(0)
	s_barrier
	ds_read_b32 v40, v251
	v_cmp_lt_u32_e32 vcc, 2, v250
	s_waitcnt lgkmcnt(0)
	scratch_store_dword off, v40, off offset:2048 ; 4-byte Folded Spill
	s_mov_b64 s[2:3], exec
	scratch_load_dwordx4 v[214:217], off, off offset:2304 ; 16-byte Folded Reload
	scratch_load_dwordx4 v[218:221], off, off offset:2320 ; 16-byte Folded Reload
	;; [unrolled: 1-line block ×8, first 2 shown]
	s_and_b64 s[4:5], s[2:3], vcc
	s_mov_b64 exec, s[4:5]
	s_cbranch_execz .LBB43_18
; %bb.17:
	scratch_load_dwordx4 v[22:25], off, off offset:2744 ; 16-byte Folded Reload
	scratch_load_dwordx4 v[26:29], off, off offset:2760 ; 16-byte Folded Reload
	;; [unrolled: 1-line block ×8, first 2 shown]
	scratch_load_dword v0, off, off offset:2048 ; 4-byte Folded Reload
	v_mov_b32_e32 v2, v3
	v_mov_b32_e32 v3, v4
	s_waitcnt vmcnt(8)
	v_mov_b64_e32 v[54:55], v[22:23]
	v_mov_b32_e32 v150, v54
	v_mov_b32_e32 v151, v55
	;; [unrolled: 1-line block ×4, first 2 shown]
	s_waitcnt vmcnt(0)
	v_mul_f32_e32 v56, v64, v0
	ds_read2_b32 v[0:1], v252 offset0:3 offset1:4
	ds_read2_b32 v[22:23], v252 offset0:5 offset1:6
	;; [unrolled: 1-line block ×4, first 2 shown]
	v_mov_b32_e32 v152, v56
	v_mov_b32_e32 v216, v56
	s_waitcnt lgkmcnt(3)
	v_pk_fma_f32 v[40:41], v[56:57], v[0:1], v[2:3] op_sel_hi:[0,1,1] neg_lo:[1,0,0] neg_hi:[1,0,0]
	v_mov_b32_e32 v0, v5
	v_mov_b32_e32 v1, v6
	s_waitcnt lgkmcnt(2)
	v_pk_fma_f32 v[42:43], v[56:57], v[22:23], v[0:1] op_sel_hi:[0,1,1] neg_lo:[1,0,0] neg_hi:[1,0,0]
	;; [unrolled: 4-line block ×4, first 2 shown]
	ds_read2_b32 v[0:1], v252 offset0:11 offset1:12
	ds_read2_b32 v[4:5], v252 offset0:13 offset1:14
	;; [unrolled: 1-line block ×4, first 2 shown]
	v_mov_b32_e32 v2, v11
	v_mov_b32_e32 v3, v12
	v_mov_b32_e32 v153, v40
	s_waitcnt lgkmcnt(3)
	v_pk_fma_f32 v[48:49], v[56:57], v[0:1], v[2:3] op_sel_hi:[0,1,1] neg_lo:[1,0,0] neg_hi:[1,0,0]
	v_mov_b32_e32 v0, v13
	v_mov_b32_e32 v1, v14
	s_waitcnt lgkmcnt(2)
	v_pk_fma_f32 v[50:51], v[56:57], v[4:5], v[0:1] op_sel_hi:[0,1,1] neg_lo:[1,0,0] neg_hi:[1,0,0]
	v_mov_b32_e32 v0, v15
	v_mov_b32_e32 v1, v16
	;; [unrolled: 4-line block ×3, first 2 shown]
	ds_read2_b32 v[2:3], v252 offset0:19 offset1:20
	ds_read_b32 v4, v252 offset:84
	s_waitcnt lgkmcnt(2)
	v_pk_fma_f32 v[72:73], v[56:57], v[8:9], v[0:1] op_sel_hi:[0,1,1] neg_lo:[1,0,0] neg_hi:[1,0,0]
	v_mov_b32_e32 v0, v19
	v_mov_b32_e32 v1, v20
	scratch_load_dwordx4 v[6:9], off, off   ; 16-byte Folded Reload
	scratch_load_dwordx4 v[10:13], off, off offset:16 ; 16-byte Folded Reload
	scratch_load_dwordx4 v[14:17], off, off offset:32 ; 16-byte Folded Reload
	;; [unrolled: 1-line block ×7, first 2 shown]
	s_waitcnt lgkmcnt(1)
	v_pk_fma_f32 v[74:75], v[56:57], v[2:3], v[0:1] op_sel_hi:[0,1,1] neg_lo:[1,0,0] neg_hi:[1,0,0]
	v_mov_b32_e32 v0, v54
	v_mov_b32_e32 v1, v55
	;; [unrolled: 1-line block ×5, first 2 shown]
	v_mov_b64_e32 v[212:213], v[84:85]
	v_mov_b32_e32 v39, v72
	v_mov_b32_e32 v231, v72
	;; [unrolled: 1-line block ×3, first 2 shown]
	v_mov_b64_e32 v[210:211], v[82:83]
	v_mov_b64_e32 v[208:209], v[80:81]
	;; [unrolled: 1-line block ×15, first 2 shown]
	v_mov_b32_e32 v154, v41
	v_mov_b32_e32 v155, v42
	;; [unrolled: 1-line block ×11, first 2 shown]
	s_waitcnt vmcnt(1)
	v_mov_b32_e32 v32, v47
	v_mov_b32_e32 v33, v48
	s_waitcnt vmcnt(0)
	v_mov_b32_e32 v34, v49
	v_mov_b32_e32 v35, v50
	;; [unrolled: 1-line block ×23, first 2 shown]
	s_waitcnt lgkmcnt(0)
	v_fma_f32 v21, -v56, v4, v27
	v_mov_b32_e32 v4, v41
	scratch_store_dwordx4 off, v[0:3], off offset:1920 ; 16-byte Folded Spill
	s_nop 0
	scratch_store_dwordx4 off, v[4:7], off offset:1936 ; 16-byte Folded Spill
	scratch_store_dwordx4 off, v[8:11], off offset:1952 ; 16-byte Folded Spill
	scratch_store_dwordx4 off, v[12:15], off offset:1968 ; 16-byte Folded Spill
	scratch_store_dwordx4 off, v[16:19], off offset:1984 ; 16-byte Folded Spill
	scratch_store_dwordx4 off, v[20:23], off offset:2000 ; 16-byte Folded Spill
	scratch_store_dwordx4 off, v[24:27], off offset:2016 ; 16-byte Folded Spill
	scratch_store_dwordx4 off, v[28:31], off offset:2032 ; 16-byte Folded Spill
	v_mov_b32_e32 v5, v42
	scratch_store_dwordx4 off, v[0:3], off offset:1792 ; 16-byte Folded Spill
	s_nop 0
	scratch_store_dwordx4 off, v[4:7], off offset:1808 ; 16-byte Folded Spill
	scratch_store_dwordx4 off, v[8:11], off offset:1824 ; 16-byte Folded Spill
	scratch_store_dwordx4 off, v[12:15], off offset:1840 ; 16-byte Folded Spill
	scratch_store_dwordx4 off, v[16:19], off offset:1856 ; 16-byte Folded Spill
	scratch_store_dwordx4 off, v[20:23], off offset:1872 ; 16-byte Folded Spill
	scratch_store_dwordx4 off, v[24:27], off offset:1888 ; 16-byte Folded Spill
	scratch_store_dwordx4 off, v[28:31], off offset:1904 ; 16-byte Folded Spill
	;; [unrolled: 10-line block ×10, first 2 shown]
	v_mov_b32_e32 v14, v51
	v_mov_b32_e32 v15, v52
	scratch_store_dwordx4 off, v[0:3], off offset:384 ; 16-byte Folded Spill
	s_nop 0
	scratch_store_dwordx4 off, v[4:7], off offset:400 ; 16-byte Folded Spill
	scratch_store_dwordx4 off, v[8:11], off offset:416 ; 16-byte Folded Spill
	;; [unrolled: 1-line block ×7, first 2 shown]
	v_mov_b32_e32 v16, v53
	scratch_store_dwordx4 off, v[0:3], off offset:256 ; 16-byte Folded Spill
	s_nop 0
	scratch_store_dwordx4 off, v[4:7], off offset:272 ; 16-byte Folded Spill
	scratch_store_dwordx4 off, v[8:11], off offset:288 ; 16-byte Folded Spill
	;; [unrolled: 1-line block ×7, first 2 shown]
	v_mov_b32_e32 v22, v54
	v_mov_b32_e32 v23, v55
	;; [unrolled: 1-line block ×13, first 2 shown]
	scratch_store_dwordx4 off, v[0:3], off offset:1024 ; 16-byte Folded Spill
	s_nop 0
	scratch_store_dwordx4 off, v[4:7], off offset:1040 ; 16-byte Folded Spill
	scratch_store_dwordx4 off, v[8:11], off offset:1056 ; 16-byte Folded Spill
	;; [unrolled: 1-line block ×7, first 2 shown]
	v_mov_b32_e32 v20, v75
	scratch_store_dwordx4 off, v[54:57], off offset:2432 ; 16-byte Folded Spill
	s_nop 0
	scratch_store_dwordx4 off, v[58:61], off offset:2448 ; 16-byte Folded Spill
	scratch_store_dwordx4 off, v[62:65], off offset:2464 ; 16-byte Folded Spill
	;; [unrolled: 1-line block ×7, first 2 shown]
	v_mov_b32_e32 v58, v47
	v_mov_b32_e32 v59, v48
	;; [unrolled: 1-line block ×9, first 2 shown]
	scratch_store_dwordx4 off, v[60:63], off ; 16-byte Folded Spill
	s_nop 0
	scratch_store_dwordx4 off, v[64:67], off offset:16 ; 16-byte Folded Spill
	scratch_store_dwordx4 off, v[68:71], off offset:32 ; 16-byte Folded Spill
	;; [unrolled: 1-line block ×7, first 2 shown]
	v_mov_b32_e32 v65, v40
	v_mov_b32_e32 v78, v41
	;; [unrolled: 1-line block ×6, first 2 shown]
	scratch_store_dwordx4 off, v[22:25], off offset:128 ; 16-byte Folded Spill
	s_nop 0
	scratch_store_dwordx4 off, v[26:29], off offset:144 ; 16-byte Folded Spill
	scratch_store_dwordx4 off, v[30:33], off offset:160 ; 16-byte Folded Spill
	;; [unrolled: 1-line block ×7, first 2 shown]
.LBB43_18:
	s_or_b64 exec, exec, s[2:3]
	s_nop 0
	v_mov_b32_e32 v53, v63
	v_mov_b32_e32 v173, v61
	v_cmp_eq_u32_e32 vcc, 3, v250
	scratch_store_dwordx4 off, v[182:185], off offset:1536 ; 16-byte Folded Spill
	s_waitcnt vmcnt(32)
	scratch_store_dwordx4 off, v[186:189], off offset:1552 ; 16-byte Folded Spill
	s_waitcnt vmcnt(32)
	;; [unrolled: 2-line block ×7, first 2 shown]
	scratch_store_dwordx4 off, v[210:213], off offset:1648 ; 16-byte Folded Spill
	s_barrier
	s_and_saveexec_b64 s[2:3], vcc
	s_cbranch_execz .LBB43_21
; %bb.19:
	ds_write_b32 v251, v65
	ds_write2_b64 v252, v[4:5], v[6:7] offset0:2 offset1:3
	ds_write2_b64 v252, v[8:9], v[10:11] offset0:4 offset1:5
	;; [unrolled: 1-line block ×4, first 2 shown]
	ds_write_b64 v252, v[20:21] offset:80
	ds_read_b32 v40, v251
	s_waitcnt lgkmcnt(0)
	v_cmp_neq_f32_e32 vcc, 0, v40
	s_and_b64 exec, exec, vcc
	s_cbranch_execz .LBB43_21
; %bb.20:
	v_div_scale_f32 v41, s[4:5], v40, v40, 1.0
	v_rcp_f32_e32 v42, v41
	v_div_scale_f32 v43, vcc, 1.0, v40, 1.0
	v_fma_f32 v44, -v41, v42, 1.0
	v_fmac_f32_e32 v42, v44, v42
	v_mul_f32_e32 v44, v43, v42
	v_fma_f32 v45, -v41, v44, v43
	v_fmac_f32_e32 v44, v45, v42
	v_fma_f32 v41, -v41, v44, v43
	v_div_fmas_f32 v41, v41, v42, v44
	v_div_fixup_f32 v40, v41, v40, 1.0
	ds_write_b32 v251, v40
.LBB43_21:
	s_or_b64 exec, exec, s[2:3]
	s_waitcnt lgkmcnt(0)
	s_barrier
	ds_read_b32 v40, v251
	v_cmp_lt_u32_e32 vcc, 3, v250
	s_waitcnt lgkmcnt(0)
	scratch_store_dword off, v40, off offset:2176 ; 4-byte Folded Spill
	s_and_saveexec_b64 s[2:3], vcc
	s_cbranch_execz .LBB43_23
; %bb.22:
	ds_read2_b64 v[22:25], v252 offset0:2 offset1:3
	ds_read2_b64 v[26:29], v252 offset0:4 offset1:5
	ds_read_b64 v[2:3], v252 offset:80
	scratch_load_dword v0, off, off offset:2176 ; 4-byte Folded Reload
	scratch_load_dwordx4 v[30:33], off, off offset:2432 ; 16-byte Folded Reload
	scratch_load_dwordx4 v[34:37], off, off offset:2448 ; 16-byte Folded Reload
	;; [unrolled: 1-line block ×8, first 2 shown]
	s_waitcnt vmcnt(1)
	v_mov_b32_e32 v54, v32
	v_mov_b32_e32 v53, v31
	;; [unrolled: 1-line block ×6, first 2 shown]
	v_mul_f32_e32 v0, v65, v0
	s_waitcnt lgkmcnt(2)
	v_pk_fma_f32 v[148:149], v[0:1], v[22:23], v[4:5] op_sel_hi:[0,1,1] neg_lo:[1,0,0] neg_hi:[1,0,0]
	v_pk_fma_f32 v[172:173], v[0:1], v[24:25], v[6:7] op_sel_hi:[0,1,1] neg_lo:[1,0,0] neg_hi:[1,0,0]
	s_waitcnt lgkmcnt(0)
	v_pk_fma_f32 v[20:21], v[0:1], v[2:3], v[20:21] op_sel_hi:[0,1,1] neg_lo:[1,0,0] neg_hi:[1,0,0]
	v_mov_b32_e32 v2, v52
	v_mov_b32_e32 v3, v53
	;; [unrolled: 1-line block ×6, first 2 shown]
	v_pk_fma_f32 v[142:143], v[0:1], v[26:27], v[8:9] op_sel_hi:[0,1,1] neg_lo:[1,0,0] neg_hi:[1,0,0]
	scratch_store_dwordx4 off, v[2:5], off offset:1792 ; 16-byte Folded Spill
	s_nop 0
	scratch_store_dwordx4 off, v[6:9], off offset:1808 ; 16-byte Folded Spill
	scratch_store_dwordx4 off, v[10:13], off offset:1824 ; 16-byte Folded Spill
	;; [unrolled: 1-line block ×7, first 2 shown]
	v_mov_b32_e32 v8, v172
	v_mov_b32_e32 v9, v173
	v_mov_b32_e32 v55, v0
	v_mov_b32_e32 v34, v148
	v_mov_b32_e32 v35, v149
	v_mov_b32_e32 v36, v172
	v_mov_b32_e32 v37, v173
	v_mov_b32_e32 v38, v142
	v_mov_b32_e32 v39, v143
	v_mov_b32_e32 v166, v52
	v_mov_b32_e32 v167, v53
	v_mov_b32_e32 v168, v54
	v_mov_b32_e32 v134, v52
	v_mov_b32_e32 v135, v53
	v_mov_b32_e32 v136, v54
	v_mov_b32_e32 v77, v0
	v_mov_b32_e32 v78, v148
	v_mov_b32_e32 v79, v149
	v_mov_b32_e32 v80, v172
	v_mov_b32_e32 v81, v173
	v_mov_b32_e32 v82, v142
	v_mov_b32_e32 v83, v143
	v_mov_b32_e32 v63, v0
	v_mov_b32_e32 v64, v148
	v_mov_b32_e32 v65, v149
	v_mov_b32_e32 v66, v172
	v_mov_b32_e32 v67, v173
	v_mov_b32_e32 v68, v142
	v_mov_b32_e32 v69, v143
	v_mov_b32_e32 v147, v0
	v_mov_b32_e32 v169, v0
	v_mov_b32_e32 v137, v0
	v_mov_b32_e32 v153, v0
	v_mov_b32_e32 v177, v0
	v_mov_b32_e32 v217, v0
	v_mov_b32_e32 v170, v148
	v_mov_b32_e32 v171, v149
	v_mov_b32_e32 v154, v148
	v_mov_b32_e32 v155, v149
	v_mov_b32_e32 v156, v172
	v_mov_b32_e32 v157, v173
	v_mov_b32_e32 v158, v142
	v_mov_b32_e32 v159, v143
	v_mov_b32_e32 v138, v148
	v_mov_b32_e32 v139, v149
	v_mov_b32_e32 v140, v172
	v_mov_b32_e32 v141, v173
	v_mov_b32_e32 v178, v148
	v_mov_b32_e32 v179, v149
	v_mov_b32_e32 v180, v172
	v_mov_b32_e32 v181, v173
	v_mov_b32_e32 v218, v148
	v_mov_b32_e32 v219, v149
	v_mov_b32_e32 v220, v172
	v_mov_b32_e32 v221, v173
	v_mov_b32_e32 v182, v142
	v_mov_b32_e32 v183, v143
	v_mov_b32_e32 v222, v142
	v_mov_b32_e32 v223, v143
	v_mov_b32_e32 v108, v142
	scratch_store_dwordx4 off, v[2:5], off offset:1408 ; 16-byte Folded Spill
	s_nop 0
	scratch_store_dwordx4 off, v[6:9], off offset:1424 ; 16-byte Folded Spill
	scratch_store_dwordx4 off, v[10:13], off offset:1440 ; 16-byte Folded Spill
	;; [unrolled: 1-line block ×7, first 2 shown]
	s_nop 1
	v_mov_b32_e32 v33, v0
	v_mov_b32_e32 v25, v0
	;; [unrolled: 1-line block ×4, first 2 shown]
	scratch_store_dwordx4 off, v[30:33], off offset:1152 ; 16-byte Folded Spill
	s_nop 0
	scratch_store_dwordx4 off, v[34:37], off offset:1168 ; 16-byte Folded Spill
	scratch_store_dwordx4 off, v[38:41], off offset:1184 ; 16-byte Folded Spill
	;; [unrolled: 1-line block ×6, first 2 shown]
	s_waitcnt vmcnt(23)
	scratch_store_dwordx4 off, v[58:61], off offset:1264 ; 16-byte Folded Spill
	v_pk_fma_f32 v[50:51], v[0:1], v[28:29], v[10:11] op_sel_hi:[0,1,1] neg_lo:[1,0,0] neg_hi:[1,0,0]
	v_mov_b32_e32 v43, v0
	v_mov_b32_e32 v44, v148
	v_mov_b32_e32 v45, v149
	v_mov_b32_e32 v46, v172
	v_mov_b32_e32 v47, v173
	v_mov_b32_e32 v48, v142
	v_mov_b32_e32 v49, v143
	v_mov_b32_e32 v28, v172
	v_mov_b32_e32 v29, v173
	v_mov_b32_e32 v30, v142
	v_mov_b32_e32 v31, v143
	v_mov_b32_e32 v32, v50
	v_mov_b32_e32 v33, v51
	v_mov_b32_e32 v40, v52
	v_mov_b32_e32 v41, v53
	v_mov_b32_e32 v42, v54
	v_mov_b32_e32 v22, v52
	v_mov_b32_e32 v23, v53
	v_mov_b32_e32 v24, v54
	scratch_store_dwordx4 off, v[22:25], off offset:768 ; 16-byte Folded Spill
	s_nop 0
	scratch_store_dwordx4 off, v[26:29], off offset:784 ; 16-byte Folded Spill
	scratch_store_dwordx4 off, v[30:33], off offset:800 ; 16-byte Folded Spill
	;; [unrolled: 1-line block ×7, first 2 shown]
	ds_read2_b64 v[2:5], v252 offset0:6 offset1:7
	ds_read2_b64 v[6:9], v252 offset0:8 offset1:9
	v_mov_b32_e32 v76, v54
	v_mov_b32_e32 v62, v54
	;; [unrolled: 1-line block ×3, first 2 shown]
	s_waitcnt lgkmcnt(1)
	v_pk_fma_f32 v[72:73], v[0:1], v[2:3], v[12:13] op_sel_hi:[0,1,1] neg_lo:[1,0,0] neg_hi:[1,0,0]
	v_mov_b32_e32 v34, v72
	v_mov_b32_e32 v35, v73
	v_pk_fma_f32 v[164:165], v[0:1], v[4:5], v[14:15] op_sel_hi:[0,1,1] neg_lo:[1,0,0] neg_hi:[1,0,0]
	s_waitcnt lgkmcnt(0)
	v_pk_fma_f32 v[190:191], v[0:1], v[6:7], v[16:17] op_sel_hi:[0,1,1] neg_lo:[1,0,0] neg_hi:[1,0,0]
	v_pk_fma_f32 v[232:233], v[0:1], v[8:9], v[18:19] op_sel_hi:[0,1,1] neg_lo:[1,0,0] neg_hi:[1,0,0]
	v_mov_b32_e32 v86, v72
	v_mov_b32_e32 v87, v73
	;; [unrolled: 1-line block ×42, first 2 shown]
	scratch_store_dwordx4 off, v[22:25], off offset:512 ; 16-byte Folded Spill
	s_nop 0
	scratch_store_dwordx4 off, v[26:29], off offset:528 ; 16-byte Folded Spill
	scratch_store_dwordx4 off, v[30:33], off offset:544 ; 16-byte Folded Spill
	scratch_store_dwordx4 off, v[34:37], off offset:560 ; 16-byte Folded Spill
	scratch_store_dwordx4 off, v[38:41], off offset:576 ; 16-byte Folded Spill
	scratch_store_dwordx4 off, v[42:45], off offset:592 ; 16-byte Folded Spill
	scratch_store_dwordx4 off, v[46:49], off offset:608 ; 16-byte Folded Spill
	scratch_store_dwordx4 off, v[50:53], off offset:624 ; 16-byte Folded Spill
	v_mov_b32_e32 v36, v164
	v_mov_b32_e32 v37, v165
	v_mov_b32_e32 v150, v52
	v_mov_b32_e32 v151, v53
	v_mov_b32_e32 v160, v50
	v_mov_b32_e32 v161, v51
	scratch_store_dwordx4 off, v[22:25], off offset:384 ; 16-byte Folded Spill
	s_nop 0
	scratch_store_dwordx4 off, v[26:29], off offset:400 ; 16-byte Folded Spill
	scratch_store_dwordx4 off, v[30:33], off offset:416 ; 16-byte Folded Spill
	scratch_store_dwordx4 off, v[34:37], off offset:432 ; 16-byte Folded Spill
	scratch_store_dwordx4 off, v[38:41], off offset:448 ; 16-byte Folded Spill
	scratch_store_dwordx4 off, v[42:45], off offset:464 ; 16-byte Folded Spill
	scratch_store_dwordx4 off, v[46:49], off offset:480 ; 16-byte Folded Spill
	scratch_store_dwordx4 off, v[50:53], off offset:496 ; 16-byte Folded Spill
	v_mov_b32_e32 v38, v190
	v_mov_b32_e32 v39, v191
	v_mov_b32_e32 v74, v52
	v_mov_b32_e32 v75, v53
	v_mov_b32_e32 v84, v50
	v_mov_b32_e32 v85, v51
	scratch_store_dwordx4 off, v[74:77], off offset:1024 ; 16-byte Folded Spill
	s_nop 0
	scratch_store_dwordx4 off, v[78:81], off offset:1040 ; 16-byte Folded Spill
	scratch_store_dwordx4 off, v[82:85], off offset:1056 ; 16-byte Folded Spill
	scratch_store_dwordx4 off, v[86:89], off offset:1072 ; 16-byte Folded Spill
	scratch_store_dwordx4 off, v[90:93], off offset:1088 ; 16-byte Folded Spill
	scratch_store_dwordx4 off, v[94:97], off offset:1104 ; 16-byte Folded Spill
	scratch_store_dwordx4 off, v[98:101], off offset:1120 ; 16-byte Folded Spill
	scratch_store_dwordx4 off, v[102:105], off offset:1136 ; 16-byte Folded Spill
	v_mov_b32_e32 v174, v52
	v_mov_b32_e32 v175, v53
	v_mov_b32_e32 v214, v52
	v_mov_b32_e32 v215, v53
	v_mov_b32_e32 v0, v52
	v_mov_b32_e32 v1, v53
	v_mov_b32_e32 v184, v50
	v_mov_b32_e32 v185, v51
	;; [unrolled: 1-line block ×6, first 2 shown]
	scratch_store_dwordx4 off, v[52:55], off offset:1536 ; 16-byte Folded Spill
	s_nop 0
	scratch_store_dwordx4 off, v[56:59], off offset:1552 ; 16-byte Folded Spill
	scratch_store_dwordx4 off, v[60:63], off offset:1568 ; 16-byte Folded Spill
	;; [unrolled: 1-line block ×7, first 2 shown]
	s_nop 0
	v_mov_b32_e32 v78, v232
	v_mov_b32_e32 v80, v20
	;; [unrolled: 1-line block ×4, first 2 shown]
	scratch_store_dwordx4 off, v[60:63], off ; 16-byte Folded Spill
	s_nop 0
	scratch_store_dwordx4 off, v[64:67], off offset:16 ; 16-byte Folded Spill
	scratch_store_dwordx4 off, v[68:71], off offset:32 ; 16-byte Folded Spill
	;; [unrolled: 1-line block ×7, first 2 shown]
	v_mov_b32_e32 v78, v148
	scratch_store_dwordx4 off, v[144:147], off offset:1920 ; 16-byte Folded Spill
	s_nop 0
	scratch_store_dwordx4 off, v[148:151], off offset:1936 ; 16-byte Folded Spill
	scratch_store_dwordx4 off, v[152:155], off offset:1952 ; 16-byte Folded Spill
	;; [unrolled: 1-line block ×7, first 2 shown]
	v_mov_b32_e32 v53, v149
	v_mov_b32_e32 v114, v172
	scratch_store_dwordx4 off, v[166:169], off offset:1664 ; 16-byte Folded Spill
	s_nop 0
	scratch_store_dwordx4 off, v[170:173], off offset:1680 ; 16-byte Folded Spill
	scratch_store_dwordx4 off, v[174:177], off offset:1696 ; 16-byte Folded Spill
	scratch_store_dwordx4 off, v[178:181], off offset:1712 ; 16-byte Folded Spill
	scratch_store_dwordx4 off, v[182:185], off offset:1728 ; 16-byte Folded Spill
	scratch_store_dwordx4 off, v[186:189], off offset:1744 ; 16-byte Folded Spill
	scratch_store_dwordx4 off, v[190:193], off offset:1760 ; 16-byte Folded Spill
	scratch_store_dwordx4 off, v[194:197], off offset:1776 ; 16-byte Folded Spill
	scratch_store_dwordx4 off, v[134:137], off offset:1280 ; 16-byte Folded Spill
	s_nop 0
	scratch_store_dwordx4 off, v[138:141], off offset:1296 ; 16-byte Folded Spill
	scratch_store_dwordx4 off, v[142:145], off offset:1312 ; 16-byte Folded Spill
	scratch_store_dwordx4 off, v[146:149], off offset:1328 ; 16-byte Folded Spill
	scratch_store_dwordx4 off, v[150:153], off offset:1344 ; 16-byte Folded Spill
	scratch_store_dwordx4 off, v[154:157], off offset:1360 ; 16-byte Folded Spill
	scratch_store_dwordx4 off, v[158:161], off offset:1376 ; 16-byte Folded Spill
	scratch_store_dwordx4 off, v[162:165], off offset:1392 ; 16-byte Folded Spill
	;; [unrolled: 9-line block ×3, first 2 shown]
	v_mov_b32_e32 v56, v72
	scratch_store_dwordx4 off, v[60:63], off offset:640 ; 16-byte Folded Spill
	s_nop 0
	scratch_store_dwordx4 off, v[64:67], off offset:656 ; 16-byte Folded Spill
	scratch_store_dwordx4 off, v[68:71], off offset:672 ; 16-byte Folded Spill
	;; [unrolled: 1-line block ×7, first 2 shown]
	v_mov_b32_e32 v106, v190
	scratch_store_dwordx4 off, v[174:177], off offset:256 ; 16-byte Folded Spill
	s_nop 0
	scratch_store_dwordx4 off, v[178:181], off offset:272 ; 16-byte Folded Spill
	scratch_store_dwordx4 off, v[182:185], off offset:288 ; 16-byte Folded Spill
	;; [unrolled: 1-line block ×7, first 2 shown]
	v_mov_b32_e32 v59, v51
	v_mov_b32_e32 v54, v164
	;; [unrolled: 1-line block ×3, first 2 shown]
	scratch_store_dwordx4 off, v[214:217], off offset:128 ; 16-byte Folded Spill
	s_nop 0
	scratch_store_dwordx4 off, v[218:221], off offset:144 ; 16-byte Folded Spill
	scratch_store_dwordx4 off, v[222:225], off offset:160 ; 16-byte Folded Spill
	;; [unrolled: 1-line block ×7, first 2 shown]
	v_mov_b32_e32 v57, v73
	v_mov_b32_e32 v111, v191
.LBB43_23:
	s_or_b64 exec, exec, s[2:3]
	v_cmp_eq_u32_e32 vcc, 4, v250
	s_waitcnt vmcnt(63) expcnt(7) lgkmcnt(15)
	s_barrier
	s_and_saveexec_b64 s[2:3], vcc
	s_cbranch_execz .LBB43_26
; %bb.24:
	ds_write_b32 v251, v78
	ds_write2_b32 v252, v5, v6 offset0:5 offset1:6
	ds_write2_b32 v252, v7, v8 offset0:7 offset1:8
	;; [unrolled: 1-line block ×8, first 2 shown]
	scratch_load_dwordx4 v[174:177], off, off ; 16-byte Folded Reload
	scratch_load_dwordx4 v[178:181], off, off offset:16 ; 16-byte Folded Reload
	scratch_load_dwordx4 v[182:185], off, off offset:32 ; 16-byte Folded Reload
	;; [unrolled: 1-line block ×7, first 2 shown]
	s_waitcnt vmcnt(2)
	ds_write_b32 v252, v195 offset:84
	ds_read_b32 v40, v251
	s_waitcnt lgkmcnt(0)
	v_cmp_neq_f32_e32 vcc, 0, v40
	s_and_b64 exec, exec, vcc
	s_cbranch_execz .LBB43_26
; %bb.25:
	v_div_scale_f32 v41, s[4:5], v40, v40, 1.0
	v_rcp_f32_e32 v42, v41
	v_div_scale_f32 v43, vcc, 1.0, v40, 1.0
	v_fma_f32 v44, -v41, v42, 1.0
	v_fmac_f32_e32 v42, v44, v42
	v_mul_f32_e32 v44, v43, v42
	v_fma_f32 v45, -v41, v44, v43
	v_fmac_f32_e32 v44, v45, v42
	v_fma_f32 v41, -v41, v44, v43
	v_div_fmas_f32 v41, v41, v42, v44
	v_div_fixup_f32 v40, v41, v40, 1.0
	ds_write_b32 v251, v40
.LBB43_26:
	s_or_b64 exec, exec, s[2:3]
	s_waitcnt lgkmcnt(0)
	s_barrier
	ds_read_b32 v40, v251
	v_cmp_lt_u32_e32 vcc, 4, v250
	s_waitcnt lgkmcnt(0)
	scratch_store_dword off, v40, off offset:2304 ; 4-byte Folded Spill
	s_mov_b64 s[2:3], exec
	scratch_load_dwordx4 v[174:177], off, off offset:1536 ; 16-byte Folded Reload
	scratch_load_dwordx4 v[178:181], off, off offset:1552 ; 16-byte Folded Reload
	;; [unrolled: 1-line block ×8, first 2 shown]
	s_and_b64 s[4:5], s[2:3], vcc
	s_waitcnt vmcnt(7)
	v_mov_b64_e32 v[60:61], v[174:175]
	v_mov_b64_e32 v[62:63], v[176:177]
	s_mov_b64 exec, s[4:5]
	s_cbranch_execz .LBB43_28
; %bb.27:
	scratch_load_dword v0, off, off offset:2304 ; 4-byte Folded Reload
	v_mov_b32_e32 v2, v5
	v_mov_b32_e32 v3, v6
	v_mov_b32_e32 v150, v60
	v_mov_b32_e32 v151, v61
	v_mov_b32_e32 v152, v62
	v_mov_b32_e32 v153, v63
	v_mov_b32_e32 v214, v60
	v_mov_b32_e32 v215, v61
	v_mov_b32_e32 v216, v62
	v_mov_b32_e32 v217, v63
	s_waitcnt vmcnt(0)
	v_mul_f32_e32 v64, v78, v0
	ds_read2_b32 v[0:1], v252 offset0:5 offset1:6
	ds_read2_b32 v[4:5], v252 offset0:7 offset1:8
	;; [unrolled: 1-line block ×4, first 2 shown]
	v_mov_b32_e32 v154, v64
	v_mov_b32_e32 v218, v64
	s_waitcnt lgkmcnt(3)
	v_pk_fma_f32 v[40:41], v[64:65], v[0:1], v[2:3] op_sel_hi:[0,1,1] neg_lo:[1,0,0] neg_hi:[1,0,0]
	v_mov_b32_e32 v0, v7
	v_mov_b32_e32 v1, v8
	s_waitcnt lgkmcnt(2)
	v_pk_fma_f32 v[42:43], v[64:65], v[4:5], v[0:1] op_sel_hi:[0,1,1] neg_lo:[1,0,0] neg_hi:[1,0,0]
	;; [unrolled: 4-line block ×4, first 2 shown]
	ds_read2_b32 v[0:1], v252 offset0:13 offset1:14
	ds_read2_b32 v[4:5], v252 offset0:15 offset1:16
	;; [unrolled: 1-line block ×4, first 2 shown]
	v_mov_b32_e32 v2, v13
	v_mov_b32_e32 v3, v14
	;; [unrolled: 1-line block ×3, first 2 shown]
	s_waitcnt lgkmcnt(3)
	v_pk_fma_f32 v[48:49], v[64:65], v[0:1], v[2:3] op_sel_hi:[0,1,1] neg_lo:[1,0,0] neg_hi:[1,0,0]
	v_mov_b32_e32 v0, v15
	v_mov_b32_e32 v1, v16
	s_waitcnt lgkmcnt(2)
	v_pk_fma_f32 v[50:51], v[64:65], v[4:5], v[0:1] op_sel_hi:[0,1,1] neg_lo:[1,0,0] neg_hi:[1,0,0]
	v_mov_b32_e32 v0, v17
	v_mov_b32_e32 v1, v18
	;; [unrolled: 4-line block ×3, first 2 shown]
	ds_read_b32 v2, v252 offset:84
	s_waitcnt lgkmcnt(1)
	v_pk_fma_f32 v[72:73], v[64:65], v[8:9], v[0:1] op_sel_hi:[0,1,1] neg_lo:[1,0,0] neg_hi:[1,0,0]
	scratch_load_dwordx4 v[4:7], off, off   ; 16-byte Folded Reload
	scratch_load_dwordx4 v[8:11], off, off offset:16 ; 16-byte Folded Reload
	scratch_load_dwordx4 v[12:15], off, off offset:32 ; 16-byte Folded Reload
	;; [unrolled: 1-line block ×7, first 2 shown]
	v_mov_b32_e32 v0, v60
	v_mov_b32_e32 v1, v61
	;; [unrolled: 1-line block ×3, first 2 shown]
	s_waitcnt vmcnt(7)
	v_mov_b32_e32 v4, v64
	v_mov_b32_e32 v5, v40
	;; [unrolled: 1-line block ×13, first 2 shown]
	s_waitcnt vmcnt(0)
	v_mov_b32_e32 v32, v45
	v_mov_b32_e32 v33, v46
	;; [unrolled: 1-line block ×34, first 2 shown]
	s_waitcnt lgkmcnt(0)
	v_fma_f32 v21, -v64, v2, v25
	v_mov_b32_e32 v2, v62
	scratch_store_dwordx4 off, v[0:3], off offset:1664 ; 16-byte Folded Spill
	s_nop 0
	scratch_store_dwordx4 off, v[4:7], off offset:1680 ; 16-byte Folded Spill
	scratch_store_dwordx4 off, v[8:11], off offset:1696 ; 16-byte Folded Spill
	scratch_store_dwordx4 off, v[12:15], off offset:1712 ; 16-byte Folded Spill
	scratch_store_dwordx4 off, v[16:19], off offset:1728 ; 16-byte Folded Spill
	scratch_store_dwordx4 off, v[20:23], off offset:1744 ; 16-byte Folded Spill
	scratch_store_dwordx4 off, v[24:27], off offset:1760 ; 16-byte Folded Spill
	scratch_store_dwordx4 off, v[28:31], off offset:1776 ; 16-byte Folded Spill
	v_mov_b32_e32 v7, v42
	scratch_store_dwordx4 off, v[0:3], off offset:1408 ; 16-byte Folded Spill
	s_nop 0
	scratch_store_dwordx4 off, v[4:7], off offset:1424 ; 16-byte Folded Spill
	scratch_store_dwordx4 off, v[8:11], off offset:1440 ; 16-byte Folded Spill
	scratch_store_dwordx4 off, v[12:15], off offset:1456 ; 16-byte Folded Spill
	scratch_store_dwordx4 off, v[16:19], off offset:1472 ; 16-byte Folded Spill
	scratch_store_dwordx4 off, v[20:23], off offset:1488 ; 16-byte Folded Spill
	scratch_store_dwordx4 off, v[24:27], off offset:1504 ; 16-byte Folded Spill
	scratch_store_dwordx4 off, v[28:31], off offset:1520 ; 16-byte Folded Spill
	;; [unrolled: 10-line block ×8, first 2 shown]
	v_mov_b32_e32 v14, v49
	v_mov_b32_e32 v15, v50
	scratch_store_dwordx4 off, v[0:3], off offset:384 ; 16-byte Folded Spill
	s_nop 0
	scratch_store_dwordx4 off, v[4:7], off offset:400 ; 16-byte Folded Spill
	scratch_store_dwordx4 off, v[8:11], off offset:416 ; 16-byte Folded Spill
	;; [unrolled: 1-line block ×7, first 2 shown]
	v_mov_b32_e32 v16, v51
	scratch_store_dwordx4 off, v[0:3], off offset:256 ; 16-byte Folded Spill
	s_nop 0
	scratch_store_dwordx4 off, v[4:7], off offset:272 ; 16-byte Folded Spill
	scratch_store_dwordx4 off, v[8:11], off offset:288 ; 16-byte Folded Spill
	;; [unrolled: 1-line block ×7, first 2 shown]
	v_mov_b32_e32 v22, v60
	v_mov_b32_e32 v23, v61
	;; [unrolled: 1-line block ×13, first 2 shown]
	scratch_store_dwordx4 off, v[0:3], off offset:1024 ; 16-byte Folded Spill
	s_nop 0
	scratch_store_dwordx4 off, v[4:7], off offset:1040 ; 16-byte Folded Spill
	scratch_store_dwordx4 off, v[8:11], off offset:1056 ; 16-byte Folded Spill
	;; [unrolled: 1-line block ×7, first 2 shown]
	v_mov_b32_e32 v20, v73
	scratch_store_dwordx4 off, v[60:63], off offset:1792 ; 16-byte Folded Spill
	s_nop 0
	scratch_store_dwordx4 off, v[64:67], off offset:1808 ; 16-byte Folded Spill
	scratch_store_dwordx4 off, v[68:71], off offset:1824 ; 16-byte Folded Spill
	;; [unrolled: 1-line block ×8, first 2 shown]
	s_nop 0
	scratch_store_dwordx4 off, v[64:67], off offset:1936 ; 16-byte Folded Spill
	scratch_store_dwordx4 off, v[68:71], off offset:1952 ; 16-byte Folded Spill
	;; [unrolled: 1-line block ×7, first 2 shown]
	v_mov_b32_e32 v78, v53
	v_mov_b32_e32 v53, v40
	;; [unrolled: 1-line block ×4, first 2 shown]
	scratch_store_dwordx4 off, v[60:63], off ; 16-byte Folded Spill
	s_nop 0
	scratch_store_dwordx4 off, v[64:67], off offset:16 ; 16-byte Folded Spill
	scratch_store_dwordx4 off, v[68:71], off offset:32 ; 16-byte Folded Spill
	;; [unrolled: 1-line block ×7, first 2 shown]
	v_mov_b32_e32 v41, v72
	scratch_store_dwordx4 off, v[22:25], off offset:128 ; 16-byte Folded Spill
	s_nop 0
	scratch_store_dwordx4 off, v[26:29], off offset:144 ; 16-byte Folded Spill
	scratch_store_dwordx4 off, v[30:33], off offset:160 ; 16-byte Folded Spill
	;; [unrolled: 1-line block ×7, first 2 shown]
.LBB43_28:
	s_or_b64 exec, exec, s[2:3]
	v_cmp_eq_u32_e32 vcc, 5, v250
	s_waitcnt vmcnt(63) expcnt(7) lgkmcnt(15)
	s_barrier
	s_and_saveexec_b64 s[2:3], vcc
	s_cbranch_execz .LBB43_31
; %bb.29:
	ds_write_b32 v251, v53
	ds_write2_b64 v252, v[6:7], v[8:9] offset0:3 offset1:4
	ds_write2_b64 v252, v[10:11], v[12:13] offset0:5 offset1:6
	ds_write2_b64 v252, v[14:15], v[16:17] offset0:7 offset1:8
	ds_write2_b64 v252, v[18:19], v[20:21] offset0:9 offset1:10
	ds_read_b32 v40, v251
	s_waitcnt lgkmcnt(0)
	v_cmp_neq_f32_e32 vcc, 0, v40
	s_and_b64 exec, exec, vcc
	s_cbranch_execz .LBB43_31
; %bb.30:
	v_div_scale_f32 v41, s[4:5], v40, v40, 1.0
	v_rcp_f32_e32 v42, v41
	v_div_scale_f32 v43, vcc, 1.0, v40, 1.0
	v_fma_f32 v44, -v41, v42, 1.0
	v_fmac_f32_e32 v42, v44, v42
	v_mul_f32_e32 v44, v43, v42
	v_fma_f32 v45, -v41, v44, v43
	v_fmac_f32_e32 v44, v45, v42
	v_fma_f32 v41, -v41, v44, v43
	v_div_fmas_f32 v41, v41, v42, v44
	v_div_fixup_f32 v40, v41, v40, 1.0
	ds_write_b32 v251, v40
.LBB43_31:
	s_or_b64 exec, exec, s[2:3]
	s_waitcnt lgkmcnt(0)
	s_barrier
	ds_read_b32 v253, v251
	v_cmp_lt_u32_e32 vcc, 5, v250
	s_and_saveexec_b64 s[2:3], vcc
	s_cbranch_execz .LBB43_33
; %bb.32:
	ds_read2_b64 v[22:25], v252 offset0:3 offset1:4
	ds_read2_b64 v[26:29], v252 offset0:5 offset1:6
	;; [unrolled: 1-line block ×3, first 2 shown]
	s_waitcnt lgkmcnt(3)
	v_mul_f32_e32 v4, v53, v253
	v_mov_b32_e32 v35, v4
	s_waitcnt lgkmcnt(2)
	v_pk_fma_f32 v[172:173], v[4:5], v[22:23], v[6:7] op_sel_hi:[0,1,1] neg_lo:[1,0,0] neg_hi:[1,0,0]
	v_pk_fma_f32 v[142:143], v[4:5], v[24:25], v[8:9] op_sel_hi:[0,1,1] neg_lo:[1,0,0] neg_hi:[1,0,0]
	ds_read2_b64 v[6:9], v252 offset0:7 offset1:8
	scratch_load_dwordx4 v[78:81], off, off offset:1920 ; 16-byte Folded Reload
	scratch_load_dwordx4 v[82:85], off, off offset:1936 ; 16-byte Folded Reload
	;; [unrolled: 1-line block ×8, first 2 shown]
	s_waitcnt lgkmcnt(2)
	v_pk_fma_f32 v[50:51], v[4:5], v[26:27], v[10:11] op_sel_hi:[0,1,1] neg_lo:[1,0,0] neg_hi:[1,0,0]
	v_mov_b32_e32 v36, v172
	v_mov_b32_e32 v37, v173
	s_waitcnt vmcnt(6)
	v_mov_b32_e32 v83, v4
	v_pk_fma_f32 v[204:205], v[4:5], v[28:29], v[12:13] op_sel_hi:[0,1,1] neg_lo:[1,0,0] neg_hi:[1,0,0]
	v_mov_b32_e32 v27, v4
	v_mov_b32_e32 v28, v172
	;; [unrolled: 1-line block ×3, first 2 shown]
	s_waitcnt lgkmcnt(0)
	v_pk_fma_f32 v[164:165], v[4:5], v[6:7], v[14:15] op_sel_hi:[0,1,1] neg_lo:[1,0,0] neg_hi:[1,0,0]
	v_pk_fma_f32 v[190:191], v[4:5], v[8:9], v[16:17] op_sel_hi:[0,1,1] neg_lo:[1,0,0] neg_hi:[1,0,0]
	;; [unrolled: 1-line block ×4, first 2 shown]
	v_mov_b32_e32 v171, v4
	v_mov_b32_e32 v139, v4
	;; [unrolled: 1-line block ×55, first 2 shown]
	scratch_store_dwordx4 off, v[30:33], off offset:1408 ; 16-byte Folded Spill
	s_nop 0
	scratch_store_dwordx4 off, v[34:37], off offset:1424 ; 16-byte Folded Spill
	scratch_store_dwordx4 off, v[38:41], off offset:1440 ; 16-byte Folded Spill
	;; [unrolled: 1-line block ×7, first 2 shown]
	v_mov_b32_e32 v38, v142
	v_mov_b32_e32 v39, v143
	;; [unrolled: 1-line block ×12, first 2 shown]
	scratch_store_dwordx4 off, v[30:33], off offset:1152 ; 16-byte Folded Spill
	s_nop 0
	scratch_store_dwordx4 off, v[34:37], off offset:1168 ; 16-byte Folded Spill
	scratch_store_dwordx4 off, v[38:41], off offset:1184 ; 16-byte Folded Spill
	;; [unrolled: 1-line block ×7, first 2 shown]
	v_mov_b32_e32 v52, v78
	v_mov_b32_e32 v53, v79
	;; [unrolled: 1-line block ×26, first 2 shown]
	scratch_store_dwordx4 off, v[52:55], off offset:768 ; 16-byte Folded Spill
	s_nop 0
	scratch_store_dwordx4 off, v[56:59], off offset:784 ; 16-byte Folded Spill
	scratch_store_dwordx4 off, v[60:63], off offset:800 ; 16-byte Folded Spill
	;; [unrolled: 1-line block ×7, first 2 shown]
	v_mov_b32_e32 v32, v50
	v_mov_b32_e32 v33, v51
	;; [unrolled: 1-line block ×17, first 2 shown]
	scratch_store_dwordx4 off, v[22:25], off offset:512 ; 16-byte Folded Spill
	s_nop 0
	scratch_store_dwordx4 off, v[26:29], off offset:528 ; 16-byte Folded Spill
	scratch_store_dwordx4 off, v[30:33], off offset:544 ; 16-byte Folded Spill
	;; [unrolled: 1-line block ×7, first 2 shown]
	v_mov_b32_e32 v36, v164
	v_mov_b32_e32 v37, v165
	;; [unrolled: 1-line block ×24, first 2 shown]
	scratch_store_dwordx4 off, v[22:25], off offset:384 ; 16-byte Folded Spill
	s_nop 0
	scratch_store_dwordx4 off, v[26:29], off offset:400 ; 16-byte Folded Spill
	scratch_store_dwordx4 off, v[30:33], off offset:416 ; 16-byte Folded Spill
	;; [unrolled: 1-line block ×7, first 2 shown]
	v_mov_b32_e32 v38, v190
	v_mov_b32_e32 v39, v191
	scratch_store_dwordx4 off, v[52:55], off offset:1024 ; 16-byte Folded Spill
	s_nop 0
	scratch_store_dwordx4 off, v[56:59], off offset:1040 ; 16-byte Folded Spill
	scratch_store_dwordx4 off, v[60:63], off offset:1056 ; 16-byte Folded Spill
	;; [unrolled: 1-line block ×7, first 2 shown]
	v_mov_b32_e32 v184, v50
	v_mov_b32_e32 v185, v51
	;; [unrolled: 1-line block ×12, first 2 shown]
	scratch_store_dwordx4 off, v[78:81], off offset:1792 ; 16-byte Folded Spill
	s_nop 0
	scratch_store_dwordx4 off, v[82:85], off offset:1808 ; 16-byte Folded Spill
	s_waitcnt vmcnt(55)
	scratch_store_dwordx4 off, v[86:89], off offset:1824 ; 16-byte Folded Spill
	s_waitcnt vmcnt(55)
	;; [unrolled: 2-line block ×6, first 2 shown]
	scratch_store_dwordx4 off, v[106:109], off offset:1904 ; 16-byte Folded Spill
	v_mov_b32_e32 v78, v232
	v_mov_b32_e32 v80, v20
	;; [unrolled: 1-line block ×4, first 2 shown]
	scratch_store_dwordx4 off, v[60:63], off ; 16-byte Folded Spill
	s_nop 0
	scratch_store_dwordx4 off, v[64:67], off offset:16 ; 16-byte Folded Spill
	scratch_store_dwordx4 off, v[68:71], off offset:32 ; 16-byte Folded Spill
	scratch_store_dwordx4 off, v[72:75], off offset:48 ; 16-byte Folded Spill
	scratch_store_dwordx4 off, v[76:79], off offset:64 ; 16-byte Folded Spill
	scratch_store_dwordx4 off, v[80:83], off offset:80 ; 16-byte Folded Spill
	scratch_store_dwordx4 off, v[84:87], off offset:96 ; 16-byte Folded Spill
	scratch_store_dwordx4 off, v[88:91], off offset:112 ; 16-byte Folded Spill
	scratch_store_dwordx4 off, v[166:169], off offset:1664 ; 16-byte Folded Spill
	s_nop 0
	scratch_store_dwordx4 off, v[170:173], off offset:1680 ; 16-byte Folded Spill
	scratch_store_dwordx4 off, v[174:177], off offset:1696 ; 16-byte Folded Spill
	scratch_store_dwordx4 off, v[178:181], off offset:1712 ; 16-byte Folded Spill
	scratch_store_dwordx4 off, v[182:185], off offset:1728 ; 16-byte Folded Spill
	scratch_store_dwordx4 off, v[186:189], off offset:1744 ; 16-byte Folded Spill
	scratch_store_dwordx4 off, v[190:193], off offset:1760 ; 16-byte Folded Spill
	scratch_store_dwordx4 off, v[194:197], off offset:1776 ; 16-byte Folded Spill
	scratch_store_dwordx4 off, v[134:137], off offset:1280 ; 16-byte Folded Spill
	;; [unrolled: 9-line block ×3, first 2 shown]
	s_nop 0
	scratch_store_dwordx4 off, v[44:47], off offset:912 ; 16-byte Folded Spill
	scratch_store_dwordx4 off, v[48:51], off offset:928 ; 16-byte Folded Spill
	;; [unrolled: 1-line block ×7, first 2 shown]
	v_mov_b32_e32 v56, v204
	scratch_store_dwordx4 off, v[192:195], off offset:640 ; 16-byte Folded Spill
	s_nop 0
	scratch_store_dwordx4 off, v[196:199], off offset:656 ; 16-byte Folded Spill
	scratch_store_dwordx4 off, v[200:203], off offset:672 ; 16-byte Folded Spill
	;; [unrolled: 1-line block ×7, first 2 shown]
	v_mov_b32_e32 v106, v190
	v_mov_b32_e32 v54, v164
	;; [unrolled: 1-line block ×5, first 2 shown]
	scratch_store_dwordx4 off, v[174:177], off offset:256 ; 16-byte Folded Spill
	s_nop 0
	scratch_store_dwordx4 off, v[178:181], off offset:272 ; 16-byte Folded Spill
	scratch_store_dwordx4 off, v[182:185], off offset:288 ; 16-byte Folded Spill
	;; [unrolled: 1-line block ×8, first 2 shown]
	s_nop 0
	scratch_store_dwordx4 off, v[218:221], off offset:144 ; 16-byte Folded Spill
	scratch_store_dwordx4 off, v[222:225], off offset:160 ; 16-byte Folded Spill
	;; [unrolled: 1-line block ×7, first 2 shown]
	v_mov_b32_e32 v111, v191
.LBB43_33:
	s_or_b64 exec, exec, s[2:3]
	v_cmp_eq_u32_e32 vcc, 6, v250
	s_waitcnt lgkmcnt(0)
	s_barrier
	s_and_saveexec_b64 s[2:3], vcc
	s_cbranch_execz .LBB43_36
; %bb.34:
	ds_write_b32 v251, v114
	ds_write2_b32 v252, v7, v8 offset0:7 offset1:8
	ds_write2_b32 v252, v9, v10 offset0:9 offset1:10
	;; [unrolled: 1-line block ×7, first 2 shown]
	scratch_load_dwordx4 v[174:177], off, off ; 16-byte Folded Reload
	scratch_load_dwordx4 v[178:181], off, off offset:16 ; 16-byte Folded Reload
	scratch_load_dwordx4 v[182:185], off, off offset:32 ; 16-byte Folded Reload
	;; [unrolled: 1-line block ×7, first 2 shown]
	s_waitcnt vmcnt(2)
	ds_write_b32 v252, v195 offset:84
	ds_read_b32 v40, v251
	s_waitcnt lgkmcnt(0)
	v_cmp_neq_f32_e32 vcc, 0, v40
	s_and_b64 exec, exec, vcc
	s_cbranch_execz .LBB43_36
; %bb.35:
	v_div_scale_f32 v41, s[4:5], v40, v40, 1.0
	v_rcp_f32_e32 v42, v41
	v_div_scale_f32 v43, vcc, 1.0, v40, 1.0
	v_fma_f32 v44, -v41, v42, 1.0
	v_fmac_f32_e32 v42, v44, v42
	v_mul_f32_e32 v44, v43, v42
	v_fma_f32 v45, -v41, v44, v43
	v_fmac_f32_e32 v44, v45, v42
	v_fma_f32 v41, -v41, v44, v43
	v_div_fmas_f32 v41, v41, v42, v44
	v_div_fixup_f32 v40, v41, v40, 1.0
	ds_write_b32 v251, v40
.LBB43_36:
	s_or_b64 exec, exec, s[2:3]
	s_waitcnt lgkmcnt(0)
	s_barrier
	ds_read_b32 v248, v251
	v_cmp_lt_u32_e32 vcc, 6, v250
	s_mov_b64 s[2:3], exec
	s_and_b64 s[4:5], s[2:3], vcc
	v_mov_b32_e32 v51, v173
	s_mov_b64 exec, s[4:5]
	s_cbranch_execz .LBB43_38
; %bb.37:
	scratch_load_dwordx4 v[78:81], off, off offset:1792 ; 16-byte Folded Reload
	scratch_load_dwordx4 v[82:85], off, off offset:1808 ; 16-byte Folded Reload
	;; [unrolled: 1-line block ×8, first 2 shown]
	ds_read2_b32 v[0:1], v252 offset0:7 offset1:8
	v_mov_b32_e32 v2, v7
	ds_read2_b32 v[4:5], v252 offset0:9 offset1:10
	ds_read2_b32 v[6:7], v252 offset0:11 offset1:12
	;; [unrolled: 1-line block ×3, first 2 shown]
	s_waitcnt vmcnt(6) lgkmcnt(4)
	v_mul_f32_e32 v84, v114, v248
	v_mov_b32_e32 v3, v8
	v_mov_b32_e32 v156, v84
	;; [unrolled: 1-line block ×4, first 2 shown]
	s_waitcnt lgkmcnt(3)
	v_pk_fma_f32 v[40:41], v[84:85], v[0:1], v[2:3] op_sel_hi:[0,1,1] neg_lo:[1,0,0] neg_hi:[1,0,0]
	v_mov_b32_e32 v0, v9
	v_mov_b32_e32 v1, v10
	s_waitcnt lgkmcnt(2)
	v_pk_fma_f32 v[42:43], v[84:85], v[4:5], v[0:1] op_sel_hi:[0,1,1] neg_lo:[1,0,0] neg_hi:[1,0,0]
	v_mov_b32_e32 v0, v11
	v_mov_b32_e32 v1, v12
	;; [unrolled: 4-line block ×3, first 2 shown]
	s_waitcnt lgkmcnt(0)
	v_pk_fma_f32 v[46:47], v[84:85], v[22:23], v[0:1] op_sel_hi:[0,1,1] neg_lo:[1,0,0] neg_hi:[1,0,0]
	ds_read2_b32 v[0:1], v252 offset0:15 offset1:16
	ds_read2_b32 v[4:5], v252 offset0:17 offset1:18
	;; [unrolled: 1-line block ×3, first 2 shown]
	ds_read_b32 v8, v252 offset:84
	scratch_load_dwordx4 v[86:89], off, off ; 16-byte Folded Reload
	scratch_load_dwordx4 v[90:93], off, off offset:16 ; 16-byte Folded Reload
	scratch_load_dwordx4 v[94:97], off, off offset:32 ; 16-byte Folded Reload
	;; [unrolled: 1-line block ×7, first 2 shown]
	v_mov_b32_e32 v2, v15
	v_mov_b32_e32 v3, v16
	s_waitcnt lgkmcnt(3)
	v_pk_fma_f32 v[48:49], v[84:85], v[0:1], v[2:3] op_sel_hi:[0,1,1] neg_lo:[1,0,0] neg_hi:[1,0,0]
	v_mov_b32_e32 v0, v17
	v_mov_b32_e32 v1, v18
	s_waitcnt lgkmcnt(2)
	v_pk_fma_f32 v[50:51], v[84:85], v[4:5], v[0:1] op_sel_hi:[0,1,1] neg_lo:[1,0,0] neg_hi:[1,0,0]
	;; [unrolled: 4-line block ×3, first 2 shown]
	v_mov_b32_e32 v0, v78
	v_mov_b32_e32 v1, v79
	;; [unrolled: 1-line block ×55, first 2 shown]
	s_waitcnt vmcnt(1)
	v_mov_b32_e32 v111, v50
	s_waitcnt lgkmcnt(0)
	v_fma_f32 v21, -v84, v8, v107
	v_mov_b32_e32 v8, v41
	scratch_store_dwordx4 off, v[0:3], off offset:1280 ; 16-byte Folded Spill
	s_nop 0
	scratch_store_dwordx4 off, v[4:7], off offset:1296 ; 16-byte Folded Spill
	scratch_store_dwordx4 off, v[8:11], off offset:1312 ; 16-byte Folded Spill
	scratch_store_dwordx4 off, v[12:15], off offset:1328 ; 16-byte Folded Spill
	scratch_store_dwordx4 off, v[16:19], off offset:1344 ; 16-byte Folded Spill
	scratch_store_dwordx4 off, v[20:23], off offset:1360 ; 16-byte Folded Spill
	scratch_store_dwordx4 off, v[24:27], off offset:1376 ; 16-byte Folded Spill
	scratch_store_dwordx4 off, v[28:31], off offset:1392 ; 16-byte Folded Spill
	v_mov_b32_e32 v9, v42
	scratch_store_dwordx4 off, v[0:3], off offset:1152 ; 16-byte Folded Spill
	s_nop 0
	scratch_store_dwordx4 off, v[4:7], off offset:1168 ; 16-byte Folded Spill
	scratch_store_dwordx4 off, v[8:11], off offset:1184 ; 16-byte Folded Spill
	scratch_store_dwordx4 off, v[12:15], off offset:1200 ; 16-byte Folded Spill
	scratch_store_dwordx4 off, v[16:19], off offset:1216 ; 16-byte Folded Spill
	scratch_store_dwordx4 off, v[20:23], off offset:1232 ; 16-byte Folded Spill
	scratch_store_dwordx4 off, v[24:27], off offset:1248 ; 16-byte Folded Spill
	scratch_store_dwordx4 off, v[28:31], off offset:1264 ; 16-byte Folded Spill
	;; [unrolled: 10-line block ×6, first 2 shown]
	v_mov_b32_e32 v14, v47
	v_mov_b32_e32 v15, v48
	scratch_store_dwordx4 off, v[0:3], off offset:384 ; 16-byte Folded Spill
	s_nop 0
	scratch_store_dwordx4 off, v[4:7], off offset:400 ; 16-byte Folded Spill
	scratch_store_dwordx4 off, v[8:11], off offset:416 ; 16-byte Folded Spill
	;; [unrolled: 1-line block ×7, first 2 shown]
	v_mov_b32_e32 v16, v49
	scratch_store_dwordx4 off, v[0:3], off offset:256 ; 16-byte Folded Spill
	s_nop 0
	scratch_store_dwordx4 off, v[4:7], off offset:272 ; 16-byte Folded Spill
	scratch_store_dwordx4 off, v[8:11], off offset:288 ; 16-byte Folded Spill
	;; [unrolled: 1-line block ×7, first 2 shown]
	v_mov_b32_e32 v22, v78
	v_mov_b32_e32 v23, v79
	;; [unrolled: 1-line block ×13, first 2 shown]
	scratch_store_dwordx4 off, v[0:3], off offset:1024 ; 16-byte Folded Spill
	s_nop 0
	scratch_store_dwordx4 off, v[4:7], off offset:1040 ; 16-byte Folded Spill
	scratch_store_dwordx4 off, v[8:11], off offset:1056 ; 16-byte Folded Spill
	scratch_store_dwordx4 off, v[12:15], off offset:1072 ; 16-byte Folded Spill
	scratch_store_dwordx4 off, v[16:19], off offset:1088 ; 16-byte Folded Spill
	scratch_store_dwordx4 off, v[20:23], off offset:1104 ; 16-byte Folded Spill
	scratch_store_dwordx4 off, v[24:27], off offset:1120 ; 16-byte Folded Spill
	scratch_store_dwordx4 off, v[28:31], off offset:1136 ; 16-byte Folded Spill
	scratch_store_dwordx4 off, v[78:81], off offset:1408 ; 16-byte Folded Spill
	s_nop 0
	scratch_store_dwordx4 off, v[82:85], off offset:1424 ; 16-byte Folded Spill
	scratch_store_dwordx4 off, v[86:89], off offset:1440 ; 16-byte Folded Spill
	scratch_store_dwordx4 off, v[90:93], off offset:1456 ; 16-byte Folded Spill
	scratch_store_dwordx4 off, v[94:97], off offset:1472 ; 16-byte Folded Spill
	scratch_store_dwordx4 off, v[98:101], off offset:1488 ; 16-byte Folded Spill
	scratch_store_dwordx4 off, v[102:105], off offset:1504 ; 16-byte Folded Spill
	scratch_store_dwordx4 off, v[106:109], off offset:1520 ; 16-byte Folded Spill
	;; [unrolled: 9-line block ×3, first 2 shown]
	v_mov_b32_e32 v20, v53
	v_mov_b32_e32 v78, v51
	;; [unrolled: 1-line block ×8, first 2 shown]
	scratch_store_dwordx4 off, v[60:63], off ; 16-byte Folded Spill
	s_nop 0
	scratch_store_dwordx4 off, v[64:67], off offset:16 ; 16-byte Folded Spill
	scratch_store_dwordx4 off, v[68:71], off offset:32 ; 16-byte Folded Spill
	;; [unrolled: 1-line block ×8, first 2 shown]
	s_nop 0
	scratch_store_dwordx4 off, v[26:29], off offset:144 ; 16-byte Folded Spill
	scratch_store_dwordx4 off, v[30:33], off offset:160 ; 16-byte Folded Spill
	scratch_store_dwordx4 off, v[34:37], off offset:176 ; 16-byte Folded Spill
	scratch_store_dwordx4 off, v[38:41], off offset:192 ; 16-byte Folded Spill
	scratch_store_dwordx4 off, v[42:45], off offset:208 ; 16-byte Folded Spill
	scratch_store_dwordx4 off, v[46:49], off offset:224 ; 16-byte Folded Spill
	scratch_store_dwordx4 off, v[50:53], off offset:240 ; 16-byte Folded Spill
.LBB43_38:
	s_or_b64 exec, exec, s[2:3]
	v_cmp_eq_u32_e32 vcc, 7, v250
	s_waitcnt lgkmcnt(0)
	s_barrier
	s_and_saveexec_b64 s[2:3], vcc
	s_cbranch_execz .LBB43_41
; %bb.39:
	ds_write_b32 v251, v51
	ds_write2_b64 v252, v[8:9], v[10:11] offset0:4 offset1:5
	ds_write2_b64 v252, v[12:13], v[14:15] offset0:6 offset1:7
	;; [unrolled: 1-line block ×3, first 2 shown]
	ds_write_b64 v252, v[20:21] offset:80
	ds_read_b32 v40, v251
	s_waitcnt lgkmcnt(0)
	v_cmp_neq_f32_e32 vcc, 0, v40
	s_and_b64 exec, exec, vcc
	s_cbranch_execz .LBB43_41
; %bb.40:
	v_div_scale_f32 v41, s[4:5], v40, v40, 1.0
	v_rcp_f32_e32 v42, v41
	v_div_scale_f32 v43, vcc, 1.0, v40, 1.0
	v_fma_f32 v44, -v41, v42, 1.0
	v_fmac_f32_e32 v42, v44, v42
	v_mul_f32_e32 v44, v43, v42
	v_fma_f32 v45, -v41, v44, v43
	v_fmac_f32_e32 v44, v45, v42
	v_fma_f32 v41, -v41, v44, v43
	v_div_fmas_f32 v41, v41, v42, v44
	v_div_fixup_f32 v40, v41, v40, 1.0
	ds_write_b32 v251, v40
.LBB43_41:
	s_or_b64 exec, exec, s[2:3]
	s_waitcnt lgkmcnt(0)
	s_barrier
	ds_read_b32 v249, v251
	v_cmp_lt_u32_e32 vcc, 7, v250
	s_and_saveexec_b64 s[2:3], vcc
	s_cbranch_execz .LBB43_43
; %bb.42:
	ds_read2_b64 v[2:5], v252 offset0:4 offset1:5
	ds_read2_b64 v[22:25], v252 offset0:6 offset1:7
	ds_read_b64 v[6:7], v252 offset:80
	s_waitcnt lgkmcnt(3)
	v_mul_f32_e32 v0, v51, v249
	v_mov_b32_e32 v33, v0
	s_waitcnt lgkmcnt(2)
	v_pk_fma_f32 v[142:143], v[0:1], v[2:3], v[8:9] op_sel_hi:[0,1,1] neg_lo:[1,0,0] neg_hi:[1,0,0]
	v_pk_fma_f32 v[50:51], v[0:1], v[4:5], v[10:11] op_sel_hi:[0,1,1] neg_lo:[1,0,0] neg_hi:[1,0,0]
	ds_read2_b64 v[2:5], v252 offset0:8 offset1:9
	scratch_load_dwordx4 v[106:109], off, off offset:1664 ; 16-byte Folded Reload
	scratch_load_dwordx4 v[110:113], off, off offset:1680 ; 16-byte Folded Reload
	;; [unrolled: 1-line block ×8, first 2 shown]
	v_mov_b32_e32 v34, v142
	v_mov_b32_e32 v35, v143
	s_waitcnt vmcnt(10) lgkmcnt(2)
	v_pk_fma_f32 v[196:197], v[0:1], v[22:23], v[12:13] op_sel_hi:[0,1,1] neg_lo:[1,0,0] neg_hi:[1,0,0]
	v_pk_fma_f32 v[164:165], v[0:1], v[24:25], v[14:15] op_sel_hi:[0,1,1] neg_lo:[1,0,0] neg_hi:[1,0,0]
	s_waitcnt lgkmcnt(0)
	v_pk_fma_f32 v[182:183], v[0:1], v[2:3], v[16:17] op_sel_hi:[0,1,1] neg_lo:[1,0,0] neg_hi:[1,0,0]
	v_pk_fma_f32 v[232:233], v[0:1], v[4:5], v[18:19] op_sel_hi:[0,1,1] neg_lo:[1,0,0] neg_hi:[1,0,0]
	v_mov_b32_e32 v59, v0
	v_mov_b32_e32 v60, v142
	;; [unrolled: 1-line block ×11, first 2 shown]
	v_pk_fma_f32 v[20:21], v[0:1], v[6:7], v[20:21] op_sel_hi:[0,1,1] neg_lo:[1,0,0] neg_hi:[1,0,0]
	s_waitcnt vmcnt(6)
	v_mov_b32_e32 v113, v0
	v_mov_b32_e32 v141, v0
	v_mov_b32_e32 v191, v0
	v_mov_b32_e32 v157, v0
	v_mov_b32_e32 v173, v0
	v_mov_b32_e32 v221, v0
	v_mov_b32_e32 v7, v0
	v_mov_b32_e32 v158, v142
	v_mov_b32_e32 v159, v143
	v_mov_b32_e32 v162, v196
	v_mov_b32_e32 v163, v197
	v_mov_b32_e32 v192, v142
	v_mov_b32_e32 v193, v143
	v_mov_b32_e32 v174, v142
	v_mov_b32_e32 v175, v143
	v_mov_b32_e32 v180, v164
	v_mov_b32_e32 v181, v165
	v_mov_b32_e32 v222, v142
	v_mov_b32_e32 v223, v143
	v_mov_b32_e32 v228, v164
	v_mov_b32_e32 v229, v165
	v_mov_b32_e32 v8, v142
	v_mov_b32_e32 v9, v143
	v_mov_b32_e32 v14, v164
	v_mov_b32_e32 v15, v165
	v_mov_b32_e32 v178, v196
	v_mov_b32_e32 v179, v197
	v_mov_b32_e32 v226, v196
	v_mov_b32_e32 v227, v197
	v_mov_b32_e32 v12, v196
	v_mov_b32_e32 v13, v197
	v_mov_b32_e32 v230, v182
	v_mov_b32_e32 v231, v183
	v_mov_b32_e32 v16, v182
	v_mov_b32_e32 v17, v183
	v_mov_b32_e32 v18, v232
	v_mov_b32_e32 v19, v233
	v_mov_b32_e32 v26, v106
	v_mov_b32_e32 v27, v107
	v_mov_b32_e32 v28, v108
	v_mov_b32_e32 v29, v109
	v_mov_b32_e32 v30, v110
	v_mov_b32_e32 v31, v111
	v_mov_b32_e32 v32, v112
	scratch_store_dwordx4 off, v[26:29], off offset:1152 ; 16-byte Folded Spill
	s_nop 0
	scratch_store_dwordx4 off, v[30:33], off offset:1168 ; 16-byte Folded Spill
	scratch_store_dwordx4 off, v[34:37], off offset:1184 ; 16-byte Folded Spill
	;; [unrolled: 1-line block ×7, first 2 shown]
	v_mov_b32_e32 v40, v106
	v_mov_b32_e32 v41, v107
	;; [unrolled: 1-line block ×15, first 2 shown]
	s_waitcnt vmcnt(8)
	v_mov_b32_e32 v134, v106
	v_mov_b32_e32 v135, v107
	;; [unrolled: 1-line block ×43, first 2 shown]
	scratch_store_dwordx4 off, v[26:29], off offset:768 ; 16-byte Folded Spill
	s_nop 0
	scratch_store_dwordx4 off, v[30:33], off offset:784 ; 16-byte Folded Spill
	scratch_store_dwordx4 off, v[34:37], off offset:800 ; 16-byte Folded Spill
	;; [unrolled: 1-line block ×7, first 2 shown]
	v_mov_b32_e32 v38, v196
	v_mov_b32_e32 v39, v197
	;; [unrolled: 1-line block ×4, first 2 shown]
	scratch_store_dwordx4 off, v[26:29], off offset:512 ; 16-byte Folded Spill
	s_nop 0
	scratch_store_dwordx4 off, v[30:33], off offset:528 ; 16-byte Folded Spill
	scratch_store_dwordx4 off, v[34:37], off offset:544 ; 16-byte Folded Spill
	;; [unrolled: 1-line block ×7, first 2 shown]
	v_mov_b32_e32 v26, v110
	v_mov_b32_e32 v27, v111
	;; [unrolled: 1-line block ×19, first 2 shown]
	scratch_store_dwordx4 off, v[22:25], off offset:384 ; 16-byte Folded Spill
	s_nop 0
	scratch_store_dwordx4 off, v[26:29], off offset:400 ; 16-byte Folded Spill
	scratch_store_dwordx4 off, v[30:33], off offset:416 ; 16-byte Folded Spill
	;; [unrolled: 1-line block ×7, first 2 shown]
	v_mov_b32_e32 v38, v182
	v_mov_b32_e32 v39, v183
	;; [unrolled: 1-line block ×6, first 2 shown]
	scratch_store_dwordx4 off, v[52:55], off offset:1024 ; 16-byte Folded Spill
	s_nop 0
	scratch_store_dwordx4 off, v[56:59], off offset:1040 ; 16-byte Folded Spill
	scratch_store_dwordx4 off, v[60:63], off offset:1056 ; 16-byte Folded Spill
	;; [unrolled: 1-line block ×8, first 2 shown]
	s_nop 0
	scratch_store_dwordx4 off, v[110:113], off offset:1424 ; 16-byte Folded Spill
	scratch_store_dwordx4 off, v[114:117], off offset:1440 ; 16-byte Folded Spill
	;; [unrolled: 1-line block ×7, first 2 shown]
	v_mov_b32_e32 v80, v232
	v_mov_b32_e32 v82, v20
	;; [unrolled: 1-line block ×12, first 2 shown]
	scratch_store_dwordx4 off, v[62:65], off ; 16-byte Folded Spill
	s_nop 0
	scratch_store_dwordx4 off, v[66:69], off offset:16 ; 16-byte Folded Spill
	scratch_store_dwordx4 off, v[70:73], off offset:32 ; 16-byte Folded Spill
	;; [unrolled: 1-line block ×8, first 2 shown]
	s_nop 0
	scratch_store_dwordx4 off, v[138:141], off offset:1296 ; 16-byte Folded Spill
	scratch_store_dwordx4 off, v[142:145], off offset:1312 ; 16-byte Folded Spill
	;; [unrolled: 1-line block ×8, first 2 shown]
	s_nop 0
	scratch_store_dwordx4 off, v[44:47], off offset:912 ; 16-byte Folded Spill
	scratch_store_dwordx4 off, v[48:51], off offset:928 ; 16-byte Folded Spill
	;; [unrolled: 1-line block ×7, first 2 shown]
	v_mov_b32_e32 v56, v196
	scratch_store_dwordx4 off, v[184:187], off offset:640 ; 16-byte Folded Spill
	s_nop 0
	scratch_store_dwordx4 off, v[188:191], off offset:656 ; 16-byte Folded Spill
	scratch_store_dwordx4 off, v[192:195], off offset:672 ; 16-byte Folded Spill
	;; [unrolled: 1-line block ×7, first 2 shown]
	v_mov_b32_e32 v54, v164
	v_mov_b32_e32 v55, v165
	;; [unrolled: 1-line block ×4, first 2 shown]
	scratch_store_dwordx4 off, v[166:169], off offset:256 ; 16-byte Folded Spill
	s_nop 0
	scratch_store_dwordx4 off, v[170:173], off offset:272 ; 16-byte Folded Spill
	scratch_store_dwordx4 off, v[174:177], off offset:288 ; 16-byte Folded Spill
	;; [unrolled: 1-line block ×8, first 2 shown]
	s_nop 0
	scratch_store_dwordx4 off, v[218:221], off offset:144 ; 16-byte Folded Spill
	scratch_store_dwordx4 off, v[222:225], off offset:160 ; 16-byte Folded Spill
	;; [unrolled: 1-line block ×7, first 2 shown]
	v_mov_b32_e32 v111, v183
.LBB43_43:
	s_or_b64 exec, exec, s[2:3]
	v_cmp_eq_u32_e32 vcc, 8, v250
	s_waitcnt lgkmcnt(0)
	s_barrier
	s_and_saveexec_b64 s[2:3], vcc
	s_cbranch_execz .LBB43_46
; %bb.44:
	ds_write_b32 v251, v108
	ds_write2_b32 v252, v9, v10 offset0:9 offset1:10
	ds_write2_b32 v252, v11, v12 offset0:11 offset1:12
	;; [unrolled: 1-line block ×6, first 2 shown]
	scratch_load_dwordx4 v[166:169], off, off ; 16-byte Folded Reload
	scratch_load_dwordx4 v[170:173], off, off offset:16 ; 16-byte Folded Reload
	scratch_load_dwordx4 v[174:177], off, off offset:32 ; 16-byte Folded Reload
	;; [unrolled: 1-line block ×7, first 2 shown]
	s_waitcnt vmcnt(2)
	ds_write_b32 v252, v187 offset:84
	ds_read_b32 v40, v251
	s_waitcnt lgkmcnt(0)
	v_cmp_neq_f32_e32 vcc, 0, v40
	s_and_b64 exec, exec, vcc
	s_cbranch_execz .LBB43_46
; %bb.45:
	v_div_scale_f32 v41, s[4:5], v40, v40, 1.0
	v_rcp_f32_e32 v42, v41
	v_div_scale_f32 v43, vcc, 1.0, v40, 1.0
	v_fma_f32 v44, -v41, v42, 1.0
	v_fmac_f32_e32 v42, v44, v42
	v_mul_f32_e32 v44, v43, v42
	v_fma_f32 v45, -v41, v44, v43
	v_fmac_f32_e32 v44, v45, v42
	v_fma_f32 v41, -v41, v44, v43
	v_div_fmas_f32 v41, v41, v42, v44
	v_div_fixup_f32 v40, v41, v40, 1.0
	ds_write_b32 v251, v40
.LBB43_46:
	s_or_b64 exec, exec, s[2:3]
	s_waitcnt lgkmcnt(0)
	s_barrier
	ds_read_b32 v116, v251
	v_cmp_lt_u32_e32 vcc, 8, v250
	s_and_saveexec_b64 s[2:3], vcc
	s_cbranch_execz .LBB43_48
; %bb.47:
	scratch_load_dwordx4 v[134:137], off, off offset:1408 ; 16-byte Folded Reload
	scratch_load_dwordx4 v[138:141], off, off offset:1424 ; 16-byte Folded Reload
	;; [unrolled: 1-line block ×8, first 2 shown]
	ds_read2_b32 v[0:1], v252 offset0:9 offset1:10
	v_mov_b32_e32 v2, v9
	ds_read2_b32 v[4:5], v252 offset0:11 offset1:12
	ds_read2_b32 v[6:7], v252 offset0:13 offset1:14
	;; [unrolled: 1-line block ×3, first 2 shown]
	s_waitcnt vmcnt(5) lgkmcnt(4)
	v_mul_f32_e32 v142, v108, v116
	v_mov_b32_e32 v3, v10
	s_waitcnt vmcnt(1)
	v_mov_b32_e32 v158, v142
	v_mov_b32_e32 v222, v142
	;; [unrolled: 1-line block ×4, first 2 shown]
	s_waitcnt lgkmcnt(3)
	v_pk_fma_f32 v[40:41], v[142:143], v[0:1], v[2:3] op_sel_hi:[0,1,1] neg_lo:[1,0,0] neg_hi:[1,0,0]
	v_mov_b32_e32 v0, v11
	v_mov_b32_e32 v1, v12
	s_waitcnt lgkmcnt(2)
	v_pk_fma_f32 v[42:43], v[142:143], v[4:5], v[0:1] op_sel_hi:[0,1,1] neg_lo:[1,0,0] neg_hi:[1,0,0]
	v_mov_b32_e32 v0, v13
	v_mov_b32_e32 v1, v14
	;; [unrolled: 4-line block ×3, first 2 shown]
	s_waitcnt lgkmcnt(0)
	v_pk_fma_f32 v[46:47], v[142:143], v[8:9], v[0:1] op_sel_hi:[0,1,1] neg_lo:[1,0,0] neg_hi:[1,0,0]
	ds_read2_b32 v[0:1], v252 offset0:17 offset1:18
	v_mov_b32_e32 v2, v17
	v_mov_b32_e32 v3, v18
	ds_read2_b32 v[4:5], v252 offset0:19 offset1:20
	ds_read_b32 v6, v252 offset:84
	v_mov_b32_e32 v7, v141
	s_waitcnt lgkmcnt(2)
	v_pk_fma_f32 v[48:49], v[142:143], v[0:1], v[2:3] op_sel_hi:[0,1,1] neg_lo:[1,0,0] neg_hi:[1,0,0]
	v_mov_b32_e32 v0, v19
	v_mov_b32_e32 v1, v20
	scratch_load_dwordx4 v[8:11], off, off  ; 16-byte Folded Reload
	scratch_load_dwordx4 v[12:15], off, off offset:16 ; 16-byte Folded Reload
	scratch_load_dwordx4 v[16:19], off, off offset:32 ; 16-byte Folded Reload
	scratch_load_dwordx4 v[20:23], off, off offset:48 ; 16-byte Folded Reload
	scratch_load_dwordx4 v[24:27], off, off offset:64 ; 16-byte Folded Reload
	scratch_load_dwordx4 v[28:31], off, off offset:80 ; 16-byte Folded Reload
	scratch_load_dwordx4 v[32:35], off, off offset:96 ; 16-byte Folded Reload
	scratch_load_dwordx4 v[36:39], off, off offset:112 ; 16-byte Folded Reload
	s_waitcnt lgkmcnt(1)
	v_pk_fma_f32 v[50:51], v[142:143], v[4:5], v[0:1] op_sel_hi:[0,1,1] neg_lo:[1,0,0] neg_hi:[1,0,0]
	v_mov_b32_e32 v0, v134
	v_mov_b32_e32 v1, v135
	;; [unrolled: 1-line block ×6, first 2 shown]
	s_waitcnt vmcnt(7)
	v_mov_b32_e32 v8, v142
	v_mov_b32_e32 v9, v40
	;; [unrolled: 1-line block ×16, first 2 shown]
	s_waitcnt vmcnt(1)
	v_mov_b32_e32 v32, v41
	v_mov_b32_e32 v33, v42
	;; [unrolled: 1-line block ×4, first 2 shown]
	s_waitcnt vmcnt(0)
	v_mov_b32_e32 v36, v45
	v_mov_b32_e32 v37, v46
	;; [unrolled: 1-line block ×33, first 2 shown]
	s_waitcnt lgkmcnt(0)
	v_fma_f32 v21, -v142, v6, v29
	v_mov_b32_e32 v6, v140
	scratch_store_dwordx4 off, v[0:3], off offset:896 ; 16-byte Folded Spill
	s_nop 0
	scratch_store_dwordx4 off, v[4:7], off offset:912 ; 16-byte Folded Spill
	scratch_store_dwordx4 off, v[8:11], off offset:928 ; 16-byte Folded Spill
	scratch_store_dwordx4 off, v[12:15], off offset:944 ; 16-byte Folded Spill
	scratch_store_dwordx4 off, v[16:19], off offset:960 ; 16-byte Folded Spill
	scratch_store_dwordx4 off, v[20:23], off offset:976 ; 16-byte Folded Spill
	scratch_store_dwordx4 off, v[24:27], off offset:992 ; 16-byte Folded Spill
	scratch_store_dwordx4 off, v[28:31], off offset:1008 ; 16-byte Folded Spill
	v_mov_b32_e32 v11, v42
	scratch_store_dwordx4 off, v[0:3], off offset:768 ; 16-byte Folded Spill
	s_nop 0
	scratch_store_dwordx4 off, v[4:7], off offset:784 ; 16-byte Folded Spill
	scratch_store_dwordx4 off, v[8:11], off offset:800 ; 16-byte Folded Spill
	scratch_store_dwordx4 off, v[12:15], off offset:816 ; 16-byte Folded Spill
	scratch_store_dwordx4 off, v[16:19], off offset:832 ; 16-byte Folded Spill
	scratch_store_dwordx4 off, v[20:23], off offset:848 ; 16-byte Folded Spill
	scratch_store_dwordx4 off, v[24:27], off offset:864 ; 16-byte Folded Spill
	scratch_store_dwordx4 off, v[28:31], off offset:880 ; 16-byte Folded Spill
	;; [unrolled: 10-line block ×4, first 2 shown]
	v_mov_b32_e32 v14, v45
	v_mov_b32_e32 v15, v46
	scratch_store_dwordx4 off, v[0:3], off offset:384 ; 16-byte Folded Spill
	s_nop 0
	scratch_store_dwordx4 off, v[4:7], off offset:400 ; 16-byte Folded Spill
	scratch_store_dwordx4 off, v[8:11], off offset:416 ; 16-byte Folded Spill
	;; [unrolled: 1-line block ×7, first 2 shown]
	v_mov_b32_e32 v16, v47
	scratch_store_dwordx4 off, v[0:3], off offset:256 ; 16-byte Folded Spill
	s_nop 0
	scratch_store_dwordx4 off, v[4:7], off offset:272 ; 16-byte Folded Spill
	scratch_store_dwordx4 off, v[8:11], off offset:288 ; 16-byte Folded Spill
	;; [unrolled: 1-line block ×7, first 2 shown]
	v_mov_b32_e32 v22, v134
	v_mov_b32_e32 v23, v135
	;; [unrolled: 1-line block ×13, first 2 shown]
	scratch_store_dwordx4 off, v[0:3], off offset:1024 ; 16-byte Folded Spill
	s_nop 0
	scratch_store_dwordx4 off, v[4:7], off offset:1040 ; 16-byte Folded Spill
	scratch_store_dwordx4 off, v[8:11], off offset:1056 ; 16-byte Folded Spill
	;; [unrolled: 1-line block ×7, first 2 shown]
	v_mov_b32_e32 v20, v51
	scratch_store_dwordx4 off, v[134:137], off offset:1152 ; 16-byte Folded Spill
	s_nop 0
	scratch_store_dwordx4 off, v[138:141], off offset:1168 ; 16-byte Folded Spill
	scratch_store_dwordx4 off, v[142:145], off offset:1184 ; 16-byte Folded Spill
	;; [unrolled: 1-line block ×8, first 2 shown]
	s_nop 0
	scratch_store_dwordx4 off, v[138:141], off offset:1296 ; 16-byte Folded Spill
	scratch_store_dwordx4 off, v[142:145], off offset:1312 ; 16-byte Folded Spill
	;; [unrolled: 1-line block ×7, first 2 shown]
	v_mov_b32_e32 v83, v21
	scratch_store_dwordx4 off, v[62:65], off ; 16-byte Folded Spill
	s_nop 0
	scratch_store_dwordx4 off, v[66:69], off offset:16 ; 16-byte Folded Spill
	scratch_store_dwordx4 off, v[70:73], off offset:32 ; 16-byte Folded Spill
	;; [unrolled: 1-line block ×8, first 2 shown]
	s_nop 0
	scratch_store_dwordx4 off, v[26:29], off offset:144 ; 16-byte Folded Spill
	scratch_store_dwordx4 off, v[30:33], off offset:160 ; 16-byte Folded Spill
	;; [unrolled: 1-line block ×7, first 2 shown]
.LBB43_48:
	s_or_b64 exec, exec, s[2:3]
	v_cmp_eq_u32_e32 vcc, 9, v250
	s_waitcnt lgkmcnt(0)
	s_barrier
	s_and_saveexec_b64 s[2:3], vcc
	s_cbranch_execz .LBB43_51
; %bb.49:
	ds_write_b32 v251, v143
	ds_write2_b64 v252, v[10:11], v[12:13] offset0:5 offset1:6
	ds_write2_b64 v252, v[14:15], v[16:17] offset0:7 offset1:8
	;; [unrolled: 1-line block ×3, first 2 shown]
	ds_read_b32 v40, v251
	s_waitcnt lgkmcnt(0)
	v_cmp_neq_f32_e32 vcc, 0, v40
	s_and_b64 exec, exec, vcc
	s_cbranch_execz .LBB43_51
; %bb.50:
	v_div_scale_f32 v41, s[4:5], v40, v40, 1.0
	v_rcp_f32_e32 v42, v41
	v_div_scale_f32 v43, vcc, 1.0, v40, 1.0
	v_fma_f32 v44, -v41, v42, 1.0
	v_fmac_f32_e32 v42, v44, v42
	v_mul_f32_e32 v44, v43, v42
	v_fma_f32 v45, -v41, v44, v43
	v_fmac_f32_e32 v44, v45, v42
	v_fma_f32 v41, -v41, v44, v43
	v_div_fmas_f32 v41, v41, v42, v44
	v_div_fixup_f32 v40, v41, v40, 1.0
	ds_write_b32 v251, v40
.LBB43_51:
	s_or_b64 exec, exec, s[2:3]
	s_waitcnt lgkmcnt(0)
	s_barrier
	ds_read_b32 v117, v251
	v_cmp_lt_u32_e32 vcc, 9, v250
	s_and_saveexec_b64 s[2:3], vcc
	s_cbranch_execz .LBB43_53
; %bb.52:
	ds_read2_b64 v[0:3], v252 offset0:5 offset1:6
	ds_read2_b64 v[4:7], v252 offset0:7 offset1:8
	;; [unrolled: 1-line block ×3, first 2 shown]
	scratch_load_dwordx4 v[80:83], off, off offset:1280 ; 16-byte Folded Reload
	scratch_load_dwordx4 v[84:87], off, off offset:1296 ; 16-byte Folded Reload
	;; [unrolled: 1-line block ×8, first 2 shown]
	s_waitcnt lgkmcnt(3)
	v_mul_f32_e32 v8, v143, v117
	s_waitcnt lgkmcnt(2)
	v_pk_fma_f32 v[52:53], v[8:9], v[0:1], v[10:11] op_sel_hi:[0,1,1] neg_lo:[1,0,0] neg_hi:[1,0,0]
	v_mov_b32_e32 v51, v8
	s_waitcnt lgkmcnt(0)
	v_pk_fma_f32 v[20:21], v[8:9], v[42:43], v[20:21] op_sel_hi:[0,1,1] neg_lo:[1,0,0] neg_hi:[1,0,0]
	v_mov_b32_e32 v31, v8
	v_mov_b32_e32 v32, v52
	;; [unrolled: 1-line block ×3, first 2 shown]
	v_pk_fma_f32 v[146:147], v[8:9], v[2:3], v[12:13] op_sel_hi:[0,1,1] neg_lo:[1,0,0] neg_hi:[1,0,0]
	v_pk_fma_f32 v[164:165], v[8:9], v[4:5], v[14:15] op_sel_hi:[0,1,1] neg_lo:[1,0,0] neg_hi:[1,0,0]
	s_waitcnt vmcnt(13)
	v_pk_fma_f32 v[182:183], v[8:9], v[6:7], v[16:17] op_sel_hi:[0,1,1] neg_lo:[1,0,0] neg_hi:[1,0,0]
	v_mov_b32_e32 v63, v8
	v_mov_b32_e32 v66, v146
	;; [unrolled: 1-line block ×30, first 2 shown]
	s_waitcnt vmcnt(0)
	v_mov_b32_e32 v114, v88
	v_mov_b32_e32 v113, v87
	;; [unrolled: 1-line block ×27, first 2 shown]
	scratch_store_dwordx4 off, v[22:25], off offset:768 ; 16-byte Folded Spill
	s_nop 0
	scratch_store_dwordx4 off, v[26:29], off offset:784 ; 16-byte Folded Spill
	scratch_store_dwordx4 off, v[30:33], off offset:800 ; 16-byte Folded Spill
	;; [unrolled: 1-line block ×7, first 2 shown]
	v_mov_b32_e32 v34, v146
	v_mov_b32_e32 v35, v147
	;; [unrolled: 1-line block ×57, first 2 shown]
	scratch_store_dwordx4 off, v[22:25], off offset:512 ; 16-byte Folded Spill
	s_nop 0
	scratch_store_dwordx4 off, v[26:29], off offset:528 ; 16-byte Folded Spill
	scratch_store_dwordx4 off, v[30:33], off offset:544 ; 16-byte Folded Spill
	;; [unrolled: 1-line block ×7, first 2 shown]
	v_mov_b32_e32 v36, v164
	v_mov_b32_e32 v37, v165
	;; [unrolled: 1-line block ×4, first 2 shown]
	scratch_store_dwordx4 off, v[22:25], off offset:384 ; 16-byte Folded Spill
	s_nop 0
	scratch_store_dwordx4 off, v[26:29], off offset:400 ; 16-byte Folded Spill
	scratch_store_dwordx4 off, v[30:33], off offset:416 ; 16-byte Folded Spill
	;; [unrolled: 1-line block ×7, first 2 shown]
	v_mov_b32_e32 v38, v182
	v_mov_b32_e32 v39, v183
	v_pk_fma_f32 v[232:233], v[8:9], v[40:41], v[18:19] op_sel_hi:[0,1,1] neg_lo:[1,0,0] neg_hi:[1,0,0]
	v_mov_b32_e32 v64, v52
	v_mov_b32_e32 v65, v53
	;; [unrolled: 1-line block ×4, first 2 shown]
	scratch_store_dwordx4 off, v[54:57], off offset:1024 ; 16-byte Folded Spill
	s_nop 0
	scratch_store_dwordx4 off, v[58:61], off offset:1040 ; 16-byte Folded Spill
	scratch_store_dwordx4 off, v[62:65], off offset:1056 ; 16-byte Folded Spill
	;; [unrolled: 1-line block ×7, first 2 shown]
	v_mov_b32_e32 v9, v8
	v_mov_b32_e32 v80, v232
	;; [unrolled: 1-line block ×5, first 2 shown]
	scratch_store_dwordx4 off, v[106:109], off offset:1152 ; 16-byte Folded Spill
	s_nop 0
	scratch_store_dwordx4 off, v[110:113], off offset:1168 ; 16-byte Folded Spill
	scratch_store_dwordx4 off, v[114:117], off offset:1184 ; 16-byte Folded Spill
	;; [unrolled: 1-line block ×7, first 2 shown]
	v_mov_b32_e32 v58, v52
	v_mov_b32_e32 v176, v52
	v_mov_b32_e32 v177, v53
	v_mov_b32_e32 v224, v52
	v_mov_b32_e32 v225, v53
	v_mov_b32_e32 v10, v52
	v_mov_b32_e32 v11, v53
	v_mov_b32_e32 v106, v182
	v_mov_b32_e32 v18, v232
	v_mov_b32_e32 v19, v233
	scratch_store_dwordx4 off, v[62:65], off ; 16-byte Folded Spill
	s_nop 0
	scratch_store_dwordx4 off, v[66:69], off offset:16 ; 16-byte Folded Spill
	scratch_store_dwordx4 off, v[70:73], off offset:32 ; 16-byte Folded Spill
	;; [unrolled: 1-line block ×8, first 2 shown]
	s_nop 0
	scratch_store_dwordx4 off, v[46:49], off offset:912 ; 16-byte Folded Spill
	scratch_store_dwordx4 off, v[50:53], off offset:928 ; 16-byte Folded Spill
	;; [unrolled: 1-line block ×7, first 2 shown]
	v_mov_b32_e32 v56, v146
	scratch_store_dwordx4 off, v[134:137], off offset:640 ; 16-byte Folded Spill
	s_nop 0
	scratch_store_dwordx4 off, v[138:141], off offset:656 ; 16-byte Folded Spill
	scratch_store_dwordx4 off, v[142:145], off offset:672 ; 16-byte Folded Spill
	scratch_store_dwordx4 off, v[146:149], off offset:688 ; 16-byte Folded Spill
	scratch_store_dwordx4 off, v[150:153], off offset:704 ; 16-byte Folded Spill
	scratch_store_dwordx4 off, v[154:157], off offset:720 ; 16-byte Folded Spill
	scratch_store_dwordx4 off, v[158:161], off offset:736 ; 16-byte Folded Spill
	scratch_store_dwordx4 off, v[162:165], off offset:752 ; 16-byte Folded Spill
	scratch_store_dwordx4 off, v[166:169], off offset:256 ; 16-byte Folded Spill
	s_nop 0
	scratch_store_dwordx4 off, v[170:173], off offset:272 ; 16-byte Folded Spill
	scratch_store_dwordx4 off, v[174:177], off offset:288 ; 16-byte Folded Spill
	scratch_store_dwordx4 off, v[178:181], off offset:304 ; 16-byte Folded Spill
	scratch_store_dwordx4 off, v[182:185], off offset:320 ; 16-byte Folded Spill
	scratch_store_dwordx4 off, v[186:189], off offset:336 ; 16-byte Folded Spill
	scratch_store_dwordx4 off, v[190:193], off offset:352 ; 16-byte Folded Spill
	scratch_store_dwordx4 off, v[194:197], off offset:368 ; 16-byte Folded Spill
	;; [unrolled: 9-line block ×3, first 2 shown]
	v_mov_b32_e32 v59, v53
	v_mov_b32_e32 v57, v147
	;; [unrolled: 1-line block ×5, first 2 shown]
.LBB43_53:
	s_or_b64 exec, exec, s[2:3]
	v_cmp_eq_u32_e32 vcc, 10, v250
	s_waitcnt lgkmcnt(0)
	s_barrier
	s_and_saveexec_b64 s[2:3], vcc
	s_cbranch_execz .LBB43_56
; %bb.54:
	ds_write_b32 v251, v58
	ds_write2_b32 v252, v11, v12 offset0:11 offset1:12
	ds_write2_b32 v252, v13, v14 offset0:13 offset1:14
	;; [unrolled: 1-line block ×5, first 2 shown]
	scratch_load_dwordx4 v[166:169], off, off ; 16-byte Folded Reload
	scratch_load_dwordx4 v[170:173], off, off offset:16 ; 16-byte Folded Reload
	scratch_load_dwordx4 v[174:177], off, off offset:32 ; 16-byte Folded Reload
	scratch_load_dwordx4 v[178:181], off, off offset:48 ; 16-byte Folded Reload
	scratch_load_dwordx4 v[182:185], off, off offset:64 ; 16-byte Folded Reload
	scratch_load_dwordx4 v[186:189], off, off offset:80 ; 16-byte Folded Reload
	scratch_load_dwordx4 v[190:193], off, off offset:96 ; 16-byte Folded Reload
	scratch_load_dwordx4 v[194:197], off, off offset:112 ; 16-byte Folded Reload
	s_waitcnt vmcnt(2)
	ds_write_b32 v252, v187 offset:84
	ds_read_b32 v40, v251
	s_waitcnt lgkmcnt(0)
	v_cmp_neq_f32_e32 vcc, 0, v40
	s_and_b64 exec, exec, vcc
	s_cbranch_execz .LBB43_56
; %bb.55:
	v_div_scale_f32 v41, s[4:5], v40, v40, 1.0
	v_rcp_f32_e32 v42, v41
	v_div_scale_f32 v43, vcc, 1.0, v40, 1.0
	v_fma_f32 v44, -v41, v42, 1.0
	v_fmac_f32_e32 v42, v44, v42
	v_mul_f32_e32 v44, v43, v42
	v_fma_f32 v45, -v41, v44, v43
	v_fmac_f32_e32 v44, v45, v42
	v_fma_f32 v41, -v41, v44, v43
	v_div_fmas_f32 v41, v41, v42, v44
	v_div_fixup_f32 v40, v41, v40, 1.0
	ds_write_b32 v251, v40
.LBB43_56:
	s_or_b64 exec, exec, s[2:3]
	s_waitcnt lgkmcnt(0)
	s_barrier
	ds_read_b32 v112, v251
	v_cmp_lt_u32_e32 vcc, 10, v250
	s_mov_b64 s[2:3], exec
	scratch_load_dwordx4 v[74:77], off, off offset:1024 ; 16-byte Folded Reload
	scratch_load_dwordx4 v[78:81], off, off offset:1040 ; 16-byte Folded Reload
	;; [unrolled: 1-line block ×8, first 2 shown]
	s_and_b64 s[4:5], s[2:3], vcc
	s_mov_b64 exec, s[4:5]
	s_cbranch_execz .LBB43_58
; %bb.57:
	scratch_load_dwordx4 v[134:137], off, off offset:1152 ; 16-byte Folded Reload
	scratch_load_dwordx4 v[138:141], off, off offset:1168 ; 16-byte Folded Reload
	;; [unrolled: 1-line block ×8, first 2 shown]
	ds_read2_b32 v[0:1], v252 offset0:11 offset1:12
	ds_read2_b32 v[4:5], v252 offset0:13 offset1:14
	;; [unrolled: 1-line block ×4, first 2 shown]
	s_waitcnt vmcnt(5) lgkmcnt(4)
	v_mul_f32_e32 v144, v58, v112
	v_mov_b32_e32 v2, v11
	v_mov_b32_e32 v3, v12
	s_waitcnt vmcnt(1)
	v_mov_b32_e32 v160, v144
	v_mov_b32_e32 v224, v144
	;; [unrolled: 1-line block ×5, first 2 shown]
	s_waitcnt lgkmcnt(3)
	v_pk_fma_f32 v[40:41], v[144:145], v[0:1], v[2:3] op_sel_hi:[0,1,1] neg_lo:[1,0,0] neg_hi:[1,0,0]
	v_mov_b32_e32 v0, v13
	v_mov_b32_e32 v1, v14
	s_waitcnt lgkmcnt(2)
	v_pk_fma_f32 v[42:43], v[144:145], v[4:5], v[0:1] op_sel_hi:[0,1,1] neg_lo:[1,0,0] neg_hi:[1,0,0]
	v_mov_b32_e32 v0, v15
	v_mov_b32_e32 v1, v16
	;; [unrolled: 4-line block ×3, first 2 shown]
	ds_read2_b32 v[2:3], v252 offset0:19 offset1:20
	ds_read_b32 v4, v252 offset:84
	s_waitcnt lgkmcnt(2)
	v_pk_fma_f32 v[46:47], v[144:145], v[8:9], v[0:1] op_sel_hi:[0,1,1] neg_lo:[1,0,0] neg_hi:[1,0,0]
	v_mov_b32_e32 v0, v19
	v_mov_b32_e32 v1, v20
	scratch_load_dwordx4 v[6:9], off, off   ; 16-byte Folded Reload
	scratch_load_dwordx4 v[10:13], off, off offset:16 ; 16-byte Folded Reload
	scratch_load_dwordx4 v[14:17], off, off offset:32 ; 16-byte Folded Reload
	;; [unrolled: 1-line block ×7, first 2 shown]
	s_waitcnt lgkmcnt(1)
	v_pk_fma_f32 v[48:49], v[144:145], v[2:3], v[0:1] op_sel_hi:[0,1,1] neg_lo:[1,0,0] neg_hi:[1,0,0]
	v_mov_b32_e32 v0, v134
	v_mov_b32_e32 v1, v135
	;; [unrolled: 1-line block ×5, first 2 shown]
	s_waitcnt vmcnt(7)
	v_mov_b32_e32 v6, v140
	v_mov_b32_e32 v7, v141
	;; [unrolled: 1-line block ×4, first 2 shown]
	s_waitcnt vmcnt(6)
	v_mov_b32_e32 v10, v144
	v_mov_b32_e32 v11, v40
	;; [unrolled: 1-line block ×16, first 2 shown]
	s_waitcnt vmcnt(1)
	v_mov_b32_e32 v32, v144
	v_mov_b32_e32 v33, v40
	s_waitcnt vmcnt(0)
	v_mov_b32_e32 v34, v41
	v_mov_b32_e32 v35, v42
	v_mov_b32_e32 v36, v43
	v_mov_b32_e32 v37, v44
	v_mov_b32_e32 v38, v45
	v_mov_b32_e32 v39, v46
	v_mov_b32_e32 v50, v47
	v_mov_b32_e32 v52, v49
	v_mov_b32_e32 v214, v134
	v_mov_b32_e32 v215, v135
	v_mov_b32_e32 v216, v136
	v_mov_b32_e32 v217, v137
	v_mov_b32_e32 v218, v138
	v_mov_b32_e32 v219, v139
	v_mov_b32_e32 v220, v140
	v_mov_b32_e32 v221, v141
	v_mov_b32_e32 v222, v142
	v_mov_b32_e32 v223, v143
	v_mov_b32_e32 v225, v40
	v_mov_b32_e32 v226, v41
	v_mov_b32_e32 v227, v42
	v_mov_b32_e32 v228, v43
	v_mov_b32_e32 v229, v44
	v_mov_b32_e32 v230, v45
	v_mov_b32_e32 v231, v46
	v_mov_b32_e32 v232, v47
	v_mov_b32_e32 v74, v134
	v_mov_b32_e32 v75, v135
	v_mov_b32_e32 v76, v136
	v_mov_b32_e32 v77, v137
	v_mov_b32_e32 v78, v138
	v_mov_b32_e32 v79, v139
	v_mov_b32_e32 v80, v140
	v_mov_b32_e32 v81, v141
	v_mov_b32_e32 v82, v142
	v_mov_b32_e32 v83, v143
	v_mov_b32_e32 v85, v40
	v_mov_b32_e32 v86, v41
	v_mov_b32_e32 v87, v42
	v_mov_b32_e32 v88, v43
	v_mov_b32_e32 v89, v44
	v_mov_b32_e32 v90, v45
	v_mov_b32_e32 v91, v46
	v_mov_b32_e32 v92, v47
	v_mov_b32_e32 v93, v48
	s_waitcnt lgkmcnt(0)
	v_fma_f32 v21, -v144, v4, v27
	v_mov_b32_e32 v4, v138
	scratch_store_dwordx4 off, v[0:3], off offset:640 ; 16-byte Folded Spill
	s_nop 0
	scratch_store_dwordx4 off, v[4:7], off offset:656 ; 16-byte Folded Spill
	scratch_store_dwordx4 off, v[8:11], off offset:672 ; 16-byte Folded Spill
	;; [unrolled: 1-line block ×7, first 2 shown]
	v_mov_b32_e32 v13, v42
	scratch_store_dwordx4 off, v[0:3], off offset:512 ; 16-byte Folded Spill
	s_nop 0
	scratch_store_dwordx4 off, v[4:7], off offset:528 ; 16-byte Folded Spill
	scratch_store_dwordx4 off, v[8:11], off offset:544 ; 16-byte Folded Spill
	;; [unrolled: 1-line block ×7, first 2 shown]
	v_mov_b32_e32 v14, v43
	v_mov_b32_e32 v15, v44
	scratch_store_dwordx4 off, v[0:3], off offset:384 ; 16-byte Folded Spill
	s_nop 0
	scratch_store_dwordx4 off, v[4:7], off offset:400 ; 16-byte Folded Spill
	scratch_store_dwordx4 off, v[8:11], off offset:416 ; 16-byte Folded Spill
	;; [unrolled: 1-line block ×7, first 2 shown]
	v_mov_b32_e32 v16, v45
	scratch_store_dwordx4 off, v[0:3], off offset:256 ; 16-byte Folded Spill
	s_nop 0
	scratch_store_dwordx4 off, v[4:7], off offset:272 ; 16-byte Folded Spill
	scratch_store_dwordx4 off, v[8:11], off offset:288 ; 16-byte Folded Spill
	;; [unrolled: 1-line block ×7, first 2 shown]
	v_mov_b32_e32 v22, v134
	v_mov_b32_e32 v23, v135
	;; [unrolled: 1-line block ×14, first 2 shown]
	scratch_store_dwordx4 off, v[134:137], off offset:768 ; 16-byte Folded Spill
	s_nop 0
	scratch_store_dwordx4 off, v[138:141], off offset:784 ; 16-byte Folded Spill
	scratch_store_dwordx4 off, v[142:145], off offset:800 ; 16-byte Folded Spill
	;; [unrolled: 1-line block ×8, first 2 shown]
	s_nop 0
	scratch_store_dwordx4 off, v[138:141], off offset:912 ; 16-byte Folded Spill
	scratch_store_dwordx4 off, v[142:145], off offset:928 ; 16-byte Folded Spill
	;; [unrolled: 1-line block ×7, first 2 shown]
	v_mov_b32_e32 v53, v21
	scratch_store_dwordx4 off, v[32:35], off ; 16-byte Folded Spill
	s_nop 0
	scratch_store_dwordx4 off, v[36:39], off offset:16 ; 16-byte Folded Spill
	scratch_store_dwordx4 off, v[40:43], off offset:32 ; 16-byte Folded Spill
	;; [unrolled: 1-line block ×7, first 2 shown]
	v_mov_b32_e32 v54, v43
	v_mov_b32_e32 v59, v40
	;; [unrolled: 1-line block ×8, first 2 shown]
	scratch_store_dwordx4 off, v[22:25], off offset:128 ; 16-byte Folded Spill
	s_nop 0
	scratch_store_dwordx4 off, v[26:29], off offset:144 ; 16-byte Folded Spill
	scratch_store_dwordx4 off, v[30:33], off offset:160 ; 16-byte Folded Spill
	;; [unrolled: 1-line block ×7, first 2 shown]
.LBB43_58:
	s_or_b64 exec, exec, s[2:3]
	v_cmp_eq_u32_e32 vcc, 11, v250
	s_waitcnt lgkmcnt(0)
	s_barrier
	s_and_saveexec_b64 s[2:3], vcc
	s_cbranch_execz .LBB43_61
; %bb.59:
	ds_write_b32 v251, v59
	ds_write2_b64 v252, v[12:13], v[14:15] offset0:6 offset1:7
	ds_write2_b64 v252, v[16:17], v[18:19] offset0:8 offset1:9
	ds_write_b64 v252, v[20:21] offset:80
	ds_read_b32 v40, v251
	s_waitcnt lgkmcnt(0)
	v_cmp_neq_f32_e32 vcc, 0, v40
	s_and_b64 exec, exec, vcc
	s_cbranch_execz .LBB43_61
; %bb.60:
	v_div_scale_f32 v41, s[4:5], v40, v40, 1.0
	v_rcp_f32_e32 v42, v41
	v_div_scale_f32 v43, vcc, 1.0, v40, 1.0
	v_fma_f32 v44, -v41, v42, 1.0
	v_fmac_f32_e32 v42, v44, v42
	v_mul_f32_e32 v44, v43, v42
	v_fma_f32 v45, -v41, v44, v43
	v_fmac_f32_e32 v44, v45, v42
	v_fma_f32 v41, -v41, v44, v43
	v_div_fmas_f32 v41, v41, v42, v44
	v_div_fixup_f32 v40, v41, v40, 1.0
	ds_write_b32 v251, v40
.LBB43_61:
	s_or_b64 exec, exec, s[2:3]
	s_waitcnt lgkmcnt(0)
	s_barrier
	ds_read_b32 v246, v251
	v_cmp_lt_u32_e32 vcc, 11, v250
	s_and_saveexec_b64 s[2:3], vcc
	s_cbranch_execz .LBB43_63
; %bb.62:
	ds_read2_b64 v[0:3], v252 offset0:6 offset1:7
	ds_read2_b64 v[4:7], v252 offset0:8 offset1:9
	ds_read_b64 v[8:9], v252 offset:80
	scratch_load_dwordx4 v[22:25], off, off offset:896 ; 16-byte Folded Reload
	scratch_load_dwordx4 v[26:29], off, off offset:912 ; 16-byte Folded Reload
	;; [unrolled: 1-line block ×8, first 2 shown]
	s_waitcnt lgkmcnt(3)
	v_mul_f32_e32 v10, v59, v246
	s_waitcnt lgkmcnt(2)
	v_pk_fma_f32 v[70:71], v[10:11], v[0:1], v[12:13] op_sel_hi:[0,1,1] neg_lo:[1,0,0] neg_hi:[1,0,0]
	s_waitcnt vmcnt(0)
	v_mov_b32_e32 v51, v10
	v_mov_b32_e32 v33, v10
	;; [unrolled: 1-line block ×4, first 2 shown]
	v_pk_fma_f32 v[164:165], v[10:11], v[2:3], v[14:15] op_sel_hi:[0,1,1] neg_lo:[1,0,0] neg_hi:[1,0,0]
	v_mov_b32_e32 v69, v10
	s_waitcnt lgkmcnt(1)
	v_pk_fma_f32 v[212:213], v[10:11], v[4:5], v[16:17] op_sel_hi:[0,1,1] neg_lo:[1,0,0] neg_hi:[1,0,0]
	s_waitcnt lgkmcnt(0)
	v_pk_fma_f32 v[20:21], v[10:11], v[8:9], v[20:21] op_sel_hi:[0,1,1] neg_lo:[1,0,0] neg_hi:[1,0,0]
	v_mov_b32_e32 v161, v10
	v_mov_b32_e32 v162, v70
	;; [unrolled: 1-line block ×6, first 2 shown]
	v_pk_fma_f32 v[232:233], v[10:11], v[6:7], v[18:19] op_sel_hi:[0,1,1] neg_lo:[1,0,0] neg_hi:[1,0,0]
	v_mov_b32_e32 v225, v10
	v_mov_b32_e32 v226, v70
	;; [unrolled: 1-line block ×50, first 2 shown]
	scratch_store_dwordx4 off, v[22:25], off offset:512 ; 16-byte Folded Spill
	s_nop 0
	scratch_store_dwordx4 off, v[26:29], off offset:528 ; 16-byte Folded Spill
	scratch_store_dwordx4 off, v[30:33], off offset:544 ; 16-byte Folded Spill
	;; [unrolled: 1-line block ×7, first 2 shown]
	v_mov_b32_e32 v36, v164
	v_mov_b32_e32 v37, v165
	;; [unrolled: 1-line block ×13, first 2 shown]
	scratch_store_dwordx4 off, v[22:25], off offset:384 ; 16-byte Folded Spill
	s_nop 0
	scratch_store_dwordx4 off, v[26:29], off offset:400 ; 16-byte Folded Spill
	scratch_store_dwordx4 off, v[30:33], off offset:416 ; 16-byte Folded Spill
	;; [unrolled: 1-line block ×7, first 2 shown]
	v_mov_b32_e32 v38, v212
	v_mov_b32_e32 v39, v213
	v_mov_b32_e32 v196, v40
	v_mov_b32_e32 v197, v41
	v_mov_b32_e32 v198, v42
	v_mov_b32_e32 v199, v43
	v_mov_b32_e32 v200, v44
	v_mov_b32_e32 v201, v45
	v_mov_b32_e32 v202, v46
	v_mov_b32_e32 v203, v47
	v_mov_b32_e32 v204, v48
	v_mov_b32_e32 v205, v49
	v_mov_b32_e32 v206, v50
	v_mov_b32_e32 v214, v40
	v_mov_b32_e32 v215, v41
	v_mov_b32_e32 v216, v42
	v_mov_b32_e32 v217, v43
	v_mov_b32_e32 v218, v44
	v_mov_b32_e32 v219, v45
	v_mov_b32_e32 v220, v46
	v_mov_b32_e32 v221, v47
	v_mov_b32_e32 v222, v48
	v_mov_b32_e32 v223, v49
	v_mov_b32_e32 v224, v50
	v_mov_b32_e32 v74, v40
	v_mov_b32_e32 v75, v41
	v_mov_b32_e32 v76, v42
	v_mov_b32_e32 v77, v43
	v_mov_b32_e32 v78, v44
	v_mov_b32_e32 v79, v45
	v_mov_b32_e32 v80, v46
	v_mov_b32_e32 v81, v47
	v_mov_b32_e32 v82, v48
	v_mov_b32_e32 v83, v49
	v_mov_b32_e32 v84, v50
	v_mov_b32_e32 v0, v40
	v_mov_b32_e32 v1, v41
	v_mov_b32_e32 v2, v42
	v_mov_b32_e32 v3, v43
	v_mov_b32_e32 v4, v44
	v_mov_b32_e32 v5, v45
	v_mov_b32_e32 v6, v46
	v_mov_b32_e32 v7, v47
	v_mov_b32_e32 v8, v48
	v_mov_b32_e32 v9, v49
	v_mov_b32_e32 v10, v50
	scratch_store_dwordx4 off, v[40:43], off offset:768 ; 16-byte Folded Spill
	s_nop 0
	scratch_store_dwordx4 off, v[44:47], off offset:784 ; 16-byte Folded Spill
	scratch_store_dwordx4 off, v[48:51], off offset:800 ; 16-byte Folded Spill
	;; [unrolled: 1-line block ×7, first 2 shown]
	v_mov_b32_e32 v40, v232
	v_mov_b32_e32 v42, v20
	;; [unrolled: 1-line block ×3, first 2 shown]
	scratch_store_dwordx4 off, v[22:25], off ; 16-byte Folded Spill
	s_nop 0
	scratch_store_dwordx4 off, v[26:29], off offset:16 ; 16-byte Folded Spill
	scratch_store_dwordx4 off, v[30:33], off offset:32 ; 16-byte Folded Spill
	;; [unrolled: 1-line block ×7, first 2 shown]
	v_mov_b32_e32 v56, v70
	scratch_store_dwordx4 off, v[58:61], off offset:640 ; 16-byte Folded Spill
	s_nop 0
	scratch_store_dwordx4 off, v[62:65], off offset:656 ; 16-byte Folded Spill
	scratch_store_dwordx4 off, v[66:69], off offset:672 ; 16-byte Folded Spill
	scratch_store_dwordx4 off, v[70:73], off offset:688 ; 16-byte Folded Spill
	scratch_store_dwordx4 off, v[74:77], off offset:704 ; 16-byte Folded Spill
	scratch_store_dwordx4 off, v[78:81], off offset:720 ; 16-byte Folded Spill
	scratch_store_dwordx4 off, v[82:85], off offset:736 ; 16-byte Folded Spill
	scratch_store_dwordx4 off, v[86:89], off offset:752 ; 16-byte Folded Spill
	scratch_store_dwordx4 off, v[196:199], off offset:256 ; 16-byte Folded Spill
	s_nop 0
	scratch_store_dwordx4 off, v[200:203], off offset:272 ; 16-byte Folded Spill
	scratch_store_dwordx4 off, v[204:207], off offset:288 ; 16-byte Folded Spill
	scratch_store_dwordx4 off, v[208:211], off offset:304 ; 16-byte Folded Spill
	scratch_store_dwordx4 off, v[212:215], off offset:320 ; 16-byte Folded Spill
	scratch_store_dwordx4 off, v[216:219], off offset:336 ; 16-byte Folded Spill
	scratch_store_dwordx4 off, v[220:223], off offset:352 ; 16-byte Folded Spill
	scratch_store_dwordx4 off, v[224:227], off offset:368 ; 16-byte Folded Spill
	v_mov_b32_e32 v54, v164
	v_mov_b32_e32 v55, v165
	scratch_store_dwordx4 off, v[214:217], off offset:128 ; 16-byte Folded Spill
	s_nop 0
	scratch_store_dwordx4 off, v[218:221], off offset:144 ; 16-byte Folded Spill
	scratch_store_dwordx4 off, v[222:225], off offset:160 ; 16-byte Folded Spill
	;; [unrolled: 1-line block ×7, first 2 shown]
	v_mov_b32_e32 v57, v71
	v_mov_b32_e32 v111, v213
.LBB43_63:
	s_or_b64 exec, exec, s[2:3]
	v_cmp_eq_u32_e32 vcc, 12, v250
	s_waitcnt lgkmcnt(0)
	s_barrier
	s_and_saveexec_b64 s[2:3], vcc
	s_cbranch_execz .LBB43_66
; %bb.64:
	ds_write_b32 v251, v56
	ds_write2_b32 v252, v13, v14 offset0:13 offset1:14
	ds_write2_b32 v252, v15, v16 offset0:15 offset1:16
	;; [unrolled: 1-line block ×4, first 2 shown]
	scratch_load_dwordx4 v[166:169], off, off ; 16-byte Folded Reload
	scratch_load_dwordx4 v[170:173], off, off offset:16 ; 16-byte Folded Reload
	scratch_load_dwordx4 v[174:177], off, off offset:32 ; 16-byte Folded Reload
	;; [unrolled: 1-line block ×7, first 2 shown]
	s_waitcnt vmcnt(2)
	ds_write_b32 v252, v187 offset:84
	ds_read_b32 v40, v251
	s_waitcnt lgkmcnt(0)
	v_cmp_neq_f32_e32 vcc, 0, v40
	s_and_b64 exec, exec, vcc
	s_cbranch_execz .LBB43_66
; %bb.65:
	v_div_scale_f32 v41, s[4:5], v40, v40, 1.0
	v_rcp_f32_e32 v42, v41
	v_div_scale_f32 v43, vcc, 1.0, v40, 1.0
	v_fma_f32 v44, -v41, v42, 1.0
	v_fmac_f32_e32 v42, v44, v42
	v_mul_f32_e32 v44, v43, v42
	v_fma_f32 v45, -v41, v44, v43
	v_fmac_f32_e32 v44, v45, v42
	v_fma_f32 v41, -v41, v44, v43
	v_div_fmas_f32 v41, v41, v42, v44
	v_div_fixup_f32 v40, v41, v40, 1.0
	ds_write_b32 v251, v40
.LBB43_66:
	s_or_b64 exec, exec, s[2:3]
	s_waitcnt lgkmcnt(0)
	s_barrier
	ds_read_b32 v247, v251
	v_cmp_lt_u32_e32 vcc, 12, v250
	s_and_saveexec_b64 s[2:3], vcc
	s_cbranch_execz .LBB43_68
; %bb.67:
	scratch_load_dwordx4 v[182:185], off, off offset:768 ; 16-byte Folded Reload
	scratch_load_dwordx4 v[186:189], off, off offset:784 ; 16-byte Folded Reload
	;; [unrolled: 1-line block ×8, first 2 shown]
	ds_read2_b32 v[0:1], v252 offset0:13 offset1:14
	ds_read2_b32 v[4:5], v252 offset0:15 offset1:16
	;; [unrolled: 1-line block ×4, first 2 shown]
	s_waitcnt vmcnt(4) lgkmcnt(4)
	v_mul_f32_e32 v194, v56, v247
	v_mov_b32_e32 v2, v13
	v_mov_b32_e32 v3, v14
	;; [unrolled: 1-line block ×7, first 2 shown]
	s_waitcnt lgkmcnt(3)
	v_pk_fma_f32 v[40:41], v[194:195], v[0:1], v[2:3] op_sel_hi:[0,1,1] neg_lo:[1,0,0] neg_hi:[1,0,0]
	v_mov_b32_e32 v0, v15
	v_mov_b32_e32 v1, v16
	s_waitcnt lgkmcnt(2)
	v_pk_fma_f32 v[42:43], v[194:195], v[4:5], v[0:1] op_sel_hi:[0,1,1] neg_lo:[1,0,0] neg_hi:[1,0,0]
	v_mov_b32_e32 v0, v17
	v_mov_b32_e32 v1, v18
	;; [unrolled: 4-line block ×3, first 2 shown]
	ds_read_b32 v2, v252 offset:84
	s_waitcnt lgkmcnt(1)
	v_pk_fma_f32 v[46:47], v[194:195], v[8:9], v[0:1] op_sel_hi:[0,1,1] neg_lo:[1,0,0] neg_hi:[1,0,0]
	scratch_load_dwordx4 v[4:7], off, off   ; 16-byte Folded Reload
	scratch_load_dwordx4 v[8:11], off, off offset:16 ; 16-byte Folded Reload
	scratch_load_dwordx4 v[12:15], off, off offset:32 ; 16-byte Folded Reload
	;; [unrolled: 1-line block ×7, first 2 shown]
	v_mov_b32_e32 v0, v182
	v_mov_b32_e32 v1, v183
	v_mov_b32_e32 v3, v185
	s_waitcnt vmcnt(7)
	v_mov_b32_e32 v4, v186
	v_mov_b32_e32 v5, v187
	v_mov_b32_e32 v6, v188
	v_mov_b32_e32 v7, v189
	s_waitcnt vmcnt(6)
	v_mov_b32_e32 v8, v190
	;; [unrolled: 5-line block ×3, first 2 shown]
	v_mov_b32_e32 v13, v40
	v_mov_b32_e32 v14, v41
	v_mov_b32_e32 v15, v42
	v_mov_b32_e32 v195, v40
	s_waitcnt vmcnt(0)
	v_mov_b32_e32 v32, v192
	v_mov_b32_e32 v33, v193
	;; [unrolled: 1-line block ×40, first 2 shown]
	s_waitcnt lgkmcnt(0)
	v_fma_f32 v21, -v194, v2, v25
	v_mov_b32_e32 v2, v184
	scratch_store_dwordx4 off, v[0:3], off offset:384 ; 16-byte Folded Spill
	s_nop 0
	scratch_store_dwordx4 off, v[4:7], off offset:400 ; 16-byte Folded Spill
	scratch_store_dwordx4 off, v[8:11], off offset:416 ; 16-byte Folded Spill
	scratch_store_dwordx4 off, v[12:15], off offset:432 ; 16-byte Folded Spill
	scratch_store_dwordx4 off, v[16:19], off offset:448 ; 16-byte Folded Spill
	scratch_store_dwordx4 off, v[20:23], off offset:464 ; 16-byte Folded Spill
	scratch_store_dwordx4 off, v[24:27], off offset:480 ; 16-byte Folded Spill
	scratch_store_dwordx4 off, v[28:31], off offset:496 ; 16-byte Folded Spill
	v_mov_b32_e32 v16, v43
	scratch_store_dwordx4 off, v[0:3], off offset:256 ; 16-byte Folded Spill
	s_nop 0
	scratch_store_dwordx4 off, v[4:7], off offset:272 ; 16-byte Folded Spill
	scratch_store_dwordx4 off, v[8:11], off offset:288 ; 16-byte Folded Spill
	;; [unrolled: 1-line block ×7, first 2 shown]
	s_nop 1
	v_mov_b32_e32 v30, v190
	v_mov_b32_e32 v31, v191
	;; [unrolled: 1-line block ×14, first 2 shown]
	scratch_store_dwordx4 off, v[182:185], off offset:512 ; 16-byte Folded Spill
	s_nop 0
	scratch_store_dwordx4 off, v[186:189], off offset:528 ; 16-byte Folded Spill
	scratch_store_dwordx4 off, v[190:193], off offset:544 ; 16-byte Folded Spill
	;; [unrolled: 1-line block ×8, first 2 shown]
	s_nop 0
	scratch_store_dwordx4 off, v[186:189], off offset:656 ; 16-byte Folded Spill
	scratch_store_dwordx4 off, v[190:193], off offset:672 ; 16-byte Folded Spill
	;; [unrolled: 1-line block ×7, first 2 shown]
	v_mov_b32_e32 v51, v21
	scratch_store_dwordx4 off, v[30:33], off ; 16-byte Folded Spill
	s_nop 0
	scratch_store_dwordx4 off, v[34:37], off offset:16 ; 16-byte Folded Spill
	scratch_store_dwordx4 off, v[38:41], off offset:32 ; 16-byte Folded Spill
	;; [unrolled: 1-line block ×7, first 2 shown]
	v_mov_b64_e32 v[228:229], v[14:15]
	v_mov_b32_e32 v232, v18
	v_mov_b64_e32 v[226:227], v[12:13]
	v_mov_b64_e32 v[224:225], v[10:11]
	;; [unrolled: 1-line block ×7, first 2 shown]
	v_mov_b32_e32 v231, v17
	v_mov_b32_e32 v230, v16
	;; [unrolled: 1-line block ×8, first 2 shown]
	scratch_store_dwordx4 off, v[22:25], off offset:128 ; 16-byte Folded Spill
	s_nop 0
	scratch_store_dwordx4 off, v[26:29], off offset:144 ; 16-byte Folded Spill
	scratch_store_dwordx4 off, v[30:33], off offset:160 ; 16-byte Folded Spill
	;; [unrolled: 1-line block ×7, first 2 shown]
.LBB43_68:
	s_or_b64 exec, exec, s[2:3]
	v_cmp_eq_u32_e32 vcc, 13, v250
	s_waitcnt lgkmcnt(0)
	s_barrier
	s_and_saveexec_b64 s[2:3], vcc
	s_cbranch_execz .LBB43_71
; %bb.69:
	ds_write_b32 v251, v57
	ds_write2_b64 v252, v[14:15], v[16:17] offset0:7 offset1:8
	ds_write2_b64 v252, v[18:19], v[20:21] offset0:9 offset1:10
	ds_read_b32 v40, v251
	s_waitcnt lgkmcnt(0)
	v_cmp_neq_f32_e32 vcc, 0, v40
	s_and_b64 exec, exec, vcc
	s_cbranch_execz .LBB43_71
; %bb.70:
	v_div_scale_f32 v41, s[4:5], v40, v40, 1.0
	v_rcp_f32_e32 v42, v41
	v_div_scale_f32 v43, vcc, 1.0, v40, 1.0
	v_fma_f32 v44, -v41, v42, 1.0
	v_fmac_f32_e32 v42, v44, v42
	v_mul_f32_e32 v44, v43, v42
	v_fma_f32 v45, -v41, v44, v43
	v_fmac_f32_e32 v44, v45, v42
	v_fma_f32 v41, -v41, v44, v43
	v_div_fmas_f32 v41, v41, v42, v44
	v_div_fixup_f32 v40, v41, v40, 1.0
	ds_write_b32 v251, v40
.LBB43_71:
	s_or_b64 exec, exec, s[2:3]
	s_waitcnt lgkmcnt(0)
	s_barrier
	ds_read_b32 v62, v251
	v_cmp_lt_u32_e32 vcc, 13, v250
	s_and_saveexec_b64 s[2:3], vcc
	s_cbranch_execz .LBB43_73
; %bb.72:
	ds_read2_b64 v[0:3], v252 offset0:7 offset1:8
	ds_read2_b64 v[4:7], v252 offset0:9 offset1:10
	scratch_load_dwordx4 v[22:25], off, off offset:640 ; 16-byte Folded Reload
	scratch_load_dwordx4 v[26:29], off, off offset:656 ; 16-byte Folded Reload
	;; [unrolled: 1-line block ×8, first 2 shown]
	s_waitcnt lgkmcnt(2)
	v_mul_f32_e32 v8, v57, v62
	s_waitcnt vmcnt(0)
	v_mov_b32_e32 v53, v8
	s_waitcnt lgkmcnt(1)
	v_pk_fma_f32 v[164:165], v[8:9], v[0:1], v[14:15] op_sel_hi:[0,1,1] neg_lo:[1,0,0] neg_hi:[1,0,0]
	v_mov_b32_e32 v35, v8
	v_mov_b32_e32 v36, v164
	;; [unrolled: 1-line block ×3, first 2 shown]
	v_pk_fma_f32 v[198:199], v[8:9], v[2:3], v[16:17] op_sel_hi:[0,1,1] neg_lo:[1,0,0] neg_hi:[1,0,0]
	s_waitcnt lgkmcnt(0)
	v_pk_fma_f32 v[232:233], v[8:9], v[4:5], v[18:19] op_sel_hi:[0,1,1] neg_lo:[1,0,0] neg_hi:[1,0,0]
	v_pk_fma_f32 v[20:21], v[8:9], v[6:7], v[20:21] op_sel_hi:[0,1,1] neg_lo:[1,0,0] neg_hi:[1,0,0]
	v_mov_b32_e32 v163, v8
	v_mov_b32_e32 v195, v8
	;; [unrolled: 1-line block ×24, first 2 shown]
	v_mov_b64_e32 v[50:51], v[32:33]
	v_mov_b64_e32 v[48:49], v[30:31]
	;; [unrolled: 1-line block ×6, first 2 shown]
	v_mov_b32_e32 v52, v34
	v_mov_b32_e32 v150, v40
	;; [unrolled: 1-line block ×14, first 2 shown]
	scratch_store_dwordx4 off, v[22:25], off offset:384 ; 16-byte Folded Spill
	s_nop 0
	scratch_store_dwordx4 off, v[26:29], off offset:400 ; 16-byte Folded Spill
	scratch_store_dwordx4 off, v[30:33], off offset:416 ; 16-byte Folded Spill
	;; [unrolled: 1-line block ×7, first 2 shown]
	v_mov_b32_e32 v38, v198
	v_mov_b32_e32 v39, v199
	;; [unrolled: 1-line block ×50, first 2 shown]
	scratch_store_dwordx4 off, v[40:43], off offset:512 ; 16-byte Folded Spill
	s_nop 0
	scratch_store_dwordx4 off, v[44:47], off offset:528 ; 16-byte Folded Spill
	scratch_store_dwordx4 off, v[48:51], off offset:544 ; 16-byte Folded Spill
	;; [unrolled: 1-line block ×7, first 2 shown]
	v_mov_b32_e32 v194, v34
	v_mov_b32_e32 v40, v232
	;; [unrolled: 1-line block ×8, first 2 shown]
	scratch_store_dwordx4 off, v[22:25], off ; 16-byte Folded Spill
	s_nop 0
	scratch_store_dwordx4 off, v[26:29], off offset:16 ; 16-byte Folded Spill
	scratch_store_dwordx4 off, v[30:33], off offset:32 ; 16-byte Folded Spill
	;; [unrolled: 1-line block ×8, first 2 shown]
	s_nop 0
	scratch_store_dwordx4 off, v[186:189], off offset:272 ; 16-byte Folded Spill
	scratch_store_dwordx4 off, v[190:193], off offset:288 ; 16-byte Folded Spill
	scratch_store_dwordx4 off, v[194:197], off offset:304 ; 16-byte Folded Spill
	scratch_store_dwordx4 off, v[198:201], off offset:320 ; 16-byte Folded Spill
	scratch_store_dwordx4 off, v[202:205], off offset:336 ; 16-byte Folded Spill
	scratch_store_dwordx4 off, v[206:209], off offset:352 ; 16-byte Folded Spill
	scratch_store_dwordx4 off, v[210:213], off offset:368 ; 16-byte Folded Spill
	v_mov_b32_e32 v55, v165
	scratch_store_dwordx4 off, v[214:217], off offset:128 ; 16-byte Folded Spill
	s_nop 0
	scratch_store_dwordx4 off, v[218:221], off offset:144 ; 16-byte Folded Spill
	scratch_store_dwordx4 off, v[222:225], off offset:160 ; 16-byte Folded Spill
	;; [unrolled: 1-line block ×7, first 2 shown]
	v_mov_b32_e32 v111, v199
.LBB43_73:
	s_or_b64 exec, exec, s[2:3]
	v_cmp_eq_u32_e32 vcc, 14, v250
	s_waitcnt lgkmcnt(0)
	s_barrier
	s_and_saveexec_b64 s[2:3], vcc
	s_cbranch_execz .LBB43_76
; %bb.74:
	ds_write_b32 v251, v54
	ds_write2_b32 v252, v15, v16 offset0:15 offset1:16
	ds_write2_b32 v252, v17, v18 offset0:17 offset1:18
	;; [unrolled: 1-line block ×3, first 2 shown]
	scratch_load_dwordx4 v[166:169], off, off ; 16-byte Folded Reload
	scratch_load_dwordx4 v[170:173], off, off offset:16 ; 16-byte Folded Reload
	scratch_load_dwordx4 v[174:177], off, off offset:32 ; 16-byte Folded Reload
	;; [unrolled: 1-line block ×7, first 2 shown]
	s_waitcnt vmcnt(2)
	ds_write_b32 v252, v187 offset:84
	ds_read_b32 v40, v251
	s_waitcnt lgkmcnt(0)
	v_cmp_neq_f32_e32 vcc, 0, v40
	s_and_b64 exec, exec, vcc
	s_cbranch_execz .LBB43_76
; %bb.75:
	v_div_scale_f32 v41, s[4:5], v40, v40, 1.0
	v_rcp_f32_e32 v42, v41
	v_div_scale_f32 v43, vcc, 1.0, v40, 1.0
	v_fma_f32 v44, -v41, v42, 1.0
	v_fmac_f32_e32 v42, v44, v42
	v_mul_f32_e32 v44, v43, v42
	v_fma_f32 v45, -v41, v44, v43
	v_fmac_f32_e32 v44, v45, v42
	v_fma_f32 v41, -v41, v44, v43
	v_div_fmas_f32 v41, v41, v42, v44
	v_div_fixup_f32 v40, v41, v40, 1.0
	ds_write_b32 v251, v40
.LBB43_76:
	s_or_b64 exec, exec, s[2:3]
	s_waitcnt lgkmcnt(0)
	s_barrier
	s_waitcnt vmcnt(13)
	ds_read_b32 v182, v251
	v_cmp_lt_u32_e32 vcc, 14, v250
	s_and_saveexec_b64 s[2:3], vcc
	s_cbranch_execz .LBB43_78
; %bb.77:
	scratch_load_dwordx4 v[118:121], off, off offset:512 ; 16-byte Folded Reload
	scratch_load_dwordx4 v[122:125], off, off offset:528 ; 16-byte Folded Reload
	;; [unrolled: 1-line block ×8, first 2 shown]
	ds_read2_b32 v[0:1], v252 offset0:15 offset1:16
	ds_read2_b32 v[4:5], v252 offset0:17 offset1:18
	;; [unrolled: 1-line block ×3, first 2 shown]
	ds_read_b32 v8, v252 offset:84
	scratch_load_dwordx4 v[80:83], off, off ; 16-byte Folded Reload
	scratch_load_dwordx4 v[84:87], off, off offset:16 ; 16-byte Folded Reload
	scratch_load_dwordx4 v[88:91], off, off offset:32 ; 16-byte Folded Reload
	;; [unrolled: 1-line block ×7, first 2 shown]
	s_waitcnt vmcnt(12) lgkmcnt(4)
	v_mul_f32_e32 v132, v54, v182
	v_mov_b32_e32 v2, v15
	v_mov_b32_e32 v3, v16
	;; [unrolled: 1-line block ×5, first 2 shown]
	s_waitcnt vmcnt(5)
	v_mov_b32_e32 v88, v132
	v_mov_b32_e32 v214, v118
	;; [unrolled: 1-line block ×4, first 2 shown]
	s_waitcnt lgkmcnt(3)
	v_pk_fma_f32 v[40:41], v[132:133], v[0:1], v[2:3] op_sel_hi:[0,1,1] neg_lo:[1,0,0] neg_hi:[1,0,0]
	v_mov_b32_e32 v0, v17
	v_mov_b32_e32 v1, v18
	s_waitcnt lgkmcnt(2)
	v_pk_fma_f32 v[42:43], v[132:133], v[4:5], v[0:1] op_sel_hi:[0,1,1] neg_lo:[1,0,0] neg_hi:[1,0,0]
	v_mov_b32_e32 v0, v19
	v_mov_b32_e32 v1, v20
	s_waitcnt lgkmcnt(1)
	v_pk_fma_f32 v[44:45], v[132:133], v[6:7], v[0:1] op_sel_hi:[0,1,1] neg_lo:[1,0,0] neg_hi:[1,0,0]
	s_waitcnt vmcnt(2) lgkmcnt(0)
	v_fma_f32 v21, -v132, v8, v101
	v_mov_b32_e32 v0, v118
	v_mov_b32_e32 v1, v119
	;; [unrolled: 1-line block ×15, first 2 shown]
	scratch_store_dwordx4 off, v[0:3], off offset:256 ; 16-byte Folded Spill
	s_nop 0
	scratch_store_dwordx4 off, v[4:7], off offset:272 ; 16-byte Folded Spill
	scratch_store_dwordx4 off, v[8:11], off offset:288 ; 16-byte Folded Spill
	;; [unrolled: 1-line block ×7, first 2 shown]
	v_mov_b32_e32 v133, v40
	v_mov_b32_e32 v22, v118
	;; [unrolled: 1-line block ×44, first 2 shown]
	scratch_store_dwordx4 off, v[118:121], off offset:384 ; 16-byte Folded Spill
	s_nop 0
	scratch_store_dwordx4 off, v[122:125], off offset:400 ; 16-byte Folded Spill
	scratch_store_dwordx4 off, v[126:129], off offset:416 ; 16-byte Folded Spill
	scratch_store_dwordx4 off, v[130:133], off offset:432 ; 16-byte Folded Spill
	scratch_store_dwordx4 off, v[134:137], off offset:448 ; 16-byte Folded Spill
	scratch_store_dwordx4 off, v[138:141], off offset:464 ; 16-byte Folded Spill
	scratch_store_dwordx4 off, v[142:145], off offset:480 ; 16-byte Folded Spill
	scratch_store_dwordx4 off, v[146:149], off offset:496 ; 16-byte Folded Spill
	v_mov_b32_e32 v46, v43
	v_mov_b32_e32 v48, v45
	;; [unrolled: 1-line block ×16, first 2 shown]
	scratch_store_dwordx4 off, v[28:31], off ; 16-byte Folded Spill
	s_nop 0
	scratch_store_dwordx4 off, v[32:35], off offset:16 ; 16-byte Folded Spill
	scratch_store_dwordx4 off, v[36:39], off offset:32 ; 16-byte Folded Spill
	;; [unrolled: 1-line block ×7, first 2 shown]
	v_mov_b64_e32 v[180:181], v[148:149]
	v_mov_b64_e32 v[164:165], v[132:133]
	;; [unrolled: 1-line block ×16, first 2 shown]
	v_mov_b32_e32 v55, v40
	s_waitcnt vmcnt(25)
	v_mov_b32_e32 v106, v41
	s_waitcnt vmcnt(24)
	v_mov_b32_e32 v111, v42
	v_mov_b32_e32 v41, v44
	scratch_store_dwordx4 off, v[22:25], off offset:128 ; 16-byte Folded Spill
	s_nop 0
	scratch_store_dwordx4 off, v[26:29], off offset:144 ; 16-byte Folded Spill
	scratch_store_dwordx4 off, v[30:33], off offset:160 ; 16-byte Folded Spill
	;; [unrolled: 1-line block ×7, first 2 shown]
.LBB43_78:
	s_or_b64 exec, exec, s[2:3]
	v_cmp_eq_u32_e32 vcc, 15, v250
	s_waitcnt lgkmcnt(0)
	s_barrier
	s_and_saveexec_b64 s[2:3], vcc
	s_cbranch_execz .LBB43_81
; %bb.79:
	ds_write_b32 v251, v55
	ds_write2_b64 v252, v[16:17], v[18:19] offset0:8 offset1:9
	ds_write_b64 v252, v[20:21] offset:80
	ds_read_b32 v40, v251
	s_waitcnt lgkmcnt(0)
	v_cmp_neq_f32_e32 vcc, 0, v40
	s_and_b64 exec, exec, vcc
	s_cbranch_execz .LBB43_81
; %bb.80:
	v_div_scale_f32 v41, s[4:5], v40, v40, 1.0
	v_rcp_f32_e32 v42, v41
	v_div_scale_f32 v43, vcc, 1.0, v40, 1.0
	v_fma_f32 v44, -v41, v42, 1.0
	v_fmac_f32_e32 v42, v44, v42
	v_mul_f32_e32 v44, v43, v42
	v_fma_f32 v45, -v41, v44, v43
	v_fmac_f32_e32 v44, v45, v42
	v_fma_f32 v41, -v41, v44, v43
	v_div_fmas_f32 v41, v41, v42, v44
	v_div_fixup_f32 v40, v41, v40, 1.0
	ds_write_b32 v251, v40
.LBB43_81:
	s_or_b64 exec, exec, s[2:3]
	s_waitcnt lgkmcnt(0)
	s_barrier
	ds_read_b32 v134, v251
	v_cmp_lt_u32_e32 vcc, 15, v250
	s_and_saveexec_b64 s[2:3], vcc
	s_cbranch_execz .LBB43_83
; %bb.82:
	ds_read2_b64 v[0:3], v252 offset0:8 offset1:9
	ds_read_b64 v[4:5], v252 offset:80
	s_waitcnt lgkmcnt(2)
	v_mul_f32_e32 v40, v55, v134
	v_mov_b32_e32 v165, v40
	v_mov_b32_e32 v44, v150
	s_waitcnt lgkmcnt(1)
	v_pk_fma_f32 v[60:61], v[40:41], v[0:1], v[16:17] op_sel_hi:[0,1,1] neg_lo:[1,0,0] neg_hi:[1,0,0]
	v_pk_fma_f32 v[232:233], v[40:41], v[2:3], v[18:19] op_sel_hi:[0,1,1] neg_lo:[1,0,0] neg_hi:[1,0,0]
	s_waitcnt lgkmcnt(0)
	v_pk_fma_f32 v[20:21], v[40:41], v[4:5], v[20:21] op_sel_hi:[0,1,1] neg_lo:[1,0,0] neg_hi:[1,0,0]
	v_mov_b32_e32 v45, v151
	v_mov_b32_e32 v46, v152
	;; [unrolled: 1-line block ×29, first 2 shown]
	s_waitcnt vmcnt(4)
	v_mov_b32_e32 v89, v40
	v_mov_b32_e32 v15, v40
	;; [unrolled: 1-line block ×55, first 2 shown]
	scratch_store_dwordx4 off, v[150:153], off offset:384 ; 16-byte Folded Spill
	s_nop 0
	scratch_store_dwordx4 off, v[154:157], off offset:400 ; 16-byte Folded Spill
	scratch_store_dwordx4 off, v[158:161], off offset:416 ; 16-byte Folded Spill
	;; [unrolled: 1-line block ×7, first 2 shown]
	scratch_store_dwordx4 off, v[22:25], off ; 16-byte Folded Spill
	s_nop 0
	scratch_store_dwordx4 off, v[26:29], off offset:16 ; 16-byte Folded Spill
	scratch_store_dwordx4 off, v[30:33], off offset:32 ; 16-byte Folded Spill
	;; [unrolled: 1-line block ×7, first 2 shown]
	v_mov_b32_e32 v230, v60
	v_mov_b32_e32 v231, v61
	s_waitcnt vmcnt(19)
	v_mov_b32_e32 v90, v60
	v_mov_b32_e32 v91, v61
	;; [unrolled: 1-line block ×5, first 2 shown]
	scratch_store_dwordx4 off, v[44:47], off offset:256 ; 16-byte Folded Spill
	s_nop 0
	scratch_store_dwordx4 off, v[48:51], off offset:272 ; 16-byte Folded Spill
	scratch_store_dwordx4 off, v[52:55], off offset:288 ; 16-byte Folded Spill
	;; [unrolled: 1-line block ×7, first 2 shown]
	v_mov_b32_e32 v92, v232
	v_mov_b32_e32 v93, v233
	;; [unrolled: 1-line block ×4, first 2 shown]
	scratch_store_dwordx4 off, v[214:217], off offset:128 ; 16-byte Folded Spill
	s_nop 0
	scratch_store_dwordx4 off, v[218:221], off offset:144 ; 16-byte Folded Spill
	scratch_store_dwordx4 off, v[222:225], off offset:160 ; 16-byte Folded Spill
	;; [unrolled: 1-line block ×7, first 2 shown]
	v_mov_b32_e32 v111, v61
.LBB43_83:
	s_or_b64 exec, exec, s[2:3]
	v_cmp_eq_u32_e32 vcc, 16, v250
	s_waitcnt lgkmcnt(0)
	s_barrier
	s_and_saveexec_b64 s[2:3], vcc
	s_cbranch_execz .LBB43_86
; %bb.84:
	ds_write_b32 v251, v106
	ds_write2_b32 v252, v17, v18 offset0:17 offset1:18
	ds_write2_b32 v252, v19, v20 offset0:19 offset1:20
	s_waitcnt vmcnt(4)
	v_mov_b64_e32 v[40:41], v[74:75]
	s_waitcnt vmcnt(3)
	v_mov_b64_e32 v[56:57], v[90:91]
	v_mov_b64_e32 v[42:43], v[76:77]
	;; [unrolled: 1-line block ×9, first 2 shown]
	scratch_load_dwordx4 v[64:67], off, off ; 16-byte Folded Reload
	scratch_load_dwordx4 v[68:71], off, off offset:16 ; 16-byte Folded Reload
	scratch_load_dwordx4 v[72:75], off, off offset:32 ; 16-byte Folded Reload
	;; [unrolled: 1-line block ×7, first 2 shown]
	s_waitcnt vmcnt(0)
	v_mov_b64_e32 v[92:93], v[58:59]
	v_mov_b64_e32 v[90:91], v[56:57]
	ds_write_b32 v252, v85 offset:84
	v_mov_b64_e32 v[88:89], v[54:55]
	v_mov_b64_e32 v[86:87], v[52:53]
	v_mov_b64_e32 v[84:85], v[50:51]
	v_mov_b64_e32 v[82:83], v[48:49]
	v_mov_b64_e32 v[80:81], v[46:47]
	v_mov_b64_e32 v[78:79], v[44:45]
	v_mov_b64_e32 v[76:77], v[42:43]
	v_mov_b64_e32 v[74:75], v[40:41]
	ds_read_b32 v40, v251
	s_waitcnt lgkmcnt(0)
	v_cmp_neq_f32_e32 vcc, 0, v40
	s_and_b64 exec, exec, vcc
	s_cbranch_execz .LBB43_86
; %bb.85:
	v_div_scale_f32 v41, s[4:5], v40, v40, 1.0
	v_rcp_f32_e32 v42, v41
	v_div_scale_f32 v43, vcc, 1.0, v40, 1.0
	v_fma_f32 v44, -v41, v42, 1.0
	v_fmac_f32_e32 v42, v44, v42
	v_mul_f32_e32 v44, v43, v42
	v_fma_f32 v45, -v41, v44, v43
	v_fmac_f32_e32 v44, v45, v42
	v_fma_f32 v41, -v41, v44, v43
	v_div_fmas_f32 v41, v41, v42, v44
	v_div_fixup_f32 v40, v41, v40, 1.0
	ds_write_b32 v251, v40
.LBB43_86:
	s_or_b64 exec, exec, s[2:3]
	s_waitcnt lgkmcnt(0)
	s_barrier
	ds_read_b32 v118, v251
	v_cmp_lt_u32_e32 vcc, 16, v250
	s_and_saveexec_b64 s[2:3], vcc
	s_cbranch_execz .LBB43_88
; %bb.87:
	scratch_load_dwordx4 v[136:139], off, off offset:384 ; 16-byte Folded Reload
	scratch_load_dwordx4 v[140:143], off, off offset:400 ; 16-byte Folded Reload
	;; [unrolled: 1-line block ×8, first 2 shown]
	ds_read2_b32 v[0:1], v252 offset0:17 offset1:18
	s_waitcnt vmcnt(3) lgkmcnt(1)
	v_mul_f32_e32 v152, v106, v118
	v_mov_b32_e32 v2, v17
	v_mov_b32_e32 v3, v18
	ds_read2_b32 v[4:5], v252 offset0:19 offset1:20
	ds_read_b32 v6, v252 offset:84
	v_mov_b32_e32 v230, v152
	v_mov_b32_e32 v90, v152
	;; [unrolled: 1-line block ×6, first 2 shown]
	s_waitcnt lgkmcnt(2)
	v_pk_fma_f32 v[106:107], v[152:153], v[0:1], v[2:3] op_sel_hi:[0,1,1] neg_lo:[1,0,0] neg_hi:[1,0,0]
	v_mov_b32_e32 v0, v19
	v_mov_b32_e32 v1, v20
	scratch_load_dwordx4 v[8:11], off, off  ; 16-byte Folded Reload
	scratch_load_dwordx4 v[12:15], off, off offset:16 ; 16-byte Folded Reload
	scratch_load_dwordx4 v[16:19], off, off offset:32 ; 16-byte Folded Reload
	;; [unrolled: 1-line block ×7, first 2 shown]
	s_waitcnt lgkmcnt(1)
	v_pk_fma_f32 v[108:109], v[152:153], v[4:5], v[0:1] op_sel_hi:[0,1,1] neg_lo:[1,0,0] neg_hi:[1,0,0]
	v_mov_b32_e32 v153, v106
	v_mov_b32_e32 v218, v140
	v_mov_b32_e32 v219, v141
	v_mov_b32_e32 v220, v142
	v_mov_b32_e32 v221, v143
	v_mov_b32_e32 v222, v144
	v_mov_b32_e32 v223, v145
	v_mov_b32_e32 v224, v146
	v_mov_b32_e32 v225, v147
	v_mov_b32_e32 v226, v148
	v_mov_b32_e32 v227, v149
	v_mov_b32_e32 v228, v150
	v_mov_b32_e32 v229, v151
	v_mov_b32_e32 v74, v136
	v_mov_b32_e32 v75, v137
	v_mov_b32_e32 v76, v138
	v_mov_b32_e32 v77, v139
	v_mov_b32_e32 v78, v140
	v_mov_b32_e32 v79, v141
	v_mov_b32_e32 v80, v142
	v_mov_b32_e32 v81, v143
	v_mov_b32_e32 v82, v144
	v_mov_b32_e32 v83, v145
	v_mov_b32_e32 v84, v146
	v_mov_b32_e32 v85, v147
	v_mov_b32_e32 v86, v148
	v_mov_b32_e32 v87, v149
	v_mov_b32_e32 v88, v150
	v_mov_b32_e32 v89, v151
	v_mov_b32_e32 v0, v136
	v_mov_b32_e32 v1, v137
	v_mov_b32_e32 v2, v138
	v_mov_b32_e32 v3, v139
	v_mov_b32_e32 v4, v140
	v_mov_b32_e32 v5, v141
	v_mov_b32_e32 v7, v143
	s_waitcnt vmcnt(7)
	v_mov_b32_e32 v8, v144
	v_mov_b32_e32 v9, v145
	v_mov_b32_e32 v10, v146
	v_mov_b32_e32 v11, v147
	s_waitcnt vmcnt(6)
	v_mov_b32_e32 v12, v148
	v_mov_b32_e32 v13, v149
	v_mov_b32_e32 v14, v150
	v_mov_b32_e32 v15, v151
	;; [unrolled: 5-line block ×3, first 2 shown]
	v_mov_b32_e32 v92, v107
	v_mov_b32_e32 v93, v108
	;; [unrolled: 1-line block ×5, first 2 shown]
	s_waitcnt vmcnt(4)
	v_mov_b32_e32 v20, v109
	v_mov_b32_e32 v111, v106
	s_waitcnt vmcnt(2) lgkmcnt(0)
	v_fma_f32 v21, -v152, v6, v29
	s_waitcnt vmcnt(0)
	v_mov_b64_e32 v[22:23], v[136:137]
	v_mov_b64_e32 v[40:41], v[154:155]
	v_mov_b64_e32 v[42:43], v[156:157]
	v_mov_b64_e32 v[24:25], v[138:139]
	v_mov_b64_e32 v[26:27], v[140:141]
	v_mov_b64_e32 v[28:29], v[142:143]
	v_mov_b64_e32 v[30:31], v[144:145]
	v_mov_b64_e32 v[32:33], v[146:147]
	v_mov_b64_e32 v[34:35], v[148:149]
	v_mov_b64_e32 v[36:37], v[150:151]
	v_mov_b64_e32 v[38:39], v[152:153]
	v_mov_b64_e32 v[44:45], v[158:159]
	v_mov_b64_e32 v[46:47], v[160:161]
	v_mov_b64_e32 v[48:49], v[162:163]
	v_mov_b64_e32 v[50:51], v[164:165]
	v_mov_b64_e32 v[52:53], v[166:167]
	v_mov_b32_e32 v40, v107
	v_mov_b32_e32 v42, v109
	;; [unrolled: 1-line block ×4, first 2 shown]
	scratch_store_dwordx4 off, v[136:139], off offset:256 ; 16-byte Folded Spill
	s_nop 0
	scratch_store_dwordx4 off, v[140:143], off offset:272 ; 16-byte Folded Spill
	scratch_store_dwordx4 off, v[144:147], off offset:288 ; 16-byte Folded Spill
	;; [unrolled: 1-line block ×7, first 2 shown]
	scratch_store_dwordx4 off, v[22:25], off ; 16-byte Folded Spill
	s_nop 0
	scratch_store_dwordx4 off, v[26:29], off offset:16 ; 16-byte Folded Spill
	scratch_store_dwordx4 off, v[30:33], off offset:32 ; 16-byte Folded Spill
	;; [unrolled: 1-line block ×7, first 2 shown]
	v_mov_b32_e32 v41, v108
	scratch_store_dwordx4 off, v[22:25], off offset:128 ; 16-byte Folded Spill
	s_nop 0
	scratch_store_dwordx4 off, v[26:29], off offset:144 ; 16-byte Folded Spill
	scratch_store_dwordx4 off, v[30:33], off offset:160 ; 16-byte Folded Spill
	;; [unrolled: 1-line block ×7, first 2 shown]
.LBB43_88:
	s_or_b64 exec, exec, s[2:3]
	v_cmp_eq_u32_e32 vcc, 17, v250
	s_waitcnt lgkmcnt(0)
	s_barrier
	s_and_saveexec_b64 s[2:3], vcc
	s_cbranch_execz .LBB43_91
; %bb.89:
	ds_write_b32 v251, v111
	ds_write2_b64 v252, v[18:19], v[20:21] offset0:9 offset1:10
	ds_read_b32 v40, v251
	s_waitcnt lgkmcnt(0)
	v_cmp_neq_f32_e32 vcc, 0, v40
	s_and_b64 exec, exec, vcc
	s_cbranch_execz .LBB43_91
; %bb.90:
	v_div_scale_f32 v41, s[4:5], v40, v40, 1.0
	v_rcp_f32_e32 v42, v41
	v_div_scale_f32 v43, vcc, 1.0, v40, 1.0
	v_fma_f32 v44, -v41, v42, 1.0
	v_fmac_f32_e32 v42, v44, v42
	v_mul_f32_e32 v44, v43, v42
	v_fma_f32 v45, -v41, v44, v43
	v_fmac_f32_e32 v44, v45, v42
	v_fma_f32 v41, -v41, v44, v43
	v_div_fmas_f32 v41, v41, v42, v44
	v_div_fixup_f32 v40, v41, v40, 1.0
	ds_write_b32 v251, v40
.LBB43_91:
	s_or_b64 exec, exec, s[2:3]
	s_waitcnt lgkmcnt(0)
	s_barrier
	ds_read_b32 v72, v251
	v_cmp_lt_u32_e32 vcc, 17, v250
	s_mov_b64 s[2:3], exec
	scratch_load_dwordx4 v[136:139], off, off ; 16-byte Folded Reload
	scratch_load_dwordx4 v[140:143], off, off offset:16 ; 16-byte Folded Reload
	scratch_load_dwordx4 v[144:147], off, off offset:32 ; 16-byte Folded Reload
	;; [unrolled: 1-line block ×7, first 2 shown]
	s_and_b64 s[4:5], s[2:3], vcc
	s_waitcnt vmcnt(3)
	v_mov_b32_e32 v46, v154
	s_waitcnt vmcnt(2)
	v_mov_b64_e32 v[48:49], v[156:157]
	s_mov_b64 exec, s[4:5]
	s_cbranch_execz .LBB43_93
; %bb.92:
	ds_read2_b64 v[0:3], v252 offset0:9 offset1:10
	scratch_load_dwordx4 v[24:27], off, off offset:256 ; 16-byte Folded Reload
	scratch_load_dwordx4 v[28:31], off, off offset:272 ; 16-byte Folded Reload
	;; [unrolled: 1-line block ×8, first 2 shown]
	s_waitcnt lgkmcnt(1)
	v_mul_f32_e32 v22, v111, v72
	s_waitcnt vmcnt(3)
	v_mov_b32_e32 v41, v22
	v_mov_b32_e32 v231, v22
	s_waitcnt lgkmcnt(0)
	v_pk_fma_f32 v[232:233], v[22:23], v[0:1], v[18:19] op_sel_hi:[0,1,1] neg_lo:[1,0,0] neg_hi:[1,0,0]
	v_pk_fma_f32 v[20:21], v[22:23], v[2:3], v[20:21] op_sel_hi:[0,1,1] neg_lo:[1,0,0] neg_hi:[1,0,0]
	v_mov_b32_e32 v91, v22
	v_mov_b32_e32 v17, v22
	;; [unrolled: 1-line block ×57, first 2 shown]
	s_waitcnt vmcnt(0)
	v_mov_b64_e32 v[22:23], v[24:25]
	v_mov_b64_e32 v[24:25], v[26:27]
	;; [unrolled: 1-line block ×16, first 2 shown]
	v_mov_b32_e32 v46, v232
	v_mov_b32_e32 v48, v20
	v_mov_b32_e32 v49, v21
	scratch_store_dwordx4 off, v[214:217], off offset:128 ; 16-byte Folded Spill
	s_nop 0
	scratch_store_dwordx4 off, v[218:221], off offset:144 ; 16-byte Folded Spill
	scratch_store_dwordx4 off, v[222:225], off offset:160 ; 16-byte Folded Spill
	;; [unrolled: 1-line block ×7, first 2 shown]
.LBB43_93:
	s_or_b64 exec, exec, s[2:3]
	v_cmp_eq_u32_e32 vcc, 18, v250
	s_waitcnt lgkmcnt(0)
	s_barrier
	s_and_saveexec_b64 s[2:3], vcc
	s_cbranch_execz .LBB43_96
; %bb.94:
	ds_write_b32 v251, v46
	ds_write2_b32 v252, v19, v20 offset0:19 offset1:20
	ds_write_b32 v252, v49 offset:84
	ds_read_b32 v40, v251
	s_waitcnt lgkmcnt(0)
	v_cmp_neq_f32_e32 vcc, 0, v40
	s_and_b64 exec, exec, vcc
	s_cbranch_execz .LBB43_96
; %bb.95:
	v_div_scale_f32 v41, s[4:5], v40, v40, 1.0
	v_rcp_f32_e32 v42, v41
	v_div_scale_f32 v43, vcc, 1.0, v40, 1.0
	v_fma_f32 v44, -v41, v42, 1.0
	v_fmac_f32_e32 v42, v44, v42
	v_mul_f32_e32 v44, v43, v42
	v_fma_f32 v45, -v41, v44, v43
	v_fmac_f32_e32 v44, v45, v42
	v_fma_f32 v41, -v41, v44, v43
	v_div_fmas_f32 v41, v41, v42, v44
	v_div_fixup_f32 v40, v41, v40, 1.0
	ds_write_b32 v251, v40
.LBB43_96:
	s_or_b64 exec, exec, s[2:3]
	s_waitcnt lgkmcnt(0)
	s_barrier
	ds_read_b32 v42, v251
	v_cmp_lt_u32_e32 vcc, 18, v250
	s_and_saveexec_b64 s[2:3], vcc
	s_cbranch_execz .LBB43_98
; %bb.97:
	ds_read2_b32 v[0:1], v252 offset0:19 offset1:20
	ds_read_b32 v4, v252 offset:84
	s_waitcnt lgkmcnt(2)
	v_mul_f32_e32 v40, v46, v42
	v_mov_b32_e32 v2, v19
	v_mov_b32_e32 v3, v20
	s_waitcnt lgkmcnt(1)
	v_pk_fma_f32 v[44:45], v[40:41], v[0:1], v[2:3] op_sel_hi:[0,1,1] neg_lo:[1,0,0] neg_hi:[1,0,0]
	v_mov_b32_e32 v41, v44
	v_mov_b64_e32 v[104:105], v[52:53]
	v_mov_b64_e32 v[244:245], v[52:53]
	s_waitcnt lgkmcnt(0)
	v_fma_f32 v21, -v40, v4, v49
	v_mov_b32_e32 v1, v23
	v_mov_b32_e32 v4, v26
	;; [unrolled: 1-line block ×18, first 2 shown]
	v_mov_b64_e32 v[102:103], v[50:51]
	v_mov_b64_e32 v[100:101], v[48:49]
	;; [unrolled: 1-line block ×30, first 2 shown]
	v_mov_b32_e32 v23, v44
	v_mov_b32_e32 v0, v22
	;; [unrolled: 1-line block ×4, first 2 shown]
	scratch_store_dwordx4 off, v[4:7], off offset:128 ; 16-byte Folded Spill
	s_nop 0
	scratch_store_dwordx4 off, v[8:11], off offset:144 ; 16-byte Folded Spill
	scratch_store_dwordx4 off, v[12:15], off offset:160 ; 16-byte Folded Spill
	;; [unrolled: 1-line block ×7, first 2 shown]
	v_mov_b32_e32 v48, v45
	v_mov_b32_e32 v49, v21
.LBB43_98:
	s_or_b64 exec, exec, s[2:3]
	v_cmp_eq_u32_e32 vcc, 19, v250
	s_waitcnt lgkmcnt(0)
	s_barrier
	s_and_saveexec_b64 s[2:3], vcc
	s_cbranch_execz .LBB43_101
; %bb.99:
	scratch_load_dwordx4 v[136:139], off, off offset:128 ; 16-byte Folded Reload
	scratch_load_dwordx4 v[140:143], off, off offset:144 ; 16-byte Folded Reload
	;; [unrolled: 1-line block ×8, first 2 shown]
	s_waitcnt vmcnt(3)
	ds_write_b32 v251, v155
	ds_write_b64 v252, v[20:21] offset:80
	ds_read_b32 v22, v251
	s_waitcnt lgkmcnt(0)
	v_cmp_neq_f32_e32 vcc, 0, v22
	s_and_b64 exec, exec, vcc
	s_cbranch_execz .LBB43_101
; %bb.100:
	v_div_scale_f32 v23, s[4:5], v22, v22, 1.0
	v_rcp_f32_e32 v24, v23
	v_div_scale_f32 v25, vcc, 1.0, v22, 1.0
	v_fma_f32 v26, -v23, v24, 1.0
	v_fmac_f32_e32 v24, v26, v24
	v_mul_f32_e32 v26, v25, v24
	v_fma_f32 v27, -v23, v26, v25
	v_fmac_f32_e32 v26, v27, v24
	v_fma_f32 v23, -v23, v26, v25
	v_div_fmas_f32 v23, v23, v24, v26
	v_div_fixup_f32 v22, v23, v22, 1.0
	ds_write_b32 v251, v22
.LBB43_101:
	s_or_b64 exec, exec, s[2:3]
	s_waitcnt lgkmcnt(0)
	s_barrier
	ds_read_b32 v32, v251
	v_cmp_lt_u32_e32 vcc, 19, v250
	s_and_saveexec_b64 s[2:3], vcc
	s_cbranch_execz .LBB43_103
; %bb.102:
	ds_read_b64 v[2:3], v252 offset:80
	scratch_load_dwordx4 v[80:83], off, off offset:128 ; 16-byte Folded Reload
	scratch_load_dwordx4 v[84:87], off, off offset:144 ; 16-byte Folded Reload
	;; [unrolled: 1-line block ×8, first 2 shown]
	v_mov_b32_e32 v0, v214
	v_mov_b32_e32 v1, v215
	;; [unrolled: 1-line block ×17, first 2 shown]
	s_waitcnt vmcnt(3) lgkmcnt(1)
	v_mul_f32_e32 v22, v99, v32
	v_mov_b32_e32 v233, v22
	s_waitcnt lgkmcnt(0)
	v_pk_fma_f32 v[20:21], v[22:23], v[2:3], v[20:21] op_sel_hi:[0,1,1] neg_lo:[1,0,0] neg_hi:[1,0,0]
	s_waitcnt vmcnt(1)
	v_mov_b64_e32 v[74:75], v[214:215]
	v_mov_b32_e32 v2, v216
	v_mov_b32_e32 v3, v217
	;; [unrolled: 1-line block ×3, first 2 shown]
	v_mov_b64_e32 v[76:77], v[216:217]
	v_mov_b64_e32 v[78:79], v[218:219]
	;; [unrolled: 1-line block ×14, first 2 shown]
	v_mov_b32_e32 v48, v20
	v_mov_b32_e32 v49, v21
	v_mov_b64_e32 v[94:95], v[234:235]
.LBB43_103:
	s_or_b64 exec, exec, s[2:3]
	v_cmp_eq_u32_e32 vcc, 20, v250
	s_waitcnt lgkmcnt(0)
	s_barrier
	s_and_saveexec_b64 s[2:3], vcc
	s_cbranch_execz .LBB43_106
; %bb.104:
	ds_write_b32 v251, v48
	ds_write_b32 v252, v49 offset:84
	ds_read_b32 v22, v251
	s_waitcnt lgkmcnt(0)
	v_cmp_neq_f32_e32 vcc, 0, v22
	s_and_b64 exec, exec, vcc
	s_cbranch_execz .LBB43_106
; %bb.105:
	v_div_scale_f32 v23, s[4:5], v22, v22, 1.0
	v_rcp_f32_e32 v24, v23
	v_div_scale_f32 v25, vcc, 1.0, v22, 1.0
	v_fma_f32 v26, -v23, v24, 1.0
	v_fmac_f32_e32 v24, v26, v24
	v_mul_f32_e32 v26, v25, v24
	v_fma_f32 v27, -v23, v26, v25
	v_fmac_f32_e32 v26, v27, v24
	v_fma_f32 v23, -v23, v26, v25
	v_div_fmas_f32 v23, v23, v24, v26
	v_div_fixup_f32 v22, v23, v22, 1.0
	ds_write_b32 v251, v22
.LBB43_106:
	s_or_b64 exec, exec, s[2:3]
	s_waitcnt lgkmcnt(0)
	s_barrier
	ds_read_b32 v33, v251
	v_cmp_lt_u32_e32 vcc, 20, v250
	s_and_saveexec_b64 s[2:3], vcc
	s_cbranch_execz .LBB43_108
; %bb.107:
	ds_read_b32 v0, v252 offset:84
	s_waitcnt lgkmcnt(1)
	v_mul_f32_e32 v94, v48, v33
	s_waitcnt lgkmcnt(0)
	v_fma_f32 v95, -v94, v0, v49
	v_mov_b64_e32 v[0:1], v[74:75]
	v_mov_b64_e32 v[2:3], v[76:77]
	;; [unrolled: 1-line block ×11, first 2 shown]
	v_mov_b32_e32 v49, v95
	v_mov_b64_e32 v[22:23], v[96:97]
	v_mov_b64_e32 v[24:25], v[98:99]
	;; [unrolled: 1-line block ×5, first 2 shown]
.LBB43_108:
	s_or_b64 exec, exec, s[2:3]
	v_cmp_eq_u32_e32 vcc, 21, v250
	s_waitcnt lgkmcnt(0)
	s_barrier
	s_and_saveexec_b64 s[2:3], vcc
	s_cbranch_execz .LBB43_111
; %bb.109:
	v_cmp_neq_f32_e32 vcc, 0, v49
	ds_write_b32 v251, v49
	s_and_b64 exec, exec, vcc
	s_cbranch_execz .LBB43_111
; %bb.110:
	v_div_scale_f32 v22, s[4:5], v49, v49, 1.0
	v_rcp_f32_e32 v23, v22
	v_div_scale_f32 v24, vcc, 1.0, v49, 1.0
	v_fma_f32 v25, -v22, v23, 1.0
	v_fmac_f32_e32 v23, v25, v23
	v_mul_f32_e32 v25, v24, v23
	v_fma_f32 v26, -v22, v25, v24
	v_fmac_f32_e32 v25, v26, v23
	v_fma_f32 v22, -v22, v25, v24
	v_div_fmas_f32 v22, v22, v23, v25
	v_div_fixup_f32 v22, v22, v49, 1.0
	ds_write_b32 v251, v22
.LBB43_111:
	s_or_b64 exec, exec, s[2:3]
	s_waitcnt lgkmcnt(0)
	s_barrier
	ds_read_b32 v24, v251
	s_waitcnt lgkmcnt(0)
	s_barrier
	s_and_saveexec_b64 s[2:3], s[0:1]
	s_cbranch_execz .LBB43_114
; %bb.112:
	scratch_load_dword v22, off, off offset:2736 ; 4-byte Folded Reload
	scratch_load_dword v23, off, off offset:2740 ; 4-byte Folded Reload
	scratch_load_dword v27, off, off offset:2176 ; 4-byte Folded Reload
	s_waitcnt vmcnt(2)
	v_cmp_eq_f32_e32 vcc, 0, v22
	s_waitcnt vmcnt(1)
	v_cmp_neq_f32_e64 s[0:1], 0, v23
	v_cndmask_b32_e64 v22, 0, 1, vcc
	s_or_b64 vcc, s[0:1], vcc
	v_cndmask_b32_e32 v25, 2, v22, vcc
	scratch_load_dword v22, off, off offset:2048 ; 4-byte Folded Reload
	v_cmp_eq_u32_e64 s[0:1], 0, v25
	v_mov_b32_e32 v23, s7
	s_waitcnt vmcnt(0)
	v_cmp_eq_f32_e32 vcc, 0, v22
	s_and_b64 s[0:1], vcc, s[0:1]
	v_cmp_eq_f32_e32 vcc, 0, v27
	scratch_load_dword v27, off, off offset:2304 ; 4-byte Folded Reload
	v_mov_b32_e32 v22, s6
	v_lshl_add_u64 v[22:23], v[254:255], 2, v[22:23]
	global_load_dword v26, v[22:23], off
	v_cndmask_b32_e64 v25, v25, 3, s[0:1]
	v_cmp_eq_u32_e64 s[0:1], 0, v25
	s_and_b64 s[0:1], vcc, s[0:1]
	s_waitcnt vmcnt(1)
	v_cmp_eq_f32_e32 vcc, 0, v27
	v_cndmask_b32_e64 v25, v25, 4, s[0:1]
	v_cmp_eq_u32_e64 s[0:1], 0, v25
	s_and_b64 s[0:1], vcc, s[0:1]
	v_cmp_eq_f32_e32 vcc, 0, v253
	v_cndmask_b32_e64 v25, v25, 5, s[0:1]
	v_cmp_eq_u32_e64 s[0:1], 0, v25
	s_and_b64 s[0:1], vcc, s[0:1]
	;; [unrolled: 4-line block ×18, first 2 shown]
	s_waitcnt vmcnt(0)
	v_cmp_eq_u32_e32 vcc, 0, v26
	v_cndmask_b32_e64 v25, v25, 22, s[0:1]
	v_cmp_ne_u32_e64 s[0:1], 0, v25
	s_and_b64 s[0:1], vcc, s[0:1]
	s_and_b64 exec, exec, s[0:1]
	s_cbranch_execz .LBB43_114
; %bb.113:
	v_add_u32_e32 v25, s9, v25
	global_store_dword v[22:23], v25, off
.LBB43_114:
	s_or_b64 exec, exec, s[2:3]
	v_mul_f32_e32 v22, v49, v24
	v_cmp_lt_u32_e32 vcc, 21, v250
	s_nop 1
	v_cndmask_b32_e32 v21, v21, v22, vcc
	scratch_load_dwordx2 v[22:23], off, off offset:2560 ; 8-byte Folded Reload
	s_waitcnt vmcnt(0)
	global_store_dword v[22:23], v0, off
	scratch_load_dwordx2 v[22:23], off, off offset:2568 ; 8-byte Folded Reload
	s_waitcnt vmcnt(0)
	global_store_dword v[22:23], v1, off
	;; [unrolled: 3-line block ×22, first 2 shown]
.LBB43_115:
	s_endpgm
	.section	.rodata,"a",@progbits
	.p2align	6, 0x0
	.amdhsa_kernel _ZN9rocsolver6v33100L23getf2_npvt_small_kernelILi22EfiiPfEEvT1_T3_lS3_lPT2_S3_S3_
		.amdhsa_group_segment_fixed_size 0
		.amdhsa_private_segment_fixed_size 3260
		.amdhsa_kernarg_size 312
		.amdhsa_user_sgpr_count 2
		.amdhsa_user_sgpr_dispatch_ptr 0
		.amdhsa_user_sgpr_queue_ptr 0
		.amdhsa_user_sgpr_kernarg_segment_ptr 1
		.amdhsa_user_sgpr_dispatch_id 0
		.amdhsa_user_sgpr_kernarg_preload_length 0
		.amdhsa_user_sgpr_kernarg_preload_offset 0
		.amdhsa_user_sgpr_private_segment_size 0
		.amdhsa_uses_dynamic_stack 0
		.amdhsa_enable_private_segment 1
		.amdhsa_system_sgpr_workgroup_id_x 1
		.amdhsa_system_sgpr_workgroup_id_y 1
		.amdhsa_system_sgpr_workgroup_id_z 0
		.amdhsa_system_sgpr_workgroup_info 0
		.amdhsa_system_vgpr_workitem_id 1
		.amdhsa_next_free_vgpr 256
		.amdhsa_next_free_sgpr 16
		.amdhsa_accum_offset 256
		.amdhsa_reserve_vcc 1
		.amdhsa_float_round_mode_32 0
		.amdhsa_float_round_mode_16_64 0
		.amdhsa_float_denorm_mode_32 3
		.amdhsa_float_denorm_mode_16_64 3
		.amdhsa_dx10_clamp 1
		.amdhsa_ieee_mode 1
		.amdhsa_fp16_overflow 0
		.amdhsa_tg_split 0
		.amdhsa_exception_fp_ieee_invalid_op 0
		.amdhsa_exception_fp_denorm_src 0
		.amdhsa_exception_fp_ieee_div_zero 0
		.amdhsa_exception_fp_ieee_overflow 0
		.amdhsa_exception_fp_ieee_underflow 0
		.amdhsa_exception_fp_ieee_inexact 0
		.amdhsa_exception_int_div_zero 0
	.end_amdhsa_kernel
	.section	.text._ZN9rocsolver6v33100L23getf2_npvt_small_kernelILi22EfiiPfEEvT1_T3_lS3_lPT2_S3_S3_,"axG",@progbits,_ZN9rocsolver6v33100L23getf2_npvt_small_kernelILi22EfiiPfEEvT1_T3_lS3_lPT2_S3_S3_,comdat
.Lfunc_end43:
	.size	_ZN9rocsolver6v33100L23getf2_npvt_small_kernelILi22EfiiPfEEvT1_T3_lS3_lPT2_S3_S3_, .Lfunc_end43-_ZN9rocsolver6v33100L23getf2_npvt_small_kernelILi22EfiiPfEEvT1_T3_lS3_lPT2_S3_S3_
                                        ; -- End function
	.set _ZN9rocsolver6v33100L23getf2_npvt_small_kernelILi22EfiiPfEEvT1_T3_lS3_lPT2_S3_S3_.num_vgpr, 256
	.set _ZN9rocsolver6v33100L23getf2_npvt_small_kernelILi22EfiiPfEEvT1_T3_lS3_lPT2_S3_S3_.num_agpr, 0
	.set _ZN9rocsolver6v33100L23getf2_npvt_small_kernelILi22EfiiPfEEvT1_T3_lS3_lPT2_S3_S3_.numbered_sgpr, 16
	.set _ZN9rocsolver6v33100L23getf2_npvt_small_kernelILi22EfiiPfEEvT1_T3_lS3_lPT2_S3_S3_.num_named_barrier, 0
	.set _ZN9rocsolver6v33100L23getf2_npvt_small_kernelILi22EfiiPfEEvT1_T3_lS3_lPT2_S3_S3_.private_seg_size, 3260
	.set _ZN9rocsolver6v33100L23getf2_npvt_small_kernelILi22EfiiPfEEvT1_T3_lS3_lPT2_S3_S3_.uses_vcc, 1
	.set _ZN9rocsolver6v33100L23getf2_npvt_small_kernelILi22EfiiPfEEvT1_T3_lS3_lPT2_S3_S3_.uses_flat_scratch, 0
	.set _ZN9rocsolver6v33100L23getf2_npvt_small_kernelILi22EfiiPfEEvT1_T3_lS3_lPT2_S3_S3_.has_dyn_sized_stack, 0
	.set _ZN9rocsolver6v33100L23getf2_npvt_small_kernelILi22EfiiPfEEvT1_T3_lS3_lPT2_S3_S3_.has_recursion, 0
	.set _ZN9rocsolver6v33100L23getf2_npvt_small_kernelILi22EfiiPfEEvT1_T3_lS3_lPT2_S3_S3_.has_indirect_call, 0
	.section	.AMDGPU.csdata,"",@progbits
; Kernel info:
; codeLenInByte = 36532
; TotalNumSgprs: 22
; NumVgprs: 256
; NumAgprs: 0
; TotalNumVgprs: 256
; ScratchSize: 3260
; MemoryBound: 0
; FloatMode: 240
; IeeeMode: 1
; LDSByteSize: 0 bytes/workgroup (compile time only)
; SGPRBlocks: 2
; VGPRBlocks: 31
; NumSGPRsForWavesPerEU: 22
; NumVGPRsForWavesPerEU: 256
; AccumOffset: 256
; Occupancy: 2
; WaveLimiterHint : 0
; COMPUTE_PGM_RSRC2:SCRATCH_EN: 1
; COMPUTE_PGM_RSRC2:USER_SGPR: 2
; COMPUTE_PGM_RSRC2:TRAP_HANDLER: 0
; COMPUTE_PGM_RSRC2:TGID_X_EN: 1
; COMPUTE_PGM_RSRC2:TGID_Y_EN: 1
; COMPUTE_PGM_RSRC2:TGID_Z_EN: 0
; COMPUTE_PGM_RSRC2:TIDIG_COMP_CNT: 1
; COMPUTE_PGM_RSRC3_GFX90A:ACCUM_OFFSET: 63
; COMPUTE_PGM_RSRC3_GFX90A:TG_SPLIT: 0
	.section	.text._ZN9rocsolver6v33100L18getf2_small_kernelILi23EfiiPfEEvT1_T3_lS3_lPS3_llPT2_S3_S3_S5_l,"axG",@progbits,_ZN9rocsolver6v33100L18getf2_small_kernelILi23EfiiPfEEvT1_T3_lS3_lPS3_llPT2_S3_S3_S5_l,comdat
	.globl	_ZN9rocsolver6v33100L18getf2_small_kernelILi23EfiiPfEEvT1_T3_lS3_lPS3_llPT2_S3_S3_S5_l ; -- Begin function _ZN9rocsolver6v33100L18getf2_small_kernelILi23EfiiPfEEvT1_T3_lS3_lPS3_llPT2_S3_S3_S5_l
	.p2align	8
	.type	_ZN9rocsolver6v33100L18getf2_small_kernelILi23EfiiPfEEvT1_T3_lS3_lPS3_llPT2_S3_S3_S5_l,@function
_ZN9rocsolver6v33100L18getf2_small_kernelILi23EfiiPfEEvT1_T3_lS3_lPS3_llPT2_S3_S3_S5_l: ; @_ZN9rocsolver6v33100L18getf2_small_kernelILi23EfiiPfEEvT1_T3_lS3_lPS3_llPT2_S3_S3_S5_l
; %bb.0:
	s_load_dword s2, s[0:1], 0x6c
	s_load_dwordx2 s[14:15], s[0:1], 0x48
	v_bfe_u32 v4, v0, 10, 10
	s_waitcnt lgkmcnt(0)
	s_lshr_b32 s2, s2, 16
	s_mul_i32 s3, s3, s2
	v_add_u32_e32 v6, s3, v4
	v_cmp_gt_i32_e32 vcc, s14, v6
	s_and_saveexec_b64 s[2:3], vcc
	s_cbranch_execz .LBB44_391
; %bb.1:
	s_load_dwordx4 s[4:7], s[0:1], 0x50
	v_ashrrev_i32_e32 v7, 31, v6
	v_mov_b64_e32 v[2:3], 0
	scratch_store_dwordx2 off, v[2:3], off offset:2692 ; 8-byte Folded Spill
	s_waitcnt lgkmcnt(0)
	s_cmp_eq_u64 s[4:5], 0
	s_cselect_b64 s[16:17], -1, 0
	s_and_b64 vcc, exec, s[16:17]
	s_cbranch_vccnz .LBB44_3
; %bb.2:
	v_mul_lo_u32 v1, s7, v6
	v_mul_lo_u32 v5, s6, v7
	v_mad_u64_u32 v[2:3], s[2:3], s6, v6, 0
	v_add3_u32 v3, v3, v5, v1
	v_lshl_add_u64 v[2:3], v[2:3], 2, s[4:5]
	scratch_store_dwordx2 off, v[2:3], off offset:2692 ; 8-byte Folded Spill
.LBB44_3:
	s_load_dwordx4 s[24:27], s[0:1], 0x8
	s_load_dwordx8 s[4:11], s[0:1], 0x20
	s_load_dword s12, s[0:1], 0x18
	s_load_dword s22, s[0:1], 0x0
	scratch_store_dwordx2 off, v[6:7], off offset:3468 ; 8-byte Folded Spill
	s_waitcnt lgkmcnt(0)
	v_mov_b32_e32 v2, s24
	v_mul_lo_u32 v1, s5, v6
	v_mul_lo_u32 v5, s4, v7
	v_mad_u64_u32 v[6:7], s[2:3], s4, v6, 0
	v_mov_b32_e32 v3, s25
	v_add3_u32 v7, v7, v5, v1
	v_lshl_add_u64 v[2:3], v[6:7], 2, v[2:3]
	v_and_b32_e32 v1, 0x3ff, v0
	v_lshl_add_u64 v[56:57], s[26:27], 2, v[2:3]
	v_lshlrev_b32_e32 v2, 2, v1
	v_mov_b32_e32 v3, 0
	v_lshl_add_u64 v[6:7], v[56:57], 0, v[2:3]
	global_load_dword v0, v[6:7], off
	s_max_i32 s2, s22, 23
	s_add_i32 s14, s12, s12
	v_mul_lo_u32 v48, s2, v4
	v_add_u32_e32 v4, s14, v1
	v_add_u32_e32 v8, s12, v4
	;; [unrolled: 1-line block ×20, first 2 shown]
	s_ashr_i32 s13, s12, 31
	v_lshl_add_u32 v252, v48, 2, 0
	v_ashrrev_i32_e32 v45, 31, v44
	v_add_u32_e32 v46, s12, v44
	v_ashrrev_i32_e32 v5, 31, v4
	v_ashrrev_i32_e32 v9, 31, v8
	v_add_u32_e32 v2, v252, v2
	v_ashrrev_i32_e32 v11, 31, v10
	v_lshl_add_u64 v[6:7], s[12:13], 2, v[6:7]
	v_ashrrev_i32_e32 v13, 31, v12
	v_ashrrev_i32_e32 v15, 31, v14
	;; [unrolled: 1-line block ×3, first 2 shown]
	v_lshl_add_u64 v[44:45], v[44:45], 2, v[56:57]
	v_ashrrev_i32_e32 v47, 31, v46
	v_ashrrev_i32_e32 v21, 31, v20
	;; [unrolled: 1-line block ×3, first 2 shown]
	v_lshl_add_u64 v[4:5], v[4:5], 2, v[56:57]
	v_lshl_add_u64 v[8:9], v[8:9], 2, v[56:57]
	;; [unrolled: 1-line block ×7, first 2 shown]
	global_load_dword v254, v[44:45], off
	global_load_dword v255, v[46:47], off
	;; [unrolled: 1-line block ×9, first 2 shown]
	v_ashrrev_i32_e32 v19, 31, v18
	v_lshl_add_u64 v[6:7], v[20:21], 2, v[56:57]
	v_ashrrev_i32_e32 v23, 31, v22
	v_ashrrev_i32_e32 v25, 31, v24
	;; [unrolled: 1-line block ×6, first 2 shown]
	v_lshl_add_u64 v[20:21], v[34:35], 2, v[56:57]
	v_ashrrev_i32_e32 v37, 31, v36
	v_ashrrev_i32_e32 v39, 31, v38
	;; [unrolled: 1-line block ×4, first 2 shown]
	scratch_store_dwordx2 off, v[56:57], off offset:3476 ; 8-byte Folded Spill
	v_lshl_add_u64 v[4:5], v[18:19], 2, v[56:57]
	v_lshl_add_u64 v[8:9], v[22:23], 2, v[56:57]
	v_lshl_add_u64 v[10:11], v[24:25], 2, v[56:57]
	v_lshl_add_u64 v[12:13], v[26:27], 2, v[56:57]
	v_lshl_add_u64 v[14:15], v[28:29], 2, v[56:57]
	v_lshl_add_u64 v[16:17], v[30:31], 2, v[56:57]
	v_lshl_add_u64 v[18:19], v[32:33], 2, v[56:57]
	v_lshl_add_u64 v[22:23], v[36:37], 2, v[56:57]
	v_lshl_add_u64 v[24:25], v[38:39], 2, v[56:57]
	v_lshl_add_u64 v[26:27], v[40:41], 2, v[56:57]
	v_lshl_add_u64 v[28:29], v[42:43], 2, v[56:57]
	s_load_dwordx2 s[4:5], s[0:1], 0x40
	s_cmp_lt_i32 s22, 2
	s_waitcnt vmcnt(10)
	ds_write_b32 v2, v0
	global_load_dword v34, v[20:21], off
	global_load_dword v169, v[22:23], off
	;; [unrolled: 1-line block ×13, first 2 shown]
	s_waitcnt lgkmcnt(0)
	s_barrier
	ds_read_b32 v2, v252
	v_lshlrev_b32_e32 v7, 2, v48
	s_cbranch_scc1 .LBB44_6
; %bb.4:
	v_add3_u32 v4, v7, 0, 4
	v_mov_b32_e32 v3, 0
	s_mov_b32 s0, 1
.LBB44_5:                               ; =>This Inner Loop Header: Depth=1
	ds_read_b32 v5, v4
	v_mov_b32_e32 v6, s0
	s_add_i32 s0, s0, 1
	v_add_u32_e32 v4, 4, v4
	s_cmp_eq_u32 s22, s0
	s_waitcnt lgkmcnt(0)
	v_cmp_lt_f32_e64 vcc, |v2|, |v5|
	s_nop 1
	v_cndmask_b32_e32 v2, v2, v5, vcc
	v_cndmask_b32_e32 v3, v3, v6, vcc
	s_cbranch_scc0 .LBB44_5
.LBB44_6:
	v_cmp_ne_u32_e32 vcc, v1, v3
	scratch_store_dword off, v7, off offset:1664 ; 4-byte Folded Spill
                                        ; implicit-def: $vgpr253
	s_and_saveexec_b64 s[0:1], vcc
	s_xor_b64 s[0:1], exec, s[0:1]
	s_cbranch_execz .LBB44_12
; %bb.7:
	v_cmp_eq_u32_e32 vcc, 0, v1
	s_and_saveexec_b64 s[2:3], vcc
	s_cbranch_execz .LBB44_11
; %bb.8:
	v_cmp_ne_u32_e32 vcc, 0, v3
	s_xor_b64 s[18:19], s[16:17], -1
	s_and_b64 s[20:21], s[18:19], vcc
	s_and_saveexec_b64 s[18:19], s[20:21]
	s_cbranch_execz .LBB44_10
; %bb.9:
	scratch_load_dwordx2 v[8:9], off, off offset:2692 ; 8-byte Folded Reload
	v_ashrrev_i32_e32 v5, 31, v3
	v_mov_b32_e32 v4, v3
	s_waitcnt vmcnt(0)
	v_lshl_add_u64 v[4:5], v[4:5], 2, v[8:9]
	global_load_dword v1, v[4:5], off
	global_load_dword v6, v[8:9], off
	s_waitcnt vmcnt(1)
	global_store_dword v[8:9], v1, off
	s_waitcnt vmcnt(1)
	global_store_dword v[4:5], v6, off
.LBB44_10:
	s_or_b64 exec, exec, s[18:19]
	v_mov_b32_e32 v1, v3
.LBB44_11:
	s_or_b64 exec, exec, s[2:3]
	v_mov_b32_e32 v253, v1
                                        ; implicit-def: $vgpr1
.LBB44_12:
	s_or_saveexec_b64 s[0:1], s[0:1]
	v_mov_b32_e32 v251, v253
	s_xor_b64 exec, exec, s[0:1]
	s_cbranch_execz .LBB44_14
; %bb.13:
	v_mov_b32_e32 v251, v1
	v_mov_b32_e32 v253, 0
	s_waitcnt vmcnt(20)
	ds_write2_b32 v252, v53, v54 offset0:1 offset1:2
	s_waitcnt vmcnt(18)
	ds_write2_b32 v252, v55, v52 offset0:3 offset1:4
	;; [unrolled: 2-line block ×8, first 2 shown]
	ds_write2_b32 v252, v169, v164 offset0:17 offset1:18
	ds_write2_b32 v252, v107, v226 offset0:19 offset1:20
	ds_write2_b32 v252, v254, v255 offset0:21 offset1:22
.LBB44_14:
	s_or_b64 exec, exec, s[0:1]
	s_waitcnt lgkmcnt(0)
	v_cmp_eq_f32_e64 s[0:1], 0, v2
	v_cmp_gt_i32_e32 vcc, 1, v253
	s_barrier
	s_and_saveexec_b64 s[2:3], vcc
	s_xor_b64 s[2:3], exec, s[2:3]
; %bb.15:
                                        ; implicit-def: $vgpr2
; %bb.16:
	s_andn2_saveexec_b64 s[2:3], s[2:3]
	s_cbranch_execz .LBB44_18
; %bb.17:
	v_div_scale_f32 v1, s[18:19], v2, v2, 1.0
	v_rcp_f32_e32 v3, v1
	s_waitcnt vmcnt(21)
	v_mov_b32_e32 v4, v53
	s_waitcnt vmcnt(20)
	v_mov_b32_e32 v5, v54
	;; [unrolled: 2-line block ×3, first 2 shown]
	v_fma_f32 v22, -v1, v3, 1.0
	v_fmac_f32_e32 v3, v22, v3
	v_div_scale_f32 v22, vcc, 1.0, v2, 1.0
	v_mul_f32_e32 v26, v22, v3
	v_fma_f32 v27, -v1, v26, v22
	v_fmac_f32_e32 v26, v27, v3
	v_fma_f32 v1, -v1, v26, v22
	v_div_fmas_f32 v1, v1, v3, v26
	v_div_fixup_f32 v1, v1, v2, 1.0
	v_cndmask_b32_e64 v1, v1, v2, s[0:1]
	ds_read2_b32 v[2:3], v252 offset0:1 offset1:2
	ds_read2_b32 v[26:27], v252 offset0:3 offset1:4
	;; [unrolled: 1-line block ×3, first 2 shown]
	s_waitcnt vmcnt(18)
	v_mov_b32_e32 v7, v52
	s_waitcnt vmcnt(17)
	v_mov_b32_e32 v8, v51
	;; [unrolled: 2-line block ×4, first 2 shown]
	v_mul_f32_e32 v0, v0, v1
	ds_read2_b32 v[30:31], v252 offset0:7 offset1:8
	s_waitcnt lgkmcnt(3)
	v_pk_fma_f32 v[2:3], v[0:1], v[2:3], v[4:5] op_sel_hi:[0,1,1] neg_lo:[1,0,0] neg_hi:[1,0,0]
	s_waitcnt lgkmcnt(2)
	v_pk_fma_f32 v[4:5], v[0:1], v[26:27], v[6:7] op_sel_hi:[0,1,1] neg_lo:[1,0,0] neg_hi:[1,0,0]
	;; [unrolled: 2-line block ×3, first 2 shown]
	ds_read2_b32 v[8:9], v252 offset0:9 offset1:10
	ds_read2_b32 v[26:27], v252 offset0:11 offset1:12
	v_mov_b32_e32 v10, v49
	v_mov_b32_e32 v11, v32
	;; [unrolled: 1-line block ×5, first 2 shown]
	s_waitcnt lgkmcnt(2)
	v_pk_fma_f32 v[10:11], v[0:1], v[30:31], v[10:11] op_sel_hi:[0,1,1] neg_lo:[1,0,0] neg_hi:[1,0,0]
	ds_read2_b32 v[28:29], v252 offset0:13 offset1:14
	ds_read2_b32 v[30:31], v252 offset0:15 offset1:16
	s_waitcnt lgkmcnt(3)
	v_pk_fma_f32 v[8:9], v[0:1], v[8:9], v[12:13] op_sel_hi:[0,1,1] neg_lo:[1,0,0] neg_hi:[1,0,0]
	s_waitcnt lgkmcnt(2)
	v_pk_fma_f32 v[12:13], v[0:1], v[26:27], v[14:15] op_sel_hi:[0,1,1] neg_lo:[1,0,0] neg_hi:[1,0,0]
	ds_read2_b32 v[14:15], v252 offset0:17 offset1:18
	ds_read2_b32 v[26:27], v252 offset0:19 offset1:20
	;; [unrolled: 1-line block ×3, first 2 shown]
	s_waitcnt vmcnt(3)
	v_mov_b32_e32 v16, v229
	s_waitcnt vmcnt(2)
	v_mov_b32_e32 v17, v36
	s_waitcnt vmcnt(1)
	v_mov_b32_e32 v18, v145
	v_mov_b32_e32 v19, v34
	v_mov_b32_e32 v20, v169
	;; [unrolled: 1-line block ×5, first 2 shown]
	s_waitcnt lgkmcnt(4)
	v_pk_fma_f32 v[16:17], v[0:1], v[28:29], v[16:17] op_sel_hi:[0,1,1] neg_lo:[1,0,0] neg_hi:[1,0,0]
	s_waitcnt lgkmcnt(3)
	v_pk_fma_f32 v[18:19], v[0:1], v[30:31], v[18:19] op_sel_hi:[0,1,1] neg_lo:[1,0,0] neg_hi:[1,0,0]
	;; [unrolled: 2-line block ×5, first 2 shown]
	v_mov_b32_e32 v53, v2
	v_mov_b32_e32 v54, v3
	;; [unrolled: 1-line block ×20, first 2 shown]
.LBB44_18:
	s_or_b64 exec, exec, s[2:3]
	v_lshl_add_u32 v1, v253, 2, v252
	s_barrier
	s_waitcnt vmcnt(21)
	ds_write_b32 v1, v53
	s_waitcnt lgkmcnt(0)
	s_barrier
	ds_read_b32 v250, v252 offset:4
	s_mov_b32 s2, 2
	s_cmp_lt_i32 s22, 3
	v_mov_b32_e32 v2, 1
	s_cbranch_scc1 .LBB44_21
; %bb.19:
	scratch_load_dword v1, off, off offset:1664 ; 4-byte Folded Reload
	v_mov_b32_e32 v2, 1
	s_waitcnt vmcnt(0)
	v_add3_u32 v1, v1, 0, 8
.LBB44_20:                              ; =>This Inner Loop Header: Depth=1
	ds_read_b32 v3, v1
	v_mov_b32_e32 v4, s2
	s_add_i32 s2, s2, 1
	v_add_u32_e32 v1, 4, v1
	s_cmp_lg_u32 s22, s2
	s_waitcnt lgkmcnt(0)
	v_cmp_lt_f32_e64 vcc, |v250|, |v3|
	s_nop 1
	v_cndmask_b32_e32 v250, v250, v3, vcc
	v_cndmask_b32_e32 v2, v2, v4, vcc
	s_cbranch_scc1 .LBB44_20
.LBB44_21:
	v_cmp_ne_u32_e32 vcc, v253, v2
	s_and_saveexec_b64 s[2:3], vcc
	s_xor_b64 s[2:3], exec, s[2:3]
	s_cbranch_execz .LBB44_27
; %bb.22:
	v_cmp_eq_u32_e32 vcc, 1, v253
	s_and_saveexec_b64 s[18:19], vcc
	s_cbranch_execz .LBB44_26
; %bb.23:
	v_cmp_ne_u32_e32 vcc, 1, v2
	s_xor_b64 s[20:21], s[16:17], -1
	s_and_b64 s[24:25], s[20:21], vcc
	s_and_saveexec_b64 s[20:21], s[24:25]
	s_cbranch_execz .LBB44_25
; %bb.24:
	scratch_load_dwordx2 v[6:7], off, off offset:2692 ; 8-byte Folded Reload
	v_ashrrev_i32_e32 v3, 31, v2
	s_waitcnt vmcnt(0)
	v_lshl_add_u64 v[4:5], v[2:3], 2, v[6:7]
	global_load_dword v1, v[4:5], off
	global_load_dword v3, v[6:7], off offset:4
	s_waitcnt vmcnt(1)
	global_store_dword v[6:7], v1, off offset:4
	s_waitcnt vmcnt(1)
	global_store_dword v[4:5], v3, off
.LBB44_25:
	s_or_b64 exec, exec, s[20:21]
	v_mov_b32_e32 v251, v2
	v_mov_b32_e32 v253, v2
.LBB44_26:
	s_or_b64 exec, exec, s[18:19]
.LBB44_27:
	s_or_saveexec_b64 s[2:3], s[2:3]
	v_mov_b32_e32 v1, v53
	v_mov_b64_e32 v[14:15], v[0:1]
	s_waitcnt vmcnt(20)
	v_mov_b32_e32 v2, v54
	v_mov_b32_e32 v16, v54
	s_waitcnt vmcnt(19)
	v_mov_b32_e32 v3, v55
	v_mov_b32_e32 v17, v55
	;; [unrolled: 3-line block ×8, first 2 shown]
	s_waitcnt vmcnt(6)
	v_mov_b32_e32 v24, v66
	s_waitcnt vmcnt(5)
	v_mov_b32_e32 v25, v141
	;; [unrolled: 2-line block ×3, first 2 shown]
	v_mov_b32_e32 v26, v30
	s_waitcnt vmcnt(3)
	v_mov_b32_e32 v121, v229
	v_mov_b32_e32 v27, v229
	s_waitcnt vmcnt(2)
	v_mov_b32_e32 v40, v36
	;; [unrolled: 3-line block ×3, first 2 shown]
	v_mov_b32_e32 v44, v34
	v_mov_b32_e32 v30, v34
	;; [unrolled: 1-line block ×8, first 2 shown]
	s_xor_b64 exec, exec, s[2:3]
	s_cbranch_execz .LBB44_29
; %bb.28:
	v_mov_b32_e32 v253, 1
	ds_write2_b32 v252, v2, v3 offset0:2 offset1:3
	ds_write2_b32 v252, v4, v5 offset0:4 offset1:5
	;; [unrolled: 1-line block ×10, first 2 shown]
	ds_write_b32 v252, v255 offset:88
.LBB44_29:
	s_or_b64 exec, exec, s[2:3]
	v_mov_b32_e32 v161, v169
	v_mov_b64_e32 v[180:181], v[28:29]
	v_mov_b64_e32 v[178:179], v[26:27]
	;; [unrolled: 1-line block ×8, first 2 shown]
	v_mov_b32_e32 v18, v4
	v_mov_b32_e32 v14, v166
	;; [unrolled: 1-line block ×24, first 2 shown]
	v_mov_b64_e32 v[4:5], v[14:15]
	v_mov_b32_e32 v10, v166
	v_mov_b32_e32 v11, v53
	;; [unrolled: 1-line block ×9, first 2 shown]
	v_mov_b64_e32 v[8:9], v[18:19]
	v_mov_b64_e32 v[132:133], v[2:3]
	v_mov_b32_e32 v80, v24
	v_mov_b32_e32 v221, v17
	;; [unrolled: 1-line block ×10, first 2 shown]
	v_mov_b64_e32 v[6:7], v[16:17]
	v_mov_b32_e32 v29, v9
	v_mov_b32_e32 v30, v82
	v_mov_b32_e32 v31, v129
	v_mov_b32_e32 v16, v86
	v_mov_b32_e32 v18, v222
	v_mov_b32_e32 v19, v9
	v_mov_b32_e32 v20, v82
	v_mov_b32_e32 v21, v129
	v_mov_b32_e32 v22, v32
	v_mov_b64_e32 v[130:131], v[0:1]
	v_mov_b32_e32 v85, v11
	v_mov_b32_e32 v84, v10
	scratch_store_dwordx4 off, v[130:133], off offset:640 ; 16-byte Folded Spill
	s_nop 0
	scratch_store_dwordx4 off, v[134:137], off offset:656 ; 16-byte Folded Spill
	scratch_store_dwordx4 off, v[138:141], off offset:672 ; 16-byte Folded Spill
	;; [unrolled: 1-line block ×8, first 2 shown]
	s_nop 0
	scratch_store_dwordx4 off, v[8:11], off offset:784 ; 16-byte Folded Spill
	scratch_store_dwordx4 off, v[12:15], off offset:800 ; 16-byte Folded Spill
	;; [unrolled: 1-line block ×7, first 2 shown]
	v_mov_b32_e32 v224, v44
	v_mov_b32_e32 v50, v40
	;; [unrolled: 1-line block ×28, first 2 shown]
	s_waitcnt lgkmcnt(0)
	v_cmp_neq_f32_e64 s[2:3], 0, v250
	v_cmp_lt_i32_e32 vcc, 1, v253
	v_mov_b32_e32 v59, v133
	v_mov_b32_e32 v64, v32
	scratch_store_dwordx4 off, v[14:17], off offset:896 ; 16-byte Folded Spill
	s_nop 0
	scratch_store_dwordx4 off, v[18:21], off offset:912 ; 16-byte Folded Spill
	scratch_store_dwordx4 off, v[22:25], off offset:928 ; 16-byte Folded Spill
	scratch_store_dwordx4 off, v[26:29], off offset:944 ; 16-byte Folded Spill
	scratch_store_dwordx4 off, v[30:33], off offset:960 ; 16-byte Folded Spill
	scratch_store_dwordx4 off, v[34:37], off offset:976 ; 16-byte Folded Spill
	scratch_store_dwordx4 off, v[38:41], off offset:992 ; 16-byte Folded Spill
	scratch_store_dwordx4 off, v[42:45], off offset:1008 ; 16-byte Folded Spill
	v_mov_b32_e32 v61, v9
	v_mov_b32_e32 v135, v9
	;; [unrolled: 1-line block ×14, first 2 shown]
	scratch_store_dwordx4 off, v[88:91], off offset:1408 ; 16-byte Folded Spill
	s_nop 0
	scratch_store_dwordx4 off, v[92:95], off offset:1424 ; 16-byte Folded Spill
	scratch_store_dwordx4 off, v[96:99], off offset:1440 ; 16-byte Folded Spill
	;; [unrolled: 1-line block ×7, first 2 shown]
	v_mov_b32_e32 v65, v23
	v_mov_b32_e32 v139, v23
	scratch_load_dwordx4 v[0:3], off, off offset:640 ; 16-byte Folded Reload
	scratch_load_dwordx4 v[4:7], off, off offset:656 ; 16-byte Folded Reload
	;; [unrolled: 1-line block ×8, first 2 shown]
	s_waitcnt vmcnt(7)
	v_mov_b32_e32 v0, v34
	v_mov_b32_e32 v1, v35
	;; [unrolled: 1-line block ×3, first 2 shown]
	scratch_load_dwordx4 v[14:17], off, off offset:768 ; 16-byte Folded Reload
	scratch_load_dwordx4 v[18:21], off, off offset:784 ; 16-byte Folded Reload
	;; [unrolled: 1-line block ×8, first 2 shown]
	v_mov_b32_e32 v52, v56
	v_mov_b32_e32 v53, v57
	;; [unrolled: 1-line block ×11, first 2 shown]
	s_waitcnt vmcnt(13)
	v_mov_b32_e32 v10, v62
	v_mov_b32_e32 v11, v141
	v_mov_b32_e32 v4, v222
	v_mov_b32_e32 v6, v82
	v_mov_b32_e32 v7, v129
	v_mov_b32_e32 v140, v62
	v_mov_b32_e32 v200, v62
	v_mov_b32_e32 v190, v52
	v_mov_b32_e32 v199, v61
	v_mov_b32_e32 v198, v60
	v_mov_b32_e32 v197, v59
	v_mov_b32_e32 v196, v58
	v_mov_b32_e32 v195, v57
	v_mov_b32_e32 v194, v56
	v_mov_b32_e32 v193, v55
	v_mov_b32_e32 v192, v54
	v_mov_b32_e32 v191, v53
	v_mov_b32_e32 v108, v166
	v_mov_b32_e32 v109, v217
	v_mov_b32_e32 v110, v86
	v_mov_b32_e32 v112, v222
	v_mov_b32_e32 v114, v82
	v_mov_b32_e32 v115, v129
	v_mov_b32_e32 v118, v62
	v_mov_b32_e32 v119, v141
	v_mov_b32_e32 v100, v46
	v_mov_b32_e32 v46, v50
	v_mov_b32_e32 v64, v182
	v_mov_b32_e32 v65, v183
	v_mov_b32_e32 v66, v184
	v_mov_b32_e32 v67, v185
	v_mov_b32_e32 v68, v186
	v_mov_b32_e32 v69, v187
	v_mov_b32_e32 v70, v188
	v_mov_b32_e32 v8, v96
	v_mov_b32_e32 v138, v96
	v_mov_b64_e32 v[156:157], v[140:141]
	v_mov_b64_e32 v[154:155], v[138:139]
	;; [unrolled: 1-line block ×6, first 2 shown]
	s_waitcnt vmcnt(6)
	v_mov_b32_e32 v5, v19
	scratch_load_dwordx4 v[14:17], off, off offset:896 ; 16-byte Folded Reload
	scratch_load_dwordx4 v[18:21], off, off offset:912 ; 16-byte Folded Reload
	scratch_load_dwordx4 v[22:25], off, off offset:928 ; 16-byte Folded Reload
	scratch_load_dwordx4 v[26:29], off, off offset:944 ; 16-byte Folded Reload
	scratch_load_dwordx4 v[30:33], off, off offset:960 ; 16-byte Folded Reload
	scratch_load_dwordx4 v[34:37], off, off offset:976 ; 16-byte Folded Reload
	scratch_load_dwordx4 v[38:41], off, off offset:992 ; 16-byte Folded Reload
	scratch_load_dwordx4 v[42:45], off, off offset:1008 ; 16-byte Folded Reload
	s_waitcnt vmcnt(0)
	v_mov_b32_e32 v44, v100
	v_mov_b32_e32 v45, v121
	;; [unrolled: 1-line block ×8, first 2 shown]
	v_mov_b64_e32 v[42:43], v[10:11]
	v_mov_b64_e32 v[40:41], v[8:9]
	;; [unrolled: 1-line block ×6, first 2 shown]
	scratch_load_dwordx4 v[0:3], off, off offset:640 ; 16-byte Folded Reload
	scratch_load_dwordx4 v[4:7], off, off offset:656 ; 16-byte Folded Reload
	;; [unrolled: 1-line block ×8, first 2 shown]
	v_mov_b64_e32 v[98:99], v[42:43]
	v_mov_b64_e32 v[96:97], v[40:41]
	;; [unrolled: 1-line block ×13, first 2 shown]
	v_mov_b32_e32 v42, v62
	v_mov_b64_e32 v[48:49], v[166:167]
	v_mov_b64_e32 v[90:91], v[148:149]
	;; [unrolled: 1-line block ×6, first 2 shown]
	v_mov_b32_e32 v43, v141
	v_mov_b64_e32 v[62:63], v[180:181]
	v_mov_b32_e32 v32, v166
	v_mov_b32_e32 v33, v217
	;; [unrolled: 1-line block ×6, first 2 shown]
	v_mov_b64_e32 v[50:51], v[168:169]
	v_mov_b64_e32 v[52:53], v[170:171]
	;; [unrolled: 1-line block ×12, first 2 shown]
	v_mov_b32_e32 v209, v217
	v_mov_b32_e32 v210, v86
	;; [unrolled: 1-line block ×4, first 2 shown]
	s_waitcnt vmcnt(7)
	v_mov_b32_e32 v111, v3
	scratch_load_dwordx4 v[0:3], off, off offset:768 ; 16-byte Folded Reload
	scratch_load_dwordx4 v[4:7], off, off offset:784 ; 16-byte Folded Reload
	scratch_load_dwordx4 v[8:11], off, off offset:800 ; 16-byte Folded Reload
	scratch_load_dwordx4 v[12:15], off, off offset:816 ; 16-byte Folded Reload
	scratch_load_dwordx4 v[16:19], off, off offset:832 ; 16-byte Folded Reload
	scratch_load_dwordx4 v[20:23], off, off offset:848 ; 16-byte Folded Reload
	scratch_load_dwordx4 v[24:27], off, off offset:864 ; 16-byte Folded Reload
	scratch_load_dwordx4 v[28:31], off, off offset:880 ; 16-byte Folded Reload
	s_waitcnt vmcnt(6)
	v_mov_b32_e32 v113, v5
	scratch_load_dwordx4 v[0:3], off, off offset:1408 ; 16-byte Folded Reload
	scratch_load_dwordx4 v[4:7], off, off offset:1424 ; 16-byte Folded Reload
	scratch_load_dwordx4 v[8:11], off, off offset:1440 ; 16-byte Folded Reload
	scratch_load_dwordx4 v[12:15], off, off offset:1456 ; 16-byte Folded Reload
	scratch_load_dwordx4 v[16:19], off, off offset:1472 ; 16-byte Folded Reload
	scratch_load_dwordx4 v[20:23], off, off offset:1488 ; 16-byte Folded Reload
	scratch_load_dwordx4 v[24:27], off, off offset:1504 ; 16-byte Folded Reload
	scratch_load_dwordx4 v[28:31], off, off offset:1520 ; 16-byte Folded Reload
	;; [unrolled: 10-line block ×8, first 2 shown]
	v_mov_b64_e32 v[156:157], v[42:43]
	v_mov_b64_e32 v[154:155], v[40:41]
	;; [unrolled: 1-line block ×6, first 2 shown]
	s_waitcnt vmcnt(7)
	v_mov_b32_e32 v133, v3
	scratch_load_dwordx4 v[0:3], off, off offset:768 ; 16-byte Folded Reload
	scratch_load_dwordx4 v[4:7], off, off offset:784 ; 16-byte Folded Reload
	scratch_load_dwordx4 v[8:11], off, off offset:800 ; 16-byte Folded Reload
	scratch_load_dwordx4 v[12:15], off, off offset:816 ; 16-byte Folded Reload
	scratch_load_dwordx4 v[16:19], off, off offset:832 ; 16-byte Folded Reload
	scratch_load_dwordx4 v[20:23], off, off offset:848 ; 16-byte Folded Reload
	scratch_load_dwordx4 v[24:27], off, off offset:864 ; 16-byte Folded Reload
	scratch_load_dwordx4 v[28:31], off, off offset:880 ; 16-byte Folded Reload
	s_waitcnt vmcnt(6)
	v_mov_b32_e32 v135, v5
	scratch_load_dwordx4 v[0:3], off, off offset:1408 ; 16-byte Folded Reload
	scratch_load_dwordx4 v[4:7], off, off offset:1424 ; 16-byte Folded Reload
	scratch_load_dwordx4 v[8:11], off, off offset:1440 ; 16-byte Folded Reload
	scratch_load_dwordx4 v[12:15], off, off offset:1456 ; 16-byte Folded Reload
	scratch_load_dwordx4 v[16:19], off, off offset:1472 ; 16-byte Folded Reload
	scratch_load_dwordx4 v[20:23], off, off offset:1488 ; 16-byte Folded Reload
	scratch_load_dwordx4 v[24:27], off, off offset:1504 ; 16-byte Folded Reload
	scratch_load_dwordx4 v[28:31], off, off offset:1520 ; 16-byte Folded Reload
	;; [unrolled: 10-line block ×3, first 2 shown]
	s_waitcnt vmcnt(5)
	v_mov_b32_e32 v139, v9
	v_mov_b32_e32 v0, v190
	v_mov_b32_e32 v1, v191
	v_mov_b32_e32 v2, v192
	v_mov_b32_e32 v3, v193
	v_mov_b32_e32 v4, v194
	v_mov_b32_e32 v5, v195
	v_mov_b32_e32 v6, v196
	v_mov_b32_e32 v7, v197
	v_mov_b32_e32 v8, v198
	v_mov_b32_e32 v9, v199
	v_mov_b32_e32 v10, v200
	scratch_store_dwordx4 off, v[0:3], off offset:2436 ; 16-byte Folded Spill
	s_nop 0
	scratch_store_dwordx4 off, v[4:7], off offset:2452 ; 16-byte Folded Spill
	scratch_store_dwordx4 off, v[8:11], off offset:2468 ; 16-byte Folded Spill
	s_waitcnt vmcnt(7)
	scratch_store_dwordx4 off, v[12:15], off offset:2484 ; 16-byte Folded Spill
	s_waitcnt vmcnt(7)
	;; [unrolled: 2-line block ×5, first 2 shown]
	scratch_store_dwordx4 off, v[28:31], off offset:2548 ; 16-byte Folded Spill
	scratch_store_dwordx4 off, v[88:91], off offset:2828 ; 16-byte Folded Spill
	s_nop 0
	scratch_store_dwordx4 off, v[92:95], off offset:2844 ; 16-byte Folded Spill
	scratch_store_dwordx4 off, v[96:99], off offset:2860 ; 16-byte Folded Spill
	;; [unrolled: 1-line block ×7, first 2 shown]
	v_mov_b64_e32 v[198:199], v[62:63]
	v_mov_b64_e32 v[196:197], v[60:61]
	;; [unrolled: 1-line block ×8, first 2 shown]
	v_mov_b32_e32 v208, v184
	v_mov_b32_e32 v206, v70
	;; [unrolled: 1-line block ×17, first 2 shown]
	scratch_load_dwordx4 v[0:3], off, off offset:640 ; 16-byte Folded Reload
	scratch_load_dwordx4 v[4:7], off, off offset:656 ; 16-byte Folded Reload
	;; [unrolled: 1-line block ×16, first 2 shown]
	s_waitcnt vmcnt(15)
	v_mov_b32_e32 v0, v208
	s_waitcnt vmcnt(12)
	v_mov_b32_e32 v14, v160
	v_mov_b32_e32 v15, v145
	;; [unrolled: 1-line block ×16, first 2 shown]
	s_waitcnt vmcnt(6)
	v_mov_b32_e32 v5, v23
	scratch_load_dwordx4 v[18:21], off, off offset:1408 ; 16-byte Folded Reload
	scratch_load_dwordx4 v[22:25], off, off offset:1424 ; 16-byte Folded Reload
	scratch_load_dwordx4 v[26:29], off, off offset:1440 ; 16-byte Folded Reload
	scratch_load_dwordx4 v[30:33], off, off offset:1456 ; 16-byte Folded Reload
	scratch_load_dwordx4 v[34:37], off, off offset:1472 ; 16-byte Folded Reload
	scratch_load_dwordx4 v[38:41], off, off offset:1488 ; 16-byte Folded Reload
	scratch_load_dwordx4 v[42:45], off, off offset:1504 ; 16-byte Folded Reload
	scratch_load_dwordx4 v[46:49], off, off offset:1520 ; 16-byte Folded Reload
	s_waitcnt vmcnt(5)
	v_mov_b32_e32 v8, v26
	scratch_load_dwordx4 v[18:21], off, off offset:896 ; 16-byte Folded Reload
	scratch_load_dwordx4 v[22:25], off, off offset:912 ; 16-byte Folded Reload
	scratch_load_dwordx4 v[26:29], off, off offset:928 ; 16-byte Folded Reload
	scratch_load_dwordx4 v[30:33], off, off offset:944 ; 16-byte Folded Reload
	scratch_load_dwordx4 v[34:37], off, off offset:960 ; 16-byte Folded Reload
	scratch_load_dwordx4 v[38:41], off, off offset:976 ; 16-byte Folded Reload
	scratch_load_dwordx4 v[42:45], off, off offset:992 ; 16-byte Folded Reload
	scratch_load_dwordx4 v[46:49], off, off offset:1008 ; 16-byte Folded Reload
	;; [unrolled: 10-line block ×3, first 2 shown]
	s_waitcnt vmcnt(3)
	v_mov_b32_e32 v34, v184
	s_waitcnt vmcnt(2)
	v_mov_b32_e32 v40, v82
	;; [unrolled: 2-line block ×3, first 2 shown]
	v_mov_b32_e32 v48, v66
	v_mov_b32_e32 v49, v145
	;; [unrolled: 1-line block ×9, first 2 shown]
	v_mov_b64_e32 v[102:103], v[14:15]
	v_mov_b32_e32 v61, v27
	v_mov_b32_e32 v60, v26
	v_mov_b32_e32 v59, v25
	v_mov_b32_e32 v58, v24
	v_mov_b32_e32 v57, v23
	v_mov_b32_e32 v56, v22
	v_mov_b32_e32 v55, v21
	v_mov_b32_e32 v54, v20
	v_mov_b32_e32 v53, v19
	v_mov_b32_e32 v52, v18
	v_mov_b64_e32 v[100:101], v[12:13]
	v_mov_b64_e32 v[98:99], v[10:11]
	;; [unrolled: 1-line block ×7, first 2 shown]
	scratch_load_dwordx4 v[0:3], off, off offset:640 ; 16-byte Folded Reload
	scratch_load_dwordx4 v[4:7], off, off offset:656 ; 16-byte Folded Reload
	scratch_load_dwordx4 v[8:11], off, off offset:672 ; 16-byte Folded Reload
	scratch_load_dwordx4 v[12:15], off, off offset:688 ; 16-byte Folded Reload
	scratch_load_dwordx4 v[16:19], off, off offset:704 ; 16-byte Folded Reload
	scratch_load_dwordx4 v[20:23], off, off offset:720 ; 16-byte Folded Reload
	scratch_load_dwordx4 v[24:27], off, off offset:736 ; 16-byte Folded Reload
	scratch_load_dwordx4 v[28:31], off, off offset:752 ; 16-byte Folded Reload
	s_waitcnt vmcnt(7)
	v_mov_b32_e32 v37, v3
	scratch_load_dwordx4 v[0:3], off, off offset:768 ; 16-byte Folded Reload
	scratch_load_dwordx4 v[4:7], off, off offset:784 ; 16-byte Folded Reload
	scratch_load_dwordx4 v[8:11], off, off offset:800 ; 16-byte Folded Reload
	scratch_load_dwordx4 v[12:15], off, off offset:816 ; 16-byte Folded Reload
	scratch_load_dwordx4 v[16:19], off, off offset:832 ; 16-byte Folded Reload
	scratch_load_dwordx4 v[20:23], off, off offset:848 ; 16-byte Folded Reload
	scratch_load_dwordx4 v[24:27], off, off offset:864 ; 16-byte Folded Reload
	scratch_load_dwordx4 v[28:31], off, off offset:880 ; 16-byte Folded Reload
	s_waitcnt vmcnt(6)
	v_mov_b32_e32 v39, v5
	;; [unrolled: 10-line block ×4, first 2 shown]
	v_mov_b32_e32 v23, v53
	v_mov_b32_e32 v24, v54
	;; [unrolled: 1-line block ×10, first 2 shown]
	v_mov_b64_e32 v[52:53], v[146:147]
	v_mov_b64_e32 v[54:55], v[148:149]
	;; [unrolled: 1-line block ×6, first 2 shown]
	v_mov_b32_e32 v146, v184
	v_mov_b32_e32 v152, v82
	;; [unrolled: 1-line block ×9, first 2 shown]
	scratch_load_dwordx4 v[0:3], off, off offset:2828 ; 16-byte Folded Reload
	scratch_load_dwordx4 v[4:7], off, off offset:2844 ; 16-byte Folded Reload
	scratch_load_dwordx4 v[8:11], off, off offset:2860 ; 16-byte Folded Reload
	scratch_load_dwordx4 v[12:15], off, off offset:2876 ; 16-byte Folded Reload
	scratch_load_dwordx4 v[16:19], off, off offset:2892 ; 16-byte Folded Reload
	scratch_load_dwordx4 v[20:23], off, off offset:2908 ; 16-byte Folded Reload
	scratch_load_dwordx4 v[24:27], off, off offset:2924 ; 16-byte Folded Reload
	scratch_load_dwordx4 v[28:31], off, off offset:2940 ; 16-byte Folded Reload
	s_waitcnt vmcnt(5)
	v_mov_b32_e32 v45, v11
	scratch_load_dwordx4 v[0:3], off, off offset:640 ; 16-byte Folded Reload
	scratch_load_dwordx4 v[4:7], off, off offset:656 ; 16-byte Folded Reload
	scratch_load_dwordx4 v[8:11], off, off offset:672 ; 16-byte Folded Reload
	scratch_load_dwordx4 v[12:15], off, off offset:688 ; 16-byte Folded Reload
	scratch_load_dwordx4 v[16:19], off, off offset:704 ; 16-byte Folded Reload
	scratch_load_dwordx4 v[20:23], off, off offset:720 ; 16-byte Folded Reload
	scratch_load_dwordx4 v[24:27], off, off offset:736 ; 16-byte Folded Reload
	scratch_load_dwordx4 v[28:31], off, off offset:752 ; 16-byte Folded Reload
	s_waitcnt vmcnt(7)
	v_mov_b32_e32 v149, v3
	;; [unrolled: 10-line block ×5, first 2 shown]
	scratch_load_dwordx4 v[0:3], off, off offset:2828 ; 16-byte Folded Reload
	scratch_load_dwordx4 v[4:7], off, off offset:2844 ; 16-byte Folded Reload
	;; [unrolled: 1-line block ×8, first 2 shown]
	s_nop 0
	scratch_store_dwordx4 off, v[166:169], off offset:384 ; 16-byte Folded Spill
	s_nop 0
	scratch_store_dwordx4 off, v[170:173], off offset:400 ; 16-byte Folded Spill
	scratch_store_dwordx4 off, v[174:177], off offset:416 ; 16-byte Folded Spill
	scratch_store_dwordx4 off, v[178:181], off offset:432 ; 16-byte Folded Spill
	scratch_store_dwordx4 off, v[182:185], off offset:448 ; 16-byte Folded Spill
	scratch_store_dwordx4 off, v[186:189], off offset:464 ; 16-byte Folded Spill
	scratch_store_dwordx4 off, v[190:193], off offset:480 ; 16-byte Folded Spill
	scratch_store_dwordx4 off, v[194:197], off offset:496 ; 16-byte Folded Spill
	scratch_store_dwordx4 off, v[52:55], off offset:256 ; 16-byte Folded Spill
	s_nop 0
	scratch_store_dwordx4 off, v[56:59], off offset:272 ; 16-byte Folded Spill
	scratch_store_dwordx4 off, v[60:63], off offset:288 ; 16-byte Folded Spill
	scratch_store_dwordx4 off, v[64:67], off offset:304 ; 16-byte Folded Spill
	scratch_store_dwordx4 off, v[68:71], off offset:320 ; 16-byte Folded Spill
	scratch_store_dwordx4 off, v[72:75], off offset:336 ; 16-byte Folded Spill
	scratch_store_dwordx4 off, v[76:79], off offset:352 ; 16-byte Folded Spill
	scratch_store_dwordx4 off, v[80:83], off offset:368 ; 16-byte Folded Spill
	;; [unrolled: 9-line block ×3, first 2 shown]
	v_mov_b64_e32 v[180:181], v[48:49]
	v_mov_b64_e32 v[178:179], v[46:47]
	;; [unrolled: 1-line block ×9, first 2 shown]
	v_mov_b32_e32 v163, v183
	v_mov_b32_e32 v105, v183
	;; [unrolled: 1-line block ×10, first 2 shown]
	s_waitcnt vmcnt(29)
	v_mov_b32_e32 v157, v11
	scratch_load_dwordx4 v[0:3], off, off offset:640 ; 16-byte Folded Reload
	scratch_load_dwordx4 v[4:7], off, off offset:656 ; 16-byte Folded Reload
	;; [unrolled: 1-line block ×8, first 2 shown]
	v_mov_b32_e32 v212, v82
	v_mov_b32_e32 v94, v82
	s_waitcnt vmcnt(7)
	v_mov_b32_e32 v91, v3
	scratch_load_dwordx4 v[0:3], off, off offset:768 ; 16-byte Folded Reload
	scratch_load_dwordx4 v[4:7], off, off offset:784 ; 16-byte Folded Reload
	scratch_load_dwordx4 v[8:11], off, off offset:800 ; 16-byte Folded Reload
	scratch_load_dwordx4 v[12:15], off, off offset:816 ; 16-byte Folded Reload
	scratch_load_dwordx4 v[16:19], off, off offset:832 ; 16-byte Folded Reload
	scratch_load_dwordx4 v[20:23], off, off offset:848 ; 16-byte Folded Reload
	scratch_load_dwordx4 v[24:27], off, off offset:864 ; 16-byte Folded Reload
	scratch_load_dwordx4 v[28:31], off, off offset:880 ; 16-byte Folded Reload
	s_waitcnt vmcnt(6)
	v_mov_b32_e32 v93, v5
	scratch_load_dwordx4 v[0:3], off, off offset:1408 ; 16-byte Folded Reload
	scratch_load_dwordx4 v[4:7], off, off offset:1424 ; 16-byte Folded Reload
	scratch_load_dwordx4 v[8:11], off, off offset:1440 ; 16-byte Folded Reload
	scratch_load_dwordx4 v[12:15], off, off offset:1456 ; 16-byte Folded Reload
	scratch_load_dwordx4 v[16:19], off, off offset:1472 ; 16-byte Folded Reload
	scratch_load_dwordx4 v[20:23], off, off offset:1488 ; 16-byte Folded Reload
	scratch_load_dwordx4 v[24:27], off, off offset:1504 ; 16-byte Folded Reload
	scratch_load_dwordx4 v[28:31], off, off offset:1520 ; 16-byte Folded Reload
	;; [unrolled: 10-line block ×5, first 2 shown]
	s_waitcnt vmcnt(5)
	v_mov_b64_e32 v[72:73], v[10:11]
	v_mov_b32_e32 v99, v11
	v_mov_b64_e32 v[70:71], v[8:9]
	v_mov_b64_e32 v[68:69], v[6:7]
	;; [unrolled: 1-line block ×5, first 2 shown]
	scratch_load_dwordx4 v[0:3], off, off offset:384 ; 16-byte Folded Reload
	scratch_load_dwordx4 v[4:7], off, off offset:400 ; 16-byte Folded Reload
	;; [unrolled: 1-line block ×8, first 2 shown]
	s_waitcnt vmcnt(4)
	v_mov_b32_e32 v100, v12
	scratch_load_dwordx4 v[0:3], off, off offset:256 ; 16-byte Folded Reload
	scratch_load_dwordx4 v[4:7], off, off offset:272 ; 16-byte Folded Reload
	;; [unrolled: 1-line block ×8, first 2 shown]
	s_waitcnt vmcnt(4)
	v_mov_b32_e32 v102, v14
	scratch_load_dwordx4 v[0:3], off, off offset:128 ; 16-byte Folded Reload
	scratch_load_dwordx4 v[4:7], off, off offset:144 ; 16-byte Folded Reload
	;; [unrolled: 1-line block ×8, first 2 shown]
	s_nop 0
	scratch_store_dwordx4 off, v[166:169], off offset:1024 ; 16-byte Folded Spill
	s_nop 0
	scratch_store_dwordx4 off, v[170:173], off offset:1040 ; 16-byte Folded Spill
	scratch_store_dwordx4 off, v[174:177], off offset:1056 ; 16-byte Folded Spill
	;; [unrolled: 1-line block ×7, first 2 shown]
	s_waitcnt vmcnt(8)
	v_mov_b32_e32 v30, v200
	v_mov_b32_e32 v31, v201
	v_mov_b32_e32 v32, v202
	v_mov_b32_e32 v33, v203
	v_mov_b32_e32 v34, v204
	v_mov_b32_e32 v35, v205
	v_mov_b32_e32 v36, v206
	v_mov_b32_e32 v206, v184
	v_mov_b32_e32 v104, v16
	v_mov_b64_e32 v[14:15], v[184:185]
	v_mov_b64_e32 v[16:17], v[186:187]
	;; [unrolled: 1-line block ×8, first 2 shown]
	scratch_store_dwordx4 off, v[14:17], off ; 16-byte Folded Spill
	s_nop 0
	scratch_store_dwordx4 off, v[18:21], off offset:16 ; 16-byte Folded Spill
	scratch_store_dwordx4 off, v[22:25], off offset:32 ; 16-byte Folded Spill
	;; [unrolled: 1-line block ×7, first 2 shown]
	v_mov_b64_e32 v[14:15], v[216:217]
	scratch_store_dwordx4 off, v[14:17], off offset:3212 ; 16-byte Folded Spill
	s_nop 0
	scratch_store_dwordx4 off, v[18:21], off offset:3228 ; 16-byte Folded Spill
	scratch_store_dwordx4 off, v[22:25], off offset:3244 ; 16-byte Folded Spill
	;; [unrolled: 1-line block ×7, first 2 shown]
	scratch_load_dwordx4 v[24:27], off, off offset:640 ; 16-byte Folded Reload
	s_nop 0
	scratch_load_dwordx4 v[28:31], off, off offset:656 ; 16-byte Folded Reload
	scratch_load_dwordx4 v[32:35], off, off offset:672 ; 16-byte Folded Reload
	;; [unrolled: 1-line block ×7, first 2 shown]
	s_nop 0
	scratch_store_dwordx4 off, v[218:221], off offset:3484 ; 16-byte Folded Spill
	s_nop 0
	scratch_store_dwordx4 off, v[222:225], off offset:3500 ; 16-byte Folded Spill
	scratch_store_dwordx4 off, v[226:229], off offset:3516 ; 16-byte Folded Spill
	;; [unrolled: 1-line block ×7, first 2 shown]
	v_mov_b32_e32 v219, v121
	v_mov_b32_e32 v221, v145
	;; [unrolled: 1-line block ×4, first 2 shown]
	s_waitcnt vmcnt(15)
	v_mov_b32_e32 v209, v27
	scratch_load_dwordx4 v[16:19], off, off offset:768 ; 16-byte Folded Reload
	scratch_load_dwordx4 v[20:23], off, off offset:784 ; 16-byte Folded Reload
	;; [unrolled: 1-line block ×8, first 2 shown]
	v_mov_b32_e32 v210, v222
	s_waitcnt vmcnt(6)
	v_mov_b32_e32 v211, v21
	scratch_load_dwordx4 v[16:19], off, off offset:1408 ; 16-byte Folded Reload
	scratch_load_dwordx4 v[20:23], off, off offset:1424 ; 16-byte Folded Reload
	;; [unrolled: 1-line block ×24, first 2 shown]
	s_waitcnt vmcnt(21)
	v_mov_b32_e32 v14, v16
	v_mov_b32_e32 v15, v17
	;; [unrolled: 1-line block ×9, first 2 shown]
	s_waitcnt vmcnt(5)
	v_mov_b64_e32 v[24:25], v[62:63]
	v_mov_b32_e32 v216, v36
	v_mov_b64_e32 v[26:27], v[64:65]
	v_mov_b64_e32 v[28:29], v[66:67]
	;; [unrolled: 1-line block ×5, first 2 shown]
	scratch_load_dwordx4 v[36:39], off, off offset:384 ; 16-byte Folded Reload
	scratch_load_dwordx4 v[40:43], off, off offset:400 ; 16-byte Folded Reload
	;; [unrolled: 1-line block ×8, first 2 shown]
	v_mov_b32_e32 v214, v22
	v_mov_b32_e32 v215, v183
	;; [unrolled: 1-line block ×4, first 2 shown]
	s_waitcnt vmcnt(5)
	v_mov_b64_e32 v[0:1], v[36:37]
	v_mov_b64_e32 v[2:3], v[38:39]
	;; [unrolled: 1-line block ×6, first 2 shown]
	s_waitcnt vmcnt(4)
	v_mov_b32_e32 v12, v48
	v_mov_b32_e32 v218, v48
	scratch_load_dwordx4 v[36:39], off, off offset:256 ; 16-byte Folded Reload
	scratch_load_dwordx4 v[40:43], off, off offset:272 ; 16-byte Folded Reload
	;; [unrolled: 1-line block ×8, first 2 shown]
	v_mov_b32_e32 v74, v12
	s_waitcnt vmcnt(5)
	v_mov_b64_e32 v[194:195], v[46:47]
	s_waitcnt vmcnt(4)
	v_mov_b32_e32 v198, v50
	v_mov_b64_e32 v[192:193], v[44:45]
	v_mov_b64_e32 v[190:191], v[42:43]
	;; [unrolled: 1-line block ×5, first 2 shown]
	v_mov_b32_e32 v197, v49
	v_mov_b32_e32 v196, v48
	scratch_load_dwordx4 v[36:39], off, off offset:128 ; 16-byte Folded Reload
	scratch_load_dwordx4 v[40:43], off, off offset:144 ; 16-byte Folded Reload
	;; [unrolled: 1-line block ×8, first 2 shown]
	v_mov_b32_e32 v220, v198
	v_mov_b32_e32 v70, v198
	s_waitcnt vmcnt(4)
	v_mov_b64_e32 v[180:181], v[50:51]
	v_mov_b64_e32 v[178:179], v[48:49]
	;; [unrolled: 1-line block ×8, first 2 shown]
	s_waitcnt vmcnt(3)
	v_mov_b32_e32 v182, v52
	v_mov_b32_e32 v222, v52
	scratch_load_dwordx4 v[36:39], off, off offset:1024 ; 16-byte Folded Reload
	scratch_load_dwordx4 v[40:43], off, off offset:1040 ; 16-byte Folded Reload
	;; [unrolled: 1-line block ×8, first 2 shown]
	s_waitcnt vmcnt(5)
	v_mov_b32_e32 v46, v226
	s_barrier
	v_mov_b32_e32 v72, v182
	s_waitcnt vmcnt(3)
	v_mov_b32_e32 v223, v53
	scratch_store_dwordx4 off, v[26:29], off offset:128 ; 16-byte Folded Spill
	s_nop 0
	scratch_store_dwordx4 off, v[30:33], off offset:144 ; 16-byte Folded Spill
	scratch_store_dwordx4 off, v[34:37], off offset:160 ; 16-byte Folded Spill
	;; [unrolled: 1-line block ×6, first 2 shown]
	s_waitcnt vmcnt(9)
	scratch_store_dwordx4 off, v[54:57], off offset:240 ; 16-byte Folded Spill
	scratch_store_dwordx4 off, v[206:209], off offset:384 ; 16-byte Folded Spill
	s_nop 0
	scratch_store_dwordx4 off, v[210:213], off offset:400 ; 16-byte Folded Spill
	scratch_store_dwordx4 off, v[214:217], off offset:416 ; 16-byte Folded Spill
	;; [unrolled: 1-line block ×7, first 2 shown]
	v_mov_b32_e32 v45, v107
	scratch_store_dwordx4 off, v[26:29], off offset:256 ; 16-byte Folded Spill
	s_nop 0
	scratch_store_dwordx4 off, v[30:33], off offset:272 ; 16-byte Folded Spill
	scratch_store_dwordx4 off, v[34:37], off offset:288 ; 16-byte Folded Spill
	;; [unrolled: 1-line block ×8, first 2 shown]
	s_nop 0
	scratch_store_dwordx4 off, v[92:95], off offset:528 ; 16-byte Folded Spill
	scratch_store_dwordx4 off, v[96:99], off offset:544 ; 16-byte Folded Spill
	;; [unrolled: 1-line block ×7, first 2 shown]
	v_mov_b32_e32 v88, v164
	scratch_store_dwordx4 off, v[146:149], off offset:1152 ; 16-byte Folded Spill
	s_nop 0
	scratch_store_dwordx4 off, v[150:153], off offset:1168 ; 16-byte Folded Spill
	scratch_store_dwordx4 off, v[154:157], off offset:1184 ; 16-byte Folded Spill
	;; [unrolled: 1-line block ×7, first 2 shown]
	scratch_load_dwordx4 v[38:41], off, off offset:1024 ; 16-byte Folded Reload
	scratch_load_dwordx4 v[42:45], off, off offset:1040 ; 16-byte Folded Reload
	;; [unrolled: 1-line block ×8, first 2 shown]
	s_waitcnt vmcnt(0)
	v_mov_b32_e32 v67, v55
	scratch_store_dwordx4 off, v[38:41], off offset:1024 ; 16-byte Folded Spill
	s_nop 0
	scratch_store_dwordx4 off, v[42:45], off offset:1040 ; 16-byte Folded Spill
	scratch_store_dwordx4 off, v[46:49], off offset:1056 ; 16-byte Folded Spill
	;; [unrolled: 1-line block ×7, first 2 shown]
	v_mov_b64_e32 v[38:39], v[166:167]
	v_mov_b64_e32 v[40:41], v[168:169]
	;; [unrolled: 1-line block ×8, first 2 shown]
	v_mov_b32_e32 v54, v182
	scratch_store_dwordx4 off, v[38:41], off offset:1280 ; 16-byte Folded Spill
	s_nop 0
	scratch_store_dwordx4 off, v[42:45], off offset:1296 ; 16-byte Folded Spill
	scratch_store_dwordx4 off, v[46:49], off offset:1312 ; 16-byte Folded Spill
	;; [unrolled: 1-line block ×8, first 2 shown]
	s_nop 0
	scratch_store_dwordx4 off, v[134:137], off offset:1552 ; 16-byte Folded Spill
	scratch_store_dwordx4 off, v[138:141], off offset:1568 ; 16-byte Folded Spill
	;; [unrolled: 1-line block ×7, first 2 shown]
	v_mov_b64_e32 v[142:143], v[184:185]
	v_mov_b64_e32 v[144:145], v[186:187]
	;; [unrolled: 1-line block ×27, first 2 shown]
	scratch_store_dwordx4 off, v[108:111], off offset:1668 ; 16-byte Folded Spill
	s_nop 0
	scratch_store_dwordx4 off, v[112:115], off offset:1684 ; 16-byte Folded Spill
	scratch_store_dwordx4 off, v[116:119], off offset:1700 ; 16-byte Folded Spill
	;; [unrolled: 1-line block ×8, first 2 shown]
	s_nop 0
	scratch_store_dwordx4 off, v[210:213], off offset:1812 ; 16-byte Folded Spill
	scratch_store_dwordx4 off, v[214:217], off offset:1828 ; 16-byte Folded Spill
	;; [unrolled: 1-line block ×7, first 2 shown]
	v_mov_b64_e32 v[204:205], v[20:21]
	v_mov_b64_e32 v[202:203], v[18:19]
	;; [unrolled: 1-line block ×11, first 2 shown]
	scratch_load_dwordx4 v[26:29], off, off offset:2436 ; 16-byte Folded Reload
	scratch_load_dwordx4 v[30:33], off, off offset:2452 ; 16-byte Folded Reload
	;; [unrolled: 1-line block ×8, first 2 shown]
	v_mov_b32_e32 v59, v129
	s_waitcnt vmcnt(5)
	v_mov_b32_e32 v108, v36
	scratch_store_dwordx4 off, v[26:29], off offset:1924 ; 16-byte Folded Spill
	s_nop 0
	scratch_store_dwordx4 off, v[30:33], off offset:1940 ; 16-byte Folded Spill
	scratch_store_dwordx4 off, v[34:37], off offset:1956 ; 16-byte Folded Spill
	s_waitcnt vmcnt(7)
	scratch_store_dwordx4 off, v[38:41], off offset:1972 ; 16-byte Folded Spill
	s_waitcnt vmcnt(7)
	scratch_store_dwordx4 off, v[42:45], off offset:1988 ; 16-byte Folded Spill
	s_waitcnt vmcnt(7)
	scratch_store_dwordx4 off, v[46:49], off offset:2004 ; 16-byte Folded Spill
	s_waitcnt vmcnt(7)
	scratch_store_dwordx4 off, v[50:53], off offset:2020 ; 16-byte Folded Spill
	s_waitcnt vmcnt(7)
	scratch_store_dwordx4 off, v[54:57], off offset:2036 ; 16-byte Folded Spill
	scratch_load_dwordx4 v[26:29], off, off offset:896 ; 16-byte Folded Reload
	s_nop 0
	scratch_load_dwordx4 v[30:33], off, off offset:912 ; 16-byte Folded Reload
	scratch_load_dwordx4 v[34:37], off, off offset:928 ; 16-byte Folded Reload
	;; [unrolled: 1-line block ×7, first 2 shown]
	s_waitcnt vmcnt(5)
	v_mov_b64_e32 v[0:1], v[26:27]
	v_mov_b64_e32 v[8:9], v[34:35]
	;; [unrolled: 1-line block ×5, first 2 shown]
	v_mov_b32_e32 v25, v9
	scratch_store_dwordx4 off, v[0:3], off offset:2052 ; 16-byte Folded Spill
	s_nop 0
	scratch_store_dwordx4 off, v[4:7], off offset:2068 ; 16-byte Folded Spill
	scratch_store_dwordx4 off, v[8:11], off offset:2084 ; 16-byte Folded Spill
	;; [unrolled: 1-line block ×7, first 2 shown]
	v_mov_b32_e32 v0, v14
	v_mov_b32_e32 v8, v22
	;; [unrolled: 1-line block ×10, first 2 shown]
	scratch_store_dwordx4 off, v[0:3], off offset:2180 ; 16-byte Folded Spill
	s_nop 0
	scratch_store_dwordx4 off, v[4:7], off offset:2196 ; 16-byte Folded Spill
	scratch_store_dwordx4 off, v[8:11], off offset:2212 ; 16-byte Folded Spill
	;; [unrolled: 1-line block ×8, first 2 shown]
	s_nop 0
	scratch_store_dwordx4 off, v[126:129], off offset:2324 ; 16-byte Folded Spill
	scratch_store_dwordx4 off, v[130:133], off offset:2340 ; 16-byte Folded Spill
	scratch_store_dwordx4 off, v[134:137], off offset:2356 ; 16-byte Folded Spill
	scratch_store_dwordx4 off, v[138:141], off offset:2372 ; 16-byte Folded Spill
	scratch_store_dwordx4 off, v[142:145], off offset:2388 ; 16-byte Folded Spill
	scratch_store_dwordx4 off, v[146:149], off offset:2404 ; 16-byte Folded Spill
	scratch_store_dwordx4 off, v[150:153], off offset:2420 ; 16-byte Folded Spill
	v_mov_b32_e32 v26, v82
	scratch_store_dwordx4 off, v[76:79], off offset:2564 ; 16-byte Folded Spill
	s_nop 0
	scratch_store_dwordx4 off, v[80:83], off offset:2580 ; 16-byte Folded Spill
	scratch_store_dwordx4 off, v[84:87], off offset:2596 ; 16-byte Folded Spill
	;; [unrolled: 1-line block ×7, first 2 shown]
	scratch_load_dwordx4 v[218:221], off, off offset:768 ; 16-byte Folded Reload
	scratch_load_dwordx4 v[222:225], off, off offset:784 ; 16-byte Folded Reload
	;; [unrolled: 1-line block ×8, first 2 shown]
	s_waitcnt vmcnt(6)
	v_mov_b64_e32 v[0:1], v[218:219]
	v_mov_b64_e32 v[2:3], v[220:221]
	;; [unrolled: 1-line block ×3, first 2 shown]
	v_mov_b32_e32 v61, v5
	scratch_store_dwordx4 off, v[0:3], off offset:2700 ; 16-byte Folded Spill
	s_nop 0
	scratch_store_dwordx4 off, v[4:7], off offset:2716 ; 16-byte Folded Spill
	scratch_store_dwordx4 off, v[8:11], off offset:2732 ; 16-byte Folded Spill
	;; [unrolled: 1-line block ×7, first 2 shown]
	scratch_load_dwordx4 v[218:221], off, off offset:3484 ; 16-byte Folded Reload
	scratch_load_dwordx4 v[222:225], off, off offset:3500 ; 16-byte Folded Reload
	;; [unrolled: 1-line block ×8, first 2 shown]
	s_waitcnt vmcnt(6)
	v_mov_b32_e32 v0, v218
	v_mov_b32_e32 v1, v219
	;; [unrolled: 1-line block ×6, first 2 shown]
	scratch_store_dwordx4 off, v[0:3], off offset:2956 ; 16-byte Folded Spill
	s_nop 0
	scratch_store_dwordx4 off, v[4:7], off offset:2972 ; 16-byte Folded Spill
	scratch_store_dwordx4 off, v[8:11], off offset:2988 ; 16-byte Folded Spill
	;; [unrolled: 1-line block ×7, first 2 shown]
	scratch_load_dwordx4 v[218:221], off, off offset:640 ; 16-byte Folded Reload
	scratch_load_dwordx4 v[222:225], off, off offset:656 ; 16-byte Folded Reload
	scratch_load_dwordx4 v[226:229], off, off offset:672 ; 16-byte Folded Reload
	scratch_load_dwordx4 v[230:233], off, off offset:688 ; 16-byte Folded Reload
	scratch_load_dwordx4 v[234:237], off, off offset:704 ; 16-byte Folded Reload
	scratch_load_dwordx4 v[238:241], off, off offset:720 ; 16-byte Folded Reload
	scratch_load_dwordx4 v[242:245], off, off offset:736 ; 16-byte Folded Reload
	scratch_load_dwordx4 v[246:249], off, off offset:752 ; 16-byte Folded Reload
	s_waitcnt vmcnt(7)
	v_mov_b64_e32 v[0:1], v[218:219]
	v_mov_b64_e32 v[2:3], v[220:221]
	v_mov_b32_e32 v63, v3
	scratch_store_dwordx4 off, v[0:3], off offset:3084 ; 16-byte Folded Spill
	s_nop 0
	scratch_store_dwordx4 off, v[4:7], off offset:3100 ; 16-byte Folded Spill
	scratch_store_dwordx4 off, v[8:11], off offset:3116 ; 16-byte Folded Spill
	;; [unrolled: 1-line block ×7, first 2 shown]
	v_mov_b32_e32 v0, v84
	v_mov_b32_e32 v2, v86
	;; [unrolled: 1-line block ×4, first 2 shown]
	scratch_store_dwordx4 off, v[0:3], off offset:3340 ; 16-byte Folded Spill
	s_nop 0
	scratch_store_dwordx4 off, v[4:7], off offset:3356 ; 16-byte Folded Spill
	scratch_store_dwordx4 off, v[8:11], off offset:3372 ; 16-byte Folded Spill
	;; [unrolled: 1-line block ×7, first 2 shown]
	s_mov_b64 s[18:19], exec
	s_and_b64 s[20:21], s[18:19], vcc
	v_mov_b32_e32 v197, v121
	s_mov_b64 exec, s[20:21]
	s_cbranch_execz .LBB44_31
; %bb.30:
	v_div_scale_f32 v1, s[20:21], v250, v250, 1.0
	v_rcp_f32_e32 v2, v1
	v_mov_b32_e32 v58, v26
	v_mov_b32_e32 v56, v24
	;; [unrolled: 1-line block ×3, first 2 shown]
	v_fma_f32 v3, -v1, v2, 1.0
	v_fmac_f32_e32 v2, v3, v2
	v_div_scale_f32 v3, vcc, 1.0, v250, 1.0
	v_mul_f32_e32 v4, v3, v2
	v_fma_f32 v5, -v1, v4, v3
	v_fmac_f32_e32 v4, v5, v2
	scratch_load_dwordx4 v[24:27], off, off offset:256 ; 16-byte Folded Reload
	scratch_load_dwordx4 v[28:31], off, off offset:272 ; 16-byte Folded Reload
	;; [unrolled: 1-line block ×8, first 2 shown]
	v_fma_f32 v1, -v1, v4, v3
	v_div_fmas_f32 v1, v1, v2, v4
	scratch_load_dwordx4 v[2:5], off, off offset:3212 ; 16-byte Folded Reload
	scratch_load_dwordx4 v[6:9], off, off offset:3228 ; 16-byte Folded Reload
	;; [unrolled: 1-line block ×8, first 2 shown]
	v_div_fixup_f32 v1, v1, v250, 1.0
	v_cndmask_b32_e64 v1, v250, v1, s[2:3]
	v_mov_b32_e32 v60, v64
	v_mov_b32_e32 v216, v108
	;; [unrolled: 1-line block ×5, first 2 shown]
	s_waitcnt vmcnt(2)
	v_mul_f32_e32 v22, v3, v1
	ds_read2_b32 v[2:3], v252 offset0:2 offset1:3
	ds_read2_b32 v[4:5], v252 offset0:4 offset1:5
	;; [unrolled: 1-line block ×4, first 2 shown]
	v_mov_b32_e32 v89, v43
	s_waitcnt lgkmcnt(3)
	v_pk_fma_f32 v[62:63], v[22:23], v[2:3], v[62:63] op_sel_hi:[0,1,1] neg_lo:[1,0,0] neg_hi:[1,0,0]
	s_waitcnt lgkmcnt(2)
	v_pk_fma_f32 v[60:61], v[22:23], v[4:5], v[60:61] op_sel_hi:[0,1,1] neg_lo:[1,0,0] neg_hi:[1,0,0]
	;; [unrolled: 2-line block ×4, first 2 shown]
	ds_read2_b32 v[2:3], v252 offset0:10 offset1:11
	ds_read2_b32 v[4:5], v252 offset0:12 offset1:13
	;; [unrolled: 1-line block ×4, first 2 shown]
	s_waitcnt lgkmcnt(3)
	v_pk_fma_f32 v[216:217], v[22:23], v[2:3], v[216:217] op_sel_hi:[0,1,1] neg_lo:[1,0,0] neg_hi:[1,0,0]
	s_waitcnt lgkmcnt(2)
	v_pk_fma_f32 v[74:75], v[22:23], v[4:5], v[74:75] op_sel_hi:[0,1,1] neg_lo:[1,0,0] neg_hi:[1,0,0]
	ds_read2_b32 v[2:3], v252 offset0:18 offset1:19
	ds_read2_b32 v[4:5], v252 offset0:20 offset1:21
	scratch_load_dwordx4 v[24:27], off, off offset:128 ; 16-byte Folded Reload
	scratch_load_dwordx4 v[28:31], off, off offset:144 ; 16-byte Folded Reload
	;; [unrolled: 1-line block ×8, first 2 shown]
	ds_read_b32 v1, v252 offset:88
	s_waitcnt lgkmcnt(4)
	v_pk_fma_f32 v[70:71], v[22:23], v[6:7], v[70:71] op_sel_hi:[0,1,1] neg_lo:[1,0,0] neg_hi:[1,0,0]
	s_waitcnt lgkmcnt(2)
	v_pk_fma_f32 v[88:89], v[22:23], v[2:3], v[88:89] op_sel_hi:[0,1,1] neg_lo:[1,0,0] neg_hi:[1,0,0]
	v_pk_fma_f32 v[66:67], v[22:23], v[8:9], v[66:67] op_sel_hi:[0,1,1] neg_lo:[1,0,0] neg_hi:[1,0,0]
	v_mov_b32_e32 v108, v216
	s_waitcnt lgkmcnt(0)
	v_fma_f32 v255, -v22, v1, v255
	v_mov_b32_e32 v1, v22
	v_mov_b32_e32 v72, v66
	s_waitcnt vmcnt(2)
	v_mov_b32_e32 v64, v44
	scratch_load_dwordx4 v[24:27], off, off ; 16-byte Folded Reload
	scratch_load_dwordx4 v[28:31], off, off offset:16 ; 16-byte Folded Reload
	scratch_load_dwordx4 v[32:35], off, off offset:32 ; 16-byte Folded Reload
	;; [unrolled: 1-line block ×7, first 2 shown]
	v_pk_fma_f32 v[64:65], v[22:23], v[4:5], v[64:65] op_sel_hi:[0,1,1] neg_lo:[1,0,0] neg_hi:[1,0,0]
	v_mov_b32_e32 v254, v65
	s_waitcnt vmcnt(7)
	v_mov_b32_e32 v0, v24
	s_waitcnt vmcnt(0)
	v_mov_b64_e32 v[54:55], v[30:31]
	v_mov_b64_e32 v[52:53], v[28:29]
	;; [unrolled: 1-line block ×16, first 2 shown]
	scratch_store_dwordx4 off, v[24:27], off offset:3212 ; 16-byte Folded Spill
	s_nop 0
	scratch_store_dwordx4 off, v[28:31], off offset:3228 ; 16-byte Folded Spill
	scratch_store_dwordx4 off, v[32:35], off offset:3244 ; 16-byte Folded Spill
	;; [unrolled: 1-line block ×7, first 2 shown]
	v_mov_b32_e32 v2, v62
	v_mov_b32_e32 v46, v64
	scratch_store_dwordx4 off, v[0:3], off offset:3340 ; 16-byte Folded Spill
	s_nop 0
	scratch_store_dwordx4 off, v[4:7], off offset:3356 ; 16-byte Folded Spill
	scratch_store_dwordx4 off, v[8:11], off offset:3372 ; 16-byte Folded Spill
	scratch_store_dwordx4 off, v[12:15], off offset:3388 ; 16-byte Folded Spill
	scratch_store_dwordx4 off, v[16:19], off offset:3404 ; 16-byte Folded Spill
	scratch_store_dwordx4 off, v[20:23], off offset:3420 ; 16-byte Folded Spill
	scratch_store_dwordx4 off, v[24:27], off offset:3436 ; 16-byte Folded Spill
	scratch_store_dwordx4 off, v[28:31], off offset:3452 ; 16-byte Folded Spill
	v_mov_b32_e32 v3, v63
	scratch_store_dwordx4 off, v[0:3], off offset:3084 ; 16-byte Folded Spill
	s_nop 0
	scratch_store_dwordx4 off, v[4:7], off offset:3100 ; 16-byte Folded Spill
	scratch_store_dwordx4 off, v[8:11], off offset:3116 ; 16-byte Folded Spill
	scratch_store_dwordx4 off, v[12:15], off offset:3132 ; 16-byte Folded Spill
	scratch_store_dwordx4 off, v[16:19], off offset:3148 ; 16-byte Folded Spill
	scratch_store_dwordx4 off, v[20:23], off offset:3164 ; 16-byte Folded Spill
	scratch_store_dwordx4 off, v[24:27], off offset:3180 ; 16-byte Folded Spill
	scratch_store_dwordx4 off, v[28:31], off offset:3196 ; 16-byte Folded Spill
	;; [unrolled: 10-line block ×10, first 2 shown]
	v_mov_b32_e32 v12, v74
	v_mov_b64_e32 v[214:215], v[30:31]
	v_mov_b64_e32 v[212:213], v[28:29]
	;; [unrolled: 1-line block ×16, first 2 shown]
	v_mov_b32_e32 v13, v75
	scratch_store_dwordx4 off, v[0:3], off offset:1668 ; 16-byte Folded Spill
	s_nop 0
	scratch_store_dwordx4 off, v[4:7], off offset:1684 ; 16-byte Folded Spill
	scratch_store_dwordx4 off, v[8:11], off offset:1700 ; 16-byte Folded Spill
	;; [unrolled: 1-line block ×7, first 2 shown]
	v_mov_b32_e32 v14, v70
	v_mov_b32_e32 v197, v75
	v_mov_b64_e32 v[172:173], v[30:31]
	v_mov_b64_e32 v[170:171], v[28:29]
	;; [unrolled: 1-line block ×16, first 2 shown]
	v_mov_b32_e32 v15, v71
	scratch_store_dwordx4 off, v[0:3], off offset:1536 ; 16-byte Folded Spill
	s_nop 0
	scratch_store_dwordx4 off, v[4:7], off offset:1552 ; 16-byte Folded Spill
	scratch_store_dwordx4 off, v[8:11], off offset:1568 ; 16-byte Folded Spill
	scratch_store_dwordx4 off, v[12:15], off offset:1584 ; 16-byte Folded Spill
	scratch_store_dwordx4 off, v[16:19], off offset:1600 ; 16-byte Folded Spill
	scratch_store_dwordx4 off, v[20:23], off offset:1616 ; 16-byte Folded Spill
	scratch_store_dwordx4 off, v[24:27], off offset:1632 ; 16-byte Folded Spill
	scratch_store_dwordx4 off, v[28:31], off offset:1648 ; 16-byte Folded Spill
	v_mov_b32_e32 v16, v66
	scratch_store_dwordx4 off, v[0:3], off offset:1280 ; 16-byte Folded Spill
	s_nop 0
	scratch_store_dwordx4 off, v[4:7], off offset:1296 ; 16-byte Folded Spill
	scratch_store_dwordx4 off, v[8:11], off offset:1312 ; 16-byte Folded Spill
	scratch_store_dwordx4 off, v[12:15], off offset:1328 ; 16-byte Folded Spill
	scratch_store_dwordx4 off, v[16:19], off offset:1344 ; 16-byte Folded Spill
	scratch_store_dwordx4 off, v[20:23], off offset:1360 ; 16-byte Folded Spill
	scratch_store_dwordx4 off, v[24:27], off offset:1376 ; 16-byte Folded Spill
	scratch_store_dwordx4 off, v[28:31], off offset:1392 ; 16-byte Folded Spill
	;; [unrolled: 10-line block ×5, first 2 shown]
	v_mov_b32_e32 v20, v64
	v_mov_b32_e32 v64, v60
	scratch_store_dwordx4 off, v[0:3], off offset:384 ; 16-byte Folded Spill
	s_nop 0
	scratch_store_dwordx4 off, v[4:7], off offset:400 ; 16-byte Folded Spill
	scratch_store_dwordx4 off, v[8:11], off offset:416 ; 16-byte Folded Spill
	;; [unrolled: 1-line block ×7, first 2 shown]
	v_mov_b32_e32 v21, v65
	v_mov_b32_e32 v22, v255
	scratch_store_dwordx4 off, v[0:3], off  ; 16-byte Folded Spill
	s_nop 0
	scratch_store_dwordx4 off, v[4:7], off offset:16 ; 16-byte Folded Spill
	scratch_store_dwordx4 off, v[8:11], off offset:32 ; 16-byte Folded Spill
	;; [unrolled: 1-line block ×8, first 2 shown]
	s_nop 0
	scratch_store_dwordx4 off, v[30:33], off offset:144 ; 16-byte Folded Spill
	scratch_store_dwordx4 off, v[34:37], off offset:160 ; 16-byte Folded Spill
	;; [unrolled: 1-line block ×7, first 2 shown]
	v_mov_b32_e32 v26, v58
	v_mov_b32_e32 v45, v89
	;; [unrolled: 1-line block ×4, first 2 shown]
	scratch_store_dwordx4 off, v[26:29], off offset:256 ; 16-byte Folded Spill
	s_nop 0
	scratch_store_dwordx4 off, v[30:33], off offset:272 ; 16-byte Folded Spill
	scratch_store_dwordx4 off, v[34:37], off offset:288 ; 16-byte Folded Spill
	;; [unrolled: 1-line block ×7, first 2 shown]
.LBB44_31:
	s_or_b64 exec, exec, s[18:19]
	v_lshl_add_u32 v45, v253, 2, v252
	s_waitcnt vmcnt(63) expcnt(7) lgkmcnt(15)
	s_barrier
	ds_write_b32 v45, v62
	s_waitcnt lgkmcnt(0)
	s_barrier
	ds_read_b32 v45, v252 offset:8
	v_mov_b32_e32 v23, v217
	v_mov_b32_e32 v54, v62
	s_cmp_lt_i32 s22, 4
	v_mov_b32_e32 v46, 2
	s_cbranch_scc1 .LBB44_34
; %bb.32:
	scratch_load_dword v0, off, off offset:1664 ; 4-byte Folded Reload
	v_mov_b64_e32 v[172:173], v[152:153]
	v_mov_b32_e32 v176, v156
	v_mov_b32_e32 v46, 2
	s_mov_b32 s18, 3
	v_mov_b64_e32 v[170:171], v[150:151]
	v_mov_b64_e32 v[168:169], v[148:149]
	;; [unrolled: 1-line block ×5, first 2 shown]
	v_mov_b32_e32 v175, v155
	v_mov_b32_e32 v174, v154
	s_waitcnt vmcnt(0)
	v_add3_u32 v47, v0, 0, 12
.LBB44_33:                              ; =>This Inner Loop Header: Depth=1
	ds_read_b32 v48, v47
                                        ; implicit-def: $vgpr140_vgpr141_vgpr142_vgpr143_vgpr144_vgpr145_vgpr146_vgpr147_vgpr148_vgpr149_vgpr150_vgpr151
                                        ; implicit-def: $vgpr141_vgpr142_vgpr143_vgpr144_vgpr145_vgpr146_vgpr147_vgpr148_vgpr149_vgpr150_vgpr151_vgpr152
	v_add_u32_e32 v47, 4, v47
                                        ; implicit-def: $vgpr142_vgpr143_vgpr144_vgpr145_vgpr146_vgpr147_vgpr148_vgpr149_vgpr150_vgpr151_vgpr152_vgpr153
                                        ; implicit-def: $vgpr132_vgpr133_vgpr134_vgpr135_vgpr136_vgpr137_vgpr138
                                        ; implicit-def: $vgpr143_vgpr144_vgpr145_vgpr146_vgpr147_vgpr148_vgpr149_vgpr150_vgpr151_vgpr152_vgpr153_vgpr154
	s_waitcnt lgkmcnt(0)
	v_cmp_lt_f32_e64 vcc, |v45|, |v48|
	s_nop 1
	v_cndmask_b32_e32 v45, v45, v48, vcc
	v_mov_b32_e32 v48, s18
	s_add_i32 s18, s18, 1
	v_cndmask_b32_e32 v46, v46, v48, vcc
	s_cmp_lg_u32 s22, s18
	s_cbranch_scc1 .LBB44_33
	s_branch .LBB44_35
.LBB44_34:
	v_mov_b64_e32 v[172:173], v[152:153]
	v_mov_b32_e32 v176, v156
	v_mov_b64_e32 v[170:171], v[150:151]
	v_mov_b64_e32 v[168:169], v[148:149]
	;; [unrolled: 1-line block ×5, first 2 shown]
	v_mov_b32_e32 v175, v155
	v_mov_b32_e32 v174, v154
.LBB44_35:
	v_cndmask_b32_e64 v47, 2, 1, s[0:1]
	v_cndmask_b32_e64 v48, 0, 1, s[0:1]
	v_mov_b32_e32 v44, v24
	v_mov_b32_e32 v43, v25
	;; [unrolled: 1-line block ×4, first 2 shown]
	v_cndmask_b32_e64 v250, v47, v48, s[2:3]
	s_waitcnt lgkmcnt(0)
	v_cmp_eq_f32_e32 vcc, 0, v45
	s_and_saveexec_b64 s[0:1], vcc
	s_xor_b64 s[0:1], exec, s[0:1]
; %bb.36:
	v_cmp_ne_u32_e32 vcc, 0, v250
	s_nop 1
	v_cndmask_b32_e32 v250, 3, v250, vcc
; %bb.37:
	s_andn2_saveexec_b64 s[0:1], s[0:1]
	s_cbranch_execz .LBB44_39
; %bb.38:
	v_div_scale_f32 v47, s[2:3], v45, v45, 1.0
	v_rcp_f32_e32 v48, v47
	v_div_scale_f32 v49, vcc, 1.0, v45, 1.0
	v_fma_f32 v50, -v47, v48, 1.0
	v_fmac_f32_e32 v48, v50, v48
	v_mul_f32_e32 v50, v49, v48
	v_fma_f32 v51, -v47, v50, v49
	v_fmac_f32_e32 v50, v51, v48
	v_fma_f32 v47, -v47, v50, v49
	v_div_fmas_f32 v47, v47, v48, v50
	v_div_fixup_f32 v45, v47, v45, 1.0
.LBB44_39:
	s_or_b64 exec, exec, s[0:1]
	v_cmp_ne_u32_e32 vcc, v253, v46
	s_and_saveexec_b64 s[0:1], vcc
	s_xor_b64 s[0:1], exec, s[0:1]
	s_cbranch_execz .LBB44_45
; %bb.40:
	v_cmp_eq_u32_e32 vcc, 2, v253
	s_and_saveexec_b64 s[2:3], vcc
	s_cbranch_execz .LBB44_44
; %bb.41:
	v_cmp_ne_u32_e32 vcc, 2, v46
	s_xor_b64 s[18:19], s[16:17], -1
	s_and_b64 s[20:21], s[18:19], vcc
	s_and_saveexec_b64 s[18:19], s[20:21]
	s_cbranch_execz .LBB44_43
; %bb.42:
	scratch_load_dwordx2 v[52:53], off, off offset:2692 ; 8-byte Folded Reload
	v_ashrrev_i32_e32 v47, 31, v46
	s_waitcnt vmcnt(0)
	v_lshl_add_u64 v[48:49], v[46:47], 2, v[52:53]
	global_load_dword v47, v[48:49], off
	global_load_dword v50, v[52:53], off offset:8
	s_waitcnt vmcnt(1)
	global_store_dword v[52:53], v47, off offset:8
	s_waitcnt vmcnt(1)
	global_store_dword v[48:49], v50, off
.LBB44_43:
	s_or_b64 exec, exec, s[18:19]
	v_mov_b32_e32 v251, v46
	v_mov_b32_e32 v253, v46
.LBB44_44:
	s_or_b64 exec, exec, s[2:3]
.LBB44_45:
	s_andn2_saveexec_b64 s[0:1], s[0:1]
	s_cbranch_execz .LBB44_47
; %bb.46:
	scratch_load_dwordx4 v[112:115], off, off ; 16-byte Folded Reload
	scratch_load_dwordx4 v[116:119], off, off offset:16 ; 16-byte Folded Reload
	scratch_load_dwordx4 v[120:123], off, off offset:32 ; 16-byte Folded Reload
	;; [unrolled: 1-line block ×7, first 2 shown]
	s_waitcnt vmcnt(1)
	v_mov_b32_e32 v139, v59
	v_mov_b32_e32 v62, v26
	;; [unrolled: 1-line block ×5, first 2 shown]
	v_mov_b64_e32 v[0:1], v[112:113]
	v_mov_b64_e32 v[2:3], v[114:115]
	;; [unrolled: 1-line block ×3, first 2 shown]
	v_mov_b32_e32 v16, v128
	v_mov_b64_e32 v[6:7], v[118:119]
	v_mov_b64_e32 v[8:9], v[120:121]
	;; [unrolled: 1-line block ×5, first 2 shown]
	v_mov_b32_e32 v17, v129
	v_mov_b32_e32 v18, v130
	;; [unrolled: 1-line block ×6, first 2 shown]
	ds_write2_b32 v252, v3, v4 offset0:3 offset1:4
	ds_write2_b32 v252, v5, v6 offset0:5 offset1:6
	;; [unrolled: 1-line block ×10, first 2 shown]
.LBB44_47:
	s_or_b64 exec, exec, s[0:1]
	v_cmp_lt_i32_e32 vcc, 2, v253
	s_waitcnt lgkmcnt(0)
	s_barrier
	s_and_saveexec_b64 s[0:1], vcc
	s_cbranch_execz .LBB44_49
; %bb.48:
	scratch_load_dwordx4 v[108:111], off, off offset:3212 ; 16-byte Folded Reload
	scratch_load_dwordx4 v[112:115], off, off offset:3228 ; 16-byte Folded Reload
	;; [unrolled: 1-line block ×8, first 2 shown]
	ds_read2_b32 v[0:1], v252 offset0:3 offset1:4
	scratch_load_dwordx4 v[2:5], off, off   ; 16-byte Folded Reload
	scratch_load_dwordx4 v[6:9], off, off offset:16 ; 16-byte Folded Reload
	scratch_load_dwordx4 v[10:13], off, off offset:32 ; 16-byte Folded Reload
	;; [unrolled: 1-line block ×7, first 2 shown]
	s_waitcnt vmcnt(15)
	v_mul_f32_e32 v110, v54, v45
	v_mov_b32_e32 v186, v110
	v_mov_b32_e32 v164, v110
	;; [unrolled: 1-line block ×6, first 2 shown]
	s_waitcnt vmcnt(3)
	v_mov_b32_e32 v3, v5
	v_mov_b32_e32 v4, v6
	;; [unrolled: 1-line block ×16, first 2 shown]
	s_waitcnt vmcnt(2)
	v_mov_b32_e32 v19, v21
	v_mov_b32_e32 v20, v22
	;; [unrolled: 1-line block ×4, first 2 shown]
	ds_read2_b32 v[24:25], v252 offset0:5 offset1:6
	s_waitcnt vmcnt(1)
	ds_read2_b32 v[26:27], v252 offset0:7 offset1:8
	ds_read2_b32 v[28:29], v252 offset0:9 offset1:10
	v_mov_b32_e32 v2, v3
	v_mov_b32_e32 v3, v4
	s_waitcnt lgkmcnt(3)
	v_pk_fma_f32 v[46:47], v[110:111], v[0:1], v[2:3] op_sel_hi:[0,1,1] neg_lo:[1,0,0] neg_hi:[1,0,0]
	v_mov_b32_e32 v0, v5
	v_mov_b32_e32 v1, v6
	s_waitcnt lgkmcnt(2)
	v_pk_fma_f32 v[48:49], v[110:111], v[24:25], v[0:1] op_sel_hi:[0,1,1] neg_lo:[1,0,0] neg_hi:[1,0,0]
	;; [unrolled: 4-line block ×4, first 2 shown]
	ds_read2_b32 v[0:1], v252 offset0:11 offset1:12
	ds_read2_b32 v[4:5], v252 offset0:13 offset1:14
	ds_read2_b32 v[6:7], v252 offset0:15 offset1:16
	ds_read2_b32 v[8:9], v252 offset0:17 offset1:18
	v_mov_b32_e32 v2, v11
	v_mov_b32_e32 v3, v12
	s_waitcnt vmcnt(0)
	v_mov_b32_e32 v32, v51
	s_waitcnt lgkmcnt(3)
	v_pk_fma_f32 v[54:55], v[110:111], v[0:1], v[2:3] op_sel_hi:[0,1,1] neg_lo:[1,0,0] neg_hi:[1,0,0]
	v_mov_b32_e32 v0, v13
	v_mov_b32_e32 v1, v14
	ds_read2_b32 v[2:3], v252 offset0:19 offset1:20
	s_waitcnt lgkmcnt(3)
	v_pk_fma_f32 v[76:77], v[110:111], v[4:5], v[0:1] op_sel_hi:[0,1,1] neg_lo:[1,0,0] neg_hi:[1,0,0]
	ds_read2_b32 v[4:5], v252 offset0:21 offset1:22
	v_mov_b32_e32 v0, v15
	v_mov_b32_e32 v1, v16
	s_waitcnt lgkmcnt(3)
	v_pk_fma_f32 v[78:79], v[110:111], v[6:7], v[0:1] op_sel_hi:[0,1,1] neg_lo:[1,0,0] neg_hi:[1,0,0]
	v_mov_b32_e32 v0, v17
	v_mov_b32_e32 v1, v18
	s_waitcnt lgkmcnt(2)
	v_pk_fma_f32 v[80:81], v[110:111], v[8:9], v[0:1] op_sel_hi:[0,1,1] neg_lo:[1,0,0] neg_hi:[1,0,0]
	;; [unrolled: 4-line block ×4, first 2 shown]
	v_mov_b32_e32 v0, v108
	v_mov_b32_e32 v1, v109
	;; [unrolled: 1-line block ×5, first 2 shown]
	scratch_store_dwordx4 off, v[0:3], off offset:2956 ; 16-byte Folded Spill
	s_nop 0
	scratch_store_dwordx4 off, v[4:7], off offset:2972 ; 16-byte Folded Spill
	scratch_store_dwordx4 off, v[8:11], off offset:2988 ; 16-byte Folded Spill
	;; [unrolled: 1-line block ×7, first 2 shown]
	v_mov_b32_e32 v5, v48
	v_mov_b32_e32 v33, v52
	;; [unrolled: 1-line block ×28, first 2 shown]
	scratch_store_dwordx4 off, v[0:3], off offset:2700 ; 16-byte Folded Spill
	s_nop 0
	scratch_store_dwordx4 off, v[4:7], off offset:2716 ; 16-byte Folded Spill
	scratch_store_dwordx4 off, v[8:11], off offset:2732 ; 16-byte Folded Spill
	;; [unrolled: 1-line block ×7, first 2 shown]
	v_mov_b32_e32 v6, v49
	v_mov_b32_e32 v171, v52
	v_mov_b32_e32 v172, v53
	v_mov_b32_e32 v173, v54
	v_mov_b32_e32 v174, v55
	v_mov_b32_e32 v175, v76
	v_mov_b32_e32 v176, v77
	v_mov_b32_e32 v197, v76
	v_mov_b32_e32 v70, v77
	v_mov_b32_e32 v71, v78
	v_mov_b32_e32 v72, v79
	v_mov_b32_e32 v67, v80
	v_mov_b32_e32 v88, v81
	scratch_store_dwordx4 off, v[0:3], off offset:2564 ; 16-byte Folded Spill
	s_nop 0
	scratch_store_dwordx4 off, v[4:7], off offset:2580 ; 16-byte Folded Spill
	scratch_store_dwordx4 off, v[8:11], off offset:2596 ; 16-byte Folded Spill
	scratch_store_dwordx4 off, v[12:15], off offset:2612 ; 16-byte Folded Spill
	scratch_store_dwordx4 off, v[16:19], off offset:2628 ; 16-byte Folded Spill
	scratch_store_dwordx4 off, v[20:23], off offset:2644 ; 16-byte Folded Spill
	scratch_store_dwordx4 off, v[24:27], off offset:2660 ; 16-byte Folded Spill
	scratch_store_dwordx4 off, v[28:31], off offset:2676 ; 16-byte Folded Spill
	v_mov_b32_e32 v7, v50
	scratch_store_dwordx4 off, v[0:3], off offset:2308 ; 16-byte Folded Spill
	s_nop 0
	scratch_store_dwordx4 off, v[4:7], off offset:2324 ; 16-byte Folded Spill
	scratch_store_dwordx4 off, v[8:11], off offset:2340 ; 16-byte Folded Spill
	scratch_store_dwordx4 off, v[12:15], off offset:2356 ; 16-byte Folded Spill
	scratch_store_dwordx4 off, v[16:19], off offset:2372 ; 16-byte Folded Spill
	scratch_store_dwordx4 off, v[20:23], off offset:2388 ; 16-byte Folded Spill
	scratch_store_dwordx4 off, v[24:27], off offset:2404 ; 16-byte Folded Spill
	scratch_store_dwordx4 off, v[28:31], off offset:2420 ; 16-byte Folded Spill
	v_mov_b32_e32 v8, v51
	;; [unrolled: 10-line block ×6, first 2 shown]
	v_mov_b32_e32 v13, v76
	scratch_store_dwordx4 off, v[0:3], off offset:1668 ; 16-byte Folded Spill
	s_nop 0
	scratch_store_dwordx4 off, v[4:7], off offset:1684 ; 16-byte Folded Spill
	scratch_store_dwordx4 off, v[8:11], off offset:1700 ; 16-byte Folded Spill
	scratch_store_dwordx4 off, v[12:15], off offset:1716 ; 16-byte Folded Spill
	scratch_store_dwordx4 off, v[16:19], off offset:1732 ; 16-byte Folded Spill
	scratch_store_dwordx4 off, v[20:23], off offset:1748 ; 16-byte Folded Spill
	scratch_store_dwordx4 off, v[24:27], off offset:1764 ; 16-byte Folded Spill
	scratch_store_dwordx4 off, v[28:31], off offset:1780 ; 16-byte Folded Spill
	v_mov_b32_e32 v14, v77
	v_mov_b32_e32 v15, v78
	scratch_store_dwordx4 off, v[0:3], off offset:1536 ; 16-byte Folded Spill
	s_nop 0
	scratch_store_dwordx4 off, v[4:7], off offset:1552 ; 16-byte Folded Spill
	scratch_store_dwordx4 off, v[8:11], off offset:1568 ; 16-byte Folded Spill
	scratch_store_dwordx4 off, v[12:15], off offset:1584 ; 16-byte Folded Spill
	scratch_store_dwordx4 off, v[16:19], off offset:1600 ; 16-byte Folded Spill
	scratch_store_dwordx4 off, v[20:23], off offset:1616 ; 16-byte Folded Spill
	scratch_store_dwordx4 off, v[24:27], off offset:1632 ; 16-byte Folded Spill
	scratch_store_dwordx4 off, v[28:31], off offset:1648 ; 16-byte Folded Spill
	v_mov_b32_e32 v16, v79
	scratch_store_dwordx4 off, v[0:3], off offset:1280 ; 16-byte Folded Spill
	s_nop 0
	scratch_store_dwordx4 off, v[4:7], off offset:1296 ; 16-byte Folded Spill
	scratch_store_dwordx4 off, v[8:11], off offset:1312 ; 16-byte Folded Spill
	scratch_store_dwordx4 off, v[12:15], off offset:1328 ; 16-byte Folded Spill
	scratch_store_dwordx4 off, v[16:19], off offset:1344 ; 16-byte Folded Spill
	scratch_store_dwordx4 off, v[20:23], off offset:1360 ; 16-byte Folded Spill
	scratch_store_dwordx4 off, v[24:27], off offset:1376 ; 16-byte Folded Spill
	scratch_store_dwordx4 off, v[28:31], off offset:1392 ; 16-byte Folded Spill
	;; [unrolled: 10-line block ×3, first 2 shown]
	s_nop 0
	v_mov_b32_e32 v24, v108
	v_mov_b32_e32 v25, v109
	;; [unrolled: 1-line block ×8, first 2 shown]
	scratch_store_dwordx4 off, v[24:27], off offset:1152 ; 16-byte Folded Spill
	s_nop 0
	scratch_store_dwordx4 off, v[28:31], off offset:1168 ; 16-byte Folded Spill
	scratch_store_dwordx4 off, v[32:35], off offset:1184 ; 16-byte Folded Spill
	;; [unrolled: 1-line block ×7, first 2 shown]
	v_mov_b32_e32 v18, v81
	v_mov_b32_e32 v19, v82
	;; [unrolled: 1-line block ×3, first 2 shown]
	scratch_store_dwordx4 off, v[0:3], off offset:512 ; 16-byte Folded Spill
	s_nop 0
	scratch_store_dwordx4 off, v[4:7], off offset:528 ; 16-byte Folded Spill
	scratch_store_dwordx4 off, v[8:11], off offset:544 ; 16-byte Folded Spill
	;; [unrolled: 1-line block ×7, first 2 shown]
	v_mov_b32_e32 v20, v83
	v_mov_b32_e32 v44, v51
	;; [unrolled: 1-line block ×8, first 2 shown]
	scratch_store_dwordx4 off, v[0:3], off offset:384 ; 16-byte Folded Spill
	s_nop 0
	scratch_store_dwordx4 off, v[4:7], off offset:400 ; 16-byte Folded Spill
	scratch_store_dwordx4 off, v[8:11], off offset:416 ; 16-byte Folded Spill
	;; [unrolled: 1-line block ×7, first 2 shown]
	v_mov_b32_e32 v21, v254
	v_mov_b32_e32 v22, v255
	scratch_store_dwordx4 off, v[0:3], off  ; 16-byte Folded Spill
	s_nop 0
	scratch_store_dwordx4 off, v[4:7], off offset:16 ; 16-byte Folded Spill
	scratch_store_dwordx4 off, v[8:11], off offset:32 ; 16-byte Folded Spill
	;; [unrolled: 1-line block ×8, first 2 shown]
	s_nop 0
	scratch_store_dwordx4 off, v[112:115], off offset:3100 ; 16-byte Folded Spill
	scratch_store_dwordx4 off, v[116:119], off offset:3116 ; 16-byte Folded Spill
	;; [unrolled: 1-line block ×8, first 2 shown]
	s_nop 0
	scratch_store_dwordx4 off, v[112:115], off offset:3356 ; 16-byte Folded Spill
	scratch_store_dwordx4 off, v[116:119], off offset:3372 ; 16-byte Folded Spill
	;; [unrolled: 1-line block ×7, first 2 shown]
	s_nop 1
	v_mov_b32_e32 v139, v50
	v_mov_b32_e32 v108, v53
	;; [unrolled: 1-line block ×3, first 2 shown]
	scratch_store_dwordx4 off, v[26:29], off offset:256 ; 16-byte Folded Spill
	s_nop 0
	scratch_store_dwordx4 off, v[30:33], off offset:272 ; 16-byte Folded Spill
	scratch_store_dwordx4 off, v[34:37], off offset:288 ; 16-byte Folded Spill
	;; [unrolled: 1-line block ×7, first 2 shown]
	v_mov_b32_e32 v46, v83
	scratch_store_dwordx4 off, v[26:29], off offset:128 ; 16-byte Folded Spill
	s_nop 0
	scratch_store_dwordx4 off, v[30:33], off offset:144 ; 16-byte Folded Spill
	scratch_store_dwordx4 off, v[34:37], off offset:160 ; 16-byte Folded Spill
	;; [unrolled: 1-line block ×7, first 2 shown]
.LBB44_49:
	s_or_b64 exec, exec, s[0:1]
	v_lshl_add_u32 v45, v253, 2, v252
	s_waitcnt vmcnt(63) expcnt(7) lgkmcnt(15)
	s_barrier
	ds_write_b32 v45, v63
	s_waitcnt lgkmcnt(0)
	s_barrier
	ds_read_b32 v45, v252 offset:12
	s_cmp_lt_i32 s22, 5
	v_mov_b32_e32 v46, 3
	s_cbranch_scc1 .LBB44_52
; %bb.50:
	scratch_load_dword v0, off, off offset:1664 ; 4-byte Folded Reload
	v_mov_b32_e32 v46, 3
	s_mov_b32 s0, 4
	s_waitcnt vmcnt(0)
	v_add3_u32 v47, v0, 0, 16
.LBB44_51:                              ; =>This Inner Loop Header: Depth=1
	ds_read_b32 v48, v47
	v_add_u32_e32 v47, 4, v47
	s_waitcnt lgkmcnt(0)
	v_cmp_lt_f32_e64 vcc, |v45|, |v48|
	s_nop 1
	v_cndmask_b32_e32 v45, v45, v48, vcc
	v_mov_b32_e32 v48, s0
	s_add_i32 s0, s0, 1
	v_cndmask_b32_e32 v46, v46, v48, vcc
	s_cmp_lg_u32 s22, s0
	s_cbranch_scc1 .LBB44_51
.LBB44_52:
	s_waitcnt lgkmcnt(0)
	v_cmp_eq_f32_e32 vcc, 0, v45
	s_and_saveexec_b64 s[0:1], vcc
	s_xor_b64 s[0:1], exec, s[0:1]
; %bb.53:
	v_cmp_ne_u32_e32 vcc, 0, v250
	s_nop 1
	v_cndmask_b32_e32 v250, 4, v250, vcc
; %bb.54:
	s_andn2_saveexec_b64 s[0:1], s[0:1]
	s_cbranch_execz .LBB44_56
; %bb.55:
	v_div_scale_f32 v47, s[2:3], v45, v45, 1.0
	v_rcp_f32_e32 v48, v47
	v_div_scale_f32 v49, vcc, 1.0, v45, 1.0
	v_fma_f32 v50, -v47, v48, 1.0
	v_fmac_f32_e32 v48, v50, v48
	v_mul_f32_e32 v50, v49, v48
	v_fma_f32 v51, -v47, v50, v49
	v_fmac_f32_e32 v50, v51, v48
	v_fma_f32 v47, -v47, v50, v49
	v_div_fmas_f32 v47, v47, v48, v50
	v_div_fixup_f32 v45, v47, v45, 1.0
.LBB44_56:
	s_or_b64 exec, exec, s[0:1]
	v_cmp_ne_u32_e32 vcc, v253, v46
	s_and_saveexec_b64 s[0:1], vcc
	s_xor_b64 s[0:1], exec, s[0:1]
	s_cbranch_execz .LBB44_62
; %bb.57:
	v_cmp_eq_u32_e32 vcc, 3, v253
	s_and_saveexec_b64 s[2:3], vcc
	s_cbranch_execz .LBB44_61
; %bb.58:
	v_cmp_ne_u32_e32 vcc, 3, v46
	s_xor_b64 s[18:19], s[16:17], -1
	s_and_b64 s[20:21], s[18:19], vcc
	s_and_saveexec_b64 s[18:19], s[20:21]
	s_cbranch_execz .LBB44_60
; %bb.59:
	scratch_load_dwordx2 v[52:53], off, off offset:2692 ; 8-byte Folded Reload
	v_ashrrev_i32_e32 v47, 31, v46
	s_waitcnt vmcnt(0)
	v_lshl_add_u64 v[48:49], v[46:47], 2, v[52:53]
	global_load_dword v47, v[48:49], off
	global_load_dword v50, v[52:53], off offset:12
	s_waitcnt vmcnt(1)
	global_store_dword v[52:53], v47, off offset:12
	s_waitcnt vmcnt(1)
	global_store_dword v[48:49], v50, off
.LBB44_60:
	s_or_b64 exec, exec, s[18:19]
	v_mov_b32_e32 v251, v46
	v_mov_b32_e32 v253, v46
.LBB44_61:
	s_or_b64 exec, exec, s[2:3]
.LBB44_62:
	s_or_saveexec_b64 s[0:1], s[0:1]
	v_mov_b32_e32 v55, v43
	v_mov_b32_e32 v56, v44
	s_xor_b64 exec, exec, s[0:1]
	s_cbranch_execz .LBB44_64
; %bb.63:
	v_mov_b32_e32 v43, v139
	scratch_load_dwordx4 v[112:115], off, off ; 16-byte Folded Reload
	scratch_load_dwordx4 v[116:119], off, off offset:16 ; 16-byte Folded Reload
	scratch_load_dwordx4 v[120:123], off, off offset:32 ; 16-byte Folded Reload
	;; [unrolled: 1-line block ×7, first 2 shown]
	s_waitcnt vmcnt(1)
	v_mov_b32_e32 v139, v43
	v_mov_b32_e32 v253, 3
	v_mov_b64_e32 v[0:1], v[112:113]
	v_mov_b64_e32 v[4:5], v[116:117]
	v_mov_b32_e32 v16, v128
	v_mov_b64_e32 v[2:3], v[114:115]
	v_mov_b64_e32 v[6:7], v[118:119]
	v_mov_b64_e32 v[8:9], v[120:121]
	v_mov_b64_e32 v[10:11], v[122:123]
	v_mov_b64_e32 v[12:13], v[124:125]
	v_mov_b64_e32 v[14:15], v[126:127]
	v_mov_b32_e32 v17, v129
	v_mov_b32_e32 v18, v130
	;; [unrolled: 1-line block ×6, first 2 shown]
	ds_write2_b32 v252, v4, v5 offset0:4 offset1:5
	ds_write2_b32 v252, v6, v7 offset0:6 offset1:7
	ds_write2_b32 v252, v8, v9 offset0:8 offset1:9
	ds_write2_b32 v252, v10, v11 offset0:10 offset1:11
	ds_write2_b32 v252, v12, v13 offset0:12 offset1:13
	ds_write2_b32 v252, v14, v15 offset0:14 offset1:15
	ds_write2_b32 v252, v16, v17 offset0:16 offset1:17
	ds_write2_b32 v252, v18, v19 offset0:18 offset1:19
	ds_write2_b32 v252, v20, v21 offset0:20 offset1:21
	ds_write_b32 v252, v255 offset:88
.LBB44_64:
	s_or_b64 exec, exec, s[0:1]
	v_cmp_lt_i32_e32 vcc, 3, v253
	s_waitcnt lgkmcnt(0)
	s_barrier
	s_and_saveexec_b64 s[0:1], vcc
	s_cbranch_execz .LBB44_66
; %bb.65:
	ds_read2_b32 v[2:3], v252 offset0:4 offset1:5
	ds_read2_b32 v[24:25], v252 offset0:6 offset1:7
	;; [unrolled: 1-line block ×3, first 2 shown]
	v_mul_f32_e32 v0, v63, v45
	ds_read2_b32 v[28:29], v252 offset0:10 offset1:11
	scratch_load_dwordx4 v[30:33], off, off ; 16-byte Folded Reload
	scratch_load_dwordx4 v[34:37], off, off offset:16 ; 16-byte Folded Reload
	scratch_load_dwordx4 v[38:41], off, off offset:32 ; 16-byte Folded Reload
	;; [unrolled: 1-line block ×7, first 2 shown]
	v_mov_b32_e32 v91, v0
	v_mov_b32_e32 v65, v0
	;; [unrolled: 1-line block ×3, first 2 shown]
	s_waitcnt vmcnt(0)
	v_mov_b32_e32 v59, v0
	v_mov_b32_e32 v135, v0
	;; [unrolled: 1-line block ×6, first 2 shown]
	v_mov_b64_e32 v[4:5], v[34:35]
	s_waitcnt lgkmcnt(3)
	v_pk_fma_f32 v[60:61], v[0:1], v[2:3], v[4:5] op_sel_hi:[0,1,1] neg_lo:[1,0,0] neg_hi:[1,0,0]
	ds_read2_b32 v[2:3], v252 offset0:12 offset1:13
	v_mov_b64_e32 v[6:7], v[36:37]
	v_mov_b64_e32 v[8:9], v[38:39]
	v_mov_b64_e32 v[10:11], v[40:41]
	v_mov_b64_e32 v[12:13], v[42:43]
	s_waitcnt lgkmcnt(3)
	v_pk_fma_f32 v[138:139], v[0:1], v[24:25], v[6:7] op_sel_hi:[0,1,1] neg_lo:[1,0,0] neg_hi:[1,0,0]
	s_waitcnt lgkmcnt(2)
	v_pk_fma_f32 v[54:55], v[0:1], v[26:27], v[8:9] op_sel_hi:[0,1,1] neg_lo:[1,0,0] neg_hi:[1,0,0]
	s_waitcnt lgkmcnt(1)
	v_pk_fma_f32 v[86:87], v[0:1], v[28:29], v[10:11] op_sel_hi:[0,1,1] neg_lo:[1,0,0] neg_hi:[1,0,0]
	ds_read2_b32 v[4:5], v252 offset0:14 offset1:15
	ds_read2_b32 v[6:7], v252 offset0:16 offset1:17
	;; [unrolled: 1-line block ×3, first 2 shown]
	s_waitcnt lgkmcnt(3)
	v_pk_fma_f32 v[196:197], v[0:1], v[2:3], v[12:13] op_sel_hi:[0,1,1] neg_lo:[1,0,0] neg_hi:[1,0,0]
	ds_read2_b32 v[2:3], v252 offset0:20 offset1:21
	ds_read_b32 v1, v252 offset:88
	v_mov_b64_e32 v[14:15], v[44:45]
	v_mov_b64_e32 v[16:17], v[46:47]
	;; [unrolled: 1-line block ×4, first 2 shown]
	s_waitcnt lgkmcnt(0)
	v_pk_fma_f32 v[176:177], v[0:1], v[4:5], v[14:15] op_sel_hi:[0,1,1] neg_lo:[1,0,0] neg_hi:[1,0,0]
	v_pk_fma_f32 v[214:215], v[0:1], v[6:7], v[16:17] op_sel_hi:[0,1,1] neg_lo:[1,0,0] neg_hi:[1,0,0]
	;; [unrolled: 1-line block ×4, first 2 shown]
	scratch_load_dwordx4 v[2:5], off, off offset:3340 ; 16-byte Folded Reload
	scratch_load_dwordx4 v[6:9], off, off offset:3356 ; 16-byte Folded Reload
	;; [unrolled: 1-line block ×8, first 2 shown]
	s_waitcnt vmcnt(7)
	v_mov_b32_e32 v5, v0
	s_waitcnt vmcnt(6)
	v_mov_b32_e32 v6, v60
	v_mov_b32_e32 v7, v61
	;; [unrolled: 1-line block ×74, first 2 shown]
	scratch_store_dwordx4 off, v[2:5], off offset:2700 ; 16-byte Folded Spill
	s_nop 0
	scratch_store_dwordx4 off, v[6:9], off offset:2716 ; 16-byte Folded Spill
	s_waitcnt vmcnt(7)
	scratch_store_dwordx4 off, v[10:13], off offset:2732 ; 16-byte Folded Spill
	s_waitcnt vmcnt(7)
	;; [unrolled: 2-line block ×6, first 2 shown]
	scratch_store_dwordx4 off, v[30:33], off offset:2812 ; 16-byte Folded Spill
	v_mov_b32_e32 v8, v138
	v_mov_b32_e32 v9, v139
	;; [unrolled: 1-line block ×44, first 2 shown]
	scratch_store_dwordx4 off, v[2:5], off offset:2308 ; 16-byte Folded Spill
	s_nop 0
	scratch_store_dwordx4 off, v[6:9], off offset:2324 ; 16-byte Folded Spill
	scratch_store_dwordx4 off, v[10:13], off offset:2340 ; 16-byte Folded Spill
	scratch_store_dwordx4 off, v[14:17], off offset:2356 ; 16-byte Folded Spill
	scratch_store_dwordx4 off, v[18:21], off offset:2372 ; 16-byte Folded Spill
	scratch_store_dwordx4 off, v[22:25], off offset:2388 ; 16-byte Folded Spill
	scratch_store_dwordx4 off, v[26:29], off offset:2404 ; 16-byte Folded Spill
	scratch_store_dwordx4 off, v[30:33], off offset:2420 ; 16-byte Folded Spill
	v_mov_b32_e32 v10, v54
	v_mov_b32_e32 v11, v55
	scratch_store_dwordx4 off, v[2:5], off offset:2052 ; 16-byte Folded Spill
	s_nop 0
	scratch_store_dwordx4 off, v[6:9], off offset:2068 ; 16-byte Folded Spill
	scratch_store_dwordx4 off, v[10:13], off offset:2084 ; 16-byte Folded Spill
	scratch_store_dwordx4 off, v[14:17], off offset:2100 ; 16-byte Folded Spill
	scratch_store_dwordx4 off, v[18:21], off offset:2116 ; 16-byte Folded Spill
	scratch_store_dwordx4 off, v[22:25], off offset:2132 ; 16-byte Folded Spill
	scratch_store_dwordx4 off, v[26:29], off offset:2148 ; 16-byte Folded Spill
	scratch_store_dwordx4 off, v[30:33], off offset:2164 ; 16-byte Folded Spill
	v_mov_b32_e32 v12, v86
	v_mov_b32_e32 v13, v87
	;; [unrolled: 11-line block ×5, first 2 shown]
	scratch_store_dwordx4 off, v[2:5], off offset:1024 ; 16-byte Folded Spill
	s_nop 0
	scratch_store_dwordx4 off, v[6:9], off offset:1040 ; 16-byte Folded Spill
	scratch_store_dwordx4 off, v[10:13], off offset:1056 ; 16-byte Folded Spill
	;; [unrolled: 1-line block ×8, first 2 shown]
	s_nop 0
	scratch_store_dwordx4 off, v[92:95], off offset:528 ; 16-byte Folded Spill
	scratch_store_dwordx4 off, v[96:99], off offset:544 ; 16-byte Folded Spill
	;; [unrolled: 1-line block ×7, first 2 shown]
	v_mov_b32_e32 v24, v62
	v_mov_b32_e32 v25, v63
	;; [unrolled: 1-line block ×4, first 2 shown]
	v_fma_f32 v22, -v0, v1, v255
	v_mov_b32_e32 v3, v0
	v_mov_b32_e32 v0, v62
	;; [unrolled: 1-line block ×22, first 2 shown]
	v_mov_b64_e32 v[122:123], v[14:15]
	v_mov_b32_e32 v130, v22
	v_mov_b64_e32 v[120:121], v[12:13]
	v_mov_b64_e32 v[118:119], v[10:11]
	;; [unrolled: 1-line block ×7, first 2 shown]
	v_mov_b32_e32 v129, v21
	v_mov_b32_e32 v128, v20
	;; [unrolled: 1-line block ×13, first 2 shown]
	scratch_store_dwordx4 off, v[62:65], off offset:3084 ; 16-byte Folded Spill
	s_nop 0
	scratch_store_dwordx4 off, v[66:69], off offset:3100 ; 16-byte Folded Spill
	scratch_store_dwordx4 off, v[70:73], off offset:3116 ; 16-byte Folded Spill
	;; [unrolled: 1-line block ×7, first 2 shown]
	v_mov_b32_e32 v64, v60
	scratch_store_dwordx4 off, v[108:111], off ; 16-byte Folded Spill
	s_nop 0
	scratch_store_dwordx4 off, v[112:115], off offset:16 ; 16-byte Folded Spill
	scratch_store_dwordx4 off, v[116:119], off offset:32 ; 16-byte Folded Spill
	;; [unrolled: 1-line block ×8, first 2 shown]
	s_nop 0
	scratch_store_dwordx4 off, v[60:63], off offset:2972 ; 16-byte Folded Spill
	scratch_store_dwordx4 off, v[64:67], off offset:2988 ; 16-byte Folded Spill
	;; [unrolled: 1-line block ×7, first 2 shown]
	v_mov_b32_e32 v56, v54
	v_mov_b32_e32 v22, v138
	scratch_store_dwordx4 off, v[132:135], off offset:2564 ; 16-byte Folded Spill
	s_nop 0
	scratch_store_dwordx4 off, v[136:139], off offset:2580 ; 16-byte Folded Spill
	scratch_store_dwordx4 off, v[140:143], off offset:2596 ; 16-byte Folded Spill
	;; [unrolled: 1-line block ×8, first 2 shown]
	s_nop 0
	scratch_store_dwordx4 off, v[50:53], off offset:2196 ; 16-byte Folded Spill
	scratch_store_dwordx4 off, v[54:57], off offset:2212 ; 16-byte Folded Spill
	;; [unrolled: 1-line block ×7, first 2 shown]
	v_mov_b32_e32 v108, v86
	v_mov_b32_e32 v72, v214
	v_mov_b64_e32 v[0:1], v[140:141]
	v_mov_b32_e32 v16, v156
	v_mov_b32_e32 v74, v196
	;; [unrolled: 1-line block ×4, first 2 shown]
	v_mov_b64_e32 v[2:3], v[142:143]
	v_mov_b64_e32 v[4:5], v[144:145]
	;; [unrolled: 1-line block ×7, first 2 shown]
	v_mov_b32_e32 v17, v157
	v_mov_b32_e32 v18, v158
	;; [unrolled: 1-line block ×4, first 2 shown]
	scratch_store_dwordx4 off, v[76:79], off offset:1924 ; 16-byte Folded Spill
	s_nop 0
	scratch_store_dwordx4 off, v[80:83], off offset:1940 ; 16-byte Folded Spill
	scratch_store_dwordx4 off, v[84:87], off offset:1956 ; 16-byte Folded Spill
	;; [unrolled: 1-line block ×8, first 2 shown]
	s_nop 0
	scratch_store_dwordx4 off, v[202:205], off offset:1296 ; 16-byte Folded Spill
	scratch_store_dwordx4 off, v[206:209], off offset:1312 ; 16-byte Folded Spill
	;; [unrolled: 1-line block ×7, first 2 shown]
	v_mov_b32_e32 v88, v42
	scratch_store_dwordx4 off, v[24:27], off offset:1152 ; 16-byte Folded Spill
	s_nop 0
	scratch_store_dwordx4 off, v[28:31], off offset:1168 ; 16-byte Folded Spill
	scratch_store_dwordx4 off, v[32:35], off offset:1184 ; 16-byte Folded Spill
	;; [unrolled: 1-line block ×7, first 2 shown]
	v_mov_b32_e32 v46, v160
	v_mov_b32_e32 v23, v87
	;; [unrolled: 1-line block ×4, first 2 shown]
	scratch_store_dwordx4 off, v[56:59], off offset:256 ; 16-byte Folded Spill
	s_nop 0
	scratch_store_dwordx4 off, v[60:63], off offset:272 ; 16-byte Folded Spill
	scratch_store_dwordx4 off, v[64:67], off offset:288 ; 16-byte Folded Spill
	;; [unrolled: 1-line block ×8, first 2 shown]
	s_nop 0
	scratch_store_dwordx4 off, v[4:7], off offset:400 ; 16-byte Folded Spill
	scratch_store_dwordx4 off, v[8:11], off offset:416 ; 16-byte Folded Spill
	;; [unrolled: 1-line block ×7, first 2 shown]
	v_mov_b32_e32 v62, v138
	scratch_store_dwordx4 off, v[26:29], off offset:128 ; 16-byte Folded Spill
	s_nop 0
	scratch_store_dwordx4 off, v[30:33], off offset:144 ; 16-byte Folded Spill
	scratch_store_dwordx4 off, v[34:37], off offset:160 ; 16-byte Folded Spill
	;; [unrolled: 1-line block ×7, first 2 shown]
.LBB44_66:
	s_or_b64 exec, exec, s[0:1]
	v_lshl_add_u32 v45, v253, 2, v252
	s_waitcnt vmcnt(63) expcnt(7) lgkmcnt(15)
	s_barrier
	ds_write_b32 v45, v64
	s_waitcnt lgkmcnt(0)
	s_barrier
	ds_read_b32 v45, v252 offset:16
	s_cmp_lt_i32 s22, 6
	v_mov_b32_e32 v46, 4
	s_cbranch_scc1 .LBB44_392
; %bb.67:
	scratch_load_dword v0, off, off offset:1664 ; 4-byte Folded Reload
	v_mov_b32_e32 v46, 4
	s_mov_b32 s0, 5
	v_mov_b32_e32 v44, v56
	v_mov_b32_e32 v43, v55
	s_waitcnt vmcnt(0)
	v_add3_u32 v47, v0, 0, 20
.LBB44_68:                              ; =>This Inner Loop Header: Depth=1
	ds_read_b32 v48, v47
	v_add_u32_e32 v47, 4, v47
	s_waitcnt lgkmcnt(0)
	v_cmp_lt_f32_e64 vcc, |v45|, |v48|
	s_nop 1
	v_cndmask_b32_e32 v45, v45, v48, vcc
	v_mov_b32_e32 v48, s0
	s_add_i32 s0, s0, 1
	v_cndmask_b32_e32 v46, v46, v48, vcc
	s_cmp_lg_u32 s22, s0
	s_cbranch_scc1 .LBB44_68
; %bb.69:
	v_cmp_eq_f32_e32 vcc, 0, v45
	s_and_saveexec_b64 s[0:1], vcc
	s_xor_b64 s[0:1], exec, s[0:1]
.LBB44_70:
	v_cmp_ne_u32_e32 vcc, 0, v250
	s_nop 1
	v_cndmask_b32_e32 v250, 5, v250, vcc
.LBB44_71:
	s_andn2_saveexec_b64 s[0:1], s[0:1]
	s_cbranch_execz .LBB44_73
; %bb.72:
	v_div_scale_f32 v47, s[2:3], v45, v45, 1.0
	v_rcp_f32_e32 v48, v47
	v_div_scale_f32 v49, vcc, 1.0, v45, 1.0
	v_fma_f32 v50, -v47, v48, 1.0
	v_fmac_f32_e32 v48, v50, v48
	v_mul_f32_e32 v50, v49, v48
	v_fma_f32 v51, -v47, v50, v49
	v_fmac_f32_e32 v50, v51, v48
	v_fma_f32 v47, -v47, v50, v49
	v_div_fmas_f32 v47, v47, v48, v50
	v_div_fixup_f32 v45, v47, v45, 1.0
.LBB44_73:
	s_or_b64 exec, exec, s[0:1]
	v_cmp_ne_u32_e32 vcc, v253, v46
	s_and_saveexec_b64 s[0:1], vcc
	s_xor_b64 s[0:1], exec, s[0:1]
	s_cbranch_execz .LBB44_79
; %bb.74:
	v_cmp_eq_u32_e32 vcc, 4, v253
	s_and_saveexec_b64 s[2:3], vcc
	s_cbranch_execz .LBB44_78
; %bb.75:
	v_cmp_ne_u32_e32 vcc, 4, v46
	s_xor_b64 s[18:19], s[16:17], -1
	s_and_b64 s[20:21], s[18:19], vcc
	s_and_saveexec_b64 s[18:19], s[20:21]
	s_cbranch_execz .LBB44_77
; %bb.76:
	scratch_load_dwordx2 v[52:53], off, off offset:2692 ; 8-byte Folded Reload
	v_ashrrev_i32_e32 v47, 31, v46
	s_waitcnt vmcnt(0)
	v_lshl_add_u64 v[48:49], v[46:47], 2, v[52:53]
	global_load_dword v47, v[48:49], off
	global_load_dword v50, v[52:53], off offset:16
	s_waitcnt vmcnt(1)
	global_store_dword v[52:53], v47, off offset:16
	s_waitcnt vmcnt(1)
	global_store_dword v[48:49], v50, off
.LBB44_77:
	s_or_b64 exec, exec, s[18:19]
	v_mov_b32_e32 v251, v46
	v_mov_b32_e32 v253, v46
.LBB44_78:
	s_or_b64 exec, exec, s[2:3]
.LBB44_79:
	s_andn2_saveexec_b64 s[0:1], s[0:1]
	s_cbranch_execz .LBB44_81
; %bb.80:
	v_mov_b32_e32 v43, v139
	scratch_load_dwordx4 v[112:115], off, off ; 16-byte Folded Reload
	scratch_load_dwordx4 v[116:119], off, off offset:16 ; 16-byte Folded Reload
	scratch_load_dwordx4 v[120:123], off, off offset:32 ; 16-byte Folded Reload
	;; [unrolled: 1-line block ×7, first 2 shown]
	s_waitcnt vmcnt(1)
	v_mov_b32_e32 v139, v43
	v_mov_b32_e32 v43, v55
	;; [unrolled: 1-line block ×4, first 2 shown]
	v_mov_b64_e32 v[0:1], v[112:113]
	v_mov_b64_e32 v[4:5], v[116:117]
	;; [unrolled: 1-line block ×3, first 2 shown]
	v_mov_b32_e32 v16, v128
	v_mov_b64_e32 v[2:3], v[114:115]
	v_mov_b64_e32 v[8:9], v[120:121]
	;; [unrolled: 1-line block ×5, first 2 shown]
	v_mov_b32_e32 v17, v129
	v_mov_b32_e32 v18, v130
	;; [unrolled: 1-line block ×6, first 2 shown]
	ds_write2_b32 v252, v5, v6 offset0:5 offset1:6
	ds_write2_b32 v252, v7, v8 offset0:7 offset1:8
	;; [unrolled: 1-line block ×9, first 2 shown]
.LBB44_81:
	s_or_b64 exec, exec, s[0:1]
	v_cmp_lt_i32_e32 vcc, 4, v253
	s_waitcnt lgkmcnt(0)
	s_barrier
	s_and_saveexec_b64 s[0:1], vcc
	s_cbranch_execz .LBB44_83
; %bb.82:
	scratch_load_dwordx4 v[0:3], off, off offset:3084 ; 16-byte Folded Reload
	scratch_load_dwordx4 v[4:7], off, off offset:3100 ; 16-byte Folded Reload
	;; [unrolled: 1-line block ×8, first 2 shown]
	v_mul_f32_e32 v60, v64, v45
	v_mov_b32_e32 v188, v60
	v_mov_b32_e32 v166, v60
	s_waitcnt vmcnt(7)
	v_mov_b64_e32 v[58:59], v[2:3]
	v_mov_b64_e32 v[56:57], v[0:1]
	ds_read2_b32 v[0:1], v252 offset0:5 offset1:6
	scratch_load_dwordx4 v[2:5], off, off   ; 16-byte Folded Reload
	scratch_load_dwordx4 v[6:9], off, off offset:16 ; 16-byte Folded Reload
	scratch_load_dwordx4 v[10:13], off, off offset:32 ; 16-byte Folded Reload
	;; [unrolled: 1-line block ×7, first 2 shown]
	v_mov_b32_e32 v184, v56
	v_mov_b32_e32 v185, v57
	;; [unrolled: 1-line block ×8, first 2 shown]
	s_waitcnt vmcnt(2)
	v_mov_b32_e32 v5, v7
	v_mov_b32_e32 v6, v8
	;; [unrolled: 1-line block ×19, first 2 shown]
	ds_read2_b32 v[4:5], v252 offset0:7 offset1:8
	ds_read2_b32 v[24:25], v252 offset0:9 offset1:10
	s_waitcnt vmcnt(1)
	ds_read2_b32 v[26:27], v252 offset0:11 offset1:12
	v_mov_b32_e32 v3, v6
	s_waitcnt lgkmcnt(3)
	v_pk_fma_f32 v[46:47], v[60:61], v[0:1], v[2:3] op_sel_hi:[0,1,1] neg_lo:[1,0,0] neg_hi:[1,0,0]
	v_mov_b32_e32 v0, v7
	v_mov_b32_e32 v1, v8
	s_waitcnt lgkmcnt(2)
	v_pk_fma_f32 v[48:49], v[60:61], v[4:5], v[0:1] op_sel_hi:[0,1,1] neg_lo:[1,0,0] neg_hi:[1,0,0]
	v_mov_b32_e32 v0, v9
	;; [unrolled: 4-line block ×3, first 2 shown]
	v_mov_b32_e32 v1, v12
	s_waitcnt lgkmcnt(0)
	v_pk_fma_f32 v[52:53], v[60:61], v[26:27], v[0:1] op_sel_hi:[0,1,1] neg_lo:[1,0,0] neg_hi:[1,0,0]
	ds_read2_b32 v[0:1], v252 offset0:13 offset1:14
	v_mov_b32_e32 v2, v13
	v_mov_b32_e32 v3, v14
	ds_read2_b32 v[4:5], v252 offset0:15 offset1:16
	ds_read2_b32 v[6:7], v252 offset0:17 offset1:18
	;; [unrolled: 1-line block ×3, first 2 shown]
	s_waitcnt vmcnt(0)
	v_mov_b32_e32 v32, v49
	s_waitcnt lgkmcnt(3)
	v_pk_fma_f32 v[54:55], v[60:61], v[0:1], v[2:3] op_sel_hi:[0,1,1] neg_lo:[1,0,0] neg_hi:[1,0,0]
	ds_read2_b32 v[2:3], v252 offset0:21 offset1:22
	v_mov_b32_e32 v0, v15
	v_mov_b32_e32 v1, v16
	s_waitcnt lgkmcnt(3)
	v_pk_fma_f32 v[76:77], v[60:61], v[4:5], v[0:1] op_sel_hi:[0,1,1] neg_lo:[1,0,0] neg_hi:[1,0,0]
	v_mov_b32_e32 v0, v17
	v_mov_b32_e32 v1, v18
	s_waitcnt lgkmcnt(2)
	v_pk_fma_f32 v[78:79], v[60:61], v[6:7], v[0:1] op_sel_hi:[0,1,1] neg_lo:[1,0,0] neg_hi:[1,0,0]
	;; [unrolled: 4-line block ×4, first 2 shown]
	v_mov_b32_e32 v0, v56
	v_mov_b32_e32 v1, v57
	;; [unrolled: 1-line block ×7, first 2 shown]
	scratch_store_dwordx4 off, v[0:3], off offset:2564 ; 16-byte Folded Spill
	s_nop 0
	scratch_store_dwordx4 off, v[4:7], off offset:2580 ; 16-byte Folded Spill
	scratch_store_dwordx4 off, v[8:11], off offset:2596 ; 16-byte Folded Spill
	;; [unrolled: 1-line block ×7, first 2 shown]
	v_mov_b32_e32 v7, v48
	v_mov_b32_e32 v33, v50
	;; [unrolled: 1-line block ×30, first 2 shown]
	scratch_store_dwordx4 off, v[0:3], off offset:2308 ; 16-byte Folded Spill
	s_nop 0
	scratch_store_dwordx4 off, v[4:7], off offset:2324 ; 16-byte Folded Spill
	scratch_store_dwordx4 off, v[8:11], off offset:2340 ; 16-byte Folded Spill
	scratch_store_dwordx4 off, v[12:15], off offset:2356 ; 16-byte Folded Spill
	scratch_store_dwordx4 off, v[16:19], off offset:2372 ; 16-byte Folded Spill
	scratch_store_dwordx4 off, v[20:23], off offset:2388 ; 16-byte Folded Spill
	scratch_store_dwordx4 off, v[24:27], off offset:2404 ; 16-byte Folded Spill
	scratch_store_dwordx4 off, v[28:31], off offset:2420 ; 16-byte Folded Spill
	v_mov_b32_e32 v8, v49
	scratch_store_dwordx4 off, v[0:3], off offset:2180 ; 16-byte Folded Spill
	s_nop 0
	scratch_store_dwordx4 off, v[4:7], off offset:2196 ; 16-byte Folded Spill
	scratch_store_dwordx4 off, v[8:11], off offset:2212 ; 16-byte Folded Spill
	scratch_store_dwordx4 off, v[12:15], off offset:2228 ; 16-byte Folded Spill
	scratch_store_dwordx4 off, v[16:19], off offset:2244 ; 16-byte Folded Spill
	scratch_store_dwordx4 off, v[20:23], off offset:2260 ; 16-byte Folded Spill
	scratch_store_dwordx4 off, v[24:27], off offset:2276 ; 16-byte Folded Spill
	scratch_store_dwordx4 off, v[28:31], off offset:2292 ; 16-byte Folded Spill
	v_mov_b32_e32 v9, v50
	;; [unrolled: 10-line block ×5, first 2 shown]
	v_mov_b32_e32 v13, v54
	scratch_store_dwordx4 off, v[0:3], off offset:1668 ; 16-byte Folded Spill
	s_nop 0
	scratch_store_dwordx4 off, v[4:7], off offset:1684 ; 16-byte Folded Spill
	scratch_store_dwordx4 off, v[8:11], off offset:1700 ; 16-byte Folded Spill
	;; [unrolled: 1-line block ×7, first 2 shown]
	v_mov_b32_e32 v14, v55
	v_mov_b32_e32 v15, v76
	scratch_store_dwordx4 off, v[0:3], off offset:1536 ; 16-byte Folded Spill
	s_nop 0
	scratch_store_dwordx4 off, v[4:7], off offset:1552 ; 16-byte Folded Spill
	scratch_store_dwordx4 off, v[8:11], off offset:1568 ; 16-byte Folded Spill
	scratch_store_dwordx4 off, v[12:15], off offset:1584 ; 16-byte Folded Spill
	scratch_store_dwordx4 off, v[16:19], off offset:1600 ; 16-byte Folded Spill
	scratch_store_dwordx4 off, v[20:23], off offset:1616 ; 16-byte Folded Spill
	scratch_store_dwordx4 off, v[24:27], off offset:1632 ; 16-byte Folded Spill
	scratch_store_dwordx4 off, v[28:31], off offset:1648 ; 16-byte Folded Spill
	v_mov_b32_e32 v16, v77
	scratch_store_dwordx4 off, v[0:3], off offset:1280 ; 16-byte Folded Spill
	s_nop 0
	scratch_store_dwordx4 off, v[4:7], off offset:1296 ; 16-byte Folded Spill
	scratch_store_dwordx4 off, v[8:11], off offset:1312 ; 16-byte Folded Spill
	scratch_store_dwordx4 off, v[12:15], off offset:1328 ; 16-byte Folded Spill
	scratch_store_dwordx4 off, v[16:19], off offset:1344 ; 16-byte Folded Spill
	scratch_store_dwordx4 off, v[20:23], off offset:1360 ; 16-byte Folded Spill
	scratch_store_dwordx4 off, v[24:27], off offset:1376 ; 16-byte Folded Spill
	scratch_store_dwordx4 off, v[28:31], off offset:1392 ; 16-byte Folded Spill
	;; [unrolled: 10-line block ×3, first 2 shown]
	s_nop 0
	v_mov_b32_e32 v24, v56
	v_mov_b32_e32 v25, v57
	;; [unrolled: 1-line block ×8, first 2 shown]
	scratch_store_dwordx4 off, v[24:27], off offset:1152 ; 16-byte Folded Spill
	s_nop 0
	scratch_store_dwordx4 off, v[28:31], off offset:1168 ; 16-byte Folded Spill
	scratch_store_dwordx4 off, v[32:35], off offset:1184 ; 16-byte Folded Spill
	;; [unrolled: 1-line block ×7, first 2 shown]
	v_mov_b32_e32 v18, v79
	v_mov_b32_e32 v19, v80
	scratch_store_dwordx4 off, v[0:3], off offset:512 ; 16-byte Folded Spill
	s_nop 0
	scratch_store_dwordx4 off, v[4:7], off offset:528 ; 16-byte Folded Spill
	scratch_store_dwordx4 off, v[8:11], off offset:544 ; 16-byte Folded Spill
	;; [unrolled: 1-line block ×7, first 2 shown]
	v_mov_b32_e32 v20, v81
	v_mov_b32_e32 v44, v49
	;; [unrolled: 1-line block ×6, first 2 shown]
	scratch_store_dwordx4 off, v[0:3], off offset:384 ; 16-byte Folded Spill
	s_nop 0
	scratch_store_dwordx4 off, v[4:7], off offset:400 ; 16-byte Folded Spill
	scratch_store_dwordx4 off, v[8:11], off offset:416 ; 16-byte Folded Spill
	;; [unrolled: 1-line block ×7, first 2 shown]
	v_mov_b32_e32 v21, v254
	v_mov_b32_e32 v22, v255
	scratch_store_dwordx4 off, v[0:3], off  ; 16-byte Folded Spill
	s_nop 0
	scratch_store_dwordx4 off, v[4:7], off offset:16 ; 16-byte Folded Spill
	scratch_store_dwordx4 off, v[8:11], off offset:32 ; 16-byte Folded Spill
	scratch_store_dwordx4 off, v[12:15], off offset:48 ; 16-byte Folded Spill
	scratch_store_dwordx4 off, v[16:19], off offset:64 ; 16-byte Folded Spill
	scratch_store_dwordx4 off, v[20:23], off offset:80 ; 16-byte Folded Spill
	scratch_store_dwordx4 off, v[24:27], off offset:96 ; 16-byte Folded Spill
	scratch_store_dwordx4 off, v[28:31], off offset:112 ; 16-byte Folded Spill
	scratch_store_dwordx4 off, v[56:59], off offset:2700 ; 16-byte Folded Spill
	s_nop 0
	scratch_store_dwordx4 off, v[60:63], off offset:2716 ; 16-byte Folded Spill
	scratch_store_dwordx4 off, v[64:67], off offset:2732 ; 16-byte Folded Spill
	;; [unrolled: 1-line block ×8, first 2 shown]
	s_nop 0
	scratch_store_dwordx4 off, v[60:63], off offset:2972 ; 16-byte Folded Spill
	scratch_store_dwordx4 off, v[64:67], off offset:2988 ; 16-byte Folded Spill
	;; [unrolled: 1-line block ×7, first 2 shown]
	v_mov_b32_e32 v62, v47
	v_mov_b32_e32 v23, v52
	;; [unrolled: 1-line block ×5, first 2 shown]
	scratch_store_dwordx4 off, v[26:29], off offset:256 ; 16-byte Folded Spill
	s_nop 0
	scratch_store_dwordx4 off, v[30:33], off offset:272 ; 16-byte Folded Spill
	scratch_store_dwordx4 off, v[34:37], off offset:288 ; 16-byte Folded Spill
	;; [unrolled: 1-line block ×7, first 2 shown]
	v_mov_b32_e32 v71, v76
	v_mov_b32_e32 v72, v77
	;; [unrolled: 1-line block ×5, first 2 shown]
	scratch_store_dwordx4 off, v[26:29], off offset:128 ; 16-byte Folded Spill
	s_nop 0
	scratch_store_dwordx4 off, v[30:33], off offset:144 ; 16-byte Folded Spill
	scratch_store_dwordx4 off, v[34:37], off offset:160 ; 16-byte Folded Spill
	;; [unrolled: 1-line block ×7, first 2 shown]
.LBB44_83:
	s_or_b64 exec, exec, s[0:1]
	v_lshl_add_u32 v45, v253, 2, v252
	s_waitcnt vmcnt(63) expcnt(7) lgkmcnt(15)
	s_barrier
	ds_write_b32 v45, v61
	s_waitcnt lgkmcnt(0)
	s_barrier
	ds_read_b32 v45, v252 offset:20
	s_cmp_lt_i32 s22, 7
	v_mov_b32_e32 v46, 5
	s_cbranch_scc1 .LBB44_86
; %bb.84:
	scratch_load_dword v0, off, off offset:1664 ; 4-byte Folded Reload
	v_mov_b32_e32 v46, 5
	s_mov_b32 s0, 6
	s_waitcnt vmcnt(0)
	v_add3_u32 v47, v0, 0, 24
.LBB44_85:                              ; =>This Inner Loop Header: Depth=1
	ds_read_b32 v48, v47
	v_add_u32_e32 v47, 4, v47
	s_waitcnt lgkmcnt(0)
	v_cmp_lt_f32_e64 vcc, |v45|, |v48|
	s_nop 1
	v_cndmask_b32_e32 v45, v45, v48, vcc
	v_mov_b32_e32 v48, s0
	s_add_i32 s0, s0, 1
	v_cndmask_b32_e32 v46, v46, v48, vcc
	s_cmp_lg_u32 s22, s0
	s_cbranch_scc1 .LBB44_85
.LBB44_86:
	s_waitcnt lgkmcnt(0)
	v_cmp_eq_f32_e32 vcc, 0, v45
	s_and_saveexec_b64 s[0:1], vcc
	s_xor_b64 s[0:1], exec, s[0:1]
; %bb.87:
	v_cmp_ne_u32_e32 vcc, 0, v250
	s_nop 1
	v_cndmask_b32_e32 v250, 6, v250, vcc
; %bb.88:
	s_andn2_saveexec_b64 s[0:1], s[0:1]
	s_cbranch_execz .LBB44_90
; %bb.89:
	v_div_scale_f32 v47, s[2:3], v45, v45, 1.0
	v_rcp_f32_e32 v48, v47
	v_div_scale_f32 v49, vcc, 1.0, v45, 1.0
	v_fma_f32 v50, -v47, v48, 1.0
	v_fmac_f32_e32 v48, v50, v48
	v_mul_f32_e32 v50, v49, v48
	v_fma_f32 v51, -v47, v50, v49
	v_fmac_f32_e32 v50, v51, v48
	v_fma_f32 v47, -v47, v50, v49
	v_div_fmas_f32 v47, v47, v48, v50
	v_div_fixup_f32 v45, v47, v45, 1.0
.LBB44_90:
	s_or_b64 exec, exec, s[0:1]
	v_cmp_ne_u32_e32 vcc, v253, v46
	s_and_saveexec_b64 s[0:1], vcc
	s_xor_b64 s[0:1], exec, s[0:1]
	s_cbranch_execz .LBB44_96
; %bb.91:
	v_cmp_eq_u32_e32 vcc, 5, v253
	s_and_saveexec_b64 s[2:3], vcc
	s_cbranch_execz .LBB44_95
; %bb.92:
	v_cmp_ne_u32_e32 vcc, 5, v46
	s_xor_b64 s[18:19], s[16:17], -1
	s_and_b64 s[20:21], s[18:19], vcc
	s_and_saveexec_b64 s[18:19], s[20:21]
	s_cbranch_execz .LBB44_94
; %bb.93:
	scratch_load_dwordx2 v[52:53], off, off offset:2692 ; 8-byte Folded Reload
	v_ashrrev_i32_e32 v47, 31, v46
	s_waitcnt vmcnt(0)
	v_lshl_add_u64 v[48:49], v[46:47], 2, v[52:53]
	global_load_dword v47, v[48:49], off
	global_load_dword v50, v[52:53], off offset:20
	s_waitcnt vmcnt(1)
	global_store_dword v[52:53], v47, off offset:20
	s_waitcnt vmcnt(1)
	global_store_dword v[48:49], v50, off
.LBB44_94:
	s_or_b64 exec, exec, s[18:19]
	v_mov_b32_e32 v251, v46
	v_mov_b32_e32 v253, v46
.LBB44_95:
	s_or_b64 exec, exec, s[2:3]
.LBB44_96:
	s_andn2_saveexec_b64 s[0:1], s[0:1]
	s_cbranch_execz .LBB44_98
; %bb.97:
	v_mov_b32_e32 v47, v139
	scratch_load_dwordx4 v[112:115], off, off ; 16-byte Folded Reload
	scratch_load_dwordx4 v[116:119], off, off offset:16 ; 16-byte Folded Reload
	scratch_load_dwordx4 v[120:123], off, off offset:32 ; 16-byte Folded Reload
	;; [unrolled: 1-line block ×7, first 2 shown]
	s_waitcnt vmcnt(1)
	v_mov_b32_e32 v139, v47
	v_mov_b32_e32 v253, 5
	v_mov_b64_e32 v[0:1], v[112:113]
	v_mov_b64_e32 v[6:7], v[118:119]
	v_mov_b32_e32 v16, v128
	v_mov_b64_e32 v[2:3], v[114:115]
	v_mov_b64_e32 v[4:5], v[116:117]
	;; [unrolled: 1-line block ×6, first 2 shown]
	v_mov_b32_e32 v17, v129
	v_mov_b32_e32 v18, v130
	;; [unrolled: 1-line block ×6, first 2 shown]
	ds_write2_b32 v252, v6, v7 offset0:6 offset1:7
	ds_write2_b32 v252, v8, v9 offset0:8 offset1:9
	;; [unrolled: 1-line block ×8, first 2 shown]
	ds_write_b32 v252, v255 offset:88
.LBB44_98:
	s_or_b64 exec, exec, s[0:1]
	v_cmp_lt_i32_e32 vcc, 5, v253
	s_waitcnt lgkmcnt(0)
	s_barrier
	s_and_saveexec_b64 s[0:1], vcc
	s_cbranch_execz .LBB44_100
; %bb.99:
	ds_read2_b32 v[2:3], v252 offset0:6 offset1:7
	ds_read2_b32 v[4:5], v252 offset0:8 offset1:9
	;; [unrolled: 1-line block ×3, first 2 shown]
	v_mul_f32_e32 v0, v61, v45
	ds_read2_b32 v[26:27], v252 offset0:12 offset1:13
	scratch_load_dwordx4 v[28:31], off, off ; 16-byte Folded Reload
	scratch_load_dwordx4 v[32:35], off, off offset:16 ; 16-byte Folded Reload
	scratch_load_dwordx4 v[36:39], off, off offset:32 ; 16-byte Folded Reload
	;; [unrolled: 1-line block ×7, first 2 shown]
	v_mov_b32_e32 v93, v0
	v_mov_b32_e32 v61, v0
	;; [unrolled: 1-line block ×3, first 2 shown]
	s_waitcnt vmcnt(2)
	v_mov_b32_e32 v51, v0
	v_mov_b32_e32 v81, v0
	;; [unrolled: 1-line block ×6, first 2 shown]
	v_mov_b64_e32 v[6:7], v[34:35]
	v_mov_b64_e32 v[8:9], v[36:37]
	s_waitcnt lgkmcnt(3)
	v_pk_fma_f32 v[138:139], v[0:1], v[2:3], v[6:7] op_sel_hi:[0,1,1] neg_lo:[1,0,0] neg_hi:[1,0,0]
	s_waitcnt vmcnt(1) lgkmcnt(2)
	v_pk_fma_f32 v[54:55], v[0:1], v[4:5], v[8:9] op_sel_hi:[0,1,1] neg_lo:[1,0,0] neg_hi:[1,0,0]
	ds_read2_b32 v[2:3], v252 offset0:14 offset1:15
	ds_read2_b32 v[4:5], v252 offset0:16 offset1:17
	;; [unrolled: 1-line block ×4, first 2 shown]
	v_mov_b64_e32 v[10:11], v[38:39]
	v_mov_b64_e32 v[12:13], v[40:41]
	;; [unrolled: 1-line block ×6, first 2 shown]
	s_waitcnt lgkmcnt(5)
	v_pk_fma_f32 v[86:87], v[0:1], v[24:25], v[10:11] op_sel_hi:[0,1,1] neg_lo:[1,0,0] neg_hi:[1,0,0]
	s_waitcnt lgkmcnt(4)
	v_pk_fma_f32 v[196:197], v[0:1], v[26:27], v[12:13] op_sel_hi:[0,1,1] neg_lo:[1,0,0] neg_hi:[1,0,0]
	;; [unrolled: 2-line block ×6, first 2 shown]
	scratch_load_dwordx4 v[2:5], off, off offset:2956 ; 16-byte Folded Reload
	scratch_load_dwordx4 v[6:9], off, off offset:2972 ; 16-byte Folded Reload
	;; [unrolled: 1-line block ×8, first 2 shown]
	s_waitcnt vmcnt(6)
	v_mov_b32_e32 v7, v0
	v_mov_b32_e32 v8, v138
	;; [unrolled: 1-line block ×75, first 2 shown]
	scratch_store_dwordx4 off, v[2:5], off offset:2308 ; 16-byte Folded Spill
	s_nop 0
	scratch_store_dwordx4 off, v[6:9], off offset:2324 ; 16-byte Folded Spill
	s_waitcnt vmcnt(7)
	scratch_store_dwordx4 off, v[10:13], off offset:2340 ; 16-byte Folded Spill
	s_waitcnt vmcnt(7)
	;; [unrolled: 2-line block ×6, first 2 shown]
	scratch_store_dwordx4 off, v[30:33], off offset:2420 ; 16-byte Folded Spill
	v_mov_b32_e32 v10, v54
	v_mov_b32_e32 v11, v55
	;; [unrolled: 1-line block ×42, first 2 shown]
	scratch_store_dwordx4 off, v[2:5], off offset:2052 ; 16-byte Folded Spill
	s_nop 0
	scratch_store_dwordx4 off, v[6:9], off offset:2068 ; 16-byte Folded Spill
	scratch_store_dwordx4 off, v[10:13], off offset:2084 ; 16-byte Folded Spill
	scratch_store_dwordx4 off, v[14:17], off offset:2100 ; 16-byte Folded Spill
	scratch_store_dwordx4 off, v[18:21], off offset:2116 ; 16-byte Folded Spill
	scratch_store_dwordx4 off, v[22:25], off offset:2132 ; 16-byte Folded Spill
	scratch_store_dwordx4 off, v[26:29], off offset:2148 ; 16-byte Folded Spill
	scratch_store_dwordx4 off, v[30:33], off offset:2164 ; 16-byte Folded Spill
	v_mov_b32_e32 v12, v86
	v_mov_b32_e32 v13, v87
	scratch_store_dwordx4 off, v[2:5], off offset:1796 ; 16-byte Folded Spill
	s_nop 0
	scratch_store_dwordx4 off, v[6:9], off offset:1812 ; 16-byte Folded Spill
	scratch_store_dwordx4 off, v[10:13], off offset:1828 ; 16-byte Folded Spill
	scratch_store_dwordx4 off, v[14:17], off offset:1844 ; 16-byte Folded Spill
	scratch_store_dwordx4 off, v[18:21], off offset:1860 ; 16-byte Folded Spill
	scratch_store_dwordx4 off, v[22:25], off offset:1876 ; 16-byte Folded Spill
	scratch_store_dwordx4 off, v[26:29], off offset:1892 ; 16-byte Folded Spill
	scratch_store_dwordx4 off, v[30:33], off offset:1908 ; 16-byte Folded Spill
	v_mov_b32_e32 v14, v196
	v_mov_b32_e32 v15, v197
	;; [unrolled: 11-line block ×4, first 2 shown]
	scratch_store_dwordx4 off, v[2:5], off offset:1024 ; 16-byte Folded Spill
	s_nop 0
	scratch_store_dwordx4 off, v[6:9], off offset:1040 ; 16-byte Folded Spill
	scratch_store_dwordx4 off, v[10:13], off offset:1056 ; 16-byte Folded Spill
	scratch_store_dwordx4 off, v[14:17], off offset:1072 ; 16-byte Folded Spill
	scratch_store_dwordx4 off, v[18:21], off offset:1088 ; 16-byte Folded Spill
	scratch_store_dwordx4 off, v[22:25], off offset:1104 ; 16-byte Folded Spill
	scratch_store_dwordx4 off, v[26:29], off offset:1120 ; 16-byte Folded Spill
	scratch_store_dwordx4 off, v[30:33], off offset:1136 ; 16-byte Folded Spill
	ds_read_b32 v1, v252 offset:88
	scratch_store_dwordx4 off, v[88:91], off offset:512 ; 16-byte Folded Spill
	s_nop 0
	scratch_store_dwordx4 off, v[92:95], off offset:528 ; 16-byte Folded Spill
	scratch_store_dwordx4 off, v[96:99], off offset:544 ; 16-byte Folded Spill
	;; [unrolled: 1-line block ×7, first 2 shown]
	v_mov_b32_e32 v14, v176
	v_mov_b32_e32 v15, v177
	;; [unrolled: 1-line block ×3, first 2 shown]
	s_waitcnt lgkmcnt(0)
	v_fma_f32 v22, -v0, v1, v255
	v_mov_b32_e32 v5, v0
	v_mov_b32_e32 v0, v56
	;; [unrolled: 1-line block ×20, first 2 shown]
	v_mov_b64_e32 v[122:123], v[14:15]
	v_mov_b32_e32 v130, v22
	v_mov_b64_e32 v[120:121], v[12:13]
	v_mov_b64_e32 v[118:119], v[10:11]
	;; [unrolled: 1-line block ×7, first 2 shown]
	v_mov_b32_e32 v129, v21
	v_mov_b32_e32 v128, v20
	;; [unrolled: 1-line block ×13, first 2 shown]
	scratch_store_dwordx4 off, v[56:59], off offset:2700 ; 16-byte Folded Spill
	s_nop 0
	scratch_store_dwordx4 off, v[60:63], off offset:2716 ; 16-byte Folded Spill
	scratch_store_dwordx4 off, v[64:67], off offset:2732 ; 16-byte Folded Spill
	;; [unrolled: 1-line block ×7, first 2 shown]
	scratch_store_dwordx4 off, v[108:111], off ; 16-byte Folded Spill
	s_nop 0
	scratch_store_dwordx4 off, v[112:115], off offset:16 ; 16-byte Folded Spill
	scratch_store_dwordx4 off, v[116:119], off offset:32 ; 16-byte Folded Spill
	;; [unrolled: 1-line block ×7, first 2 shown]
	v_mov_b32_e32 v32, v54
	v_mov_b32_e32 v33, v55
	;; [unrolled: 1-line block ×6, first 2 shown]
	scratch_store_dwordx4 off, v[132:135], off offset:2564 ; 16-byte Folded Spill
	s_nop 0
	scratch_store_dwordx4 off, v[136:139], off offset:2580 ; 16-byte Folded Spill
	scratch_store_dwordx4 off, v[140:143], off offset:2596 ; 16-byte Folded Spill
	scratch_store_dwordx4 off, v[144:147], off offset:2612 ; 16-byte Folded Spill
	scratch_store_dwordx4 off, v[148:151], off offset:2628 ; 16-byte Folded Spill
	scratch_store_dwordx4 off, v[152:155], off offset:2644 ; 16-byte Folded Spill
	scratch_store_dwordx4 off, v[156:159], off offset:2660 ; 16-byte Folded Spill
	scratch_store_dwordx4 off, v[160:163], off offset:2676 ; 16-byte Folded Spill
	scratch_store_dwordx4 off, v[46:49], off offset:2180 ; 16-byte Folded Spill
	s_nop 0
	scratch_store_dwordx4 off, v[50:53], off offset:2196 ; 16-byte Folded Spill
	scratch_store_dwordx4 off, v[54:57], off offset:2212 ; 16-byte Folded Spill
	scratch_store_dwordx4 off, v[58:61], off offset:2228 ; 16-byte Folded Spill
	scratch_store_dwordx4 off, v[62:65], off offset:2244 ; 16-byte Folded Spill
	scratch_store_dwordx4 off, v[66:69], off offset:2260 ; 16-byte Folded Spill
	scratch_store_dwordx4 off, v[70:73], off offset:2276 ; 16-byte Folded Spill
	scratch_store_dwordx4 off, v[74:77], off offset:2292 ; 16-byte Folded Spill
	;; [unrolled: 9-line block ×3, first 2 shown]
	v_mov_b32_e32 v72, v214
	scratch_store_dwordx4 off, v[198:201], off offset:1280 ; 16-byte Folded Spill
	s_nop 0
	scratch_store_dwordx4 off, v[202:205], off offset:1296 ; 16-byte Folded Spill
	scratch_store_dwordx4 off, v[206:209], off offset:1312 ; 16-byte Folded Spill
	;; [unrolled: 1-line block ×7, first 2 shown]
	v_mov_b32_e32 v88, v42
	scratch_store_dwordx4 off, v[24:27], off offset:1152 ; 16-byte Folded Spill
	s_nop 0
	scratch_store_dwordx4 off, v[28:31], off offset:1168 ; 16-byte Folded Spill
	scratch_store_dwordx4 off, v[32:35], off offset:1184 ; 16-byte Folded Spill
	;; [unrolled: 1-line block ×7, first 2 shown]
	v_mov_b64_e32 v[0:1], v[140:141]
	v_mov_b32_e32 v16, v156
	v_mov_b32_e32 v74, v196
	;; [unrolled: 1-line block ×4, first 2 shown]
	v_mov_b64_e32 v[2:3], v[142:143]
	v_mov_b64_e32 v[4:5], v[144:145]
	;; [unrolled: 1-line block ×7, first 2 shown]
	v_mov_b32_e32 v17, v157
	v_mov_b32_e32 v18, v158
	;; [unrolled: 1-line block ×8, first 2 shown]
	scratch_store_dwordx4 off, v[56:59], off offset:256 ; 16-byte Folded Spill
	s_nop 0
	scratch_store_dwordx4 off, v[60:63], off offset:272 ; 16-byte Folded Spill
	scratch_store_dwordx4 off, v[64:67], off offset:288 ; 16-byte Folded Spill
	;; [unrolled: 1-line block ×8, first 2 shown]
	s_nop 0
	scratch_store_dwordx4 off, v[4:7], off offset:400 ; 16-byte Folded Spill
	scratch_store_dwordx4 off, v[8:11], off offset:416 ; 16-byte Folded Spill
	;; [unrolled: 1-line block ×7, first 2 shown]
	v_mov_b32_e32 v62, v138
	v_mov_b32_e32 v43, v55
	;; [unrolled: 1-line block ×3, first 2 shown]
	scratch_store_dwordx4 off, v[26:29], off offset:128 ; 16-byte Folded Spill
	s_nop 0
	scratch_store_dwordx4 off, v[30:33], off offset:144 ; 16-byte Folded Spill
	scratch_store_dwordx4 off, v[34:37], off offset:160 ; 16-byte Folded Spill
	;; [unrolled: 1-line block ×7, first 2 shown]
.LBB44_100:
	s_or_b64 exec, exec, s[0:1]
	v_lshl_add_u32 v45, v253, 2, v252
	s_waitcnt vmcnt(63) expcnt(7) lgkmcnt(15)
	s_barrier
	ds_write_b32 v45, v62
	s_waitcnt lgkmcnt(0)
	s_barrier
	ds_read_b32 v45, v252 offset:24
	s_cmp_lt_i32 s22, 8
	v_mov_b32_e32 v46, 6
	s_cbranch_scc1 .LBB44_103
; %bb.101:
	scratch_load_dword v0, off, off offset:1664 ; 4-byte Folded Reload
	v_mov_b32_e32 v46, 6
	s_mov_b32 s0, 7
	s_waitcnt vmcnt(0)
	v_add3_u32 v47, v0, 0, 28
.LBB44_102:                             ; =>This Inner Loop Header: Depth=1
	ds_read_b32 v48, v47
	v_add_u32_e32 v47, 4, v47
	s_waitcnt lgkmcnt(0)
	v_cmp_lt_f32_e64 vcc, |v45|, |v48|
	s_nop 1
	v_cndmask_b32_e32 v45, v45, v48, vcc
	v_mov_b32_e32 v48, s0
	s_add_i32 s0, s0, 1
	v_cndmask_b32_e32 v46, v46, v48, vcc
	s_cmp_lg_u32 s22, s0
	s_cbranch_scc1 .LBB44_102
.LBB44_103:
	s_waitcnt lgkmcnt(0)
	v_cmp_eq_f32_e32 vcc, 0, v45
	s_and_saveexec_b64 s[0:1], vcc
	s_xor_b64 s[0:1], exec, s[0:1]
; %bb.104:
	v_cmp_ne_u32_e32 vcc, 0, v250
	s_nop 1
	v_cndmask_b32_e32 v250, 7, v250, vcc
; %bb.105:
	s_andn2_saveexec_b64 s[0:1], s[0:1]
	s_cbranch_execz .LBB44_107
; %bb.106:
	v_div_scale_f32 v47, s[2:3], v45, v45, 1.0
	v_rcp_f32_e32 v48, v47
	v_div_scale_f32 v49, vcc, 1.0, v45, 1.0
	v_fma_f32 v50, -v47, v48, 1.0
	v_fmac_f32_e32 v48, v50, v48
	v_mul_f32_e32 v50, v49, v48
	v_fma_f32 v51, -v47, v50, v49
	v_fmac_f32_e32 v50, v51, v48
	v_fma_f32 v47, -v47, v50, v49
	v_div_fmas_f32 v47, v47, v48, v50
	v_div_fixup_f32 v45, v47, v45, 1.0
.LBB44_107:
	s_or_b64 exec, exec, s[0:1]
	v_cmp_ne_u32_e32 vcc, v253, v46
	s_and_saveexec_b64 s[0:1], vcc
	s_xor_b64 s[0:1], exec, s[0:1]
	s_cbranch_execz .LBB44_113
; %bb.108:
	v_cmp_eq_u32_e32 vcc, 6, v253
	s_and_saveexec_b64 s[2:3], vcc
	s_cbranch_execz .LBB44_112
; %bb.109:
	v_cmp_ne_u32_e32 vcc, 6, v46
	s_xor_b64 s[18:19], s[16:17], -1
	s_and_b64 s[20:21], s[18:19], vcc
	s_and_saveexec_b64 s[18:19], s[20:21]
	s_cbranch_execz .LBB44_111
; %bb.110:
	scratch_load_dwordx2 v[52:53], off, off offset:2692 ; 8-byte Folded Reload
	v_ashrrev_i32_e32 v47, 31, v46
	s_waitcnt vmcnt(0)
	v_lshl_add_u64 v[48:49], v[46:47], 2, v[52:53]
	global_load_dword v47, v[48:49], off
	global_load_dword v50, v[52:53], off offset:24
	s_waitcnt vmcnt(1)
	global_store_dword v[52:53], v47, off offset:24
	s_waitcnt vmcnt(1)
	global_store_dword v[48:49], v50, off
.LBB44_111:
	s_or_b64 exec, exec, s[18:19]
	v_mov_b32_e32 v251, v46
	v_mov_b32_e32 v253, v46
.LBB44_112:
	s_or_b64 exec, exec, s[2:3]
.LBB44_113:
	s_andn2_saveexec_b64 s[0:1], s[0:1]
	s_cbranch_execz .LBB44_115
; %bb.114:
	v_mov_b32_e32 v47, v139
	scratch_load_dwordx4 v[112:115], off, off ; 16-byte Folded Reload
	scratch_load_dwordx4 v[116:119], off, off offset:16 ; 16-byte Folded Reload
	scratch_load_dwordx4 v[120:123], off, off offset:32 ; 16-byte Folded Reload
	;; [unrolled: 1-line block ×7, first 2 shown]
	s_waitcnt vmcnt(1)
	v_mov_b32_e32 v139, v47
	v_mov_b32_e32 v253, 6
	v_mov_b64_e32 v[0:1], v[112:113]
	v_mov_b64_e32 v[6:7], v[118:119]
	v_mov_b64_e32 v[8:9], v[120:121]
	v_mov_b32_e32 v16, v128
	v_mov_b64_e32 v[2:3], v[114:115]
	v_mov_b64_e32 v[4:5], v[116:117]
	;; [unrolled: 1-line block ×5, first 2 shown]
	v_mov_b32_e32 v17, v129
	v_mov_b32_e32 v18, v130
	;; [unrolled: 1-line block ×6, first 2 shown]
	ds_write2_b32 v252, v7, v8 offset0:7 offset1:8
	ds_write2_b32 v252, v9, v10 offset0:9 offset1:10
	;; [unrolled: 1-line block ×8, first 2 shown]
.LBB44_115:
	s_or_b64 exec, exec, s[0:1]
	v_cmp_lt_i32_e32 vcc, 6, v253
	s_waitcnt lgkmcnt(0)
	s_barrier
	s_and_saveexec_b64 s[0:1], vcc
	s_cbranch_execz .LBB44_117
; %bb.116:
	scratch_load_dwordx4 v[0:3], off, off offset:2700 ; 16-byte Folded Reload
	scratch_load_dwordx4 v[4:7], off, off offset:2716 ; 16-byte Folded Reload
	scratch_load_dwordx4 v[8:11], off, off offset:2732 ; 16-byte Folded Reload
	scratch_load_dwordx4 v[12:15], off, off offset:2748 ; 16-byte Folded Reload
	scratch_load_dwordx4 v[16:19], off, off offset:2764 ; 16-byte Folded Reload
	scratch_load_dwordx4 v[20:23], off, off offset:2780 ; 16-byte Folded Reload
	scratch_load_dwordx4 v[24:27], off, off offset:2796 ; 16-byte Folded Reload
	scratch_load_dwordx4 v[28:31], off, off offset:2812 ; 16-byte Folded Reload
	v_mul_f32_e32 v62, v62, v45
	v_mov_b32_e32 v190, v62
	v_mov_b32_e32 v168, v62
	s_waitcnt vmcnt(6)
	v_mov_b64_e32 v[60:61], v[4:5]
	v_mov_b64_e32 v[58:59], v[2:3]
	;; [unrolled: 1-line block ×3, first 2 shown]
	ds_read2_b32 v[0:1], v252 offset0:7 offset1:8
	scratch_load_dwordx4 v[2:5], off, off   ; 16-byte Folded Reload
	scratch_load_dwordx4 v[6:9], off, off offset:16 ; 16-byte Folded Reload
	scratch_load_dwordx4 v[10:13], off, off offset:32 ; 16-byte Folded Reload
	;; [unrolled: 1-line block ×7, first 2 shown]
	v_mov_b32_e32 v184, v56
	v_mov_b32_e32 v185, v57
	;; [unrolled: 1-line block ×12, first 2 shown]
	s_waitcnt vmcnt(2)
	v_mov_b32_e32 v7, v9
	v_mov_b32_e32 v8, v10
	;; [unrolled: 1-line block ×17, first 2 shown]
	ds_read2_b32 v[4:5], v252 offset0:9 offset1:10
	ds_read2_b32 v[6:7], v252 offset0:11 offset1:12
	;; [unrolled: 1-line block ×3, first 2 shown]
	v_mov_b32_e32 v3, v8
	s_waitcnt lgkmcnt(3)
	v_pk_fma_f32 v[46:47], v[62:63], v[0:1], v[2:3] op_sel_hi:[0,1,1] neg_lo:[1,0,0] neg_hi:[1,0,0]
	v_mov_b32_e32 v0, v9
	v_mov_b32_e32 v1, v10
	s_waitcnt lgkmcnt(2)
	v_pk_fma_f32 v[48:49], v[62:63], v[4:5], v[0:1] op_sel_hi:[0,1,1] neg_lo:[1,0,0] neg_hi:[1,0,0]
	v_mov_b32_e32 v0, v11
	;; [unrolled: 4-line block ×3, first 2 shown]
	v_mov_b32_e32 v1, v14
	s_waitcnt lgkmcnt(0)
	v_pk_fma_f32 v[52:53], v[62:63], v[24:25], v[0:1] op_sel_hi:[0,1,1] neg_lo:[1,0,0] neg_hi:[1,0,0]
	ds_read2_b32 v[0:1], v252 offset0:15 offset1:16
	ds_read2_b32 v[4:5], v252 offset0:17 offset1:18
	;; [unrolled: 1-line block ×4, first 2 shown]
	v_mov_b32_e32 v2, v15
	v_mov_b32_e32 v3, v16
	s_waitcnt vmcnt(0)
	v_mov_b32_e32 v32, v47
	s_waitcnt lgkmcnt(3)
	v_pk_fma_f32 v[54:55], v[62:63], v[0:1], v[2:3] op_sel_hi:[0,1,1] neg_lo:[1,0,0] neg_hi:[1,0,0]
	v_mov_b32_e32 v0, v17
	v_mov_b32_e32 v1, v18
	s_waitcnt lgkmcnt(2)
	v_pk_fma_f32 v[76:77], v[62:63], v[4:5], v[0:1] op_sel_hi:[0,1,1] neg_lo:[1,0,0] neg_hi:[1,0,0]
	v_mov_b32_e32 v0, v19
	;; [unrolled: 4-line block ×4, first 2 shown]
	v_mov_b32_e32 v1, v57
	v_mov_b32_e32 v2, v58
	;; [unrolled: 1-line block ×8, first 2 shown]
	scratch_store_dwordx4 off, v[0:3], off offset:2180 ; 16-byte Folded Spill
	s_nop 0
	scratch_store_dwordx4 off, v[4:7], off offset:2196 ; 16-byte Folded Spill
	scratch_store_dwordx4 off, v[8:11], off offset:2212 ; 16-byte Folded Spill
	;; [unrolled: 1-line block ×7, first 2 shown]
	v_mov_b32_e32 v9, v48
	v_mov_b32_e32 v33, v48
	;; [unrolled: 1-line block ×26, first 2 shown]
	scratch_store_dwordx4 off, v[0:3], off offset:2052 ; 16-byte Folded Spill
	s_nop 0
	scratch_store_dwordx4 off, v[4:7], off offset:2068 ; 16-byte Folded Spill
	scratch_store_dwordx4 off, v[8:11], off offset:2084 ; 16-byte Folded Spill
	scratch_store_dwordx4 off, v[12:15], off offset:2100 ; 16-byte Folded Spill
	scratch_store_dwordx4 off, v[16:19], off offset:2116 ; 16-byte Folded Spill
	scratch_store_dwordx4 off, v[20:23], off offset:2132 ; 16-byte Folded Spill
	scratch_store_dwordx4 off, v[24:27], off offset:2148 ; 16-byte Folded Spill
	scratch_store_dwordx4 off, v[28:31], off offset:2164 ; 16-byte Folded Spill
	v_mov_b32_e32 v10, v49
	scratch_store_dwordx4 off, v[0:3], off offset:1924 ; 16-byte Folded Spill
	s_nop 0
	scratch_store_dwordx4 off, v[4:7], off offset:1940 ; 16-byte Folded Spill
	scratch_store_dwordx4 off, v[8:11], off offset:1956 ; 16-byte Folded Spill
	scratch_store_dwordx4 off, v[12:15], off offset:1972 ; 16-byte Folded Spill
	scratch_store_dwordx4 off, v[16:19], off offset:1988 ; 16-byte Folded Spill
	scratch_store_dwordx4 off, v[20:23], off offset:2004 ; 16-byte Folded Spill
	scratch_store_dwordx4 off, v[24:27], off offset:2020 ; 16-byte Folded Spill
	scratch_store_dwordx4 off, v[28:31], off offset:2036 ; 16-byte Folded Spill
	v_mov_b32_e32 v11, v50
	;; [unrolled: 10-line block ×3, first 2 shown]
	v_mov_b32_e32 v13, v52
	scratch_store_dwordx4 off, v[0:3], off offset:1668 ; 16-byte Folded Spill
	s_nop 0
	scratch_store_dwordx4 off, v[4:7], off offset:1684 ; 16-byte Folded Spill
	scratch_store_dwordx4 off, v[8:11], off offset:1700 ; 16-byte Folded Spill
	;; [unrolled: 1-line block ×7, first 2 shown]
	v_mov_b32_e32 v14, v53
	v_mov_b32_e32 v15, v54
	scratch_store_dwordx4 off, v[0:3], off offset:1536 ; 16-byte Folded Spill
	s_nop 0
	scratch_store_dwordx4 off, v[4:7], off offset:1552 ; 16-byte Folded Spill
	scratch_store_dwordx4 off, v[8:11], off offset:1568 ; 16-byte Folded Spill
	scratch_store_dwordx4 off, v[12:15], off offset:1584 ; 16-byte Folded Spill
	scratch_store_dwordx4 off, v[16:19], off offset:1600 ; 16-byte Folded Spill
	scratch_store_dwordx4 off, v[20:23], off offset:1616 ; 16-byte Folded Spill
	scratch_store_dwordx4 off, v[24:27], off offset:1632 ; 16-byte Folded Spill
	scratch_store_dwordx4 off, v[28:31], off offset:1648 ; 16-byte Folded Spill
	v_mov_b32_e32 v16, v55
	scratch_store_dwordx4 off, v[0:3], off offset:1280 ; 16-byte Folded Spill
	s_nop 0
	scratch_store_dwordx4 off, v[4:7], off offset:1296 ; 16-byte Folded Spill
	scratch_store_dwordx4 off, v[8:11], off offset:1312 ; 16-byte Folded Spill
	scratch_store_dwordx4 off, v[12:15], off offset:1328 ; 16-byte Folded Spill
	scratch_store_dwordx4 off, v[16:19], off offset:1344 ; 16-byte Folded Spill
	scratch_store_dwordx4 off, v[20:23], off offset:1360 ; 16-byte Folded Spill
	scratch_store_dwordx4 off, v[24:27], off offset:1376 ; 16-byte Folded Spill
	scratch_store_dwordx4 off, v[28:31], off offset:1392 ; 16-byte Folded Spill
	;; [unrolled: 10-line block ×3, first 2 shown]
	s_nop 0
	v_mov_b32_e32 v24, v56
	v_mov_b32_e32 v25, v57
	;; [unrolled: 1-line block ×8, first 2 shown]
	scratch_store_dwordx4 off, v[24:27], off offset:1152 ; 16-byte Folded Spill
	s_nop 0
	scratch_store_dwordx4 off, v[28:31], off offset:1168 ; 16-byte Folded Spill
	scratch_store_dwordx4 off, v[32:35], off offset:1184 ; 16-byte Folded Spill
	scratch_store_dwordx4 off, v[36:39], off offset:1200 ; 16-byte Folded Spill
	scratch_store_dwordx4 off, v[40:43], off offset:1216 ; 16-byte Folded Spill
	scratch_store_dwordx4 off, v[44:47], off offset:1232 ; 16-byte Folded Spill
	scratch_store_dwordx4 off, v[48:51], off offset:1248 ; 16-byte Folded Spill
	scratch_store_dwordx4 off, v[52:55], off offset:1264 ; 16-byte Folded Spill
	v_mov_b32_e32 v18, v77
	v_mov_b32_e32 v19, v78
	scratch_store_dwordx4 off, v[0:3], off offset:512 ; 16-byte Folded Spill
	s_nop 0
	scratch_store_dwordx4 off, v[4:7], off offset:528 ; 16-byte Folded Spill
	scratch_store_dwordx4 off, v[8:11], off offset:544 ; 16-byte Folded Spill
	;; [unrolled: 1-line block ×7, first 2 shown]
	v_mov_b32_e32 v20, v79
	v_mov_b32_e32 v44, v47
	;; [unrolled: 1-line block ×6, first 2 shown]
	scratch_store_dwordx4 off, v[0:3], off offset:384 ; 16-byte Folded Spill
	s_nop 0
	scratch_store_dwordx4 off, v[4:7], off offset:400 ; 16-byte Folded Spill
	scratch_store_dwordx4 off, v[8:11], off offset:416 ; 16-byte Folded Spill
	;; [unrolled: 1-line block ×7, first 2 shown]
	v_mov_b32_e32 v21, v254
	v_mov_b32_e32 v22, v255
	scratch_store_dwordx4 off, v[0:3], off  ; 16-byte Folded Spill
	s_nop 0
	scratch_store_dwordx4 off, v[4:7], off offset:16 ; 16-byte Folded Spill
	scratch_store_dwordx4 off, v[8:11], off offset:32 ; 16-byte Folded Spill
	;; [unrolled: 1-line block ×8, first 2 shown]
	s_nop 0
	scratch_store_dwordx4 off, v[60:63], off offset:2324 ; 16-byte Folded Spill
	scratch_store_dwordx4 off, v[64:67], off offset:2340 ; 16-byte Folded Spill
	;; [unrolled: 1-line block ×8, first 2 shown]
	s_nop 0
	scratch_store_dwordx4 off, v[60:63], off offset:2580 ; 16-byte Folded Spill
	scratch_store_dwordx4 off, v[64:67], off offset:2596 ; 16-byte Folded Spill
	;; [unrolled: 1-line block ×7, first 2 shown]
	v_mov_b32_e32 v23, v50
	v_mov_b32_e32 v74, v51
	;; [unrolled: 1-line block ×6, first 2 shown]
	scratch_store_dwordx4 off, v[26:29], off offset:256 ; 16-byte Folded Spill
	s_nop 0
	scratch_store_dwordx4 off, v[30:33], off offset:272 ; 16-byte Folded Spill
	scratch_store_dwordx4 off, v[34:37], off offset:288 ; 16-byte Folded Spill
	;; [unrolled: 1-line block ×7, first 2 shown]
	v_mov_b32_e32 v67, v76
	v_mov_b32_e32 v88, v77
	;; [unrolled: 1-line block ×3, first 2 shown]
	scratch_store_dwordx4 off, v[26:29], off offset:128 ; 16-byte Folded Spill
	s_nop 0
	scratch_store_dwordx4 off, v[30:33], off offset:144 ; 16-byte Folded Spill
	scratch_store_dwordx4 off, v[34:37], off offset:160 ; 16-byte Folded Spill
	;; [unrolled: 1-line block ×7, first 2 shown]
.LBB44_117:
	s_or_b64 exec, exec, s[0:1]
	v_lshl_add_u32 v45, v253, 2, v252
	s_waitcnt vmcnt(63) expcnt(7) lgkmcnt(15)
	s_barrier
	ds_write_b32 v45, v139
	s_waitcnt lgkmcnt(0)
	s_barrier
	ds_read_b32 v45, v252 offset:28
	s_cmp_lt_i32 s22, 9
	v_mov_b32_e32 v46, 7
	s_cbranch_scc1 .LBB44_120
; %bb.118:
	scratch_load_dword v0, off, off offset:1664 ; 4-byte Folded Reload
	v_mov_b32_e32 v46, 7
	s_mov_b32 s0, 8
	s_waitcnt vmcnt(0)
	v_add3_u32 v47, v0, 0, 32
.LBB44_119:                             ; =>This Inner Loop Header: Depth=1
	ds_read_b32 v48, v47
	v_add_u32_e32 v47, 4, v47
	s_waitcnt lgkmcnt(0)
	v_cmp_lt_f32_e64 vcc, |v45|, |v48|
	s_nop 1
	v_cndmask_b32_e32 v45, v45, v48, vcc
	v_mov_b32_e32 v48, s0
	s_add_i32 s0, s0, 1
	v_cndmask_b32_e32 v46, v46, v48, vcc
	s_cmp_lg_u32 s22, s0
	s_cbranch_scc1 .LBB44_119
.LBB44_120:
	s_waitcnt lgkmcnt(0)
	v_cmp_eq_f32_e32 vcc, 0, v45
	s_and_saveexec_b64 s[0:1], vcc
	s_xor_b64 s[0:1], exec, s[0:1]
; %bb.121:
	v_cmp_ne_u32_e32 vcc, 0, v250
	s_nop 1
	v_cndmask_b32_e32 v250, 8, v250, vcc
; %bb.122:
	s_andn2_saveexec_b64 s[0:1], s[0:1]
	s_cbranch_execz .LBB44_124
; %bb.123:
	v_div_scale_f32 v47, s[2:3], v45, v45, 1.0
	v_rcp_f32_e32 v48, v47
	v_div_scale_f32 v49, vcc, 1.0, v45, 1.0
	v_fma_f32 v50, -v47, v48, 1.0
	v_fmac_f32_e32 v48, v50, v48
	v_mul_f32_e32 v50, v49, v48
	v_fma_f32 v51, -v47, v50, v49
	v_fmac_f32_e32 v50, v51, v48
	v_fma_f32 v47, -v47, v50, v49
	v_div_fmas_f32 v47, v47, v48, v50
	v_div_fixup_f32 v45, v47, v45, 1.0
.LBB44_124:
	s_or_b64 exec, exec, s[0:1]
	v_cmp_ne_u32_e32 vcc, v253, v46
	s_and_saveexec_b64 s[0:1], vcc
	s_xor_b64 s[0:1], exec, s[0:1]
	s_cbranch_execz .LBB44_130
; %bb.125:
	v_cmp_eq_u32_e32 vcc, 7, v253
	s_and_saveexec_b64 s[2:3], vcc
	s_cbranch_execz .LBB44_129
; %bb.126:
	v_cmp_ne_u32_e32 vcc, 7, v46
	s_xor_b64 s[18:19], s[16:17], -1
	s_and_b64 s[20:21], s[18:19], vcc
	s_and_saveexec_b64 s[18:19], s[20:21]
	s_cbranch_execz .LBB44_128
; %bb.127:
	scratch_load_dwordx2 v[52:53], off, off offset:2692 ; 8-byte Folded Reload
	v_ashrrev_i32_e32 v47, 31, v46
	s_waitcnt vmcnt(0)
	v_lshl_add_u64 v[48:49], v[46:47], 2, v[52:53]
	global_load_dword v47, v[48:49], off
	global_load_dword v50, v[52:53], off offset:28
	s_waitcnt vmcnt(1)
	global_store_dword v[52:53], v47, off offset:28
	s_waitcnt vmcnt(1)
	global_store_dword v[48:49], v50, off
.LBB44_128:
	s_or_b64 exec, exec, s[18:19]
	v_mov_b32_e32 v251, v46
	v_mov_b32_e32 v253, v46
.LBB44_129:
	s_or_b64 exec, exec, s[2:3]
.LBB44_130:
	s_andn2_saveexec_b64 s[0:1], s[0:1]
	s_cbranch_execz .LBB44_132
; %bb.131:
	v_mov_b32_e32 v47, v139
	scratch_load_dwordx4 v[112:115], off, off ; 16-byte Folded Reload
	scratch_load_dwordx4 v[116:119], off, off offset:16 ; 16-byte Folded Reload
	scratch_load_dwordx4 v[120:123], off, off offset:32 ; 16-byte Folded Reload
	;; [unrolled: 1-line block ×7, first 2 shown]
	s_waitcnt vmcnt(1)
	v_mov_b32_e32 v139, v47
	v_mov_b32_e32 v253, 7
	v_mov_b64_e32 v[0:1], v[112:113]
	v_mov_b64_e32 v[8:9], v[120:121]
	v_mov_b32_e32 v16, v128
	v_mov_b64_e32 v[2:3], v[114:115]
	v_mov_b64_e32 v[4:5], v[116:117]
	;; [unrolled: 1-line block ×6, first 2 shown]
	v_mov_b32_e32 v17, v129
	v_mov_b32_e32 v18, v130
	;; [unrolled: 1-line block ×6, first 2 shown]
	ds_write2_b32 v252, v8, v9 offset0:8 offset1:9
	ds_write2_b32 v252, v10, v11 offset0:10 offset1:11
	;; [unrolled: 1-line block ×7, first 2 shown]
	ds_write_b32 v252, v255 offset:88
.LBB44_132:
	s_or_b64 exec, exec, s[0:1]
	v_cmp_lt_i32_e32 vcc, 7, v253
	s_waitcnt lgkmcnt(0)
	s_barrier
	s_and_saveexec_b64 s[0:1], vcc
	s_cbranch_execz .LBB44_134
; %bb.133:
	ds_read2_b32 v[2:3], v252 offset0:8 offset1:9
	ds_read2_b32 v[4:5], v252 offset0:10 offset1:11
	;; [unrolled: 1-line block ×3, first 2 shown]
	v_mul_f32_e32 v0, v139, v45
	ds_read2_b32 v[24:25], v252 offset0:14 offset1:15
	scratch_load_dwordx4 v[26:29], off, off ; 16-byte Folded Reload
	scratch_load_dwordx4 v[30:33], off, off offset:16 ; 16-byte Folded Reload
	scratch_load_dwordx4 v[34:37], off, off offset:32 ; 16-byte Folded Reload
	;; [unrolled: 1-line block ×7, first 2 shown]
	v_mov_b32_e32 v95, v0
	s_waitcnt vmcnt(1)
	v_mov_b32_e32 v53, v0
	v_mov_b32_e32 v83, v0
	;; [unrolled: 1-line block ×6, first 2 shown]
	v_mov_b64_e32 v[8:9], v[34:35]
	v_mov_b64_e32 v[10:11], v[36:37]
	;; [unrolled: 1-line block ×6, first 2 shown]
	s_waitcnt vmcnt(0) lgkmcnt(3)
	v_pk_fma_f32 v[54:55], v[0:1], v[2:3], v[8:9] op_sel_hi:[0,1,1] neg_lo:[1,0,0] neg_hi:[1,0,0]
	s_waitcnt lgkmcnt(2)
	v_pk_fma_f32 v[86:87], v[0:1], v[4:5], v[10:11] op_sel_hi:[0,1,1] neg_lo:[1,0,0] neg_hi:[1,0,0]
	s_waitcnt lgkmcnt(1)
	v_pk_fma_f32 v[196:197], v[0:1], v[6:7], v[12:13] op_sel_hi:[0,1,1] neg_lo:[1,0,0] neg_hi:[1,0,0]
	ds_read2_b32 v[2:3], v252 offset0:16 offset1:17
	ds_read2_b32 v[4:5], v252 offset0:18 offset1:19
	;; [unrolled: 1-line block ×3, first 2 shown]
	s_waitcnt lgkmcnt(3)
	v_pk_fma_f32 v[38:39], v[0:1], v[24:25], v[14:15] op_sel_hi:[0,1,1] neg_lo:[1,0,0] neg_hi:[1,0,0]
	ds_read_b32 v1, v252 offset:88
	scratch_load_dwordx4 v[108:111], off, off offset:2564 ; 16-byte Folded Reload
	scratch_load_dwordx4 v[112:115], off, off offset:2580 ; 16-byte Folded Reload
	;; [unrolled: 1-line block ×8, first 2 shown]
	v_mov_b64_e32 v[20:21], v[46:47]
	v_mov_b32_e32 v9, v0
	v_mov_b32_e32 v10, v54
	s_waitcnt lgkmcnt(0)
	v_pk_fma_f32 v[214:215], v[0:1], v[2:3], v[16:17] op_sel_hi:[0,1,1] neg_lo:[1,0,0] neg_hi:[1,0,0]
	v_pk_fma_f32 v[234:235], v[0:1], v[4:5], v[18:19] op_sel_hi:[0,1,1] neg_lo:[1,0,0] neg_hi:[1,0,0]
	;; [unrolled: 1-line block ×3, first 2 shown]
	v_mov_b32_e32 v11, v55
	s_waitcnt vmcnt(6)
	v_mov_b32_e32 v115, v0
	v_mov_b32_e32 v96, v54
	;; [unrolled: 1-line block ×64, first 2 shown]
	scratch_store_dwordx4 off, v[2:5], off offset:2052 ; 16-byte Folded Spill
	s_nop 0
	scratch_store_dwordx4 off, v[6:9], off offset:2068 ; 16-byte Folded Spill
	scratch_store_dwordx4 off, v[10:13], off offset:2084 ; 16-byte Folded Spill
	scratch_store_dwordx4 off, v[14:17], off offset:2100 ; 16-byte Folded Spill
	scratch_store_dwordx4 off, v[18:21], off offset:2116 ; 16-byte Folded Spill
	scratch_store_dwordx4 off, v[22:25], off offset:2132 ; 16-byte Folded Spill
	scratch_store_dwordx4 off, v[26:29], off offset:2148 ; 16-byte Folded Spill
	scratch_store_dwordx4 off, v[30:33], off offset:2164 ; 16-byte Folded Spill
	v_mov_b32_e32 v8, v114
	v_mov_b32_e32 v9, v0
	;; [unrolled: 1-line block ×47, first 2 shown]
	scratch_store_dwordx4 off, v[2:5], off offset:1796 ; 16-byte Folded Spill
	s_nop 0
	scratch_store_dwordx4 off, v[6:9], off offset:1812 ; 16-byte Folded Spill
	scratch_store_dwordx4 off, v[10:13], off offset:1828 ; 16-byte Folded Spill
	;; [unrolled: 1-line block ×7, first 2 shown]
	v_mov_b32_e32 v8, v114
	v_mov_b32_e32 v9, v0
	;; [unrolled: 1-line block ×7, first 2 shown]
	scratch_store_dwordx4 off, v[2:5], off offset:1668 ; 16-byte Folded Spill
	s_nop 0
	scratch_store_dwordx4 off, v[6:9], off offset:1684 ; 16-byte Folded Spill
	scratch_store_dwordx4 off, v[10:13], off offset:1700 ; 16-byte Folded Spill
	;; [unrolled: 1-line block ×7, first 2 shown]
	v_mov_b32_e32 v24, v108
	v_mov_b32_e32 v25, v109
	;; [unrolled: 1-line block ×19, first 2 shown]
	scratch_store_dwordx4 off, v[2:5], off offset:1536 ; 16-byte Folded Spill
	s_nop 0
	scratch_store_dwordx4 off, v[6:9], off offset:1552 ; 16-byte Folded Spill
	scratch_store_dwordx4 off, v[10:13], off offset:1568 ; 16-byte Folded Spill
	;; [unrolled: 1-line block ×7, first 2 shown]
	v_mov_b32_e32 v8, v114
	v_mov_b32_e32 v9, v0
	;; [unrolled: 1-line block ×11, first 2 shown]
	scratch_store_dwordx4 off, v[2:5], off offset:1024 ; 16-byte Folded Spill
	s_nop 0
	scratch_store_dwordx4 off, v[6:9], off offset:1040 ; 16-byte Folded Spill
	scratch_store_dwordx4 off, v[10:13], off offset:1056 ; 16-byte Folded Spill
	;; [unrolled: 1-line block ×8, first 2 shown]
	s_nop 0
	scratch_store_dwordx4 off, v[92:95], off offset:528 ; 16-byte Folded Spill
	scratch_store_dwordx4 off, v[96:99], off offset:544 ; 16-byte Folded Spill
	;; [unrolled: 1-line block ×6, first 2 shown]
	s_waitcnt vmcnt(52)
	scratch_store_dwordx4 off, v[116:119], off offset:624 ; 16-byte Folded Spill
	v_fma_f32 v22, -v0, v1, v255
	v_mov_b32_e32 v7, v0
	v_mov_b32_e32 v14, v38
	;; [unrolled: 1-line block ×16, first 2 shown]
	v_mov_b64_e32 v[172:173], v[34:35]
	v_mov_b32_e32 v140, v108
	v_mov_b32_e32 v141, v109
	v_mov_b32_e32 v142, v110
	v_mov_b32_e32 v143, v111
	v_mov_b32_e32 v144, v112
	v_mov_b32_e32 v145, v113
	v_mov_b32_e32 v146, v114
	v_mov_b32_e32 v0, v108
	v_mov_b32_e32 v1, v109
	v_mov_b32_e32 v2, v110
	v_mov_b32_e32 v3, v111
	v_mov_b32_e32 v4, v112
	v_mov_b32_e32 v5, v113
	v_mov_b32_e32 v6, v114
	scratch_store_dwordx4 off, v[108:111], off offset:2308 ; 16-byte Folded Spill
	s_nop 0
	scratch_store_dwordx4 off, v[112:115], off offset:2324 ; 16-byte Folded Spill
	scratch_store_dwordx4 off, v[116:119], off offset:2340 ; 16-byte Folded Spill
	s_waitcnt vmcnt(55)
	scratch_store_dwordx4 off, v[120:123], off offset:2356 ; 16-byte Folded Spill
	s_waitcnt vmcnt(55)
	;; [unrolled: 2-line block ×5, first 2 shown]
	scratch_store_dwordx4 off, v[136:139], off offset:2420 ; 16-byte Folded Spill
	v_mov_b64_e32 v[122:123], v[14:15]
	v_mov_b32_e32 v130, v22
	v_mov_b64_e32 v[120:121], v[12:13]
	v_mov_b64_e32 v[118:119], v[10:11]
	;; [unrolled: 1-line block ×7, first 2 shown]
	v_mov_b32_e32 v129, v21
	v_mov_b32_e32 v128, v20
	;; [unrolled: 1-line block ×7, first 2 shown]
	v_mov_b64_e32 v[0:1], v[140:141]
	v_mov_b32_e32 v16, v156
	v_mov_b64_e32 v[170:171], v[32:33]
	v_mov_b64_e32 v[168:169], v[30:31]
	v_mov_b64_e32 v[166:167], v[28:29]
	v_mov_b64_e32 v[164:165], v[26:27]
	v_mov_b64_e32 v[162:163], v[24:25]
	v_mov_b64_e32 v[2:3], v[142:143]
	v_mov_b64_e32 v[4:5], v[144:145]
	v_mov_b64_e32 v[6:7], v[146:147]
	v_mov_b64_e32 v[8:9], v[148:149]
	v_mov_b64_e32 v[10:11], v[150:151]
	v_mov_b64_e32 v[12:13], v[152:153]
	v_mov_b64_e32 v[14:15], v[154:155]
	v_mov_b32_e32 v17, v157
	v_mov_b32_e32 v18, v158
	v_mov_b32_e32 v19, v159
	v_mov_b32_e32 v20, v160
	scratch_store_dwordx4 off, v[108:111], off ; 16-byte Folded Spill
	s_nop 0
	scratch_store_dwordx4 off, v[112:115], off offset:16 ; 16-byte Folded Spill
	scratch_store_dwordx4 off, v[116:119], off offset:32 ; 16-byte Folded Spill
	;; [unrolled: 1-line block ×8, first 2 shown]
	s_nop 0
	scratch_store_dwordx4 off, v[50:53], off offset:2196 ; 16-byte Folded Spill
	scratch_store_dwordx4 off, v[54:57], off offset:2212 ; 16-byte Folded Spill
	;; [unrolled: 1-line block ×7, first 2 shown]
	v_mov_b32_e32 v108, v86
	v_mov_b32_e32 v72, v214
	;; [unrolled: 1-line block ×5, first 2 shown]
	scratch_store_dwordx4 off, v[76:79], off offset:1924 ; 16-byte Folded Spill
	s_nop 0
	scratch_store_dwordx4 off, v[80:83], off offset:1940 ; 16-byte Folded Spill
	scratch_store_dwordx4 off, v[84:87], off offset:1956 ; 16-byte Folded Spill
	;; [unrolled: 1-line block ×8, first 2 shown]
	s_nop 0
	scratch_store_dwordx4 off, v[202:205], off offset:1296 ; 16-byte Folded Spill
	scratch_store_dwordx4 off, v[206:209], off offset:1312 ; 16-byte Folded Spill
	;; [unrolled: 1-line block ×7, first 2 shown]
	v_mov_b32_e32 v88, v234
	v_mov_b32_e32 v43, v55
	;; [unrolled: 1-line block ×3, first 2 shown]
	scratch_store_dwordx4 off, v[216:219], off offset:1152 ; 16-byte Folded Spill
	s_nop 0
	scratch_store_dwordx4 off, v[220:223], off offset:1168 ; 16-byte Folded Spill
	scratch_store_dwordx4 off, v[224:227], off offset:1184 ; 16-byte Folded Spill
	;; [unrolled: 1-line block ×8, first 2 shown]
	s_nop 0
	scratch_store_dwordx4 off, v[220:223], off offset:272 ; 16-byte Folded Spill
	scratch_store_dwordx4 off, v[224:227], off offset:288 ; 16-byte Folded Spill
	;; [unrolled: 1-line block ×7, first 2 shown]
	v_mov_b32_e32 v23, v87
	v_mov_b32_e32 v67, v215
	scratch_store_dwordx4 off, v[0:3], off offset:384 ; 16-byte Folded Spill
	s_nop 0
	scratch_store_dwordx4 off, v[4:7], off offset:400 ; 16-byte Folded Spill
	scratch_store_dwordx4 off, v[8:11], off offset:416 ; 16-byte Folded Spill
	;; [unrolled: 1-line block ×8, first 2 shown]
	s_nop 0
	scratch_store_dwordx4 off, v[144:147], off offset:144 ; 16-byte Folded Spill
	scratch_store_dwordx4 off, v[148:151], off offset:160 ; 16-byte Folded Spill
	;; [unrolled: 1-line block ×7, first 2 shown]
.LBB44_134:
	s_or_b64 exec, exec, s[0:1]
	v_lshl_add_u32 v45, v253, 2, v252
	s_waitcnt vmcnt(63) expcnt(7) lgkmcnt(15)
	s_barrier
	ds_write_b32 v45, v44
	s_waitcnt lgkmcnt(0)
	s_barrier
	ds_read_b32 v45, v252 offset:32
	s_cmp_lt_i32 s22, 10
	v_mov_b32_e32 v46, 8
	s_cbranch_scc1 .LBB44_393
; %bb.135:
	scratch_load_dword v0, off, off offset:1664 ; 4-byte Folded Reload
	v_mov_b64_e32 v[144:145], v[162:163]
	v_mov_b32_e32 v156, v174
	v_mov_b32_e32 v46, 8
	s_mov_b32 s0, 9
	v_mov_b64_e32 v[146:147], v[164:165]
	v_mov_b64_e32 v[148:149], v[166:167]
	;; [unrolled: 1-line block ×5, first 2 shown]
	v_mov_b32_e32 v157, v175
	v_mov_b32_e32 v158, v176
	s_waitcnt vmcnt(0)
	v_add3_u32 v47, v0, 0, 36
.LBB44_136:                             ; =>This Inner Loop Header: Depth=1
	ds_read_b32 v48, v47
	v_add_u32_e32 v47, 4, v47
	s_waitcnt lgkmcnt(0)
	v_cmp_lt_f32_e64 vcc, |v45|, |v48|
	s_nop 1
	v_cndmask_b32_e32 v45, v45, v48, vcc
	v_mov_b32_e32 v48, s0
	s_add_i32 s0, s0, 1
	v_cndmask_b32_e32 v46, v46, v48, vcc
	s_cmp_lg_u32 s22, s0
	s_cbranch_scc1 .LBB44_136
; %bb.137:
	v_cmp_eq_f32_e32 vcc, 0, v45
	s_and_saveexec_b64 s[0:1], vcc
	s_xor_b64 s[0:1], exec, s[0:1]
.LBB44_138:
	v_cmp_ne_u32_e32 vcc, 0, v250
	s_nop 1
	v_cndmask_b32_e32 v250, 9, v250, vcc
.LBB44_139:
	s_andn2_saveexec_b64 s[0:1], s[0:1]
	s_cbranch_execz .LBB44_141
; %bb.140:
	v_div_scale_f32 v47, s[2:3], v45, v45, 1.0
	v_rcp_f32_e32 v48, v47
	v_div_scale_f32 v49, vcc, 1.0, v45, 1.0
	v_fma_f32 v50, -v47, v48, 1.0
	v_fmac_f32_e32 v48, v50, v48
	v_mul_f32_e32 v50, v49, v48
	v_fma_f32 v51, -v47, v50, v49
	v_fmac_f32_e32 v50, v51, v48
	v_fma_f32 v47, -v47, v50, v49
	v_div_fmas_f32 v47, v47, v48, v50
	v_div_fixup_f32 v45, v47, v45, 1.0
.LBB44_141:
	s_or_b64 exec, exec, s[0:1]
	v_cmp_ne_u32_e32 vcc, v253, v46
	s_and_saveexec_b64 s[0:1], vcc
	s_xor_b64 s[0:1], exec, s[0:1]
	s_cbranch_execz .LBB44_147
; %bb.142:
	v_cmp_eq_u32_e32 vcc, 8, v253
	s_and_saveexec_b64 s[2:3], vcc
	s_cbranch_execz .LBB44_146
; %bb.143:
	v_cmp_ne_u32_e32 vcc, 8, v46
	s_xor_b64 s[18:19], s[16:17], -1
	s_and_b64 s[20:21], s[18:19], vcc
	s_and_saveexec_b64 s[18:19], s[20:21]
	s_cbranch_execz .LBB44_145
; %bb.144:
	scratch_load_dwordx2 v[52:53], off, off offset:2692 ; 8-byte Folded Reload
	v_ashrrev_i32_e32 v47, 31, v46
	s_waitcnt vmcnt(0)
	v_lshl_add_u64 v[48:49], v[46:47], 2, v[52:53]
	global_load_dword v47, v[48:49], off
	global_load_dword v50, v[52:53], off offset:32
	s_waitcnt vmcnt(1)
	global_store_dword v[52:53], v47, off offset:32
	s_waitcnt vmcnt(1)
	global_store_dword v[48:49], v50, off
.LBB44_145:
	s_or_b64 exec, exec, s[18:19]
	v_mov_b32_e32 v251, v46
	v_mov_b32_e32 v253, v46
.LBB44_146:
	s_or_b64 exec, exec, s[2:3]
.LBB44_147:
	s_andn2_saveexec_b64 s[0:1], s[0:1]
	s_cbranch_execz .LBB44_149
; %bb.148:
	scratch_load_dwordx4 v[112:115], off, off ; 16-byte Folded Reload
	scratch_load_dwordx4 v[116:119], off, off offset:16 ; 16-byte Folded Reload
	scratch_load_dwordx4 v[120:123], off, off offset:32 ; 16-byte Folded Reload
	;; [unrolled: 1-line block ×7, first 2 shown]
	v_mov_b32_e32 v253, 8
	s_waitcnt vmcnt(4)
	v_mov_b64_e32 v[0:1], v[112:113]
	v_mov_b64_e32 v[8:9], v[120:121]
	;; [unrolled: 1-line block ×3, first 2 shown]
	s_waitcnt vmcnt(2)
	v_mov_b32_e32 v16, v128
	v_mov_b64_e32 v[2:3], v[114:115]
	v_mov_b64_e32 v[4:5], v[116:117]
	;; [unrolled: 1-line block ×5, first 2 shown]
	v_mov_b32_e32 v17, v129
	v_mov_b32_e32 v18, v130
	;; [unrolled: 1-line block ×6, first 2 shown]
	ds_write2_b32 v252, v9, v10 offset0:9 offset1:10
	ds_write2_b32 v252, v11, v12 offset0:11 offset1:12
	;; [unrolled: 1-line block ×7, first 2 shown]
.LBB44_149:
	s_or_b64 exec, exec, s[0:1]
	v_cmp_lt_i32_e32 vcc, 8, v253
	s_waitcnt lgkmcnt(0)
	s_barrier
	s_and_saveexec_b64 s[0:1], vcc
	s_cbranch_execz .LBB44_151
; %bb.150:
	scratch_load_dwordx4 v[78:81], off, off offset:2308 ; 16-byte Folded Reload
	scratch_load_dwordx4 v[82:85], off, off offset:2324 ; 16-byte Folded Reload
	;; [unrolled: 1-line block ×8, first 2 shown]
	ds_read2_b32 v[0:1], v252 offset0:9 offset1:10
	scratch_load_dwordx4 v[2:5], off, off   ; 16-byte Folded Reload
	scratch_load_dwordx4 v[6:9], off, off offset:16 ; 16-byte Folded Reload
	scratch_load_dwordx4 v[10:13], off, off offset:32 ; 16-byte Folded Reload
	scratch_load_dwordx4 v[14:17], off, off offset:48 ; 16-byte Folded Reload
	scratch_load_dwordx4 v[18:21], off, off offset:64 ; 16-byte Folded Reload
	scratch_load_dwordx4 v[22:25], off, off offset:80 ; 16-byte Folded Reload
	scratch_load_dwordx4 v[26:29], off, off offset:96 ; 16-byte Folded Reload
	scratch_load_dwordx4 v[30:33], off, off offset:112 ; 16-byte Folded Reload
	s_waitcnt vmcnt(13)
	v_mul_f32_e32 v86, v44, v45
	v_mov_b32_e32 v192, v86
	v_mov_b32_e32 v152, v86
	;; [unrolled: 1-line block ×9, first 2 shown]
	s_waitcnt vmcnt(2)
	v_mov_b32_e32 v9, v11
	v_mov_b32_e32 v10, v12
	;; [unrolled: 1-line block ×3, first 2 shown]
	ds_read2_b32 v[4:5], v252 offset0:11 offset1:12
	ds_read2_b32 v[6:7], v252 offset0:13 offset1:14
	;; [unrolled: 1-line block ×3, first 2 shown]
	v_mov_b32_e32 v11, v13
	v_mov_b32_e32 v12, v14
	;; [unrolled: 1-line block ×5, first 2 shown]
	s_waitcnt lgkmcnt(3)
	v_pk_fma_f32 v[46:47], v[86:87], v[0:1], v[2:3] op_sel_hi:[0,1,1] neg_lo:[1,0,0] neg_hi:[1,0,0]
	v_mov_b32_e32 v0, v11
	v_mov_b32_e32 v1, v12
	;; [unrolled: 1-line block ×4, first 2 shown]
	s_waitcnt lgkmcnt(2)
	v_pk_fma_f32 v[48:49], v[86:87], v[4:5], v[0:1] op_sel_hi:[0,1,1] neg_lo:[1,0,0] neg_hi:[1,0,0]
	v_mov_b32_e32 v0, v13
	v_mov_b32_e32 v1, v14
	s_waitcnt lgkmcnt(1)
	v_pk_fma_f32 v[50:51], v[86:87], v[6:7], v[0:1] op_sel_hi:[0,1,1] neg_lo:[1,0,0] neg_hi:[1,0,0]
	v_mov_b32_e32 v0, v15
	v_mov_b32_e32 v1, v16
	s_waitcnt lgkmcnt(0)
	v_pk_fma_f32 v[52:53], v[86:87], v[8:9], v[0:1] op_sel_hi:[0,1,1] neg_lo:[1,0,0] neg_hi:[1,0,0]
	ds_read2_b32 v[0:1], v252 offset0:17 offset1:18
	ds_read2_b32 v[4:5], v252 offset0:19 offset1:20
	;; [unrolled: 1-line block ×3, first 2 shown]
	v_mov_b32_e32 v17, v19
	v_mov_b32_e32 v18, v20
	;; [unrolled: 1-line block ×8, first 2 shown]
	s_waitcnt lgkmcnt(2)
	v_pk_fma_f32 v[54:55], v[86:87], v[0:1], v[2:3] op_sel_hi:[0,1,1] neg_lo:[1,0,0] neg_hi:[1,0,0]
	v_mov_b32_e32 v0, v19
	v_mov_b32_e32 v1, v20
	s_waitcnt lgkmcnt(1)
	v_pk_fma_f32 v[76:77], v[86:87], v[4:5], v[0:1] op_sel_hi:[0,1,1] neg_lo:[1,0,0] neg_hi:[1,0,0]
	v_mov_b32_e32 v0, v21
	v_mov_b32_e32 v1, v22
	;; [unrolled: 4-line block ×3, first 2 shown]
	v_mov_b32_e32 v2, v80
	v_mov_b32_e32 v3, v81
	;; [unrolled: 1-line block ×9, first 2 shown]
	scratch_store_dwordx4 off, v[0:3], off offset:1924 ; 16-byte Folded Spill
	s_nop 0
	scratch_store_dwordx4 off, v[4:7], off offset:1940 ; 16-byte Folded Spill
	scratch_store_dwordx4 off, v[8:11], off offset:1956 ; 16-byte Folded Spill
	;; [unrolled: 1-line block ×5, first 2 shown]
	s_waitcnt vmcnt(7)
	scratch_store_dwordx4 off, v[24:27], off offset:2020 ; 16-byte Folded Spill
	s_waitcnt vmcnt(7)
	scratch_store_dwordx4 off, v[28:31], off offset:2036 ; 16-byte Folded Spill
	v_mov_b32_e32 v11, v48
	v_mov_b32_e32 v87, v46
	;; [unrolled: 1-line block ×29, first 2 shown]
	scratch_store_dwordx4 off, v[0:3], off offset:1796 ; 16-byte Folded Spill
	s_nop 0
	scratch_store_dwordx4 off, v[4:7], off offset:1812 ; 16-byte Folded Spill
	scratch_store_dwordx4 off, v[8:11], off offset:1828 ; 16-byte Folded Spill
	;; [unrolled: 1-line block ×7, first 2 shown]
	v_mov_b32_e32 v12, v49
	v_mov_b32_e32 v13, v50
	scratch_store_dwordx4 off, v[0:3], off offset:1668 ; 16-byte Folded Spill
	s_nop 0
	scratch_store_dwordx4 off, v[4:7], off offset:1684 ; 16-byte Folded Spill
	scratch_store_dwordx4 off, v[8:11], off offset:1700 ; 16-byte Folded Spill
	;; [unrolled: 1-line block ×7, first 2 shown]
	v_mov_b32_e32 v14, v51
	v_mov_b32_e32 v15, v52
	scratch_store_dwordx4 off, v[0:3], off offset:1536 ; 16-byte Folded Spill
	s_nop 0
	scratch_store_dwordx4 off, v[4:7], off offset:1552 ; 16-byte Folded Spill
	scratch_store_dwordx4 off, v[8:11], off offset:1568 ; 16-byte Folded Spill
	scratch_store_dwordx4 off, v[12:15], off offset:1584 ; 16-byte Folded Spill
	scratch_store_dwordx4 off, v[16:19], off offset:1600 ; 16-byte Folded Spill
	scratch_store_dwordx4 off, v[20:23], off offset:1616 ; 16-byte Folded Spill
	scratch_store_dwordx4 off, v[24:27], off offset:1632 ; 16-byte Folded Spill
	scratch_store_dwordx4 off, v[28:31], off offset:1648 ; 16-byte Folded Spill
	v_mov_b32_e32 v16, v53
	scratch_store_dwordx4 off, v[0:3], off offset:1280 ; 16-byte Folded Spill
	s_nop 0
	scratch_store_dwordx4 off, v[4:7], off offset:1296 ; 16-byte Folded Spill
	scratch_store_dwordx4 off, v[8:11], off offset:1312 ; 16-byte Folded Spill
	scratch_store_dwordx4 off, v[12:15], off offset:1328 ; 16-byte Folded Spill
	scratch_store_dwordx4 off, v[16:19], off offset:1344 ; 16-byte Folded Spill
	scratch_store_dwordx4 off, v[20:23], off offset:1360 ; 16-byte Folded Spill
	scratch_store_dwordx4 off, v[24:27], off offset:1376 ; 16-byte Folded Spill
	scratch_store_dwordx4 off, v[28:31], off offset:1392 ; 16-byte Folded Spill
	;; [unrolled: 10-line block ×6, first 2 shown]
	v_mov_b32_e32 v21, v254
	v_mov_b32_e32 v22, v255
	scratch_store_dwordx4 off, v[0:3], off  ; 16-byte Folded Spill
	s_nop 0
	scratch_store_dwordx4 off, v[4:7], off offset:16 ; 16-byte Folded Spill
	scratch_store_dwordx4 off, v[8:11], off offset:32 ; 16-byte Folded Spill
	;; [unrolled: 1-line block ×8, first 2 shown]
	s_nop 0
	scratch_store_dwordx4 off, v[82:85], off offset:2068 ; 16-byte Folded Spill
	scratch_store_dwordx4 off, v[86:89], off offset:2084 ; 16-byte Folded Spill
	;; [unrolled: 1-line block ×8, first 2 shown]
	s_nop 0
	scratch_store_dwordx4 off, v[82:85], off offset:2196 ; 16-byte Folded Spill
	scratch_store_dwordx4 off, v[86:89], off offset:2212 ; 16-byte Folded Spill
	;; [unrolled: 1-line block ×7, first 2 shown]
	s_nop 1
	v_mov_b32_e32 v108, v47
	v_mov_b32_e32 v23, v48
	v_mov_b32_e32 v88, v55
	scratch_store_dwordx4 off, v[26:29], off offset:256 ; 16-byte Folded Spill
	s_nop 0
	scratch_store_dwordx4 off, v[30:33], off offset:272 ; 16-byte Folded Spill
	scratch_store_dwordx4 off, v[34:37], off offset:288 ; 16-byte Folded Spill
	;; [unrolled: 1-line block ×7, first 2 shown]
	v_mov_b32_e32 v46, v77
	scratch_store_dwordx4 off, v[26:29], off offset:128 ; 16-byte Folded Spill
	s_nop 0
	scratch_store_dwordx4 off, v[30:33], off offset:144 ; 16-byte Folded Spill
	scratch_store_dwordx4 off, v[34:37], off offset:160 ; 16-byte Folded Spill
	;; [unrolled: 1-line block ×7, first 2 shown]
.LBB44_151:
	s_or_b64 exec, exec, s[0:1]
	v_lshl_add_u32 v45, v253, 2, v252
	s_waitcnt vmcnt(63) expcnt(7) lgkmcnt(15)
	s_barrier
	ds_write_b32 v45, v43
	s_waitcnt lgkmcnt(0)
	s_barrier
	ds_read_b32 v45, v252 offset:36
	s_cmp_lt_i32 s22, 11
	v_mov_b32_e32 v46, 9
	s_cbranch_scc1 .LBB44_154
; %bb.152:
	scratch_load_dword v0, off, off offset:1664 ; 4-byte Folded Reload
	v_mov_b32_e32 v46, 9
	s_mov_b32 s0, 10
	s_waitcnt vmcnt(0)
	v_add3_u32 v47, v0, 0, 40
.LBB44_153:                             ; =>This Inner Loop Header: Depth=1
	ds_read_b32 v48, v47
	v_mov_b32_e32 v49, s0
	s_add_i32 s0, s0, 1
	v_add_u32_e32 v47, 4, v47
	s_cmp_lg_u32 s22, s0
	s_waitcnt lgkmcnt(0)
	v_cmp_lt_f32_e64 vcc, |v45|, |v48|
	s_nop 1
	v_cndmask_b32_e32 v45, v45, v48, vcc
	v_cndmask_b32_e32 v46, v46, v49, vcc
	s_cbranch_scc1 .LBB44_153
.LBB44_154:
	s_waitcnt lgkmcnt(0)
	v_cmp_eq_f32_e32 vcc, 0, v45
	s_and_saveexec_b64 s[0:1], vcc
	s_xor_b64 s[0:1], exec, s[0:1]
; %bb.155:
	v_cmp_ne_u32_e32 vcc, 0, v250
	s_nop 1
	v_cndmask_b32_e32 v250, 10, v250, vcc
; %bb.156:
	s_andn2_saveexec_b64 s[0:1], s[0:1]
	s_cbranch_execz .LBB44_158
; %bb.157:
	v_div_scale_f32 v47, s[2:3], v45, v45, 1.0
	v_rcp_f32_e32 v48, v47
	v_div_scale_f32 v49, vcc, 1.0, v45, 1.0
	v_fma_f32 v50, -v47, v48, 1.0
	v_fmac_f32_e32 v48, v50, v48
	v_mul_f32_e32 v50, v49, v48
	v_fma_f32 v51, -v47, v50, v49
	v_fmac_f32_e32 v50, v51, v48
	v_fma_f32 v47, -v47, v50, v49
	v_div_fmas_f32 v47, v47, v48, v50
	v_div_fixup_f32 v45, v47, v45, 1.0
.LBB44_158:
	s_or_b64 exec, exec, s[0:1]
	v_cmp_ne_u32_e32 vcc, v253, v46
	s_and_saveexec_b64 s[0:1], vcc
	s_xor_b64 s[0:1], exec, s[0:1]
	s_cbranch_execz .LBB44_164
; %bb.159:
	v_cmp_eq_u32_e32 vcc, 9, v253
	s_and_saveexec_b64 s[2:3], vcc
	s_cbranch_execz .LBB44_163
; %bb.160:
	v_cmp_ne_u32_e32 vcc, 9, v46
	s_xor_b64 s[18:19], s[16:17], -1
	s_and_b64 s[20:21], s[18:19], vcc
	s_and_saveexec_b64 s[18:19], s[20:21]
	s_cbranch_execz .LBB44_162
; %bb.161:
	scratch_load_dwordx2 v[52:53], off, off offset:2692 ; 8-byte Folded Reload
	v_ashrrev_i32_e32 v47, 31, v46
	s_waitcnt vmcnt(0)
	v_lshl_add_u64 v[48:49], v[46:47], 2, v[52:53]
	global_load_dword v47, v[48:49], off
	global_load_dword v50, v[52:53], off offset:36
	s_waitcnt vmcnt(1)
	global_store_dword v[52:53], v47, off offset:36
	s_waitcnt vmcnt(1)
	global_store_dword v[48:49], v50, off
.LBB44_162:
	s_or_b64 exec, exec, s[18:19]
	v_mov_b32_e32 v251, v46
	v_mov_b32_e32 v253, v46
.LBB44_163:
	s_or_b64 exec, exec, s[2:3]
.LBB44_164:
	s_or_saveexec_b64 s[0:1], s[0:1]
	v_mov_b64_e32 v[48:49], v[144:145]
	v_mov_b32_e32 v60, v156
	v_mov_b64_e32 v[50:51], v[146:147]
	v_mov_b64_e32 v[52:53], v[148:149]
	;; [unrolled: 1-line block ×5, first 2 shown]
	v_mov_b32_e32 v61, v157
	v_mov_b32_e32 v62, v158
	s_xor_b64 exec, exec, s[0:1]
	s_cbranch_execz .LBB44_166
; %bb.165:
	scratch_load_dwordx4 v[112:115], off, off ; 16-byte Folded Reload
	scratch_load_dwordx4 v[116:119], off, off offset:16 ; 16-byte Folded Reload
	scratch_load_dwordx4 v[120:123], off, off offset:32 ; 16-byte Folded Reload
	;; [unrolled: 1-line block ×7, first 2 shown]
	v_mov_b32_e32 v253, 9
	s_waitcnt vmcnt(4)
	v_mov_b64_e32 v[0:1], v[112:113]
	v_mov_b64_e32 v[10:11], v[122:123]
	s_waitcnt vmcnt(2)
	v_mov_b32_e32 v16, v128
	v_mov_b64_e32 v[2:3], v[114:115]
	v_mov_b64_e32 v[4:5], v[116:117]
	;; [unrolled: 1-line block ×6, first 2 shown]
	v_mov_b32_e32 v17, v129
	v_mov_b32_e32 v18, v130
	;; [unrolled: 1-line block ×6, first 2 shown]
	ds_write2_b32 v252, v10, v11 offset0:10 offset1:11
	ds_write2_b32 v252, v12, v13 offset0:12 offset1:13
	ds_write2_b32 v252, v14, v15 offset0:14 offset1:15
	ds_write2_b32 v252, v16, v17 offset0:16 offset1:17
	ds_write2_b32 v252, v18, v19 offset0:18 offset1:19
	ds_write2_b32 v252, v20, v21 offset0:20 offset1:21
	ds_write_b32 v252, v255 offset:88
.LBB44_166:
	s_or_b64 exec, exec, s[0:1]
	v_cmp_lt_i32_e32 vcc, 9, v253
	s_waitcnt lgkmcnt(0)
	s_barrier
	s_and_saveexec_b64 s[0:1], vcc
	s_cbranch_execz .LBB44_168
; %bb.167:
	ds_read2_b32 v[0:1], v252 offset0:10 offset1:11
	ds_read2_b32 v[2:3], v252 offset0:12 offset1:13
	;; [unrolled: 1-line block ×4, first 2 shown]
	scratch_load_dwordx4 v[10:13], off, off ; 16-byte Folded Reload
	scratch_load_dwordx4 v[14:17], off, off offset:16 ; 16-byte Folded Reload
	scratch_load_dwordx4 v[18:21], off, off offset:32 ; 16-byte Folded Reload
	;; [unrolled: 1-line block ×7, first 2 shown]
	v_mul_f32_e32 v4, v43, v45
	v_mov_b32_e32 v55, v4
	v_mov_b32_e32 v85, v4
	;; [unrolled: 1-line block ×4, first 2 shown]
	s_waitcnt vmcnt(30)
	v_mov_b32_e32 v225, v4
	s_waitcnt vmcnt(8)
	v_mov_b32_e32 v141, v4
	s_waitcnt vmcnt(2)
	v_mov_b64_e32 v[10:11], v[20:21]
	v_mov_b64_e32 v[12:13], v[22:23]
	v_mov_b64_e32 v[14:15], v[24:25]
	v_mov_b64_e32 v[16:17], v[26:27]
	s_waitcnt lgkmcnt(3)
	v_pk_fma_f32 v[86:87], v[4:5], v[0:1], v[10:11] op_sel_hi:[0,1,1] neg_lo:[1,0,0] neg_hi:[1,0,0]
	s_waitcnt lgkmcnt(2)
	v_pk_fma_f32 v[196:197], v[4:5], v[2:3], v[12:13] op_sel_hi:[0,1,1] neg_lo:[1,0,0] neg_hi:[1,0,0]
	ds_read2_b32 v[0:1], v252 offset0:18 offset1:19
	ds_read2_b32 v[2:3], v252 offset0:20 offset1:21
	s_waitcnt vmcnt(0) lgkmcnt(3)
	v_pk_fma_f32 v[38:39], v[4:5], v[6:7], v[14:15] op_sel_hi:[0,1,1] neg_lo:[1,0,0] neg_hi:[1,0,0]
	s_waitcnt lgkmcnt(2)
	v_pk_fma_f32 v[214:215], v[4:5], v[8:9], v[16:17] op_sel_hi:[0,1,1] neg_lo:[1,0,0] neg_hi:[1,0,0]
	ds_read_b32 v5, v252 offset:88
	scratch_load_dwordx4 v[88:91], off, off offset:2180 ; 16-byte Folded Reload
	scratch_load_dwordx4 v[92:95], off, off offset:2196 ; 16-byte Folded Reload
	;; [unrolled: 1-line block ×8, first 2 shown]
	v_mov_b64_e32 v[18:19], v[28:29]
	v_mov_b64_e32 v[20:21], v[30:31]
	v_mov_b32_e32 v15, v4
	v_mov_b32_e32 v16, v86
	;; [unrolled: 1-line block ×3, first 2 shown]
	s_waitcnt lgkmcnt(0)
	v_pk_fma_f32 v[234:235], v[4:5], v[0:1], v[18:19] op_sel_hi:[0,1,1] neg_lo:[1,0,0] neg_hi:[1,0,0]
	v_pk_fma_f32 v[152:153], v[4:5], v[2:3], v[20:21] op_sel_hi:[0,1,1] neg_lo:[1,0,0] neg_hi:[1,0,0]
	s_waitcnt vmcnt(5)
	v_mov_b32_e32 v97, v4
	v_mov_b32_e32 v98, v86
	;; [unrolled: 1-line block ×3, first 2 shown]
	s_waitcnt vmcnt(4)
	v_mov_b32_e32 v100, v196
	v_mov_b32_e32 v101, v197
	;; [unrolled: 1-line block ×4, first 2 shown]
	s_waitcnt vmcnt(3)
	v_mov_b32_e32 v104, v214
	v_mov_b32_e32 v105, v215
	;; [unrolled: 1-line block ×49, first 2 shown]
	scratch_store_dwordx4 off, v[6:9], off offset:1796 ; 16-byte Folded Spill
	s_nop 0
	scratch_store_dwordx4 off, v[10:13], off offset:1812 ; 16-byte Folded Spill
	scratch_store_dwordx4 off, v[14:17], off offset:1828 ; 16-byte Folded Spill
	;; [unrolled: 1-line block ×7, first 2 shown]
	v_mov_b32_e32 v18, v196
	v_mov_b32_e32 v19, v197
	;; [unrolled: 1-line block ×47, first 2 shown]
	scratch_store_dwordx4 off, v[6:9], off offset:1668 ; 16-byte Folded Spill
	s_nop 0
	scratch_store_dwordx4 off, v[10:13], off offset:1684 ; 16-byte Folded Spill
	scratch_store_dwordx4 off, v[14:17], off offset:1700 ; 16-byte Folded Spill
	;; [unrolled: 1-line block ×7, first 2 shown]
	v_mov_b32_e32 v24, v46
	v_mov_b32_e32 v25, v47
	;; [unrolled: 1-line block ×20, first 2 shown]
	scratch_store_dwordx4 off, v[6:9], off offset:1536 ; 16-byte Folded Spill
	s_nop 0
	scratch_store_dwordx4 off, v[10:13], off offset:1552 ; 16-byte Folded Spill
	scratch_store_dwordx4 off, v[14:17], off offset:1568 ; 16-byte Folded Spill
	;; [unrolled: 1-line block ×7, first 2 shown]
	v_mov_b32_e32 v22, v214
	v_mov_b32_e32 v23, v215
	scratch_store_dwordx4 off, v[6:9], off offset:1024 ; 16-byte Folded Spill
	s_nop 0
	scratch_store_dwordx4 off, v[10:13], off offset:1040 ; 16-byte Folded Spill
	scratch_store_dwordx4 off, v[14:17], off offset:1056 ; 16-byte Folded Spill
	scratch_store_dwordx4 off, v[18:21], off offset:1072 ; 16-byte Folded Spill
	scratch_store_dwordx4 off, v[22:25], off offset:1088 ; 16-byte Folded Spill
	scratch_store_dwordx4 off, v[26:29], off offset:1104 ; 16-byte Folded Spill
	scratch_store_dwordx4 off, v[30:33], off offset:1120 ; 16-byte Folded Spill
	scratch_store_dwordx4 off, v[34:37], off offset:1136 ; 16-byte Folded Spill
	v_fma_f32 v22, -v4, v5, v255
	v_mov_b32_e32 v9, v4
	scratch_store_dwordx4 off, v[88:91], off offset:512 ; 16-byte Folded Spill
	s_nop 0
	scratch_store_dwordx4 off, v[92:95], off offset:528 ; 16-byte Folded Spill
	scratch_store_dwordx4 off, v[96:99], off offset:544 ; 16-byte Folded Spill
	;; [unrolled: 1-line block ×4, first 2 shown]
	s_waitcnt vmcnt(39)
	scratch_store_dwordx4 off, v[108:111], off offset:592 ; 16-byte Folded Spill
	s_waitcnt vmcnt(39)
	scratch_store_dwordx4 off, v[112:115], off offset:608 ; 16-byte Folded Spill
	;; [unrolled: 2-line block ×3, first 2 shown]
	v_mov_b32_e32 v4, v50
	v_mov_b32_e32 v5, v51
	;; [unrolled: 1-line block ×5, first 2 shown]
	scratch_store_dwordx4 off, v[46:49], off offset:2052 ; 16-byte Folded Spill
	s_nop 0
	scratch_store_dwordx4 off, v[50:53], off offset:2068 ; 16-byte Folded Spill
	scratch_store_dwordx4 off, v[54:57], off offset:2084 ; 16-byte Folded Spill
	;; [unrolled: 1-line block ×7, first 2 shown]
	v_mov_b32_e32 v14, v38
	v_mov_b32_e32 v15, v39
	;; [unrolled: 1-line block ×12, first 2 shown]
	v_mov_b64_e32 v[122:123], v[14:15]
	v_mov_b32_e32 v130, v22
	v_mov_b64_e32 v[120:121], v[12:13]
	v_mov_b64_e32 v[118:119], v[10:11]
	;; [unrolled: 1-line block ×7, first 2 shown]
	v_mov_b32_e32 v129, v21
	v_mov_b32_e32 v128, v20
	;; [unrolled: 1-line block ×6, first 2 shown]
	scratch_store_dwordx4 off, v[108:111], off ; 16-byte Folded Spill
	s_nop 0
	scratch_store_dwordx4 off, v[112:115], off offset:16 ; 16-byte Folded Spill
	scratch_store_dwordx4 off, v[116:119], off offset:32 ; 16-byte Folded Spill
	;; [unrolled: 1-line block ×7, first 2 shown]
	v_mov_b32_e32 v108, v86
	v_mov_b32_e32 v72, v214
	;; [unrolled: 1-line block ×11, first 2 shown]
	scratch_store_dwordx4 off, v[76:79], off offset:1924 ; 16-byte Folded Spill
	s_nop 0
	scratch_store_dwordx4 off, v[80:83], off offset:1940 ; 16-byte Folded Spill
	scratch_store_dwordx4 off, v[84:87], off offset:1956 ; 16-byte Folded Spill
	;; [unrolled: 1-line block ×8, first 2 shown]
	s_nop 0
	scratch_store_dwordx4 off, v[202:205], off offset:1296 ; 16-byte Folded Spill
	scratch_store_dwordx4 off, v[206:209], off offset:1312 ; 16-byte Folded Spill
	;; [unrolled: 1-line block ×7, first 2 shown]
	v_mov_b32_e32 v88, v234
	v_mov_b64_e32 v[58:59], v[34:35]
	v_mov_b32_e32 v62, v38
	v_mov_b64_e32 v[56:57], v[32:33]
	v_mov_b32_e32 v61, v37
	v_mov_b32_e32 v60, v36
	v_mov_b64_e32 v[54:55], v[30:31]
	v_mov_b64_e32 v[52:53], v[28:29]
	;; [unrolled: 1-line block ×4, first 2 shown]
	v_mov_b32_e32 v46, v152
	scratch_store_dwordx4 off, v[216:219], off offset:1152 ; 16-byte Folded Spill
	s_nop 0
	scratch_store_dwordx4 off, v[220:223], off offset:1168 ; 16-byte Folded Spill
	scratch_store_dwordx4 off, v[224:227], off offset:1184 ; 16-byte Folded Spill
	;; [unrolled: 1-line block ×7, first 2 shown]
	v_mov_b64_e32 v[0:1], v[132:133]
	v_mov_b32_e32 v23, v87
	v_mov_b32_e32 v67, v215
	v_mov_b64_e32 v[2:3], v[134:135]
	v_mov_b64_e32 v[4:5], v[136:137]
	;; [unrolled: 1-line block ×7, first 2 shown]
	v_mov_b32_e32 v75, v235
	scratch_store_dwordx4 off, v[56:59], off offset:256 ; 16-byte Folded Spill
	s_nop 0
	scratch_store_dwordx4 off, v[60:63], off offset:272 ; 16-byte Folded Spill
	scratch_store_dwordx4 off, v[64:67], off offset:288 ; 16-byte Folded Spill
	scratch_store_dwordx4 off, v[68:71], off offset:304 ; 16-byte Folded Spill
	scratch_store_dwordx4 off, v[72:75], off offset:320 ; 16-byte Folded Spill
	scratch_store_dwordx4 off, v[76:79], off offset:336 ; 16-byte Folded Spill
	scratch_store_dwordx4 off, v[80:83], off offset:352 ; 16-byte Folded Spill
	scratch_store_dwordx4 off, v[84:87], off offset:368 ; 16-byte Folded Spill
	scratch_store_dwordx4 off, v[0:3], off offset:384 ; 16-byte Folded Spill
	s_nop 0
	scratch_store_dwordx4 off, v[4:7], off offset:400 ; 16-byte Folded Spill
	scratch_store_dwordx4 off, v[8:11], off offset:416 ; 16-byte Folded Spill
	scratch_store_dwordx4 off, v[12:15], off offset:432 ; 16-byte Folded Spill
	scratch_store_dwordx4 off, v[16:19], off offset:448 ; 16-byte Folded Spill
	scratch_store_dwordx4 off, v[20:23], off offset:464 ; 16-byte Folded Spill
	scratch_store_dwordx4 off, v[24:27], off offset:480 ; 16-byte Folded Spill
	scratch_store_dwordx4 off, v[28:31], off offset:496 ; 16-byte Folded Spill
	;; [unrolled: 9-line block ×3, first 2 shown]
.LBB44_168:
	s_or_b64 exec, exec, s[0:1]
	v_lshl_add_u32 v45, v253, 2, v252
	s_waitcnt vmcnt(63) expcnt(7) lgkmcnt(15)
	s_barrier
	ds_write_b32 v45, v108
	s_waitcnt lgkmcnt(0)
	s_barrier
	ds_read_b32 v45, v252 offset:40
	s_cmp_lt_i32 s22, 12
	v_mov_b32_e32 v46, 10
	s_cbranch_scc1 .LBB44_394
; %bb.169:
	scratch_load_dword v0, off, off offset:1664 ; 4-byte Folded Reload
	s_waitcnt vmcnt(22)
	v_mov_b64_e32 v[226:227], v[58:59]
	s_waitcnt vmcnt(21)
	v_mov_b32_e32 v230, v62
	v_mov_b32_e32 v46, 10
	s_mov_b32 s0, 11
	v_mov_b64_e32 v[224:225], v[56:57]
	v_mov_b64_e32 v[222:223], v[54:55]
	;; [unrolled: 1-line block ×5, first 2 shown]
	v_mov_b32_e32 v229, v61
	v_mov_b32_e32 v228, v60
	s_waitcnt vmcnt(0)
	v_add3_u32 v47, v0, 0, 44
.LBB44_170:                             ; =>This Inner Loop Header: Depth=1
	ds_read_b32 v48, v47
	v_mov_b32_e32 v49, s0
	s_add_i32 s0, s0, 1
	v_add_u32_e32 v47, 4, v47
	s_cmp_lg_u32 s22, s0
	s_waitcnt lgkmcnt(0)
	v_cmp_lt_f32_e64 vcc, |v45|, |v48|
	s_nop 1
	v_cndmask_b32_e32 v45, v45, v48, vcc
	v_cndmask_b32_e32 v46, v46, v49, vcc
	s_cbranch_scc1 .LBB44_170
; %bb.171:
	v_cmp_eq_f32_e32 vcc, 0, v45
	s_and_saveexec_b64 s[0:1], vcc
	s_xor_b64 s[0:1], exec, s[0:1]
.LBB44_172:
	v_cmp_ne_u32_e32 vcc, 0, v250
	s_nop 1
	v_cndmask_b32_e32 v250, 11, v250, vcc
.LBB44_173:
	s_andn2_saveexec_b64 s[0:1], s[0:1]
	s_cbranch_execz .LBB44_175
; %bb.174:
	v_div_scale_f32 v47, s[2:3], v45, v45, 1.0
	v_rcp_f32_e32 v48, v47
	v_div_scale_f32 v49, vcc, 1.0, v45, 1.0
	v_fma_f32 v50, -v47, v48, 1.0
	v_fmac_f32_e32 v48, v50, v48
	v_mul_f32_e32 v50, v49, v48
	v_fma_f32 v51, -v47, v50, v49
	v_fmac_f32_e32 v50, v51, v48
	v_fma_f32 v47, -v47, v50, v49
	v_div_fmas_f32 v47, v47, v48, v50
	v_div_fixup_f32 v45, v47, v45, 1.0
.LBB44_175:
	s_or_b64 exec, exec, s[0:1]
	v_cmp_ne_u32_e32 vcc, v253, v46
	s_and_saveexec_b64 s[0:1], vcc
	s_xor_b64 s[0:1], exec, s[0:1]
	s_cbranch_execz .LBB44_181
; %bb.176:
	v_cmp_eq_u32_e32 vcc, 10, v253
	s_and_saveexec_b64 s[2:3], vcc
	s_cbranch_execz .LBB44_180
; %bb.177:
	v_cmp_ne_u32_e32 vcc, 10, v46
	s_xor_b64 s[18:19], s[16:17], -1
	s_and_b64 s[20:21], s[18:19], vcc
	s_and_saveexec_b64 s[18:19], s[20:21]
	s_cbranch_execz .LBB44_179
; %bb.178:
	scratch_load_dwordx2 v[52:53], off, off offset:2692 ; 8-byte Folded Reload
	v_ashrrev_i32_e32 v47, 31, v46
	s_waitcnt vmcnt(0)
	v_lshl_add_u64 v[48:49], v[46:47], 2, v[52:53]
	global_load_dword v47, v[48:49], off
	global_load_dword v50, v[52:53], off offset:40
	s_waitcnt vmcnt(1)
	global_store_dword v[52:53], v47, off offset:40
	s_waitcnt vmcnt(1)
	global_store_dword v[48:49], v50, off
.LBB44_179:
	s_or_b64 exec, exec, s[18:19]
	v_mov_b32_e32 v251, v46
	v_mov_b32_e32 v253, v46
.LBB44_180:
	s_or_b64 exec, exec, s[2:3]
.LBB44_181:
	s_andn2_saveexec_b64 s[0:1], s[0:1]
	s_cbranch_execz .LBB44_183
; %bb.182:
	scratch_load_dwordx4 v[112:115], off, off ; 16-byte Folded Reload
	scratch_load_dwordx4 v[116:119], off, off offset:16 ; 16-byte Folded Reload
	scratch_load_dwordx4 v[120:123], off, off offset:32 ; 16-byte Folded Reload
	;; [unrolled: 1-line block ×7, first 2 shown]
	v_mov_b32_e32 v253, 10
	s_waitcnt vmcnt(4)
	v_mov_b64_e32 v[0:1], v[112:113]
	v_mov_b64_e32 v[10:11], v[122:123]
	;; [unrolled: 1-line block ×3, first 2 shown]
	s_waitcnt vmcnt(2)
	v_mov_b32_e32 v16, v128
	v_mov_b64_e32 v[2:3], v[114:115]
	v_mov_b64_e32 v[4:5], v[116:117]
	;; [unrolled: 1-line block ×5, first 2 shown]
	v_mov_b32_e32 v17, v129
	v_mov_b32_e32 v18, v130
	;; [unrolled: 1-line block ×6, first 2 shown]
	ds_write2_b32 v252, v11, v12 offset0:11 offset1:12
	ds_write2_b32 v252, v13, v14 offset0:13 offset1:14
	;; [unrolled: 1-line block ×6, first 2 shown]
.LBB44_183:
	s_or_b64 exec, exec, s[0:1]
	v_cmp_lt_i32_e32 vcc, 10, v253
	s_waitcnt lgkmcnt(0)
	s_barrier
	s_and_saveexec_b64 s[0:1], vcc
	s_cbranch_execz .LBB44_185
; %bb.184:
	scratch_load_dwordx4 v[76:79], off, off offset:2052 ; 16-byte Folded Reload
	scratch_load_dwordx4 v[80:83], off, off offset:2068 ; 16-byte Folded Reload
	;; [unrolled: 1-line block ×8, first 2 shown]
	ds_read2_b32 v[0:1], v252 offset0:11 offset1:12
	scratch_load_dwordx4 v[2:5], off, off   ; 16-byte Folded Reload
	scratch_load_dwordx4 v[6:9], off, off offset:16 ; 16-byte Folded Reload
	scratch_load_dwordx4 v[10:13], off, off offset:32 ; 16-byte Folded Reload
	;; [unrolled: 1-line block ×7, first 2 shown]
	s_waitcnt vmcnt(7)
	ds_read2_b32 v[4:5], v252 offset0:13 offset1:14
	s_waitcnt vmcnt(6)
	ds_read2_b32 v[6:7], v252 offset0:15 offset1:16
	ds_read2_b32 v[8:9], v252 offset0:17 offset1:18
	v_mul_f32_e32 v86, v108, v45
	s_waitcnt vmcnt(5)
	v_mov_b32_e32 v10, v86
	v_mov_b32_e32 v194, v86
	;; [unrolled: 1-line block ×10, first 2 shown]
	s_waitcnt vmcnt(2)
	v_mov_b32_e32 v11, v13
	v_mov_b32_e32 v12, v14
	;; [unrolled: 1-line block ×6, first 2 shown]
	s_waitcnt lgkmcnt(3)
	v_pk_fma_f32 v[46:47], v[86:87], v[0:1], v[2:3] op_sel_hi:[0,1,1] neg_lo:[1,0,0] neg_hi:[1,0,0]
	v_mov_b32_e32 v0, v13
	v_mov_b32_e32 v1, v14
	ds_read2_b32 v[2:3], v252 offset0:19 offset1:20
	v_mov_b32_e32 v15, v17
	v_mov_b32_e32 v16, v18
	s_waitcnt lgkmcnt(3)
	v_pk_fma_f32 v[48:49], v[86:87], v[4:5], v[0:1] op_sel_hi:[0,1,1] neg_lo:[1,0,0] neg_hi:[1,0,0]
	ds_read2_b32 v[4:5], v252 offset0:21 offset1:22
	v_mov_b32_e32 v17, v19
	v_mov_b32_e32 v18, v20
	;; [unrolled: 1-line block ×6, first 2 shown]
	s_waitcnt lgkmcnt(3)
	v_pk_fma_f32 v[50:51], v[86:87], v[6:7], v[0:1] op_sel_hi:[0,1,1] neg_lo:[1,0,0] neg_hi:[1,0,0]
	v_mov_b32_e32 v0, v17
	v_mov_b32_e32 v1, v18
	;; [unrolled: 1-line block ×4, first 2 shown]
	s_waitcnt lgkmcnt(2)
	v_pk_fma_f32 v[52:53], v[86:87], v[8:9], v[0:1] op_sel_hi:[0,1,1] neg_lo:[1,0,0] neg_hi:[1,0,0]
	v_mov_b32_e32 v0, v19
	v_mov_b32_e32 v1, v20
	s_waitcnt lgkmcnt(1)
	v_pk_fma_f32 v[54:55], v[86:87], v[2:3], v[0:1] op_sel_hi:[0,1,1] neg_lo:[1,0,0] neg_hi:[1,0,0]
	v_mov_b32_e32 v0, v21
	v_mov_b32_e32 v1, v22
	;; [unrolled: 4-line block ×3, first 2 shown]
	v_mov_b32_e32 v2, v78
	v_mov_b32_e32 v3, v79
	;; [unrolled: 1-line block ×11, first 2 shown]
	scratch_store_dwordx4 off, v[0:3], off offset:1668 ; 16-byte Folded Spill
	s_nop 0
	scratch_store_dwordx4 off, v[4:7], off offset:1684 ; 16-byte Folded Spill
	scratch_store_dwordx4 off, v[8:11], off offset:1700 ; 16-byte Folded Spill
	;; [unrolled: 1-line block ×5, first 2 shown]
	s_waitcnt vmcnt(7)
	scratch_store_dwordx4 off, v[24:27], off offset:1764 ; 16-byte Folded Spill
	s_waitcnt vmcnt(7)
	scratch_store_dwordx4 off, v[28:31], off offset:1780 ; 16-byte Folded Spill
	v_mov_b32_e32 v14, v49
	v_mov_b32_e32 v15, v50
	;; [unrolled: 1-line block ×29, first 2 shown]
	scratch_store_dwordx4 off, v[0:3], off offset:1536 ; 16-byte Folded Spill
	s_nop 0
	scratch_store_dwordx4 off, v[4:7], off offset:1552 ; 16-byte Folded Spill
	scratch_store_dwordx4 off, v[8:11], off offset:1568 ; 16-byte Folded Spill
	scratch_store_dwordx4 off, v[12:15], off offset:1584 ; 16-byte Folded Spill
	scratch_store_dwordx4 off, v[16:19], off offset:1600 ; 16-byte Folded Spill
	scratch_store_dwordx4 off, v[20:23], off offset:1616 ; 16-byte Folded Spill
	scratch_store_dwordx4 off, v[24:27], off offset:1632 ; 16-byte Folded Spill
	scratch_store_dwordx4 off, v[28:31], off offset:1648 ; 16-byte Folded Spill
	v_mov_b32_e32 v16, v51
	scratch_store_dwordx4 off, v[0:3], off offset:1280 ; 16-byte Folded Spill
	s_nop 0
	scratch_store_dwordx4 off, v[4:7], off offset:1296 ; 16-byte Folded Spill
	scratch_store_dwordx4 off, v[8:11], off offset:1312 ; 16-byte Folded Spill
	scratch_store_dwordx4 off, v[12:15], off offset:1328 ; 16-byte Folded Spill
	scratch_store_dwordx4 off, v[16:19], off offset:1344 ; 16-byte Folded Spill
	scratch_store_dwordx4 off, v[20:23], off offset:1360 ; 16-byte Folded Spill
	scratch_store_dwordx4 off, v[24:27], off offset:1376 ; 16-byte Folded Spill
	scratch_store_dwordx4 off, v[28:31], off offset:1392 ; 16-byte Folded Spill
	v_mov_b32_e32 v17, v52
	;; [unrolled: 10-line block ×6, first 2 shown]
	v_mov_b32_e32 v22, v255
	scratch_store_dwordx4 off, v[0:3], off  ; 16-byte Folded Spill
	s_nop 0
	scratch_store_dwordx4 off, v[4:7], off offset:16 ; 16-byte Folded Spill
	scratch_store_dwordx4 off, v[8:11], off offset:32 ; 16-byte Folded Spill
	;; [unrolled: 1-line block ×8, first 2 shown]
	s_nop 0
	scratch_store_dwordx4 off, v[80:83], off offset:1812 ; 16-byte Folded Spill
	scratch_store_dwordx4 off, v[84:87], off offset:1828 ; 16-byte Folded Spill
	;; [unrolled: 1-line block ×8, first 2 shown]
	s_nop 0
	scratch_store_dwordx4 off, v[80:83], off offset:1940 ; 16-byte Folded Spill
	scratch_store_dwordx4 off, v[84:87], off offset:1956 ; 16-byte Folded Spill
	;; [unrolled: 1-line block ×7, first 2 shown]
	v_mov_b32_e32 v23, v46
	v_mov_b32_e32 v88, v53
	scratch_store_dwordx4 off, v[26:29], off offset:256 ; 16-byte Folded Spill
	s_nop 0
	scratch_store_dwordx4 off, v[30:33], off offset:272 ; 16-byte Folded Spill
	scratch_store_dwordx4 off, v[34:37], off offset:288 ; 16-byte Folded Spill
	scratch_store_dwordx4 off, v[38:41], off offset:304 ; 16-byte Folded Spill
	scratch_store_dwordx4 off, v[42:45], off offset:320 ; 16-byte Folded Spill
	scratch_store_dwordx4 off, v[46:49], off offset:336 ; 16-byte Folded Spill
	scratch_store_dwordx4 off, v[50:53], off offset:352 ; 16-byte Folded Spill
	scratch_store_dwordx4 off, v[54:57], off offset:368 ; 16-byte Folded Spill
	v_mov_b32_e32 v46, v55
	scratch_store_dwordx4 off, v[26:29], off offset:128 ; 16-byte Folded Spill
	s_nop 0
	scratch_store_dwordx4 off, v[30:33], off offset:144 ; 16-byte Folded Spill
	scratch_store_dwordx4 off, v[34:37], off offset:160 ; 16-byte Folded Spill
	;; [unrolled: 1-line block ×7, first 2 shown]
.LBB44_185:
	s_or_b64 exec, exec, s[0:1]
	v_lshl_add_u32 v45, v253, 2, v252
	s_waitcnt vmcnt(63) expcnt(7) lgkmcnt(15)
	s_barrier
	ds_write_b32 v45, v23
	s_waitcnt lgkmcnt(0)
	s_barrier
	ds_read_b32 v45, v252 offset:44
	s_cmp_lt_i32 s22, 13
	v_mov_b32_e32 v46, 11
	s_cbranch_scc1 .LBB44_188
; %bb.186:
	scratch_load_dword v0, off, off offset:1664 ; 4-byte Folded Reload
	v_mov_b32_e32 v46, 11
	s_mov_b32 s0, 12
	s_waitcnt vmcnt(0)
	v_add3_u32 v47, v0, 0, 48
.LBB44_187:                             ; =>This Inner Loop Header: Depth=1
	ds_read_b32 v48, v47
	v_mov_b32_e32 v49, s0
	s_add_i32 s0, s0, 1
	v_add_u32_e32 v47, 4, v47
	s_cmp_lg_u32 s22, s0
	s_waitcnt lgkmcnt(0)
	v_cmp_lt_f32_e64 vcc, |v45|, |v48|
	s_nop 1
	v_cndmask_b32_e32 v45, v45, v48, vcc
	v_cndmask_b32_e32 v46, v46, v49, vcc
	s_cbranch_scc1 .LBB44_187
.LBB44_188:
	s_waitcnt lgkmcnt(0)
	v_cmp_eq_f32_e32 vcc, 0, v45
	s_and_saveexec_b64 s[0:1], vcc
	s_xor_b64 s[0:1], exec, s[0:1]
; %bb.189:
	v_cmp_ne_u32_e32 vcc, 0, v250
	s_nop 1
	v_cndmask_b32_e32 v250, 12, v250, vcc
; %bb.190:
	s_andn2_saveexec_b64 s[0:1], s[0:1]
	s_cbranch_execz .LBB44_192
; %bb.191:
	v_div_scale_f32 v47, s[2:3], v45, v45, 1.0
	v_rcp_f32_e32 v48, v47
	v_div_scale_f32 v49, vcc, 1.0, v45, 1.0
	v_fma_f32 v50, -v47, v48, 1.0
	v_fmac_f32_e32 v48, v50, v48
	v_mul_f32_e32 v50, v49, v48
	v_fma_f32 v51, -v47, v50, v49
	v_fmac_f32_e32 v50, v51, v48
	v_fma_f32 v47, -v47, v50, v49
	v_div_fmas_f32 v47, v47, v48, v50
	v_div_fixup_f32 v45, v47, v45, 1.0
.LBB44_192:
	s_or_b64 exec, exec, s[0:1]
	v_cmp_ne_u32_e32 vcc, v253, v46
	s_and_saveexec_b64 s[0:1], vcc
	s_xor_b64 s[0:1], exec, s[0:1]
	s_cbranch_execz .LBB44_198
; %bb.193:
	v_cmp_eq_u32_e32 vcc, 11, v253
	s_and_saveexec_b64 s[2:3], vcc
	s_cbranch_execz .LBB44_197
; %bb.194:
	v_cmp_ne_u32_e32 vcc, 11, v46
	s_xor_b64 s[18:19], s[16:17], -1
	s_and_b64 s[20:21], s[18:19], vcc
	s_and_saveexec_b64 s[18:19], s[20:21]
	s_cbranch_execz .LBB44_196
; %bb.195:
	scratch_load_dwordx2 v[52:53], off, off offset:2692 ; 8-byte Folded Reload
	v_ashrrev_i32_e32 v47, 31, v46
	s_waitcnt vmcnt(0)
	v_lshl_add_u64 v[48:49], v[46:47], 2, v[52:53]
	global_load_dword v47, v[48:49], off
	global_load_dword v50, v[52:53], off offset:44
	s_waitcnt vmcnt(1)
	global_store_dword v[52:53], v47, off offset:44
	s_waitcnt vmcnt(1)
	global_store_dword v[48:49], v50, off
.LBB44_196:
	s_or_b64 exec, exec, s[18:19]
	v_mov_b32_e32 v251, v46
	v_mov_b32_e32 v253, v46
.LBB44_197:
	s_or_b64 exec, exec, s[2:3]
.LBB44_198:
	s_andn2_saveexec_b64 s[0:1], s[0:1]
	s_cbranch_execz .LBB44_200
; %bb.199:
	scratch_load_dwordx4 v[112:115], off, off ; 16-byte Folded Reload
	scratch_load_dwordx4 v[116:119], off, off offset:16 ; 16-byte Folded Reload
	scratch_load_dwordx4 v[120:123], off, off offset:32 ; 16-byte Folded Reload
	;; [unrolled: 1-line block ×7, first 2 shown]
	v_mov_b32_e32 v253, 11
	s_waitcnt vmcnt(4)
	v_mov_b64_e32 v[0:1], v[112:113]
	v_mov_b64_e32 v[12:13], v[124:125]
	s_waitcnt vmcnt(2)
	v_mov_b32_e32 v16, v128
	v_mov_b64_e32 v[2:3], v[114:115]
	v_mov_b64_e32 v[4:5], v[116:117]
	v_mov_b64_e32 v[6:7], v[118:119]
	v_mov_b64_e32 v[8:9], v[120:121]
	v_mov_b64_e32 v[10:11], v[122:123]
	v_mov_b64_e32 v[14:15], v[126:127]
	v_mov_b32_e32 v17, v129
	v_mov_b32_e32 v18, v130
	;; [unrolled: 1-line block ×6, first 2 shown]
	ds_write2_b32 v252, v12, v13 offset0:12 offset1:13
	ds_write2_b32 v252, v14, v15 offset0:14 offset1:15
	;; [unrolled: 1-line block ×5, first 2 shown]
	ds_write_b32 v252, v255 offset:88
.LBB44_200:
	s_or_b64 exec, exec, s[0:1]
	v_cmp_lt_i32_e32 vcc, 11, v253
	s_waitcnt lgkmcnt(0)
	s_barrier
	s_and_saveexec_b64 s[0:1], vcc
	s_cbranch_execz .LBB44_202
; %bb.201:
	ds_read2_b32 v[0:1], v252 offset0:12 offset1:13
	v_mul_f32_e32 v2, v23, v45
	ds_read2_b32 v[4:5], v252 offset0:14 offset1:15
	ds_read2_b32 v[6:7], v252 offset0:16 offset1:17
	;; [unrolled: 1-line block ×3, first 2 shown]
	scratch_load_dwordx4 v[10:13], off, off ; 16-byte Folded Reload
	scratch_load_dwordx4 v[14:17], off, off offset:16 ; 16-byte Folded Reload
	scratch_load_dwordx4 v[18:21], off, off offset:32 ; 16-byte Folded Reload
	;; [unrolled: 1-line block ×7, first 2 shown]
	v_mov_b32_e32 v195, v2
	v_mov_b32_e32 v227, v2
	;; [unrolled: 1-line block ×6, first 2 shown]
	s_waitcnt vmcnt(2)
	v_mov_b64_e32 v[12:13], v[22:23]
	v_mov_b64_e32 v[14:15], v[24:25]
	v_mov_b64_e32 v[16:17], v[26:27]
	v_mov_b64_e32 v[18:19], v[28:29]
	s_waitcnt lgkmcnt(3)
	v_pk_fma_f32 v[196:197], v[2:3], v[0:1], v[12:13] op_sel_hi:[0,1,1] neg_lo:[1,0,0] neg_hi:[1,0,0]
	ds_read2_b32 v[0:1], v252 offset0:20 offset1:21
	s_waitcnt lgkmcnt(3)
	v_pk_fma_f32 v[230:231], v[2:3], v[4:5], v[14:15] op_sel_hi:[0,1,1] neg_lo:[1,0,0] neg_hi:[1,0,0]
	s_waitcnt lgkmcnt(2)
	v_pk_fma_f32 v[214:215], v[2:3], v[6:7], v[16:17] op_sel_hi:[0,1,1] neg_lo:[1,0,0] neg_hi:[1,0,0]
	;; [unrolled: 2-line block ×3, first 2 shown]
	ds_read_b32 v3, v252 offset:88
	scratch_load_dwordx4 v[76:79], off, off offset:1924 ; 16-byte Folded Reload
	scratch_load_dwordx4 v[80:83], off, off offset:1940 ; 16-byte Folded Reload
	scratch_load_dwordx4 v[84:87], off, off offset:1956 ; 16-byte Folded Reload
	scratch_load_dwordx4 v[88:91], off, off offset:1972 ; 16-byte Folded Reload
	scratch_load_dwordx4 v[92:95], off, off offset:1988 ; 16-byte Folded Reload
	scratch_load_dwordx4 v[96:99], off, off offset:2004 ; 16-byte Folded Reload
	scratch_load_dwordx4 v[100:103], off, off offset:2020 ; 16-byte Folded Reload
	scratch_load_dwordx4 v[104:107], off, off offset:2036 ; 16-byte Folded Reload
	v_mov_b64_e32 v[20:21], v[30:31]
	v_mov_b32_e32 v15, v2
	v_mov_b32_e32 v16, v196
	;; [unrolled: 1-line block ×3, first 2 shown]
	s_waitcnt lgkmcnt(0)
	v_pk_fma_f32 v[164:165], v[2:3], v[0:1], v[20:21] op_sel_hi:[0,1,1] neg_lo:[1,0,0] neg_hi:[1,0,0]
	s_waitcnt vmcnt(5)
	v_mov_b32_e32 v87, v2
	v_fma_f32 v142, -v2, v3, v255
	v_mov_b32_e32 v136, v214
	v_mov_b32_e32 v132, v196
	;; [unrolled: 1-line block ×47, first 2 shown]
	scratch_store_dwordx4 off, v[4:7], off offset:1668 ; 16-byte Folded Spill
	s_nop 0
	scratch_store_dwordx4 off, v[8:11], off offset:1684 ; 16-byte Folded Spill
	scratch_store_dwordx4 off, v[12:15], off offset:1700 ; 16-byte Folded Spill
	;; [unrolled: 1-line block ×7, first 2 shown]
	v_mov_b32_e32 v12, v84
	v_mov_b32_e32 v13, v85
	;; [unrolled: 1-line block ×53, first 2 shown]
	scratch_store_dwordx4 off, v[4:7], off offset:1536 ; 16-byte Folded Spill
	s_nop 0
	scratch_store_dwordx4 off, v[8:11], off offset:1552 ; 16-byte Folded Spill
	scratch_store_dwordx4 off, v[12:15], off offset:1568 ; 16-byte Folded Spill
	;; [unrolled: 1-line block ×7, first 2 shown]
	v_mov_b32_e32 v12, v84
	v_mov_b32_e32 v13, v85
	;; [unrolled: 1-line block ×32, first 2 shown]
	scratch_store_dwordx4 off, v[4:7], off offset:1024 ; 16-byte Folded Spill
	s_nop 0
	scratch_store_dwordx4 off, v[8:11], off offset:1040 ; 16-byte Folded Spill
	scratch_store_dwordx4 off, v[12:15], off offset:1056 ; 16-byte Folded Spill
	;; [unrolled: 1-line block ×7, first 2 shown]
	v_mov_b32_e32 v11, v2
	v_mov_b32_e32 v2, v78
	;; [unrolled: 1-line block ×17, first 2 shown]
	scratch_store_dwordx4 off, v[0:3], off offset:512 ; 16-byte Folded Spill
	s_nop 0
	scratch_store_dwordx4 off, v[4:7], off offset:528 ; 16-byte Folded Spill
	scratch_store_dwordx4 off, v[8:11], off offset:544 ; 16-byte Folded Spill
	;; [unrolled: 1-line block ×7, first 2 shown]
	v_mov_b64_e32 v[0:1], v[120:121]
	v_mov_b32_e32 v16, v136
	v_mov_b64_e32 v[2:3], v[122:123]
	v_mov_b64_e32 v[4:5], v[124:125]
	;; [unrolled: 1-line block ×7, first 2 shown]
	v_mov_b32_e32 v17, v137
	v_mov_b32_e32 v18, v138
	;; [unrolled: 1-line block ×6, first 2 shown]
	scratch_store_dwordx4 off, v[76:79], off offset:1796 ; 16-byte Folded Spill
	s_nop 0
	scratch_store_dwordx4 off, v[80:83], off offset:1812 ; 16-byte Folded Spill
	scratch_store_dwordx4 off, v[84:87], off offset:1828 ; 16-byte Folded Spill
	s_waitcnt vmcnt(39)
	scratch_store_dwordx4 off, v[88:91], off offset:1844 ; 16-byte Folded Spill
	s_waitcnt vmcnt(39)
	;; [unrolled: 2-line block ×5, first 2 shown]
	scratch_store_dwordx4 off, v[104:107], off offset:1908 ; 16-byte Folded Spill
	v_mov_b32_e32 v88, v64
	scratch_store_dwordx4 off, v[0:3], off  ; 16-byte Folded Spill
	s_nop 0
	scratch_store_dwordx4 off, v[4:7], off offset:16 ; 16-byte Folded Spill
	scratch_store_dwordx4 off, v[8:11], off offset:32 ; 16-byte Folded Spill
	;; [unrolled: 1-line block ×8, first 2 shown]
	s_nop 0
	scratch_store_dwordx4 off, v[202:205], off offset:1296 ; 16-byte Folded Spill
	scratch_store_dwordx4 off, v[206:209], off offset:1312 ; 16-byte Folded Spill
	;; [unrolled: 1-line block ×7, first 2 shown]
	v_mov_b64_e32 v[0:1], v[144:145]
	v_mov_b32_e32 v16, v160
	v_mov_b64_e32 v[2:3], v[146:147]
	v_mov_b64_e32 v[4:5], v[148:149]
	v_mov_b64_e32 v[6:7], v[150:151]
	v_mov_b64_e32 v[8:9], v[152:153]
	v_mov_b64_e32 v[10:11], v[154:155]
	v_mov_b64_e32 v[12:13], v[156:157]
	v_mov_b64_e32 v[14:15], v[158:159]
	v_mov_b32_e32 v17, v161
	v_mov_b32_e32 v18, v162
	;; [unrolled: 1-line block ×5, first 2 shown]
	scratch_store_dwordx4 off, v[46:49], off offset:1152 ; 16-byte Folded Spill
	s_nop 0
	scratch_store_dwordx4 off, v[50:53], off offset:1168 ; 16-byte Folded Spill
	scratch_store_dwordx4 off, v[54:57], off offset:1184 ; 16-byte Folded Spill
	;; [unrolled: 1-line block ×7, first 2 shown]
	v_mov_b32_e32 v46, v164
	s_nop 0
	v_mov_b32_e32 v75, v65
	scratch_store_dwordx4 off, v[56:59], off offset:256 ; 16-byte Folded Spill
	s_nop 0
	scratch_store_dwordx4 off, v[60:63], off offset:272 ; 16-byte Folded Spill
	scratch_store_dwordx4 off, v[64:67], off offset:288 ; 16-byte Folded Spill
	scratch_store_dwordx4 off, v[68:71], off offset:304 ; 16-byte Folded Spill
	scratch_store_dwordx4 off, v[72:75], off offset:320 ; 16-byte Folded Spill
	scratch_store_dwordx4 off, v[76:79], off offset:336 ; 16-byte Folded Spill
	scratch_store_dwordx4 off, v[80:83], off offset:352 ; 16-byte Folded Spill
	scratch_store_dwordx4 off, v[84:87], off offset:368 ; 16-byte Folded Spill
	scratch_store_dwordx4 off, v[0:3], off offset:384 ; 16-byte Folded Spill
	s_nop 0
	scratch_store_dwordx4 off, v[4:7], off offset:400 ; 16-byte Folded Spill
	scratch_store_dwordx4 off, v[8:11], off offset:416 ; 16-byte Folded Spill
	scratch_store_dwordx4 off, v[12:15], off offset:432 ; 16-byte Folded Spill
	scratch_store_dwordx4 off, v[16:19], off offset:448 ; 16-byte Folded Spill
	scratch_store_dwordx4 off, v[20:23], off offset:464 ; 16-byte Folded Spill
	scratch_store_dwordx4 off, v[24:27], off offset:480 ; 16-byte Folded Spill
	scratch_store_dwordx4 off, v[28:31], off offset:496 ; 16-byte Folded Spill
	;; [unrolled: 9-line block ×3, first 2 shown]
.LBB44_202:
	s_or_b64 exec, exec, s[0:1]
	v_lshl_add_u32 v45, v253, 2, v252
	s_waitcnt vmcnt(63) expcnt(7) lgkmcnt(15)
	s_barrier
	ds_write_b32 v45, v74
	s_waitcnt lgkmcnt(0)
	s_barrier
	ds_read_b32 v45, v252 offset:48
	s_cmp_lt_i32 s22, 14
	v_mov_b32_e32 v46, 12
	s_cbranch_scc1 .LBB44_205
; %bb.203:
	scratch_load_dword v0, off, off offset:1664 ; 4-byte Folded Reload
	v_mov_b32_e32 v46, 12
	s_mov_b32 s0, 13
	s_waitcnt vmcnt(0)
	v_add3_u32 v47, v0, 0, 52
.LBB44_204:                             ; =>This Inner Loop Header: Depth=1
	ds_read_b32 v48, v47
	v_mov_b32_e32 v49, s0
	s_add_i32 s0, s0, 1
	v_add_u32_e32 v47, 4, v47
	s_cmp_lg_u32 s22, s0
	s_waitcnt lgkmcnt(0)
	v_cmp_lt_f32_e64 vcc, |v45|, |v48|
	s_nop 1
	v_cndmask_b32_e32 v45, v45, v48, vcc
	v_cndmask_b32_e32 v46, v46, v49, vcc
	s_cbranch_scc1 .LBB44_204
.LBB44_205:
	s_waitcnt lgkmcnt(0)
	v_cmp_eq_f32_e32 vcc, 0, v45
	s_and_saveexec_b64 s[0:1], vcc
	s_xor_b64 s[0:1], exec, s[0:1]
; %bb.206:
	v_cmp_ne_u32_e32 vcc, 0, v250
	s_nop 1
	v_cndmask_b32_e32 v250, 13, v250, vcc
; %bb.207:
	s_andn2_saveexec_b64 s[0:1], s[0:1]
	s_cbranch_execz .LBB44_209
; %bb.208:
	v_div_scale_f32 v47, s[2:3], v45, v45, 1.0
	v_rcp_f32_e32 v48, v47
	v_div_scale_f32 v49, vcc, 1.0, v45, 1.0
	v_fma_f32 v50, -v47, v48, 1.0
	v_fmac_f32_e32 v48, v50, v48
	v_mul_f32_e32 v50, v49, v48
	v_fma_f32 v51, -v47, v50, v49
	v_fmac_f32_e32 v50, v51, v48
	v_fma_f32 v47, -v47, v50, v49
	v_div_fmas_f32 v47, v47, v48, v50
	v_div_fixup_f32 v45, v47, v45, 1.0
.LBB44_209:
	s_or_b64 exec, exec, s[0:1]
	v_cmp_ne_u32_e32 vcc, v253, v46
	s_and_saveexec_b64 s[0:1], vcc
	s_xor_b64 s[0:1], exec, s[0:1]
	s_cbranch_execz .LBB44_215
; %bb.210:
	v_cmp_eq_u32_e32 vcc, 12, v253
	s_and_saveexec_b64 s[2:3], vcc
	s_cbranch_execz .LBB44_214
; %bb.211:
	v_cmp_ne_u32_e32 vcc, 12, v46
	s_xor_b64 s[18:19], s[16:17], -1
	s_and_b64 s[20:21], s[18:19], vcc
	s_and_saveexec_b64 s[18:19], s[20:21]
	s_cbranch_execz .LBB44_213
; %bb.212:
	scratch_load_dwordx2 v[52:53], off, off offset:2692 ; 8-byte Folded Reload
	v_ashrrev_i32_e32 v47, 31, v46
	s_waitcnt vmcnt(0)
	v_lshl_add_u64 v[48:49], v[46:47], 2, v[52:53]
	global_load_dword v47, v[48:49], off
	global_load_dword v50, v[52:53], off offset:48
	s_waitcnt vmcnt(1)
	global_store_dword v[52:53], v47, off offset:48
	s_waitcnt vmcnt(1)
	global_store_dword v[48:49], v50, off
.LBB44_213:
	s_or_b64 exec, exec, s[18:19]
	v_mov_b32_e32 v251, v46
	v_mov_b32_e32 v253, v46
.LBB44_214:
	s_or_b64 exec, exec, s[2:3]
.LBB44_215:
	s_andn2_saveexec_b64 s[0:1], s[0:1]
	s_cbranch_execz .LBB44_217
; %bb.216:
	scratch_load_dwordx4 v[112:115], off, off ; 16-byte Folded Reload
	scratch_load_dwordx4 v[116:119], off, off offset:16 ; 16-byte Folded Reload
	scratch_load_dwordx4 v[120:123], off, off offset:32 ; 16-byte Folded Reload
	scratch_load_dwordx4 v[124:127], off, off offset:48 ; 16-byte Folded Reload
	scratch_load_dwordx4 v[128:131], off, off offset:64 ; 16-byte Folded Reload
	scratch_load_dwordx4 v[132:135], off, off offset:80 ; 16-byte Folded Reload
	scratch_load_dwordx4 v[136:139], off, off offset:96 ; 16-byte Folded Reload
	scratch_load_dwordx4 v[140:143], off, off offset:112 ; 16-byte Folded Reload
	v_mov_b32_e32 v253, 12
	s_waitcnt vmcnt(4)
	v_mov_b64_e32 v[0:1], v[112:113]
	v_mov_b64_e32 v[12:13], v[124:125]
	;; [unrolled: 1-line block ×3, first 2 shown]
	s_waitcnt vmcnt(2)
	v_mov_b32_e32 v16, v128
	v_mov_b64_e32 v[2:3], v[114:115]
	v_mov_b64_e32 v[4:5], v[116:117]
	;; [unrolled: 1-line block ×5, first 2 shown]
	v_mov_b32_e32 v17, v129
	v_mov_b32_e32 v18, v130
	;; [unrolled: 1-line block ×6, first 2 shown]
	ds_write2_b32 v252, v13, v14 offset0:13 offset1:14
	ds_write2_b32 v252, v15, v16 offset0:15 offset1:16
	;; [unrolled: 1-line block ×5, first 2 shown]
.LBB44_217:
	s_or_b64 exec, exec, s[0:1]
	v_cmp_lt_i32_e32 vcc, 12, v253
	s_waitcnt lgkmcnt(0)
	s_barrier
	s_and_saveexec_b64 s[0:1], vcc
	s_cbranch_execz .LBB44_219
; %bb.218:
	scratch_load_dwordx4 v[184:187], off, off offset:1796 ; 16-byte Folded Reload
	scratch_load_dwordx4 v[188:191], off, off offset:1812 ; 16-byte Folded Reload
	;; [unrolled: 1-line block ×8, first 2 shown]
	ds_read2_b32 v[0:1], v252 offset0:13 offset1:14
	scratch_load_dwordx4 v[2:5], off, off   ; 16-byte Folded Reload
	scratch_load_dwordx4 v[6:9], off, off offset:16 ; 16-byte Folded Reload
	scratch_load_dwordx4 v[10:13], off, off offset:32 ; 16-byte Folded Reload
	;; [unrolled: 1-line block ×7, first 2 shown]
	s_waitcnt vmcnt(12)
	v_mul_f32_e32 v196, v74, v45
	s_waitcnt vmcnt(7)
	ds_read2_b32 v[4:5], v252 offset0:15 offset1:16
	s_waitcnt vmcnt(6)
	ds_read2_b32 v[6:7], v252 offset0:17 offset1:18
	ds_read2_b32 v[8:9], v252 offset0:19 offset1:20
	s_waitcnt vmcnt(5)
	v_mov_b32_e32 v12, v196
	v_mov_b32_e32 v228, v196
	;; [unrolled: 1-line block ×9, first 2 shown]
	s_waitcnt vmcnt(2)
	v_mov_b32_e32 v13, v15
	v_mov_b32_e32 v14, v16
	;; [unrolled: 1-line block ×6, first 2 shown]
	s_waitcnt lgkmcnt(3)
	v_pk_fma_f32 v[46:47], v[196:197], v[0:1], v[2:3] op_sel_hi:[0,1,1] neg_lo:[1,0,0] neg_hi:[1,0,0]
	ds_read2_b32 v[2:3], v252 offset0:21 offset1:22
	v_mov_b32_e32 v17, v19
	v_mov_b32_e32 v18, v20
	;; [unrolled: 1-line block ×6, first 2 shown]
	s_waitcnt lgkmcnt(3)
	v_pk_fma_f32 v[48:49], v[196:197], v[4:5], v[0:1] op_sel_hi:[0,1,1] neg_lo:[1,0,0] neg_hi:[1,0,0]
	v_mov_b32_e32 v0, v17
	v_mov_b32_e32 v1, v18
	;; [unrolled: 1-line block ×4, first 2 shown]
	s_waitcnt lgkmcnt(2)
	v_pk_fma_f32 v[50:51], v[196:197], v[6:7], v[0:1] op_sel_hi:[0,1,1] neg_lo:[1,0,0] neg_hi:[1,0,0]
	v_mov_b32_e32 v0, v19
	v_mov_b32_e32 v1, v20
	s_waitcnt lgkmcnt(1)
	v_pk_fma_f32 v[52:53], v[196:197], v[8:9], v[0:1] op_sel_hi:[0,1,1] neg_lo:[1,0,0] neg_hi:[1,0,0]
	v_mov_b32_e32 v0, v21
	v_mov_b32_e32 v1, v22
	;; [unrolled: 4-line block ×3, first 2 shown]
	v_mov_b32_e32 v2, v186
	v_mov_b32_e32 v3, v187
	;; [unrolled: 1-line block ×11, first 2 shown]
	scratch_store_dwordx4 off, v[0:3], off offset:1536 ; 16-byte Folded Spill
	s_nop 0
	scratch_store_dwordx4 off, v[4:7], off offset:1552 ; 16-byte Folded Spill
	scratch_store_dwordx4 off, v[8:11], off offset:1568 ; 16-byte Folded Spill
	;; [unrolled: 1-line block ×5, first 2 shown]
	s_waitcnt vmcnt(7)
	scratch_store_dwordx4 off, v[24:27], off offset:1632 ; 16-byte Folded Spill
	s_waitcnt vmcnt(7)
	scratch_store_dwordx4 off, v[28:31], off offset:1648 ; 16-byte Folded Spill
	v_mov_b32_e32 v16, v49
	v_mov_b32_e32 v197, v46
	;; [unrolled: 1-line block ×17, first 2 shown]
	scratch_store_dwordx4 off, v[0:3], off offset:1280 ; 16-byte Folded Spill
	s_nop 0
	scratch_store_dwordx4 off, v[4:7], off offset:1296 ; 16-byte Folded Spill
	scratch_store_dwordx4 off, v[8:11], off offset:1312 ; 16-byte Folded Spill
	scratch_store_dwordx4 off, v[12:15], off offset:1328 ; 16-byte Folded Spill
	scratch_store_dwordx4 off, v[16:19], off offset:1344 ; 16-byte Folded Spill
	scratch_store_dwordx4 off, v[20:23], off offset:1360 ; 16-byte Folded Spill
	scratch_store_dwordx4 off, v[24:27], off offset:1376 ; 16-byte Folded Spill
	scratch_store_dwordx4 off, v[28:31], off offset:1392 ; 16-byte Folded Spill
	v_mov_b32_e32 v17, v50
	scratch_store_dwordx4 off, v[0:3], off offset:1024 ; 16-byte Folded Spill
	s_nop 0
	scratch_store_dwordx4 off, v[4:7], off offset:1040 ; 16-byte Folded Spill
	scratch_store_dwordx4 off, v[8:11], off offset:1056 ; 16-byte Folded Spill
	scratch_store_dwordx4 off, v[12:15], off offset:1072 ; 16-byte Folded Spill
	scratch_store_dwordx4 off, v[16:19], off offset:1088 ; 16-byte Folded Spill
	scratch_store_dwordx4 off, v[20:23], off offset:1104 ; 16-byte Folded Spill
	scratch_store_dwordx4 off, v[24:27], off offset:1120 ; 16-byte Folded Spill
	scratch_store_dwordx4 off, v[28:31], off offset:1136 ; 16-byte Folded Spill
	v_mov_b32_e32 v18, v51
	;; [unrolled: 10-line block ×5, first 2 shown]
	v_mov_b32_e32 v22, v255
	scratch_store_dwordx4 off, v[0:3], off  ; 16-byte Folded Spill
	s_nop 0
	scratch_store_dwordx4 off, v[4:7], off offset:16 ; 16-byte Folded Spill
	scratch_store_dwordx4 off, v[8:11], off offset:32 ; 16-byte Folded Spill
	scratch_store_dwordx4 off, v[12:15], off offset:48 ; 16-byte Folded Spill
	scratch_store_dwordx4 off, v[16:19], off offset:64 ; 16-byte Folded Spill
	scratch_store_dwordx4 off, v[20:23], off offset:80 ; 16-byte Folded Spill
	scratch_store_dwordx4 off, v[24:27], off offset:96 ; 16-byte Folded Spill
	scratch_store_dwordx4 off, v[28:31], off offset:112 ; 16-byte Folded Spill
	scratch_store_dwordx4 off, v[184:187], off offset:1668 ; 16-byte Folded Spill
	s_nop 0
	scratch_store_dwordx4 off, v[188:191], off offset:1684 ; 16-byte Folded Spill
	scratch_store_dwordx4 off, v[192:195], off offset:1700 ; 16-byte Folded Spill
	scratch_store_dwordx4 off, v[196:199], off offset:1716 ; 16-byte Folded Spill
	scratch_store_dwordx4 off, v[200:203], off offset:1732 ; 16-byte Folded Spill
	scratch_store_dwordx4 off, v[204:207], off offset:1748 ; 16-byte Folded Spill
	scratch_store_dwordx4 off, v[208:211], off offset:1764 ; 16-byte Folded Spill
	scratch_store_dwordx4 off, v[212:215], off offset:1780 ; 16-byte Folded Spill
	scratch_store_dwordx4 off, v[26:29], off offset:256 ; 16-byte Folded Spill
	s_nop 0
	scratch_store_dwordx4 off, v[30:33], off offset:272 ; 16-byte Folded Spill
	scratch_store_dwordx4 off, v[34:37], off offset:288 ; 16-byte Folded Spill
	;; [unrolled: 1-line block ×7, first 2 shown]
	v_mov_b32_e32 v46, v53
	scratch_store_dwordx4 off, v[26:29], off offset:128 ; 16-byte Folded Spill
	s_nop 0
	scratch_store_dwordx4 off, v[30:33], off offset:144 ; 16-byte Folded Spill
	scratch_store_dwordx4 off, v[34:37], off offset:160 ; 16-byte Folded Spill
	;; [unrolled: 1-line block ×7, first 2 shown]
.LBB44_219:
	s_or_b64 exec, exec, s[0:1]
	v_lshl_add_u32 v45, v253, 2, v252
	s_waitcnt vmcnt(63) expcnt(7) lgkmcnt(15)
	s_barrier
	ds_write_b32 v45, v197
	s_waitcnt lgkmcnt(0)
	s_barrier
	ds_read_b32 v45, v252 offset:52
	s_cmp_lt_i32 s22, 15
	v_mov_b32_e32 v46, 13
	s_cbranch_scc1 .LBB44_222
; %bb.220:
	scratch_load_dword v0, off, off offset:1664 ; 4-byte Folded Reload
	v_mov_b32_e32 v46, 13
	s_mov_b32 s0, 14
	s_waitcnt vmcnt(0)
	v_add3_u32 v47, v0, 0, 56
.LBB44_221:                             ; =>This Inner Loop Header: Depth=1
	ds_read_b32 v48, v47
	v_mov_b32_e32 v49, s0
	s_add_i32 s0, s0, 1
	v_add_u32_e32 v47, 4, v47
	s_cmp_lg_u32 s22, s0
	s_waitcnt lgkmcnt(0)
	v_cmp_lt_f32_e64 vcc, |v45|, |v48|
	s_nop 1
	v_cndmask_b32_e32 v45, v45, v48, vcc
	v_cndmask_b32_e32 v46, v46, v49, vcc
	s_cbranch_scc1 .LBB44_221
.LBB44_222:
	s_waitcnt lgkmcnt(0)
	v_cmp_eq_f32_e32 vcc, 0, v45
	s_and_saveexec_b64 s[0:1], vcc
	s_xor_b64 s[0:1], exec, s[0:1]
; %bb.223:
	v_cmp_ne_u32_e32 vcc, 0, v250
	s_nop 1
	v_cndmask_b32_e32 v250, 14, v250, vcc
; %bb.224:
	s_andn2_saveexec_b64 s[0:1], s[0:1]
	s_cbranch_execz .LBB44_226
; %bb.225:
	v_div_scale_f32 v47, s[2:3], v45, v45, 1.0
	v_rcp_f32_e32 v48, v47
	v_div_scale_f32 v49, vcc, 1.0, v45, 1.0
	v_fma_f32 v50, -v47, v48, 1.0
	v_fmac_f32_e32 v48, v50, v48
	v_mul_f32_e32 v50, v49, v48
	v_fma_f32 v51, -v47, v50, v49
	v_fmac_f32_e32 v50, v51, v48
	v_fma_f32 v47, -v47, v50, v49
	v_div_fmas_f32 v47, v47, v48, v50
	v_div_fixup_f32 v45, v47, v45, 1.0
.LBB44_226:
	s_or_b64 exec, exec, s[0:1]
	v_cmp_ne_u32_e32 vcc, v253, v46
	s_and_saveexec_b64 s[0:1], vcc
	s_xor_b64 s[0:1], exec, s[0:1]
	s_cbranch_execz .LBB44_232
; %bb.227:
	v_cmp_eq_u32_e32 vcc, 13, v253
	s_and_saveexec_b64 s[2:3], vcc
	s_cbranch_execz .LBB44_231
; %bb.228:
	v_cmp_ne_u32_e32 vcc, 13, v46
	s_xor_b64 s[18:19], s[16:17], -1
	s_and_b64 s[20:21], s[18:19], vcc
	s_and_saveexec_b64 s[18:19], s[20:21]
	s_cbranch_execz .LBB44_230
; %bb.229:
	scratch_load_dwordx2 v[52:53], off, off offset:2692 ; 8-byte Folded Reload
	v_ashrrev_i32_e32 v47, 31, v46
	s_waitcnt vmcnt(0)
	v_lshl_add_u64 v[48:49], v[46:47], 2, v[52:53]
	global_load_dword v47, v[48:49], off
	global_load_dword v50, v[52:53], off offset:52
	s_waitcnt vmcnt(1)
	global_store_dword v[52:53], v47, off offset:52
	s_waitcnt vmcnt(1)
	global_store_dword v[48:49], v50, off
.LBB44_230:
	s_or_b64 exec, exec, s[18:19]
	v_mov_b32_e32 v251, v46
	v_mov_b32_e32 v253, v46
.LBB44_231:
	s_or_b64 exec, exec, s[2:3]
.LBB44_232:
	s_andn2_saveexec_b64 s[0:1], s[0:1]
	s_cbranch_execz .LBB44_234
; %bb.233:
	scratch_load_dwordx4 v[110:113], off, off ; 16-byte Folded Reload
	scratch_load_dwordx4 v[114:117], off, off offset:16 ; 16-byte Folded Reload
	scratch_load_dwordx4 v[118:121], off, off offset:32 ; 16-byte Folded Reload
	;; [unrolled: 1-line block ×7, first 2 shown]
	v_mov_b32_e32 v253, 13
	s_waitcnt vmcnt(4)
	v_mov_b64_e32 v[0:1], v[110:111]
	v_mov_b64_e32 v[14:15], v[124:125]
	s_waitcnt vmcnt(2)
	v_mov_b32_e32 v16, v126
	v_mov_b64_e32 v[2:3], v[112:113]
	v_mov_b64_e32 v[4:5], v[114:115]
	;; [unrolled: 1-line block ×6, first 2 shown]
	v_mov_b32_e32 v17, v127
	v_mov_b32_e32 v18, v128
	;; [unrolled: 1-line block ×6, first 2 shown]
	ds_write2_b32 v252, v14, v15 offset0:14 offset1:15
	ds_write2_b32 v252, v16, v17 offset0:16 offset1:17
	;; [unrolled: 1-line block ×4, first 2 shown]
	ds_write_b32 v252, v255 offset:88
.LBB44_234:
	s_or_b64 exec, exec, s[0:1]
	v_cmp_lt_i32_e32 vcc, 13, v253
	s_waitcnt lgkmcnt(0)
	s_barrier
	s_and_saveexec_b64 s[0:1], vcc
	s_cbranch_execz .LBB44_236
; %bb.235:
	ds_read2_b32 v[0:1], v252 offset0:14 offset1:15
	ds_read2_b32 v[2:3], v252 offset0:16 offset1:17
	;; [unrolled: 1-line block ×4, first 2 shown]
	scratch_load_dwordx4 v[10:13], off, off ; 16-byte Folded Reload
	scratch_load_dwordx4 v[14:17], off, off offset:16 ; 16-byte Folded Reload
	scratch_load_dwordx4 v[18:21], off, off offset:32 ; 16-byte Folded Reload
	;; [unrolled: 1-line block ×7, first 2 shown]
	v_mul_f32_e32 v8, v197, v45
	s_waitcnt vmcnt(2)
	v_mov_b32_e32 v32, v192
	v_mov_b32_e32 v33, v193
	s_waitcnt vmcnt(1)
	v_mov_b32_e32 v34, v194
	v_mov_b32_e32 v35, v195
	;; [unrolled: 1-line block ×57, first 2 shown]
	v_mov_b64_e32 v[14:15], v[24:25]
	s_waitcnt lgkmcnt(3)
	v_pk_fma_f32 v[230:231], v[8:9], v[0:1], v[14:15] op_sel_hi:[0,1,1] neg_lo:[1,0,0] neg_hi:[1,0,0]
	v_mov_b64_e32 v[16:17], v[26:27]
	v_mov_b64_e32 v[18:19], v[28:29]
	;; [unrolled: 1-line block ×3, first 2 shown]
	v_mov_b32_e32 v24, v184
	v_mov_b32_e32 v25, v185
	;; [unrolled: 1-line block ×8, first 2 shown]
	s_waitcnt vmcnt(0)
	v_mov_b32_e32 v38, v230
	v_mov_b32_e32 v39, v231
	ds_read_b32 v0, v252 offset:88
	scratch_store_dwordx4 off, v[24:27], off offset:1536 ; 16-byte Folded Spill
	s_nop 0
	scratch_store_dwordx4 off, v[28:31], off offset:1552 ; 16-byte Folded Spill
	scratch_store_dwordx4 off, v[32:35], off offset:1568 ; 16-byte Folded Spill
	;; [unrolled: 1-line block ×7, first 2 shown]
	s_waitcnt lgkmcnt(3)
	v_pk_fma_f32 v[124:125], v[8:9], v[2:3], v[16:17] op_sel_hi:[0,1,1] neg_lo:[1,0,0] neg_hi:[1,0,0]
	s_waitcnt lgkmcnt(2)
	v_pk_fma_f32 v[64:65], v[8:9], v[4:5], v[18:19] op_sel_hi:[0,1,1] neg_lo:[1,0,0] neg_hi:[1,0,0]
	;; [unrolled: 2-line block ×3, first 2 shown]
	v_mov_b32_e32 v14, v188
	v_mov_b32_e32 v15, v189
	;; [unrolled: 1-line block ×49, first 2 shown]
	scratch_store_dwordx4 off, v[10:13], off offset:1024 ; 16-byte Folded Spill
	s_nop 0
	scratch_store_dwordx4 off, v[14:17], off offset:1040 ; 16-byte Folded Spill
	scratch_store_dwordx4 off, v[18:21], off offset:1056 ; 16-byte Folded Spill
	;; [unrolled: 1-line block ×7, first 2 shown]
	v_mov_b32_e32 v24, v184
	v_mov_b32_e32 v25, v185
	;; [unrolled: 1-line block ×6, first 2 shown]
	s_waitcnt lgkmcnt(0)
	v_fma_f32 v22, -v8, v0, v255
	v_mov_b32_e32 v13, v8
	v_mov_b32_e32 v0, v184
	;; [unrolled: 1-line block ×15, first 2 shown]
	scratch_store_dwordx4 off, v[24:27], off offset:512 ; 16-byte Folded Spill
	s_nop 0
	scratch_store_dwordx4 off, v[28:31], off offset:528 ; 16-byte Folded Spill
	scratch_store_dwordx4 off, v[32:35], off offset:544 ; 16-byte Folded Spill
	;; [unrolled: 1-line block ×8, first 2 shown]
	s_nop 0
	scratch_store_dwordx4 off, v[188:191], off offset:1684 ; 16-byte Folded Spill
	scratch_store_dwordx4 off, v[192:195], off offset:1700 ; 16-byte Folded Spill
	;; [unrolled: 1-line block ×7, first 2 shown]
	v_mov_b64_e32 v[184:185], v[14:15]
	v_mov_b32_e32 v192, v22
	v_mov_b64_e32 v[182:183], v[12:13]
	v_mov_b64_e32 v[180:181], v[10:11]
	;; [unrolled: 1-line block ×7, first 2 shown]
	v_mov_b32_e32 v191, v21
	v_mov_b32_e32 v190, v20
	v_mov_b32_e32 v189, v19
	v_mov_b32_e32 v188, v18
	v_mov_b32_e32 v187, v17
	v_mov_b32_e32 v186, v16
	v_mov_b32_e32 v16, v142
	v_mov_b32_e32 v17, v143
	v_mov_b32_e32 v18, v144
	v_mov_b32_e32 v19, v145
	v_mov_b32_e32 v20, v146
	scratch_store_dwordx4 off, v[170:173], off ; 16-byte Folded Spill
	s_nop 0
	scratch_store_dwordx4 off, v[174:177], off offset:16 ; 16-byte Folded Spill
	scratch_store_dwordx4 off, v[178:181], off offset:32 ; 16-byte Folded Spill
	;; [unrolled: 1-line block ×8, first 2 shown]
	s_nop 0
	scratch_store_dwordx4 off, v[112:115], off offset:1296 ; 16-byte Folded Spill
	scratch_store_dwordx4 off, v[116:119], off offset:1312 ; 16-byte Folded Spill
	;; [unrolled: 1-line block ×7, first 2 shown]
	v_mov_b32_e32 v67, v125
	scratch_store_dwordx4 off, v[46:49], off offset:1152 ; 16-byte Folded Spill
	s_nop 0
	scratch_store_dwordx4 off, v[50:53], off offset:1168 ; 16-byte Folded Spill
	scratch_store_dwordx4 off, v[54:57], off offset:1184 ; 16-byte Folded Spill
	;; [unrolled: 1-line block ×7, first 2 shown]
	v_mov_b64_e32 v[0:1], v[126:127]
	v_mov_b64_e32 v[2:3], v[128:129]
	;; [unrolled: 1-line block ×8, first 2 shown]
	v_mov_b32_e32 v46, v146
	v_mov_b32_e32 v75, v65
	scratch_store_dwordx4 off, v[56:59], off offset:256 ; 16-byte Folded Spill
	s_nop 0
	scratch_store_dwordx4 off, v[60:63], off offset:272 ; 16-byte Folded Spill
	scratch_store_dwordx4 off, v[64:67], off offset:288 ; 16-byte Folded Spill
	scratch_store_dwordx4 off, v[68:71], off offset:304 ; 16-byte Folded Spill
	scratch_store_dwordx4 off, v[72:75], off offset:320 ; 16-byte Folded Spill
	scratch_store_dwordx4 off, v[76:79], off offset:336 ; 16-byte Folded Spill
	scratch_store_dwordx4 off, v[80:83], off offset:352 ; 16-byte Folded Spill
	scratch_store_dwordx4 off, v[84:87], off offset:368 ; 16-byte Folded Spill
	scratch_store_dwordx4 off, v[0:3], off offset:384 ; 16-byte Folded Spill
	s_nop 0
	scratch_store_dwordx4 off, v[4:7], off offset:400 ; 16-byte Folded Spill
	scratch_store_dwordx4 off, v[8:11], off offset:416 ; 16-byte Folded Spill
	scratch_store_dwordx4 off, v[12:15], off offset:432 ; 16-byte Folded Spill
	scratch_store_dwordx4 off, v[16:19], off offset:448 ; 16-byte Folded Spill
	scratch_store_dwordx4 off, v[20:23], off offset:464 ; 16-byte Folded Spill
	scratch_store_dwordx4 off, v[24:27], off offset:480 ; 16-byte Folded Spill
	scratch_store_dwordx4 off, v[28:31], off offset:496 ; 16-byte Folded Spill
	;; [unrolled: 9-line block ×3, first 2 shown]
.LBB44_236:
	s_or_b64 exec, exec, s[0:1]
	v_lshl_add_u32 v45, v253, 2, v252
	s_waitcnt vmcnt(63) expcnt(7) lgkmcnt(15)
	s_barrier
	ds_write_b32 v45, v70
	s_waitcnt lgkmcnt(0)
	s_barrier
	ds_read_b32 v45, v252 offset:56
	s_cmp_lt_i32 s22, 16
	v_mov_b32_e32 v46, 14
	s_cbranch_scc1 .LBB44_395
; %bb.237:
	scratch_load_dword v0, off, off offset:1664 ; 4-byte Folded Reload
	scratch_load_dwordx4 v[184:187], off, off offset:1536 ; 16-byte Folded Reload
	scratch_load_dwordx4 v[188:191], off, off offset:1552 ; 16-byte Folded Reload
	;; [unrolled: 1-line block ×8, first 2 shown]
	v_mov_b32_e32 v46, 14
	s_mov_b32 s0, 15
	s_waitcnt vmcnt(8)
	v_add3_u32 v47, v0, 0, 60
.LBB44_238:                             ; =>This Inner Loop Header: Depth=1
	ds_read_b32 v48, v47
	v_mov_b32_e32 v49, s0
	s_add_i32 s0, s0, 1
	v_add_u32_e32 v47, 4, v47
	s_cmp_lg_u32 s22, s0
	s_waitcnt lgkmcnt(0)
	v_cmp_lt_f32_e64 vcc, |v45|, |v48|
	s_nop 1
	v_cndmask_b32_e32 v45, v45, v48, vcc
	v_cndmask_b32_e32 v46, v46, v49, vcc
	s_cbranch_scc1 .LBB44_238
; %bb.239:
	v_cmp_eq_f32_e32 vcc, 0, v45
	s_and_saveexec_b64 s[0:1], vcc
	s_xor_b64 s[0:1], exec, s[0:1]
.LBB44_240:
	v_cmp_ne_u32_e32 vcc, 0, v250
	s_nop 1
	v_cndmask_b32_e32 v250, 15, v250, vcc
.LBB44_241:
	s_andn2_saveexec_b64 s[0:1], s[0:1]
	s_cbranch_execz .LBB44_243
; %bb.242:
	v_div_scale_f32 v47, s[2:3], v45, v45, 1.0
	v_rcp_f32_e32 v48, v47
	v_div_scale_f32 v49, vcc, 1.0, v45, 1.0
	v_fma_f32 v50, -v47, v48, 1.0
	v_fmac_f32_e32 v48, v50, v48
	v_mul_f32_e32 v50, v49, v48
	v_fma_f32 v51, -v47, v50, v49
	v_fmac_f32_e32 v50, v51, v48
	v_fma_f32 v47, -v47, v50, v49
	v_div_fmas_f32 v47, v47, v48, v50
	v_div_fixup_f32 v45, v47, v45, 1.0
.LBB44_243:
	s_or_b64 exec, exec, s[0:1]
	v_cmp_ne_u32_e32 vcc, v253, v46
	s_and_saveexec_b64 s[0:1], vcc
	s_xor_b64 s[0:1], exec, s[0:1]
	s_cbranch_execz .LBB44_249
; %bb.244:
	v_cmp_eq_u32_e32 vcc, 14, v253
	s_and_saveexec_b64 s[2:3], vcc
	s_cbranch_execz .LBB44_248
; %bb.245:
	v_cmp_ne_u32_e32 vcc, 14, v46
	s_xor_b64 s[18:19], s[16:17], -1
	s_and_b64 s[20:21], s[18:19], vcc
	s_and_saveexec_b64 s[18:19], s[20:21]
	s_cbranch_execz .LBB44_247
; %bb.246:
	scratch_load_dwordx2 v[52:53], off, off offset:2692 ; 8-byte Folded Reload
	v_ashrrev_i32_e32 v47, 31, v46
	s_waitcnt vmcnt(0)
	v_lshl_add_u64 v[48:49], v[46:47], 2, v[52:53]
	global_load_dword v47, v[48:49], off
	global_load_dword v50, v[52:53], off offset:56
	s_waitcnt vmcnt(1)
	global_store_dword v[52:53], v47, off offset:56
	s_waitcnt vmcnt(1)
	global_store_dword v[48:49], v50, off
.LBB44_247:
	s_or_b64 exec, exec, s[18:19]
	v_mov_b32_e32 v251, v46
	v_mov_b32_e32 v253, v46
.LBB44_248:
	s_or_b64 exec, exec, s[2:3]
.LBB44_249:
	s_andn2_saveexec_b64 s[0:1], s[0:1]
	s_cbranch_execz .LBB44_251
; %bb.250:
	scratch_load_dwordx4 v[110:113], off, off ; 16-byte Folded Reload
	scratch_load_dwordx4 v[114:117], off, off offset:16 ; 16-byte Folded Reload
	scratch_load_dwordx4 v[118:121], off, off offset:32 ; 16-byte Folded Reload
	;; [unrolled: 1-line block ×7, first 2 shown]
	v_mov_b32_e32 v253, 14
	s_waitcnt vmcnt(4)
	v_mov_b64_e32 v[0:1], v[110:111]
	v_mov_b64_e32 v[14:15], v[124:125]
	s_waitcnt vmcnt(2)
	v_mov_b32_e32 v16, v126
	v_mov_b64_e32 v[2:3], v[112:113]
	v_mov_b64_e32 v[4:5], v[114:115]
	;; [unrolled: 1-line block ×6, first 2 shown]
	v_mov_b32_e32 v17, v127
	v_mov_b32_e32 v18, v128
	;; [unrolled: 1-line block ×6, first 2 shown]
	ds_write2_b32 v252, v15, v16 offset0:15 offset1:16
	ds_write2_b32 v252, v17, v18 offset0:17 offset1:18
	;; [unrolled: 1-line block ×4, first 2 shown]
.LBB44_251:
	s_or_b64 exec, exec, s[0:1]
	v_cmp_lt_i32_e32 vcc, 14, v253
	s_waitcnt lgkmcnt(0)
	s_barrier
	s_and_saveexec_b64 s[0:1], vcc
	s_cbranch_execz .LBB44_253
; %bb.252:
	scratch_load_dwordx4 v[216:219], off, off offset:1668 ; 16-byte Folded Reload
	scratch_load_dwordx4 v[220:223], off, off offset:1684 ; 16-byte Folded Reload
	;; [unrolled: 1-line block ×8, first 2 shown]
	ds_read2_b32 v[0:1], v252 offset0:15 offset1:16
	scratch_load_dwordx4 v[2:5], off, off   ; 16-byte Folded Reload
	scratch_load_dwordx4 v[6:9], off, off offset:16 ; 16-byte Folded Reload
	scratch_load_dwordx4 v[10:13], off, off offset:32 ; 16-byte Folded Reload
	scratch_load_dwordx4 v[14:17], off, off offset:48 ; 16-byte Folded Reload
	scratch_load_dwordx4 v[18:21], off, off offset:64 ; 16-byte Folded Reload
	scratch_load_dwordx4 v[22:25], off, off offset:80 ; 16-byte Folded Reload
	scratch_load_dwordx4 v[26:29], off, off offset:96 ; 16-byte Folded Reload
	scratch_load_dwordx4 v[30:33], off, off offset:112 ; 16-byte Folded Reload
	s_waitcnt vmcnt(7)
	ds_read2_b32 v[4:5], v252 offset0:17 offset1:18
	s_waitcnt vmcnt(6)
	ds_read2_b32 v[6:7], v252 offset0:19 offset1:20
	ds_read2_b32 v[8:9], v252 offset0:21 offset1:22
	v_mul_f32_e32 v230, v70, v45
	s_waitcnt vmcnt(4)
	v_mov_b32_e32 v14, v230
	v_mov_b32_e32 v10, v226
	;; [unrolled: 1-line block ×5, first 2 shown]
	s_waitcnt vmcnt(2)
	v_mov_b32_e32 v15, v17
	v_mov_b32_e32 v16, v18
	;; [unrolled: 1-line block ×8, first 2 shown]
	s_waitcnt lgkmcnt(3)
	v_pk_fma_f32 v[46:47], v[230:231], v[0:1], v[2:3] op_sel_hi:[0,1,1] neg_lo:[1,0,0] neg_hi:[1,0,0]
	v_mov_b32_e32 v0, v17
	v_mov_b32_e32 v1, v18
	;; [unrolled: 1-line block ×4, first 2 shown]
	s_waitcnt lgkmcnt(2)
	v_pk_fma_f32 v[48:49], v[230:231], v[4:5], v[0:1] op_sel_hi:[0,1,1] neg_lo:[1,0,0] neg_hi:[1,0,0]
	v_mov_b32_e32 v0, v19
	v_mov_b32_e32 v1, v20
	s_waitcnt lgkmcnt(1)
	v_pk_fma_f32 v[50:51], v[230:231], v[6:7], v[0:1] op_sel_hi:[0,1,1] neg_lo:[1,0,0] neg_hi:[1,0,0]
	v_mov_b32_e32 v0, v21
	v_mov_b32_e32 v1, v22
	s_waitcnt lgkmcnt(0)
	v_pk_fma_f32 v[254:255], v[230:231], v[8:9], v[0:1] op_sel_hi:[0,1,1] neg_lo:[1,0,0] neg_hi:[1,0,0]
	v_mov_b32_e32 v0, v216
	v_mov_b32_e32 v1, v217
	v_mov_b32_e32 v2, v218
	v_mov_b32_e32 v3, v219
	;; [unrolled: 1-line block ×10, first 2 shown]
	scratch_store_dwordx4 off, v[0:3], off offset:1280 ; 16-byte Folded Spill
	s_nop 0
	scratch_store_dwordx4 off, v[4:7], off offset:1296 ; 16-byte Folded Spill
	scratch_store_dwordx4 off, v[8:11], off offset:1312 ; 16-byte Folded Spill
	;; [unrolled: 1-line block ×5, first 2 shown]
	s_waitcnt vmcnt(7)
	scratch_store_dwordx4 off, v[24:27], off offset:1376 ; 16-byte Folded Spill
	s_waitcnt vmcnt(7)
	scratch_store_dwordx4 off, v[28:31], off offset:1392 ; 16-byte Folded Spill
	v_mov_b32_e32 v17, v48
	v_mov_b32_e32 v45, v50
	;; [unrolled: 1-line block ×7, first 2 shown]
	v_mov_b64_e32 v[184:185], v[216:217]
	v_mov_b64_e32 v[186:187], v[218:219]
	;; [unrolled: 1-line block ×16, first 2 shown]
	scratch_store_dwordx4 off, v[0:3], off offset:1024 ; 16-byte Folded Spill
	s_nop 0
	scratch_store_dwordx4 off, v[4:7], off offset:1040 ; 16-byte Folded Spill
	scratch_store_dwordx4 off, v[8:11], off offset:1056 ; 16-byte Folded Spill
	scratch_store_dwordx4 off, v[12:15], off offset:1072 ; 16-byte Folded Spill
	scratch_store_dwordx4 off, v[16:19], off offset:1088 ; 16-byte Folded Spill
	scratch_store_dwordx4 off, v[20:23], off offset:1104 ; 16-byte Folded Spill
	scratch_store_dwordx4 off, v[24:27], off offset:1120 ; 16-byte Folded Spill
	scratch_store_dwordx4 off, v[28:31], off offset:1136 ; 16-byte Folded Spill
	v_mov_b32_e32 v18, v49
	scratch_store_dwordx4 off, v[0:3], off offset:1152 ; 16-byte Folded Spill
	s_nop 0
	scratch_store_dwordx4 off, v[4:7], off offset:1168 ; 16-byte Folded Spill
	scratch_store_dwordx4 off, v[8:11], off offset:1184 ; 16-byte Folded Spill
	scratch_store_dwordx4 off, v[12:15], off offset:1200 ; 16-byte Folded Spill
	scratch_store_dwordx4 off, v[16:19], off offset:1216 ; 16-byte Folded Spill
	scratch_store_dwordx4 off, v[20:23], off offset:1232 ; 16-byte Folded Spill
	scratch_store_dwordx4 off, v[24:27], off offset:1248 ; 16-byte Folded Spill
	scratch_store_dwordx4 off, v[28:31], off offset:1264 ; 16-byte Folded Spill
	v_mov_b32_e32 v19, v50
	;; [unrolled: 10-line block ×4, first 2 shown]
	v_mov_b32_e32 v22, v255
	scratch_store_dwordx4 off, v[0:3], off  ; 16-byte Folded Spill
	s_nop 0
	scratch_store_dwordx4 off, v[4:7], off offset:16 ; 16-byte Folded Spill
	scratch_store_dwordx4 off, v[8:11], off offset:32 ; 16-byte Folded Spill
	;; [unrolled: 1-line block ×8, first 2 shown]
	s_nop 0
	scratch_store_dwordx4 off, v[30:33], off offset:272 ; 16-byte Folded Spill
	scratch_store_dwordx4 off, v[34:37], off offset:288 ; 16-byte Folded Spill
	;; [unrolled: 1-line block ×7, first 2 shown]
	v_mov_b32_e32 v46, v51
	scratch_store_dwordx4 off, v[26:29], off offset:128 ; 16-byte Folded Spill
	s_nop 0
	scratch_store_dwordx4 off, v[30:33], off offset:144 ; 16-byte Folded Spill
	scratch_store_dwordx4 off, v[34:37], off offset:160 ; 16-byte Folded Spill
	;; [unrolled: 1-line block ×7, first 2 shown]
.LBB44_253:
	s_or_b64 exec, exec, s[0:1]
	v_lshl_add_u32 v45, v253, 2, v252
	s_waitcnt vmcnt(63) expcnt(7) lgkmcnt(15)
	s_barrier
	ds_write_b32 v45, v71
	s_waitcnt lgkmcnt(0)
	s_barrier
	ds_read_b32 v45, v252 offset:60
	s_cmp_lt_i32 s22, 17
	v_mov_b32_e32 v46, 15
	s_cbranch_scc1 .LBB44_256
; %bb.254:
	scratch_load_dword v0, off, off offset:1664 ; 4-byte Folded Reload
	v_mov_b32_e32 v46, 15
	s_mov_b32 s0, 16
	s_waitcnt vmcnt(0)
	v_add3_u32 v23, v0, 0, 64
.LBB44_255:                             ; =>This Inner Loop Header: Depth=1
	ds_read_b32 v47, v23
	v_mov_b32_e32 v48, s0
	s_add_i32 s0, s0, 1
	v_add_u32_e32 v23, 4, v23
	s_cmp_lg_u32 s22, s0
	s_waitcnt lgkmcnt(0)
	v_cmp_lt_f32_e64 vcc, |v45|, |v47|
	s_nop 1
	v_cndmask_b32_e32 v45, v45, v47, vcc
	v_cndmask_b32_e32 v46, v46, v48, vcc
	s_cbranch_scc1 .LBB44_255
.LBB44_256:
	s_waitcnt lgkmcnt(0)
	v_cmp_eq_f32_e32 vcc, 0, v45
	s_and_saveexec_b64 s[0:1], vcc
	s_xor_b64 s[0:1], exec, s[0:1]
; %bb.257:
	v_cmp_ne_u32_e32 vcc, 0, v250
	s_nop 1
	v_cndmask_b32_e32 v250, 16, v250, vcc
; %bb.258:
	s_andn2_saveexec_b64 s[0:1], s[0:1]
	s_cbranch_execz .LBB44_260
; %bb.259:
	v_div_scale_f32 v23, s[2:3], v45, v45, 1.0
	v_rcp_f32_e32 v47, v23
	v_div_scale_f32 v48, vcc, 1.0, v45, 1.0
	v_fma_f32 v49, -v23, v47, 1.0
	v_fmac_f32_e32 v47, v49, v47
	v_mul_f32_e32 v49, v48, v47
	v_fma_f32 v50, -v23, v49, v48
	v_fmac_f32_e32 v49, v50, v47
	v_fma_f32 v23, -v23, v49, v48
	v_div_fmas_f32 v23, v23, v47, v49
	v_div_fixup_f32 v45, v23, v45, 1.0
.LBB44_260:
	s_or_b64 exec, exec, s[0:1]
	v_cmp_ne_u32_e32 vcc, v253, v46
	s_and_saveexec_b64 s[0:1], vcc
	s_xor_b64 s[0:1], exec, s[0:1]
	s_cbranch_execz .LBB44_266
; %bb.261:
	v_cmp_eq_u32_e32 vcc, 15, v253
	s_and_saveexec_b64 s[2:3], vcc
	s_cbranch_execz .LBB44_265
; %bb.262:
	v_cmp_ne_u32_e32 vcc, 15, v46
	s_xor_b64 s[18:19], s[16:17], -1
	s_and_b64 s[20:21], s[18:19], vcc
	s_and_saveexec_b64 s[18:19], s[20:21]
	s_cbranch_execz .LBB44_264
; %bb.263:
	scratch_load_dwordx2 v[50:51], off, off offset:2692 ; 8-byte Folded Reload
	v_ashrrev_i32_e32 v47, 31, v46
	s_waitcnt vmcnt(0)
	v_lshl_add_u64 v[48:49], v[46:47], 2, v[50:51]
	global_load_dword v23, v[48:49], off
	global_load_dword v47, v[50:51], off offset:60
	s_waitcnt vmcnt(1)
	global_store_dword v[50:51], v23, off offset:60
	s_waitcnt vmcnt(1)
	global_store_dword v[48:49], v47, off
.LBB44_264:
	s_or_b64 exec, exec, s[18:19]
	v_mov_b32_e32 v251, v46
	v_mov_b32_e32 v253, v46
.LBB44_265:
	s_or_b64 exec, exec, s[2:3]
.LBB44_266:
	s_andn2_saveexec_b64 s[0:1], s[0:1]
	s_cbranch_execz .LBB44_268
; %bb.267:
	scratch_load_dwordx4 v[110:113], off, off ; 16-byte Folded Reload
	scratch_load_dwordx4 v[114:117], off, off offset:16 ; 16-byte Folded Reload
	scratch_load_dwordx4 v[118:121], off, off offset:32 ; 16-byte Folded Reload
	;; [unrolled: 1-line block ×7, first 2 shown]
	v_mov_b32_e32 v253, 15
	s_waitcnt vmcnt(2)
	v_mov_b32_e32 v16, v126
	v_mov_b32_e32 v17, v127
	;; [unrolled: 1-line block ×7, first 2 shown]
	ds_write2_b32 v252, v16, v17 offset0:16 offset1:17
	ds_write2_b32 v252, v18, v19 offset0:18 offset1:19
	;; [unrolled: 1-line block ×3, first 2 shown]
	ds_write_b32 v252, v255 offset:88
.LBB44_268:
	s_or_b64 exec, exec, s[0:1]
	v_cmp_lt_i32_e32 vcc, 15, v253
	s_waitcnt lgkmcnt(0)
	s_barrier
	s_and_saveexec_b64 s[0:1], vcc
	s_cbranch_execz .LBB44_270
; %bb.269:
	ds_read2_b32 v[0:1], v252 offset0:16 offset1:17
	ds_read2_b32 v[2:3], v252 offset0:18 offset1:19
	;; [unrolled: 1-line block ×3, first 2 shown]
	ds_read_b32 v6, v252 offset:88
	scratch_load_dwordx4 v[8:11], off, off  ; 16-byte Folded Reload
	scratch_load_dwordx4 v[12:15], off, off offset:16 ; 16-byte Folded Reload
	scratch_load_dwordx4 v[16:19], off, off offset:32 ; 16-byte Folded Reload
	;; [unrolled: 1-line block ×7, first 2 shown]
	v_mul_f32_e32 v44, v71, v45
	v_mov_b32_e32 v7, v223
	s_waitcnt vmcnt(7)
	v_mov_b32_e32 v8, v224
	s_waitcnt vmcnt(4) lgkmcnt(0)
	v_fma_f32 v22, -v44, v6, v255
	v_mov_b32_e32 v6, v222
	v_mov_b32_e32 v9, v225
	;; [unrolled: 1-line block ×9, first 2 shown]
	v_mov_b64_e32 v[184:185], v[216:217]
	v_mov_b32_e32 v108, v216
	v_mov_b32_e32 v109, v217
	;; [unrolled: 1-line block ×15, first 2 shown]
	s_waitcnt vmcnt(1)
	v_mov_b32_e32 v32, v224
	v_mov_b32_e32 v33, v225
	;; [unrolled: 1-line block ×4, first 2 shown]
	s_waitcnt vmcnt(0)
	v_mov_b32_e32 v36, v228
	v_mov_b32_e32 v37, v229
	;; [unrolled: 1-line block ×18, first 2 shown]
	v_mov_b64_e32 v[186:187], v[218:219]
	v_mov_b64_e32 v[188:189], v[220:221]
	;; [unrolled: 1-line block ×15, first 2 shown]
	v_mov_b32_e32 v123, v44
	v_mov_b32_e32 v39, v44
	;; [unrolled: 1-line block ×3, first 2 shown]
	v_mov_b64_e32 v[16:17], v[24:25]
	v_mov_b64_e32 v[18:19], v[26:27]
	;; [unrolled: 1-line block ×3, first 2 shown]
	v_pk_fma_f32 v[124:125], v[44:45], v[0:1], v[16:17] op_sel_hi:[0,1,1] neg_lo:[1,0,0] neg_hi:[1,0,0]
	v_pk_fma_f32 v[42:43], v[44:45], v[2:3], v[18:19] op_sel_hi:[0,1,1] neg_lo:[1,0,0] neg_hi:[1,0,0]
	;; [unrolled: 1-line block ×3, first 2 shown]
	v_mov_b32_e32 v0, v216
	v_mov_b32_e32 v1, v217
	;; [unrolled: 1-line block ×8, first 2 shown]
	scratch_store_dwordx4 off, v[0:3], off offset:1024 ; 16-byte Folded Spill
	s_nop 0
	scratch_store_dwordx4 off, v[4:7], off offset:1040 ; 16-byte Folded Spill
	scratch_store_dwordx4 off, v[8:11], off offset:1056 ; 16-byte Folded Spill
	;; [unrolled: 1-line block ×7, first 2 shown]
	v_mov_b32_e32 v16, v124
	v_mov_b32_e32 v24, v216
	;; [unrolled: 1-line block ×20, first 2 shown]
	scratch_store_dwordx4 off, v[0:3], off offset:512 ; 16-byte Folded Spill
	s_nop 0
	scratch_store_dwordx4 off, v[4:7], off offset:528 ; 16-byte Folded Spill
	scratch_store_dwordx4 off, v[8:11], off offset:544 ; 16-byte Folded Spill
	;; [unrolled: 1-line block ×7, first 2 shown]
	v_mov_b32_e32 v16, v124
	v_mov_b32_e32 v17, v125
	;; [unrolled: 1-line block ×5, first 2 shown]
	v_mov_b64_e32 v[230:231], v[14:15]
	v_mov_b32_e32 v238, v22
	v_mov_b64_e32 v[228:229], v[12:13]
	v_mov_b64_e32 v[226:227], v[10:11]
	;; [unrolled: 1-line block ×7, first 2 shown]
	v_mov_b32_e32 v237, v21
	v_mov_b32_e32 v236, v20
	;; [unrolled: 1-line block ×6, first 2 shown]
	scratch_store_dwordx4 off, v[216:219], off ; 16-byte Folded Spill
	s_nop 0
	scratch_store_dwordx4 off, v[220:223], off offset:16 ; 16-byte Folded Spill
	scratch_store_dwordx4 off, v[224:227], off offset:32 ; 16-byte Folded Spill
	scratch_store_dwordx4 off, v[228:231], off offset:48 ; 16-byte Folded Spill
	scratch_store_dwordx4 off, v[232:235], off offset:64 ; 16-byte Folded Spill
	scratch_store_dwordx4 off, v[236:239], off offset:80 ; 16-byte Folded Spill
	scratch_store_dwordx4 off, v[240:243], off offset:96 ; 16-byte Folded Spill
	scratch_store_dwordx4 off, v[244:247], off offset:112 ; 16-byte Folded Spill
	scratch_store_dwordx4 off, v[108:111], off offset:1280 ; 16-byte Folded Spill
	s_nop 0
	scratch_store_dwordx4 off, v[112:115], off offset:1296 ; 16-byte Folded Spill
	scratch_store_dwordx4 off, v[116:119], off offset:1312 ; 16-byte Folded Spill
	scratch_store_dwordx4 off, v[120:123], off offset:1328 ; 16-byte Folded Spill
	scratch_store_dwordx4 off, v[124:127], off offset:1344 ; 16-byte Folded Spill
	scratch_store_dwordx4 off, v[128:131], off offset:1360 ; 16-byte Folded Spill
	scratch_store_dwordx4 off, v[132:135], off offset:1376 ; 16-byte Folded Spill
	scratch_store_dwordx4 off, v[136:139], off offset:1392 ; 16-byte Folded Spill
	scratch_store_dwordx4 off, v[24:27], off offset:1152 ; 16-byte Folded Spill
	;; [unrolled: 9-line block ×3, first 2 shown]
	s_nop 0
	scratch_store_dwordx4 off, v[28:31], off offset:272 ; 16-byte Folded Spill
	scratch_store_dwordx4 off, v[32:35], off offset:288 ; 16-byte Folded Spill
	scratch_store_dwordx4 off, v[36:39], off offset:304 ; 16-byte Folded Spill
	scratch_store_dwordx4 off, v[40:43], off offset:320 ; 16-byte Folded Spill
	scratch_store_dwordx4 off, v[44:47], off offset:336 ; 16-byte Folded Spill
	scratch_store_dwordx4 off, v[48:51], off offset:352 ; 16-byte Folded Spill
	scratch_store_dwordx4 off, v[52:55], off offset:368 ; 16-byte Folded Spill
	v_mov_b32_e32 v16, v142
	v_mov_b32_e32 v17, v143
	;; [unrolled: 1-line block ×7, first 2 shown]
	v_mov_b64_e32 v[0:1], v[126:127]
	v_mov_b64_e32 v[2:3], v[128:129]
	;; [unrolled: 1-line block ×8, first 2 shown]
	scratch_store_dwordx4 off, v[0:3], off offset:384 ; 16-byte Folded Spill
	s_nop 0
	scratch_store_dwordx4 off, v[4:7], off offset:400 ; 16-byte Folded Spill
	scratch_store_dwordx4 off, v[8:11], off offset:416 ; 16-byte Folded Spill
	scratch_store_dwordx4 off, v[12:15], off offset:432 ; 16-byte Folded Spill
	scratch_store_dwordx4 off, v[16:19], off offset:448 ; 16-byte Folded Spill
	scratch_store_dwordx4 off, v[20:23], off offset:464 ; 16-byte Folded Spill
	scratch_store_dwordx4 off, v[24:27], off offset:480 ; 16-byte Folded Spill
	scratch_store_dwordx4 off, v[28:31], off offset:496 ; 16-byte Folded Spill
	v_mov_b32_e32 v67, v125
	scratch_store_dwordx4 off, v[26:29], off offset:128 ; 16-byte Folded Spill
	s_nop 0
	scratch_store_dwordx4 off, v[30:33], off offset:144 ; 16-byte Folded Spill
	scratch_store_dwordx4 off, v[34:37], off offset:160 ; 16-byte Folded Spill
	;; [unrolled: 1-line block ×7, first 2 shown]
.LBB44_270:
	s_or_b64 exec, exec, s[0:1]
	v_lshl_add_u32 v23, v253, 2, v252
	s_waitcnt vmcnt(63) expcnt(7) lgkmcnt(15)
	s_barrier
	ds_write_b32 v23, v72
	s_waitcnt lgkmcnt(0)
	s_barrier
	ds_read_b32 v23, v252 offset:64
	s_cmp_lt_i32 s22, 18
	v_mov_b32_e32 v46, 16
	s_cbranch_scc1 .LBB44_396
; %bb.271:
	scratch_load_dwordx4 v[216:219], off, off ; 16-byte Folded Reload
	scratch_load_dwordx4 v[220:223], off, off offset:16 ; 16-byte Folded Reload
	scratch_load_dwordx4 v[224:227], off, off offset:32 ; 16-byte Folded Reload
	;; [unrolled: 1-line block ×7, first 2 shown]
	v_add_u32_e32 v45, 0x44, v252
	v_mov_b32_e32 v46, 16
	s_mov_b32 s0, 17
	s_waitcnt vmcnt(4)
	v_mov_b64_e32 v[0:1], v[216:217]
	v_mov_b64_e32 v[2:3], v[218:219]
	s_waitcnt vmcnt(2)
	v_mov_b32_e32 v16, v232
	v_mov_b64_e32 v[4:5], v[220:221]
	v_mov_b64_e32 v[6:7], v[222:223]
	;; [unrolled: 1-line block ×6, first 2 shown]
	v_mov_b32_e32 v17, v233
	v_mov_b32_e32 v18, v234
	;; [unrolled: 1-line block ×6, first 2 shown]
.LBB44_272:                             ; =>This Inner Loop Header: Depth=1
	ds_read_b32 v47, v45
	v_mov_b32_e32 v48, s0
	s_add_i32 s0, s0, 1
	v_add_u32_e32 v45, 4, v45
	s_cmp_lg_u32 s22, s0
	s_waitcnt lgkmcnt(0)
	v_cmp_lt_f32_e64 vcc, |v23|, |v47|
	s_nop 1
	v_cndmask_b32_e32 v23, v23, v47, vcc
	v_cndmask_b32_e32 v46, v46, v48, vcc
	s_cbranch_scc1 .LBB44_272
; %bb.273:
	v_cmp_eq_f32_e32 vcc, 0, v23
	s_and_saveexec_b64 s[0:1], vcc
	s_xor_b64 s[0:1], exec, s[0:1]
.LBB44_274:
	v_cmp_ne_u32_e32 vcc, 0, v250
	s_nop 1
	v_cndmask_b32_e32 v250, 17, v250, vcc
.LBB44_275:
	s_andn2_saveexec_b64 s[0:1], s[0:1]
	s_cbranch_execz .LBB44_277
; %bb.276:
	v_div_scale_f32 v45, s[2:3], v23, v23, 1.0
	v_rcp_f32_e32 v47, v45
	v_div_scale_f32 v48, vcc, 1.0, v23, 1.0
	v_fma_f32 v49, -v45, v47, 1.0
	v_fmac_f32_e32 v47, v49, v47
	v_mul_f32_e32 v49, v48, v47
	v_fma_f32 v50, -v45, v49, v48
	v_fmac_f32_e32 v49, v50, v47
	v_fma_f32 v45, -v45, v49, v48
	v_div_fmas_f32 v45, v45, v47, v49
	v_div_fixup_f32 v23, v45, v23, 1.0
.LBB44_277:
	s_or_b64 exec, exec, s[0:1]
	v_cmp_ne_u32_e32 vcc, v253, v46
	s_and_saveexec_b64 s[0:1], vcc
	s_xor_b64 s[0:1], exec, s[0:1]
	s_cbranch_execz .LBB44_283
; %bb.278:
	v_cmp_eq_u32_e32 vcc, 16, v253
	s_and_saveexec_b64 s[2:3], vcc
	s_cbranch_execz .LBB44_282
; %bb.279:
	v_cmp_ne_u32_e32 vcc, 16, v46
	s_xor_b64 s[18:19], s[16:17], -1
	s_and_b64 s[20:21], s[18:19], vcc
	s_and_saveexec_b64 s[18:19], s[20:21]
	s_cbranch_execz .LBB44_281
; %bb.280:
	scratch_load_dwordx2 v[50:51], off, off offset:2692 ; 8-byte Folded Reload
	v_ashrrev_i32_e32 v47, 31, v46
	s_waitcnt vmcnt(0)
	v_lshl_add_u64 v[48:49], v[46:47], 2, v[50:51]
	global_load_dword v45, v[48:49], off
	global_load_dword v47, v[50:51], off offset:64
	s_waitcnt vmcnt(1)
	global_store_dword v[50:51], v45, off offset:64
	s_waitcnt vmcnt(1)
	global_store_dword v[48:49], v47, off
.LBB44_281:
	s_or_b64 exec, exec, s[18:19]
	v_mov_b32_e32 v251, v46
	v_mov_b32_e32 v253, v46
.LBB44_282:
	s_or_b64 exec, exec, s[2:3]
.LBB44_283:
	s_andn2_saveexec_b64 s[0:1], s[0:1]
	s_cbranch_execz .LBB44_285
; %bb.284:
	v_mov_b32_e32 v253, 16
	ds_write2_b32 v252, v17, v18 offset0:17 offset1:18
	ds_write2_b32 v252, v19, v20 offset0:19 offset1:20
	;; [unrolled: 1-line block ×3, first 2 shown]
.LBB44_285:
	s_or_b64 exec, exec, s[0:1]
	v_cmp_lt_i32_e32 vcc, 16, v253
	s_waitcnt lgkmcnt(0)
	s_barrier
	s_and_saveexec_b64 s[0:1], vcc
	s_cbranch_execz .LBB44_287
; %bb.286:
	ds_read2_b32 v[0:1], v252 offset0:17 offset1:18
	ds_read2_b32 v[4:5], v252 offset0:19 offset1:20
	;; [unrolled: 1-line block ×3, first 2 shown]
	v_mul_f32_e32 v200, v72, v23
	v_mov_b32_e32 v2, v17
	v_mov_b32_e32 v3, v18
	s_waitcnt lgkmcnt(2)
	v_pk_fma_f32 v[46:47], v[200:201], v[0:1], v[2:3] op_sel_hi:[0,1,1] neg_lo:[1,0,0] neg_hi:[1,0,0]
	v_mov_b32_e32 v0, v19
	v_mov_b32_e32 v1, v20
	s_waitcnt lgkmcnt(1)
	v_pk_fma_f32 v[48:49], v[200:201], v[4:5], v[0:1] op_sel_hi:[0,1,1] neg_lo:[1,0,0] neg_hi:[1,0,0]
	;; [unrolled: 4-line block ×3, first 2 shown]
	v_mov_b32_e32 v0, v184
	v_mov_b32_e32 v1, v185
	;; [unrolled: 1-line block ×19, first 2 shown]
	scratch_store_dwordx4 off, v[0:3], off offset:1152 ; 16-byte Folded Spill
	s_nop 0
	scratch_store_dwordx4 off, v[4:7], off offset:1168 ; 16-byte Folded Spill
	scratch_store_dwordx4 off, v[8:11], off offset:1184 ; 16-byte Folded Spill
	;; [unrolled: 1-line block ×7, first 2 shown]
	v_mov_b32_e32 v19, v48
	v_mov_b32_e32 v201, v46
	;; [unrolled: 1-line block ×5, first 2 shown]
	scratch_store_dwordx4 off, v[0:3], off offset:512 ; 16-byte Folded Spill
	s_nop 0
	scratch_store_dwordx4 off, v[4:7], off offset:528 ; 16-byte Folded Spill
	scratch_store_dwordx4 off, v[8:11], off offset:544 ; 16-byte Folded Spill
	;; [unrolled: 1-line block ×7, first 2 shown]
	v_mov_b32_e32 v20, v49
	scratch_store_dwordx4 off, v[0:3], off offset:384 ; 16-byte Folded Spill
	s_nop 0
	scratch_store_dwordx4 off, v[4:7], off offset:400 ; 16-byte Folded Spill
	scratch_store_dwordx4 off, v[8:11], off offset:416 ; 16-byte Folded Spill
	;; [unrolled: 1-line block ×7, first 2 shown]
	v_mov_b32_e32 v21, v254
	v_mov_b32_e32 v22, v255
	;; [unrolled: 1-line block ×3, first 2 shown]
	scratch_store_dwordx4 off, v[184:187], off offset:1024 ; 16-byte Folded Spill
	s_nop 0
	scratch_store_dwordx4 off, v[188:191], off offset:1040 ; 16-byte Folded Spill
	scratch_store_dwordx4 off, v[192:195], off offset:1056 ; 16-byte Folded Spill
	scratch_store_dwordx4 off, v[196:199], off offset:1072 ; 16-byte Folded Spill
	scratch_store_dwordx4 off, v[200:203], off offset:1088 ; 16-byte Folded Spill
	scratch_store_dwordx4 off, v[204:207], off offset:1104 ; 16-byte Folded Spill
	scratch_store_dwordx4 off, v[208:211], off offset:1120 ; 16-byte Folded Spill
	scratch_store_dwordx4 off, v[212:215], off offset:1136 ; 16-byte Folded Spill
	scratch_store_dwordx4 off, v[184:187], off offset:1280 ; 16-byte Folded Spill
	s_nop 0
	scratch_store_dwordx4 off, v[188:191], off offset:1296 ; 16-byte Folded Spill
	scratch_store_dwordx4 off, v[192:195], off offset:1312 ; 16-byte Folded Spill
	scratch_store_dwordx4 off, v[196:199], off offset:1328 ; 16-byte Folded Spill
	scratch_store_dwordx4 off, v[200:203], off offset:1344 ; 16-byte Folded Spill
	scratch_store_dwordx4 off, v[204:207], off offset:1360 ; 16-byte Folded Spill
	scratch_store_dwordx4 off, v[208:211], off offset:1376 ; 16-byte Folded Spill
	scratch_store_dwordx4 off, v[212:215], off offset:1392 ; 16-byte Folded Spill
	;; [unrolled: 9-line block ×4, first 2 shown]
.LBB44_287:
	s_or_b64 exec, exec, s[0:1]
	v_lshl_add_u32 v23, v253, 2, v252
	s_barrier
	ds_write_b32 v23, v67
	s_waitcnt lgkmcnt(0)
	s_barrier
	ds_read_b32 v23, v252 offset:68
	s_cmp_lt_i32 s22, 19
	v_mov_b32_e32 v46, 17
	s_cbranch_scc1 .LBB44_397
; %bb.288:
	scratch_load_dwordx4 v[184:187], off, off offset:1152 ; 16-byte Folded Reload
	scratch_load_dwordx4 v[188:191], off, off offset:1168 ; 16-byte Folded Reload
	;; [unrolled: 1-line block ×8, first 2 shown]
	v_add_u32_e32 v45, 0x48, v252
	v_mov_b32_e32 v46, 17
	s_mov_b32 s0, 18
.LBB44_289:                             ; =>This Inner Loop Header: Depth=1
	ds_read_b32 v47, v45
	v_mov_b32_e32 v48, s0
	s_add_i32 s0, s0, 1
	v_add_u32_e32 v45, 4, v45
	s_cmp_lg_u32 s22, s0
	s_waitcnt lgkmcnt(0)
	v_cmp_lt_f32_e64 vcc, |v23|, |v47|
	s_nop 1
	v_cndmask_b32_e32 v23, v23, v47, vcc
	v_cndmask_b32_e32 v46, v46, v48, vcc
	s_cbranch_scc1 .LBB44_289
; %bb.290:
	v_cmp_eq_f32_e32 vcc, 0, v23
	s_and_saveexec_b64 s[0:1], vcc
	s_xor_b64 s[0:1], exec, s[0:1]
.LBB44_291:
	v_cmp_ne_u32_e32 vcc, 0, v250
	s_nop 1
	v_cndmask_b32_e32 v250, 18, v250, vcc
.LBB44_292:
	s_andn2_saveexec_b64 s[0:1], s[0:1]
	s_cbranch_execz .LBB44_294
; %bb.293:
	v_div_scale_f32 v45, s[2:3], v23, v23, 1.0
	v_rcp_f32_e32 v47, v45
	v_div_scale_f32 v48, vcc, 1.0, v23, 1.0
	v_fma_f32 v49, -v45, v47, 1.0
	v_fmac_f32_e32 v47, v49, v47
	v_mul_f32_e32 v49, v48, v47
	v_fma_f32 v50, -v45, v49, v48
	v_fmac_f32_e32 v49, v50, v47
	v_fma_f32 v45, -v45, v49, v48
	v_div_fmas_f32 v45, v45, v47, v49
	v_div_fixup_f32 v23, v45, v23, 1.0
.LBB44_294:
	s_or_b64 exec, exec, s[0:1]
	v_cmp_ne_u32_e32 vcc, v253, v46
	s_and_saveexec_b64 s[0:1], vcc
	s_xor_b64 s[0:1], exec, s[0:1]
	s_cbranch_execz .LBB44_300
; %bb.295:
	v_cmp_eq_u32_e32 vcc, 17, v253
	s_and_saveexec_b64 s[2:3], vcc
	s_cbranch_execz .LBB44_299
; %bb.296:
	v_cmp_ne_u32_e32 vcc, 17, v46
	s_xor_b64 s[18:19], s[16:17], -1
	s_and_b64 s[20:21], s[18:19], vcc
	s_and_saveexec_b64 s[18:19], s[20:21]
	s_cbranch_execz .LBB44_298
; %bb.297:
	scratch_load_dwordx2 v[50:51], off, off offset:2692 ; 8-byte Folded Reload
	v_ashrrev_i32_e32 v47, 31, v46
	s_waitcnt vmcnt(0)
	v_lshl_add_u64 v[48:49], v[46:47], 2, v[50:51]
	global_load_dword v45, v[48:49], off
	global_load_dword v47, v[50:51], off offset:68
	s_waitcnt vmcnt(1)
	global_store_dword v[50:51], v45, off offset:68
	s_waitcnt vmcnt(1)
	global_store_dword v[48:49], v47, off
.LBB44_298:
	s_or_b64 exec, exec, s[18:19]
	v_mov_b32_e32 v251, v46
	v_mov_b32_e32 v253, v46
.LBB44_299:
	s_or_b64 exec, exec, s[2:3]
.LBB44_300:
	s_andn2_saveexec_b64 s[0:1], s[0:1]
	s_cbranch_execz .LBB44_302
; %bb.301:
	v_mov_b32_e32 v253, 17
	ds_write2_b32 v252, v18, v19 offset0:18 offset1:19
	ds_write2_b32 v252, v20, v21 offset0:20 offset1:21
	ds_write_b32 v252, v255 offset:88
.LBB44_302:
	s_or_b64 exec, exec, s[0:1]
	v_cmp_lt_i32_e32 vcc, 17, v253
	s_waitcnt lgkmcnt(0)
	s_barrier
	s_and_saveexec_b64 s[0:1], vcc
	s_cbranch_execz .LBB44_304
; %bb.303:
	ds_read2_b32 v[0:1], v252 offset0:18 offset1:19
	ds_read2_b32 v[2:3], v252 offset0:20 offset1:21
	ds_read_b32 v4, v252 offset:88
	scratch_load_dwordx4 v[152:155], off, off offset:1280 ; 16-byte Folded Reload
	scratch_load_dwordx4 v[156:159], off, off offset:1296 ; 16-byte Folded Reload
	;; [unrolled: 1-line block ×8, first 2 shown]
	v_mul_f32_e32 v46, v67, v23
	s_waitcnt vmcnt(11) lgkmcnt(2)
	v_pk_fma_f32 v[202:203], v[46:47], v[0:1], v[18:19] op_sel_hi:[0,1,1] neg_lo:[1,0,0] neg_hi:[1,0,0]
	s_waitcnt lgkmcnt(1)
	v_pk_fma_f32 v[44:45], v[46:47], v[2:3], v[20:21] op_sel_hi:[0,1,1] neg_lo:[1,0,0] neg_hi:[1,0,0]
	s_waitcnt lgkmcnt(0)
	v_fma_f32 v22, -v46, v4, v255
	v_mov_b32_e32 v17, v46
	v_mov_b32_e32 v18, v202
	v_mov_b32_e32 v19, v203
	s_waitcnt vmcnt(3)
	v_mov_b32_e32 v169, v46
	v_mov_b32_e32 v75, v203
	;; [unrolled: 1-line block ×25, first 2 shown]
	scratch_store_dwordx4 off, v[0:3], off offset:512 ; 16-byte Folded Spill
	s_nop 0
	scratch_store_dwordx4 off, v[4:7], off offset:528 ; 16-byte Folded Spill
	scratch_store_dwordx4 off, v[8:11], off offset:544 ; 16-byte Folded Spill
	;; [unrolled: 1-line block ×7, first 2 shown]
	v_mov_b32_e32 v184, v152
	v_mov_b32_e32 v185, v153
	;; [unrolled: 1-line block ×34, first 2 shown]
	scratch_store_dwordx4 off, v[152:155], off offset:1024 ; 16-byte Folded Spill
	s_nop 0
	scratch_store_dwordx4 off, v[156:159], off offset:1040 ; 16-byte Folded Spill
	scratch_store_dwordx4 off, v[160:163], off offset:1056 ; 16-byte Folded Spill
	;; [unrolled: 1-line block ×4, first 2 shown]
	s_waitcnt vmcnt(15)
	scratch_store_dwordx4 off, v[172:175], off offset:1104 ; 16-byte Folded Spill
	s_waitcnt vmcnt(15)
	scratch_store_dwordx4 off, v[176:179], off offset:1120 ; 16-byte Folded Spill
	;; [unrolled: 2-line block ×3, first 2 shown]
	scratch_store_dwordx4 off, v[56:59], off offset:256 ; 16-byte Folded Spill
	s_nop 0
	scratch_store_dwordx4 off, v[60:63], off offset:272 ; 16-byte Folded Spill
	scratch_store_dwordx4 off, v[64:67], off offset:288 ; 16-byte Folded Spill
	;; [unrolled: 1-line block ×7, first 2 shown]
	v_mov_b64_e32 v[60:61], v[38:39]
	v_mov_b32_e32 v66, v44
	v_mov_b64_e32 v[58:59], v[36:37]
	v_mov_b64_e32 v[56:57], v[34:35]
	;; [unrolled: 1-line block ×7, first 2 shown]
	v_mov_b32_e32 v65, v43
	v_mov_b32_e32 v64, v42
	v_mov_b32_e32 v63, v41
	v_mov_b32_e32 v62, v40
	v_mov_b32_e32 v20, v44
	v_mov_b32_e32 v21, v45
	scratch_store_dwordx4 off, v[46:49], off offset:384 ; 16-byte Folded Spill
	s_nop 0
	scratch_store_dwordx4 off, v[50:53], off offset:400 ; 16-byte Folded Spill
	scratch_store_dwordx4 off, v[54:57], off offset:416 ; 16-byte Folded Spill
	;; [unrolled: 1-line block ×7, first 2 shown]
	v_mov_b32_e32 v255, v22
	v_mov_b32_e32 v46, v44
	scratch_store_dwordx4 off, v[26:29], off offset:128 ; 16-byte Folded Spill
	s_nop 0
	scratch_store_dwordx4 off, v[30:33], off offset:144 ; 16-byte Folded Spill
	scratch_store_dwordx4 off, v[34:37], off offset:160 ; 16-byte Folded Spill
	scratch_store_dwordx4 off, v[38:41], off offset:176 ; 16-byte Folded Spill
	scratch_store_dwordx4 off, v[42:45], off offset:192 ; 16-byte Folded Spill
	scratch_store_dwordx4 off, v[46:49], off offset:208 ; 16-byte Folded Spill
	scratch_store_dwordx4 off, v[50:53], off offset:224 ; 16-byte Folded Spill
	scratch_store_dwordx4 off, v[54:57], off offset:240 ; 16-byte Folded Spill
.LBB44_304:
	s_or_b64 exec, exec, s[0:1]
	v_lshl_add_u32 v23, v253, 2, v252
	s_barrier
	ds_write_b32 v23, v88
	s_waitcnt lgkmcnt(0)
	s_barrier
	ds_read_b32 v23, v252 offset:72
	s_cmp_lt_i32 s22, 20
	v_mov_b32_e32 v46, 18
	s_cbranch_scc1 .LBB44_307
; %bb.305:
	v_add_u32_e32 v45, 0x4c, v252
	v_mov_b32_e32 v46, 18
	s_mov_b32 s0, 19
.LBB44_306:                             ; =>This Inner Loop Header: Depth=1
	ds_read_b32 v47, v45
	v_mov_b32_e32 v48, s0
	s_add_i32 s0, s0, 1
	v_add_u32_e32 v45, 4, v45
	s_cmp_lg_u32 s22, s0
	s_waitcnt lgkmcnt(0)
	v_cmp_lt_f32_e64 vcc, |v23|, |v47|
	s_nop 1
	v_cndmask_b32_e32 v23, v23, v47, vcc
	v_cndmask_b32_e32 v46, v46, v48, vcc
	s_cbranch_scc1 .LBB44_306
.LBB44_307:
	s_waitcnt lgkmcnt(0)
	v_cmp_eq_f32_e32 vcc, 0, v23
	s_and_saveexec_b64 s[0:1], vcc
	s_xor_b64 s[0:1], exec, s[0:1]
; %bb.308:
	v_cmp_ne_u32_e32 vcc, 0, v250
	s_nop 1
	v_cndmask_b32_e32 v250, 19, v250, vcc
; %bb.309:
	s_andn2_saveexec_b64 s[0:1], s[0:1]
	s_cbranch_execz .LBB44_311
; %bb.310:
	v_div_scale_f32 v45, s[2:3], v23, v23, 1.0
	v_rcp_f32_e32 v47, v45
	v_div_scale_f32 v48, vcc, 1.0, v23, 1.0
	v_fma_f32 v49, -v45, v47, 1.0
	v_fmac_f32_e32 v47, v49, v47
	v_mul_f32_e32 v49, v48, v47
	v_fma_f32 v50, -v45, v49, v48
	v_fmac_f32_e32 v49, v50, v47
	v_fma_f32 v45, -v45, v49, v48
	v_div_fmas_f32 v45, v45, v47, v49
	v_div_fixup_f32 v23, v45, v23, 1.0
.LBB44_311:
	s_or_b64 exec, exec, s[0:1]
	v_cmp_ne_u32_e32 vcc, v253, v46
	s_and_saveexec_b64 s[0:1], vcc
	s_xor_b64 s[0:1], exec, s[0:1]
	s_cbranch_execz .LBB44_317
; %bb.312:
	v_cmp_eq_u32_e32 vcc, 18, v253
	s_and_saveexec_b64 s[2:3], vcc
	s_cbranch_execz .LBB44_316
; %bb.313:
	v_cmp_ne_u32_e32 vcc, 18, v46
	s_xor_b64 s[18:19], s[16:17], -1
	s_and_b64 s[20:21], s[18:19], vcc
	s_and_saveexec_b64 s[18:19], s[20:21]
	s_cbranch_execz .LBB44_315
; %bb.314:
	scratch_load_dwordx2 v[50:51], off, off offset:2692 ; 8-byte Folded Reload
	v_ashrrev_i32_e32 v47, 31, v46
	s_waitcnt vmcnt(0)
	v_lshl_add_u64 v[48:49], v[46:47], 2, v[50:51]
	global_load_dword v45, v[48:49], off
	global_load_dword v47, v[50:51], off offset:72
	s_waitcnt vmcnt(1)
	global_store_dword v[50:51], v45, off offset:72
	s_waitcnt vmcnt(1)
	global_store_dword v[48:49], v47, off
.LBB44_315:
	s_or_b64 exec, exec, s[18:19]
	v_mov_b32_e32 v251, v46
	v_mov_b32_e32 v253, v46
.LBB44_316:
	s_or_b64 exec, exec, s[2:3]
.LBB44_317:
	s_andn2_saveexec_b64 s[0:1], s[0:1]
	s_cbranch_execz .LBB44_319
; %bb.318:
	v_mov_b32_e32 v253, 18
	ds_write2_b32 v252, v19, v20 offset0:19 offset1:20
	ds_write2_b32 v252, v21, v22 offset0:21 offset1:22
.LBB44_319:
	s_or_b64 exec, exec, s[0:1]
	v_cmp_lt_i32_e32 vcc, 18, v253
	s_waitcnt lgkmcnt(0)
	s_barrier
	s_and_saveexec_b64 s[0:1], vcc
	s_cbranch_execz .LBB44_321
; %bb.320:
	ds_read2_b32 v[0:1], v252 offset0:19 offset1:20
	scratch_load_dwordx4 v[184:187], off, off offset:1024 ; 16-byte Folded Reload
	scratch_load_dwordx4 v[188:191], off, off offset:1040 ; 16-byte Folded Reload
	;; [unrolled: 1-line block ×8, first 2 shown]
	ds_read2_b32 v[4:5], v252 offset0:21 offset1:22
	s_waitcnt vmcnt(3)
	v_mul_f32_e32 v202, v88, v23
	v_mov_b32_e32 v2, v19
	v_mov_b32_e32 v3, v20
	v_mov_b32_e32 v18, v202
	v_mov_b32_e32 v6, v190
	v_mov_b32_e32 v7, v191
	v_mov_b32_e32 v8, v192
	s_waitcnt lgkmcnt(1)
	v_pk_fma_f32 v[46:47], v[202:203], v[0:1], v[2:3] op_sel_hi:[0,1,1] neg_lo:[1,0,0] neg_hi:[1,0,0]
	v_mov_b32_e32 v0, v21
	v_mov_b32_e32 v1, v22
	s_waitcnt lgkmcnt(0)
	v_pk_fma_f32 v[254:255], v[202:203], v[4:5], v[0:1] op_sel_hi:[0,1,1] neg_lo:[1,0,0] neg_hi:[1,0,0]
	v_mov_b32_e32 v0, v184
	v_mov_b32_e32 v1, v185
	;; [unrolled: 1-line block ×17, first 2 shown]
	scratch_store_dwordx4 off, v[0:3], off offset:384 ; 16-byte Folded Spill
	s_nop 0
	scratch_store_dwordx4 off, v[4:7], off offset:400 ; 16-byte Folded Spill
	scratch_store_dwordx4 off, v[8:11], off offset:416 ; 16-byte Folded Spill
	;; [unrolled: 1-line block ×7, first 2 shown]
	v_mov_b32_e32 v203, v46
	v_mov_b32_e32 v21, v254
	;; [unrolled: 1-line block ×4, first 2 shown]
	scratch_store_dwordx4 off, v[184:187], off offset:512 ; 16-byte Folded Spill
	s_nop 0
	scratch_store_dwordx4 off, v[188:191], off offset:528 ; 16-byte Folded Spill
	scratch_store_dwordx4 off, v[192:195], off offset:544 ; 16-byte Folded Spill
	;; [unrolled: 1-line block ×4, first 2 shown]
	s_waitcnt vmcnt(15)
	scratch_store_dwordx4 off, v[204:207], off offset:592 ; 16-byte Folded Spill
	s_waitcnt vmcnt(15)
	scratch_store_dwordx4 off, v[208:211], off offset:608 ; 16-byte Folded Spill
	;; [unrolled: 2-line block ×3, first 2 shown]
	v_mov_b32_e32 v46, v47
	scratch_store_dwordx4 off, v[4:7], off offset:256 ; 16-byte Folded Spill
	s_nop 0
	scratch_store_dwordx4 off, v[8:11], off offset:272 ; 16-byte Folded Spill
	scratch_store_dwordx4 off, v[12:15], off offset:288 ; 16-byte Folded Spill
	scratch_store_dwordx4 off, v[16:19], off offset:304 ; 16-byte Folded Spill
	scratch_store_dwordx4 off, v[20:23], off offset:320 ; 16-byte Folded Spill
	scratch_store_dwordx4 off, v[24:27], off offset:336 ; 16-byte Folded Spill
	scratch_store_dwordx4 off, v[28:31], off offset:352 ; 16-byte Folded Spill
	scratch_store_dwordx4 off, v[32:35], off offset:368 ; 16-byte Folded Spill
	scratch_store_dwordx4 off, v[26:29], off offset:128 ; 16-byte Folded Spill
	s_nop 0
	scratch_store_dwordx4 off, v[30:33], off offset:144 ; 16-byte Folded Spill
	scratch_store_dwordx4 off, v[34:37], off offset:160 ; 16-byte Folded Spill
	;; [unrolled: 1-line block ×7, first 2 shown]
.LBB44_321:
	s_or_b64 exec, exec, s[0:1]
	s_barrier
	scratch_load_dwordx4 v[108:111], off, off offset:256 ; 16-byte Folded Reload
	scratch_load_dwordx4 v[112:115], off, off offset:272 ; 16-byte Folded Reload
	scratch_load_dwordx4 v[116:119], off, off offset:288 ; 16-byte Folded Reload
	scratch_load_dwordx4 v[120:123], off, off offset:304 ; 16-byte Folded Reload
	scratch_load_dwordx4 v[124:127], off, off offset:320 ; 16-byte Folded Reload
	scratch_load_dwordx4 v[128:131], off, off offset:336 ; 16-byte Folded Reload
	scratch_load_dwordx4 v[132:135], off, off offset:352 ; 16-byte Folded Reload
	scratch_load_dwordx4 v[136:139], off, off offset:368 ; 16-byte Folded Reload
	v_lshl_add_u32 v23, v253, 2, v252
	s_cmp_lt_i32 s22, 21
	v_mov_b32_e32 v46, 19
	s_waitcnt vmcnt(3)
	ds_write_b32 v23, v127
	s_waitcnt lgkmcnt(0)
	s_barrier
	ds_read_b32 v23, v252 offset:76
	s_cbranch_scc1 .LBB44_398
; %bb.322:
	scratch_load_dwordx4 v[142:145], off, off offset:384 ; 16-byte Folded Reload
	scratch_load_dwordx4 v[146:149], off, off offset:400 ; 16-byte Folded Reload
	;; [unrolled: 1-line block ×8, first 2 shown]
	v_add_u32_e32 v45, 0x50, v252
	v_mov_b32_e32 v46, 19
	s_mov_b32 s0, 20
.LBB44_323:                             ; =>This Inner Loop Header: Depth=1
	ds_read_b32 v47, v45
	v_mov_b32_e32 v48, s0
	s_add_i32 s0, s0, 1
	v_add_u32_e32 v45, 4, v45
	s_cmp_lg_u32 s22, s0
	s_waitcnt lgkmcnt(0)
	v_cmp_lt_f32_e64 vcc, |v23|, |v47|
	s_nop 1
	v_cndmask_b32_e32 v23, v23, v47, vcc
	v_cndmask_b32_e32 v46, v46, v48, vcc
	s_cbranch_scc1 .LBB44_323
; %bb.324:
	v_cmp_eq_f32_e32 vcc, 0, v23
	s_and_saveexec_b64 s[0:1], vcc
	s_xor_b64 s[0:1], exec, s[0:1]
.LBB44_325:
	v_cmp_ne_u32_e32 vcc, 0, v250
	s_nop 1
	v_cndmask_b32_e32 v250, 20, v250, vcc
.LBB44_326:
	s_andn2_saveexec_b64 s[0:1], s[0:1]
	s_cbranch_execz .LBB44_328
; %bb.327:
	v_div_scale_f32 v45, s[2:3], v23, v23, 1.0
	v_rcp_f32_e32 v47, v45
	v_div_scale_f32 v48, vcc, 1.0, v23, 1.0
	v_fma_f32 v49, -v45, v47, 1.0
	v_fmac_f32_e32 v47, v49, v47
	v_mul_f32_e32 v49, v48, v47
	v_fma_f32 v50, -v45, v49, v48
	v_fmac_f32_e32 v49, v50, v47
	v_fma_f32 v45, -v45, v49, v48
	v_div_fmas_f32 v45, v45, v47, v49
	v_div_fixup_f32 v23, v45, v23, 1.0
.LBB44_328:
	s_or_b64 exec, exec, s[0:1]
	v_cmp_ne_u32_e32 vcc, v253, v46
	s_and_saveexec_b64 s[0:1], vcc
	s_xor_b64 s[0:1], exec, s[0:1]
	s_cbranch_execz .LBB44_334
; %bb.329:
	v_cmp_eq_u32_e32 vcc, 19, v253
	s_and_saveexec_b64 s[2:3], vcc
	s_cbranch_execz .LBB44_333
; %bb.330:
	v_cmp_ne_u32_e32 vcc, 19, v46
	s_xor_b64 s[18:19], s[16:17], -1
	s_and_b64 s[20:21], s[18:19], vcc
	s_and_saveexec_b64 s[18:19], s[20:21]
	s_cbranch_execz .LBB44_332
; %bb.331:
	scratch_load_dwordx2 v[50:51], off, off offset:2692 ; 8-byte Folded Reload
	v_ashrrev_i32_e32 v47, 31, v46
	s_waitcnt vmcnt(0)
	v_lshl_add_u64 v[48:49], v[46:47], 2, v[50:51]
	global_load_dword v45, v[48:49], off
	global_load_dword v47, v[50:51], off offset:76
	s_waitcnt vmcnt(1)
	global_store_dword v[50:51], v45, off offset:76
	s_waitcnt vmcnt(1)
	global_store_dword v[48:49], v47, off
.LBB44_332:
	s_or_b64 exec, exec, s[18:19]
	v_mov_b32_e32 v251, v46
	v_mov_b32_e32 v253, v46
.LBB44_333:
	s_or_b64 exec, exec, s[2:3]
.LBB44_334:
	s_andn2_saveexec_b64 s[0:1], s[0:1]
	s_cbranch_execz .LBB44_336
; %bb.335:
	v_mov_b32_e32 v253, 19
	ds_write2_b32 v252, v20, v21 offset0:20 offset1:21
	ds_write_b32 v252, v255 offset:88
.LBB44_336:
	s_or_b64 exec, exec, s[0:1]
	v_cmp_lt_i32_e32 vcc, 19, v253
	s_waitcnt lgkmcnt(0)
	s_barrier
	s_and_saveexec_b64 s[0:1], vcc
	s_cbranch_execz .LBB44_338
; %bb.337:
	ds_read2_b32 v[0:1], v252 offset0:20 offset1:21
	ds_read_b32 v2, v252 offset:88
	scratch_load_dwordx4 v[24:27], off, off offset:256 ; 16-byte Folded Reload
	scratch_load_dwordx4 v[28:31], off, off offset:272 ; 16-byte Folded Reload
	;; [unrolled: 1-line block ×8, first 2 shown]
	s_waitcnt vmcnt(15)
	v_mov_b32_e32 v142, v184
	v_mov_b32_e32 v143, v185
	v_mov_b32_e32 v144, v186
	v_mov_b32_e32 v145, v187
	s_waitcnt vmcnt(14)
	v_mov_b32_e32 v146, v188
	v_mov_b32_e32 v147, v189
	v_mov_b32_e32 v148, v190
	v_mov_b32_e32 v149, v191
	;; [unrolled: 5-line block ×5, first 2 shown]
	v_mov_b32_e32 v4, v188
	v_mov_b32_e32 v5, v189
	;; [unrolled: 1-line block ×15, first 2 shown]
	s_waitcnt vmcnt(2)
	v_mul_f32_e32 v46, v43, v23
	s_waitcnt lgkmcnt(1)
	v_pk_fma_f32 v[162:163], v[46:47], v[0:1], v[20:21] op_sel_hi:[0,1,1] neg_lo:[1,0,0] neg_hi:[1,0,0]
	s_waitcnt lgkmcnt(0)
	v_fma_f32 v22, -v46, v2, v255
	v_mov_b32_e32 v203, v46
	v_mov_b32_e32 v161, v46
	;; [unrolled: 1-line block ×11, first 2 shown]
	scratch_store_dwordx4 off, v[184:187], off offset:512 ; 16-byte Folded Spill
	s_nop 0
	scratch_store_dwordx4 off, v[188:191], off offset:528 ; 16-byte Folded Spill
	scratch_store_dwordx4 off, v[192:195], off offset:544 ; 16-byte Folded Spill
	;; [unrolled: 1-line block ×8, first 2 shown]
	s_nop 0
	scratch_store_dwordx4 off, v[30:33], off offset:144 ; 16-byte Folded Spill
	scratch_store_dwordx4 off, v[34:37], off offset:160 ; 16-byte Folded Spill
	;; [unrolled: 1-line block ×4, first 2 shown]
	s_waitcnt vmcnt(14)
	scratch_store_dwordx4 off, v[46:49], off offset:208 ; 16-byte Folded Spill
	s_waitcnt vmcnt(14)
	scratch_store_dwordx4 off, v[50:53], off offset:224 ; 16-byte Folded Spill
	scratch_store_dwordx4 off, v[54:57], off offset:240 ; 16-byte Folded Spill
.LBB44_338:
	s_or_b64 exec, exec, s[0:1]
	s_barrier
	scratch_load_dwordx4 v[46:49], off, off offset:128 ; 16-byte Folded Reload
	scratch_load_dwordx4 v[50:53], off, off offset:144 ; 16-byte Folded Reload
	;; [unrolled: 1-line block ×8, first 2 shown]
	v_lshl_add_u32 v23, v253, 2, v252
	s_cmp_lt_i32 s22, 22
	s_waitcnt vmcnt(7)
	v_mov_b32_e32 v46, 20
	s_waitcnt vmcnt(2)
	ds_write_b32 v23, v66
	s_waitcnt lgkmcnt(0)
	s_barrier
	ds_read_b32 v23, v252 offset:80
	s_cbranch_scc1 .LBB44_341
; %bb.339:
	v_add_u32_e32 v45, 0x54, v252
	v_mov_b32_e32 v46, 20
	s_mov_b32 s0, 21
.LBB44_340:                             ; =>This Inner Loop Header: Depth=1
	ds_read_b32 v47, v45
	v_mov_b32_e32 v48, s0
	s_add_i32 s0, s0, 1
	v_add_u32_e32 v45, 4, v45
	s_cmp_lg_u32 s22, s0
	s_waitcnt lgkmcnt(0)
	v_cmp_lt_f32_e64 vcc, |v23|, |v47|
	s_nop 1
	v_cndmask_b32_e32 v23, v23, v47, vcc
	v_cndmask_b32_e32 v46, v46, v48, vcc
	s_cbranch_scc1 .LBB44_340
.LBB44_341:
	s_waitcnt lgkmcnt(0)
	v_cmp_eq_f32_e32 vcc, 0, v23
	s_and_saveexec_b64 s[0:1], vcc
	s_xor_b64 s[0:1], exec, s[0:1]
; %bb.342:
	v_cmp_ne_u32_e32 vcc, 0, v250
	s_nop 1
	v_cndmask_b32_e32 v250, 21, v250, vcc
; %bb.343:
	s_andn2_saveexec_b64 s[0:1], s[0:1]
	s_cbranch_execz .LBB44_345
; %bb.344:
	v_div_scale_f32 v45, s[2:3], v23, v23, 1.0
	v_rcp_f32_e32 v47, v45
	v_div_scale_f32 v48, vcc, 1.0, v23, 1.0
	v_fma_f32 v49, -v45, v47, 1.0
	v_fmac_f32_e32 v47, v49, v47
	v_mul_f32_e32 v49, v48, v47
	v_fma_f32 v50, -v45, v49, v48
	v_fmac_f32_e32 v49, v50, v47
	v_fma_f32 v45, -v45, v49, v48
	v_div_fmas_f32 v45, v45, v47, v49
	v_div_fixup_f32 v23, v45, v23, 1.0
.LBB44_345:
	s_or_b64 exec, exec, s[0:1]
	v_cmp_ne_u32_e32 vcc, v253, v46
	s_and_saveexec_b64 s[0:1], vcc
	s_xor_b64 s[0:1], exec, s[0:1]
	s_cbranch_execz .LBB44_351
; %bb.346:
	v_cmp_eq_u32_e32 vcc, 20, v253
	s_and_saveexec_b64 s[2:3], vcc
	s_cbranch_execz .LBB44_350
; %bb.347:
	v_cmp_ne_u32_e32 vcc, 20, v46
	s_xor_b64 s[18:19], s[16:17], -1
	s_and_b64 s[20:21], s[18:19], vcc
	s_and_saveexec_b64 s[18:19], s[20:21]
	s_cbranch_execz .LBB44_349
; %bb.348:
	scratch_load_dwordx2 v[50:51], off, off offset:2692 ; 8-byte Folded Reload
	v_ashrrev_i32_e32 v47, 31, v46
	s_waitcnt vmcnt(0)
	v_lshl_add_u64 v[48:49], v[46:47], 2, v[50:51]
	global_load_dword v45, v[48:49], off
	global_load_dword v47, v[50:51], off offset:80
	s_waitcnt vmcnt(1)
	global_store_dword v[50:51], v45, off offset:80
	s_waitcnt vmcnt(1)
	global_store_dword v[48:49], v47, off
.LBB44_349:
	s_or_b64 exec, exec, s[18:19]
	v_mov_b32_e32 v251, v46
	v_mov_b32_e32 v253, v46
.LBB44_350:
	s_or_b64 exec, exec, s[2:3]
.LBB44_351:
	s_andn2_saveexec_b64 s[0:1], s[0:1]
; %bb.352:
	v_mov_b32_e32 v253, 20
	ds_write2_b32 v252, v21, v22 offset0:21 offset1:22
; %bb.353:
	s_or_b64 exec, exec, s[0:1]
	v_cmp_lt_i32_e32 vcc, 20, v253
	s_waitcnt lgkmcnt(0)
	s_barrier
	s_and_saveexec_b64 s[0:1], vcc
	s_cbranch_execz .LBB44_355
; %bb.354:
	ds_read2_b32 v[0:1], v252 offset0:21 offset1:22
	scratch_load_dwordx4 v[24:27], off, off offset:128 ; 16-byte Folded Reload
	scratch_load_dwordx4 v[28:31], off, off offset:144 ; 16-byte Folded Reload
	;; [unrolled: 1-line block ×16, first 2 shown]
	v_mov_b32_e32 v2, v21
	v_mov_b32_e32 v3, v22
	s_waitcnt vmcnt(2)
	v_mul_f32_e32 v162, v44, v23
	s_waitcnt lgkmcnt(0)
	v_pk_fma_f32 v[254:255], v[162:163], v[0:1], v[2:3] op_sel_hi:[0,1,1] neg_lo:[1,0,0] neg_hi:[1,0,0]
	v_mov_b32_e32 v163, v254
	v_mov_b32_e32 v164, v255
	s_waitcnt vmcnt(0)
	v_mov_b64_e32 v[0:1], v[142:143]
	v_mov_b64_e32 v[2:3], v[144:145]
	;; [unrolled: 1-line block ×16, first 2 shown]
.LBB44_355:
	s_or_b64 exec, exec, s[0:1]
	v_lshl_add_u32 v23, v253, 2, v252
	s_barrier
	ds_write_b32 v23, v254
	s_waitcnt lgkmcnt(0)
	s_barrier
	ds_read_b32 v23, v252 offset:84
	s_cmp_lt_i32 s22, 23
	v_mov_b32_e32 v46, 21
	s_cbranch_scc1 .LBB44_358
; %bb.356:
	v_add_u32_e32 v45, 0x58, v252
	v_mov_b32_e32 v46, 21
	s_mov_b32 s0, 22
.LBB44_357:                             ; =>This Inner Loop Header: Depth=1
	ds_read_b32 v47, v45
	v_mov_b32_e32 v48, s0
	s_add_i32 s0, s0, 1
	v_add_u32_e32 v45, 4, v45
	s_cmp_lg_u32 s22, s0
	s_waitcnt lgkmcnt(0)
	v_cmp_lt_f32_e64 vcc, |v23|, |v47|
	s_nop 1
	v_cndmask_b32_e32 v23, v23, v47, vcc
	v_cndmask_b32_e32 v46, v46, v48, vcc
	s_cbranch_scc1 .LBB44_357
.LBB44_358:
	s_waitcnt lgkmcnt(0)
	v_cmp_eq_f32_e32 vcc, 0, v23
	s_and_saveexec_b64 s[0:1], vcc
	s_xor_b64 s[0:1], exec, s[0:1]
; %bb.359:
	v_cmp_ne_u32_e32 vcc, 0, v250
	s_nop 1
	v_cndmask_b32_e32 v250, 22, v250, vcc
; %bb.360:
	s_andn2_saveexec_b64 s[0:1], s[0:1]
	s_cbranch_execz .LBB44_362
; %bb.361:
	v_div_scale_f32 v45, s[2:3], v23, v23, 1.0
	v_rcp_f32_e32 v47, v45
	v_div_scale_f32 v48, vcc, 1.0, v23, 1.0
	v_fma_f32 v49, -v45, v47, 1.0
	v_fmac_f32_e32 v47, v49, v47
	v_mul_f32_e32 v49, v48, v47
	v_fma_f32 v50, -v45, v49, v48
	v_fmac_f32_e32 v49, v50, v47
	v_fma_f32 v45, -v45, v49, v48
	v_div_fmas_f32 v45, v45, v47, v49
	v_div_fixup_f32 v23, v45, v23, 1.0
.LBB44_362:
	s_or_b64 exec, exec, s[0:1]
	v_cmp_ne_u32_e32 vcc, v253, v46
	s_and_saveexec_b64 s[0:1], vcc
	s_xor_b64 s[0:1], exec, s[0:1]
	s_cbranch_execz .LBB44_368
; %bb.363:
	v_cmp_eq_u32_e32 vcc, 21, v253
	s_and_saveexec_b64 s[2:3], vcc
	s_cbranch_execz .LBB44_367
; %bb.364:
	v_cmp_ne_u32_e32 vcc, 21, v46
	s_xor_b64 s[18:19], s[16:17], -1
	s_and_b64 s[20:21], s[18:19], vcc
	s_and_saveexec_b64 s[18:19], s[20:21]
	s_cbranch_execz .LBB44_366
; %bb.365:
	scratch_load_dwordx2 v[50:51], off, off offset:2692 ; 8-byte Folded Reload
	v_ashrrev_i32_e32 v47, 31, v46
	s_waitcnt vmcnt(0)
	v_lshl_add_u64 v[48:49], v[46:47], 2, v[50:51]
	global_load_dword v45, v[48:49], off
	global_load_dword v47, v[50:51], off offset:84
	s_waitcnt vmcnt(1)
	global_store_dword v[50:51], v45, off offset:84
	s_waitcnt vmcnt(1)
	global_store_dword v[48:49], v47, off
.LBB44_366:
	s_or_b64 exec, exec, s[18:19]
	v_mov_b32_e32 v251, v46
	v_mov_b32_e32 v253, v46
.LBB44_367:
	s_or_b64 exec, exec, s[2:3]
.LBB44_368:
	s_andn2_saveexec_b64 s[0:1], s[0:1]
; %bb.369:
	v_mov_b32_e32 v253, 21
	ds_write_b32 v252, v255 offset:88
; %bb.370:
	s_or_b64 exec, exec, s[0:1]
	v_cmp_lt_i32_e32 vcc, 21, v253
	s_waitcnt lgkmcnt(0)
	s_barrier
	s_and_saveexec_b64 s[0:1], vcc
	s_cbranch_execz .LBB44_372
; %bb.371:
	ds_read_b32 v0, v252 offset:88
	v_mul_f32_e32 v163, v254, v23
	s_waitcnt lgkmcnt(0)
	v_fma_f32 v164, -v163, v0, v255
	v_mov_b64_e32 v[0:1], v[142:143]
	v_mov_b64_e32 v[2:3], v[144:145]
	;; [unrolled: 1-line block ×12, first 2 shown]
	v_mov_b32_e32 v255, v164
	v_mov_b64_e32 v[24:25], v[166:167]
	v_mov_b64_e32 v[26:27], v[168:169]
	;; [unrolled: 1-line block ×4, first 2 shown]
.LBB44_372:
	s_or_b64 exec, exec, s[0:1]
	v_lshl_add_u32 v23, v253, 2, v252
	s_barrier
	ds_write_b32 v23, v255
	s_waitcnt lgkmcnt(0)
	s_barrier
	ds_read_b32 v23, v252 offset:88
	s_cmp_lt_i32 s22, 24
	v_mov_b32_e32 v24, 22
	s_cbranch_scc1 .LBB44_375
; %bb.373:
	v_add_u32_e32 v25, 0x5c, v252
	v_mov_b32_e32 v24, 22
	s_mov_b32 s0, 23
.LBB44_374:                             ; =>This Inner Loop Header: Depth=1
	ds_read_b32 v26, v25
	v_mov_b32_e32 v27, s0
	s_add_i32 s0, s0, 1
	v_add_u32_e32 v25, 4, v25
	s_cmp_lg_u32 s22, s0
	s_waitcnt lgkmcnt(0)
	v_cmp_lt_f32_e64 vcc, |v23|, |v26|
	s_nop 1
	v_cndmask_b32_e32 v23, v23, v26, vcc
	v_cndmask_b32_e32 v24, v24, v27, vcc
	s_cbranch_scc1 .LBB44_374
.LBB44_375:
	s_waitcnt lgkmcnt(0)
	v_cmp_eq_f32_e32 vcc, 0, v23
	s_and_saveexec_b64 s[0:1], vcc
	s_xor_b64 s[0:1], exec, s[0:1]
; %bb.376:
	v_cmp_ne_u32_e32 vcc, 0, v250
	s_nop 1
	v_cndmask_b32_e32 v250, 23, v250, vcc
; %bb.377:
	s_andn2_saveexec_b64 s[0:1], s[0:1]
	s_cbranch_execz .LBB44_379
; %bb.378:
	v_div_scale_f32 v25, s[2:3], v23, v23, 1.0
	v_rcp_f32_e32 v26, v25
	v_div_scale_f32 v27, vcc, 1.0, v23, 1.0
	v_fma_f32 v28, -v25, v26, 1.0
	v_fmac_f32_e32 v26, v28, v26
	v_mul_f32_e32 v28, v27, v26
	v_fma_f32 v29, -v25, v28, v27
	v_fmac_f32_e32 v28, v29, v26
	v_fma_f32 v25, -v25, v28, v27
	v_div_fmas_f32 v25, v25, v26, v28
	v_div_fixup_f32 v23, v25, v23, 1.0
.LBB44_379:
	s_or_b64 exec, exec, s[0:1]
	v_cmp_ne_u32_e32 vcc, v253, v24
	v_mov_b32_e32 v26, 22
	s_and_saveexec_b64 s[0:1], vcc
	s_cbranch_execz .LBB44_385
; %bb.380:
	v_cmp_eq_u32_e32 vcc, 22, v253
	s_and_saveexec_b64 s[2:3], vcc
	s_cbranch_execz .LBB44_384
; %bb.381:
	v_cmp_ne_u32_e32 vcc, 22, v24
	s_xor_b64 s[16:17], s[16:17], -1
	s_and_b64 s[18:19], s[16:17], vcc
	s_and_saveexec_b64 s[16:17], s[18:19]
	s_cbranch_execz .LBB44_383
; %bb.382:
	scratch_load_dwordx2 v[30:31], off, off offset:2692 ; 8-byte Folded Reload
	v_ashrrev_i32_e32 v25, 31, v24
	s_waitcnt vmcnt(0)
	v_lshl_add_u64 v[26:27], v[24:25], 2, v[30:31]
	global_load_dword v25, v[26:27], off
	global_load_dword v28, v[30:31], off offset:88
	s_waitcnt vmcnt(1)
	global_store_dword v[30:31], v25, off offset:88
	s_waitcnt vmcnt(1)
	global_store_dword v[26:27], v28, off
.LBB44_383:
	s_or_b64 exec, exec, s[16:17]
	v_mov_b32_e32 v251, v24
	v_mov_b32_e32 v253, v24
.LBB44_384:
	s_or_b64 exec, exec, s[2:3]
	v_mov_b32_e32 v26, v253
.LBB44_385:
	s_or_b64 exec, exec, s[0:1]
	v_cmp_gt_i32_e32 vcc, 23, v26
	v_ashrrev_i32_e32 v27, 31, v26
	s_barrier
	s_barrier
	s_and_saveexec_b64 s[0:1], vcc
	s_cbranch_execz .LBB44_387
; %bb.386:
	scratch_load_dwordx2 v[28:29], off, off offset:3468 ; 8-byte Folded Reload
	v_mov_b32_e32 v24, s6
	v_mov_b32_e32 v25, s7
	s_waitcnt vmcnt(0)
	v_mul_lo_u32 v30, s11, v28
	v_mul_lo_u32 v31, s10, v29
	v_mad_u64_u32 v[28:29], s[2:3], s10, v28, 0
	v_add3_u32 v29, v29, v31, v30
	v_lshl_add_u64 v[24:25], v[28:29], 2, v[24:25]
	v_lshl_add_u64 v[24:25], s[8:9], 2, v[24:25]
	;; [unrolled: 1-line block ×3, first 2 shown]
	v_add3_u32 v28, v251, s15, 1
	global_store_dword v[24:25], v28, off
.LBB44_387:
	s_or_b64 exec, exec, s[0:1]
	v_cmp_eq_u32_e32 vcc, 0, v26
	s_and_saveexec_b64 s[2:3], vcc
	s_cbranch_execz .LBB44_390
; %bb.388:
	scratch_load_dwordx2 v[28:29], off, off offset:3468 ; 8-byte Folded Reload
	v_mov_b32_e32 v24, s4
	v_mov_b32_e32 v25, s5
	v_cmp_ne_u32_e64 s[0:1], 0, v250
	s_waitcnt vmcnt(0)
	v_lshl_add_u64 v[24:25], v[28:29], 2, v[24:25]
	global_load_dword v28, v[24:25], off
	s_waitcnt vmcnt(0)
	v_cmp_eq_u32_e32 vcc, 0, v28
	s_and_b64 s[0:1], vcc, s[0:1]
	s_and_b64 exec, exec, s[0:1]
	s_cbranch_execz .LBB44_390
; %bb.389:
	v_add_u32_e32 v28, s15, v250
	global_store_dword v[24:25], v28, off
.LBB44_390:
	s_or_b64 exec, exec, s[2:3]
	scratch_load_dwordx2 v[28:29], off, off offset:3476 ; 8-byte Folded Reload
	v_mul_f32_e32 v23, v255, v23
	v_cmp_lt_i32_e32 vcc, 22, v26
	s_nop 1
	v_cndmask_b32_e32 v24, v22, v23, vcc
	s_waitcnt vmcnt(0)
	v_lshl_add_u64 v[22:23], v[26:27], 2, v[28:29]
	global_store_dword v[22:23], v0, off
	v_lshl_add_u64 v[22:23], s[12:13], 2, v[22:23]
	v_add_u32_e32 v0, s14, v26
	global_store_dword v[22:23], v1, off
	v_ashrrev_i32_e32 v1, 31, v0
	v_lshl_add_u64 v[22:23], v[0:1], 2, v[28:29]
	v_add_u32_e32 v0, s12, v0
	v_ashrrev_i32_e32 v1, 31, v0
	global_store_dword v[22:23], v2, off
	v_lshl_add_u64 v[22:23], v[0:1], 2, v[28:29]
	v_add_u32_e32 v0, s12, v0
	v_ashrrev_i32_e32 v1, 31, v0
	global_store_dword v[22:23], v3, off
	;; [unrolled: 4-line block ×19, first 2 shown]
	v_lshl_add_u64 v[2:3], v[0:1], 2, v[28:29]
	v_add_u32_e32 v0, s12, v0
	v_ashrrev_i32_e32 v1, 31, v0
	v_lshl_add_u64 v[0:1], v[0:1], 2, v[28:29]
	global_store_dword v[2:3], v21, off
	global_store_dword v[0:1], v24, off
.LBB44_391:
	s_endpgm
.LBB44_392:
	v_mov_b32_e32 v44, v56
	v_mov_b32_e32 v43, v55
	s_waitcnt lgkmcnt(0)
	v_cmp_eq_f32_e32 vcc, 0, v45
	s_and_saveexec_b64 s[0:1], vcc
	s_xor_b64 s[0:1], exec, s[0:1]
	s_cbranch_execnz .LBB44_70
	s_branch .LBB44_71
.LBB44_393:
	v_mov_b64_e32 v[144:145], v[162:163]
	v_mov_b32_e32 v156, v174
	v_mov_b64_e32 v[146:147], v[164:165]
	v_mov_b64_e32 v[148:149], v[166:167]
	;; [unrolled: 1-line block ×5, first 2 shown]
	v_mov_b32_e32 v157, v175
	v_mov_b32_e32 v158, v176
	s_waitcnt lgkmcnt(0)
	v_cmp_eq_f32_e32 vcc, 0, v45
	s_and_saveexec_b64 s[0:1], vcc
	s_xor_b64 s[0:1], exec, s[0:1]
	s_cbranch_execnz .LBB44_138
	s_branch .LBB44_139
.LBB44_394:
	s_waitcnt vmcnt(21)
	v_mov_b64_e32 v[226:227], v[58:59]
	s_waitcnt vmcnt(20)
	v_mov_b32_e32 v230, v62
	v_mov_b64_e32 v[224:225], v[56:57]
	v_mov_b64_e32 v[222:223], v[54:55]
	;; [unrolled: 1-line block ×5, first 2 shown]
	v_mov_b32_e32 v229, v61
	v_mov_b32_e32 v228, v60
	s_waitcnt lgkmcnt(0)
	v_cmp_eq_f32_e32 vcc, 0, v45
	s_and_saveexec_b64 s[0:1], vcc
	s_xor_b64 s[0:1], exec, s[0:1]
	s_cbranch_execnz .LBB44_172
	s_branch .LBB44_173
.LBB44_395:
	scratch_load_dwordx4 v[184:187], off, off offset:1536 ; 16-byte Folded Reload
	scratch_load_dwordx4 v[188:191], off, off offset:1552 ; 16-byte Folded Reload
	;; [unrolled: 1-line block ×8, first 2 shown]
	s_waitcnt lgkmcnt(0)
	v_cmp_eq_f32_e32 vcc, 0, v45
	s_and_saveexec_b64 s[0:1], vcc
	s_xor_b64 s[0:1], exec, s[0:1]
	s_cbranch_execnz .LBB44_240
	s_branch .LBB44_241
.LBB44_396:
	scratch_load_dwordx4 v[216:219], off, off ; 16-byte Folded Reload
	scratch_load_dwordx4 v[220:223], off, off offset:16 ; 16-byte Folded Reload
	scratch_load_dwordx4 v[224:227], off, off offset:32 ; 16-byte Folded Reload
	;; [unrolled: 1-line block ×7, first 2 shown]
	s_waitcnt vmcnt(4)
	v_mov_b64_e32 v[0:1], v[216:217]
	v_mov_b64_e32 v[2:3], v[218:219]
	s_waitcnt vmcnt(2)
	v_mov_b32_e32 v16, v232
	v_mov_b64_e32 v[4:5], v[220:221]
	v_mov_b64_e32 v[6:7], v[222:223]
	v_mov_b64_e32 v[8:9], v[224:225]
	v_mov_b64_e32 v[10:11], v[226:227]
	v_mov_b64_e32 v[12:13], v[228:229]
	v_mov_b64_e32 v[14:15], v[230:231]
	v_mov_b32_e32 v17, v233
	v_mov_b32_e32 v18, v234
	;; [unrolled: 1-line block ×6, first 2 shown]
	s_waitcnt lgkmcnt(0)
	v_cmp_eq_f32_e32 vcc, 0, v23
	s_and_saveexec_b64 s[0:1], vcc
	s_xor_b64 s[0:1], exec, s[0:1]
	s_cbranch_execnz .LBB44_274
	s_branch .LBB44_275
.LBB44_397:
	scratch_load_dwordx4 v[184:187], off, off offset:1152 ; 16-byte Folded Reload
	scratch_load_dwordx4 v[188:191], off, off offset:1168 ; 16-byte Folded Reload
	;; [unrolled: 1-line block ×8, first 2 shown]
	s_waitcnt lgkmcnt(0)
	v_cmp_eq_f32_e32 vcc, 0, v23
	s_and_saveexec_b64 s[0:1], vcc
	s_xor_b64 s[0:1], exec, s[0:1]
	s_cbranch_execnz .LBB44_291
	s_branch .LBB44_292
.LBB44_398:
	scratch_load_dwordx4 v[142:145], off, off offset:384 ; 16-byte Folded Reload
	scratch_load_dwordx4 v[146:149], off, off offset:400 ; 16-byte Folded Reload
	;; [unrolled: 1-line block ×8, first 2 shown]
	s_waitcnt lgkmcnt(0)
	v_cmp_eq_f32_e32 vcc, 0, v23
	s_and_saveexec_b64 s[0:1], vcc
	s_xor_b64 s[0:1], exec, s[0:1]
	s_cbranch_execnz .LBB44_325
	s_branch .LBB44_326
	.section	.rodata,"a",@progbits
	.p2align	6, 0x0
	.amdhsa_kernel _ZN9rocsolver6v33100L18getf2_small_kernelILi23EfiiPfEEvT1_T3_lS3_lPS3_llPT2_S3_S3_S5_l
		.amdhsa_group_segment_fixed_size 0
		.amdhsa_private_segment_fixed_size 3616
		.amdhsa_kernarg_size 352
		.amdhsa_user_sgpr_count 2
		.amdhsa_user_sgpr_dispatch_ptr 0
		.amdhsa_user_sgpr_queue_ptr 0
		.amdhsa_user_sgpr_kernarg_segment_ptr 1
		.amdhsa_user_sgpr_dispatch_id 0
		.amdhsa_user_sgpr_kernarg_preload_length 0
		.amdhsa_user_sgpr_kernarg_preload_offset 0
		.amdhsa_user_sgpr_private_segment_size 0
		.amdhsa_uses_dynamic_stack 0
		.amdhsa_enable_private_segment 1
		.amdhsa_system_sgpr_workgroup_id_x 1
		.amdhsa_system_sgpr_workgroup_id_y 1
		.amdhsa_system_sgpr_workgroup_id_z 0
		.amdhsa_system_sgpr_workgroup_info 0
		.amdhsa_system_vgpr_workitem_id 1
		.amdhsa_next_free_vgpr 256
		.amdhsa_next_free_sgpr 28
		.amdhsa_accum_offset 256
		.amdhsa_reserve_vcc 1
		.amdhsa_float_round_mode_32 0
		.amdhsa_float_round_mode_16_64 0
		.amdhsa_float_denorm_mode_32 3
		.amdhsa_float_denorm_mode_16_64 3
		.amdhsa_dx10_clamp 1
		.amdhsa_ieee_mode 1
		.amdhsa_fp16_overflow 0
		.amdhsa_tg_split 0
		.amdhsa_exception_fp_ieee_invalid_op 0
		.amdhsa_exception_fp_denorm_src 0
		.amdhsa_exception_fp_ieee_div_zero 0
		.amdhsa_exception_fp_ieee_overflow 0
		.amdhsa_exception_fp_ieee_underflow 0
		.amdhsa_exception_fp_ieee_inexact 0
		.amdhsa_exception_int_div_zero 0
	.end_amdhsa_kernel
	.section	.text._ZN9rocsolver6v33100L18getf2_small_kernelILi23EfiiPfEEvT1_T3_lS3_lPS3_llPT2_S3_S3_S5_l,"axG",@progbits,_ZN9rocsolver6v33100L18getf2_small_kernelILi23EfiiPfEEvT1_T3_lS3_lPS3_llPT2_S3_S3_S5_l,comdat
.Lfunc_end44:
	.size	_ZN9rocsolver6v33100L18getf2_small_kernelILi23EfiiPfEEvT1_T3_lS3_lPS3_llPT2_S3_S3_S5_l, .Lfunc_end44-_ZN9rocsolver6v33100L18getf2_small_kernelILi23EfiiPfEEvT1_T3_lS3_lPS3_llPT2_S3_S3_S5_l
                                        ; -- End function
	.set _ZN9rocsolver6v33100L18getf2_small_kernelILi23EfiiPfEEvT1_T3_lS3_lPS3_llPT2_S3_S3_S5_l.num_vgpr, 256
	.set _ZN9rocsolver6v33100L18getf2_small_kernelILi23EfiiPfEEvT1_T3_lS3_lPS3_llPT2_S3_S3_S5_l.num_agpr, 0
	.set _ZN9rocsolver6v33100L18getf2_small_kernelILi23EfiiPfEEvT1_T3_lS3_lPS3_llPT2_S3_S3_S5_l.numbered_sgpr, 28
	.set _ZN9rocsolver6v33100L18getf2_small_kernelILi23EfiiPfEEvT1_T3_lS3_lPS3_llPT2_S3_S3_S5_l.num_named_barrier, 0
	.set _ZN9rocsolver6v33100L18getf2_small_kernelILi23EfiiPfEEvT1_T3_lS3_lPS3_llPT2_S3_S3_S5_l.private_seg_size, 3616
	.set _ZN9rocsolver6v33100L18getf2_small_kernelILi23EfiiPfEEvT1_T3_lS3_lPS3_llPT2_S3_S3_S5_l.uses_vcc, 1
	.set _ZN9rocsolver6v33100L18getf2_small_kernelILi23EfiiPfEEvT1_T3_lS3_lPS3_llPT2_S3_S3_S5_l.uses_flat_scratch, 0
	.set _ZN9rocsolver6v33100L18getf2_small_kernelILi23EfiiPfEEvT1_T3_lS3_lPS3_llPT2_S3_S3_S5_l.has_dyn_sized_stack, 0
	.set _ZN9rocsolver6v33100L18getf2_small_kernelILi23EfiiPfEEvT1_T3_lS3_lPS3_llPT2_S3_S3_S5_l.has_recursion, 0
	.set _ZN9rocsolver6v33100L18getf2_small_kernelILi23EfiiPfEEvT1_T3_lS3_lPS3_llPT2_S3_S3_S5_l.has_indirect_call, 0
	.section	.AMDGPU.csdata,"",@progbits
; Kernel info:
; codeLenInByte = 54284
; TotalNumSgprs: 34
; NumVgprs: 256
; NumAgprs: 0
; TotalNumVgprs: 256
; ScratchSize: 3616
; MemoryBound: 0
; FloatMode: 240
; IeeeMode: 1
; LDSByteSize: 0 bytes/workgroup (compile time only)
; SGPRBlocks: 4
; VGPRBlocks: 31
; NumSGPRsForWavesPerEU: 34
; NumVGPRsForWavesPerEU: 256
; AccumOffset: 256
; Occupancy: 2
; WaveLimiterHint : 0
; COMPUTE_PGM_RSRC2:SCRATCH_EN: 1
; COMPUTE_PGM_RSRC2:USER_SGPR: 2
; COMPUTE_PGM_RSRC2:TRAP_HANDLER: 0
; COMPUTE_PGM_RSRC2:TGID_X_EN: 1
; COMPUTE_PGM_RSRC2:TGID_Y_EN: 1
; COMPUTE_PGM_RSRC2:TGID_Z_EN: 0
; COMPUTE_PGM_RSRC2:TIDIG_COMP_CNT: 1
; COMPUTE_PGM_RSRC3_GFX90A:ACCUM_OFFSET: 63
; COMPUTE_PGM_RSRC3_GFX90A:TG_SPLIT: 0
	.section	.text._ZN9rocsolver6v33100L23getf2_npvt_small_kernelILi23EfiiPfEEvT1_T3_lS3_lPT2_S3_S3_,"axG",@progbits,_ZN9rocsolver6v33100L23getf2_npvt_small_kernelILi23EfiiPfEEvT1_T3_lS3_lPT2_S3_S3_,comdat
	.globl	_ZN9rocsolver6v33100L23getf2_npvt_small_kernelILi23EfiiPfEEvT1_T3_lS3_lPT2_S3_S3_ ; -- Begin function _ZN9rocsolver6v33100L23getf2_npvt_small_kernelILi23EfiiPfEEvT1_T3_lS3_lPT2_S3_S3_
	.p2align	8
	.type	_ZN9rocsolver6v33100L23getf2_npvt_small_kernelILi23EfiiPfEEvT1_T3_lS3_lPT2_S3_S3_,@function
_ZN9rocsolver6v33100L23getf2_npvt_small_kernelILi23EfiiPfEEvT1_T3_lS3_lPT2_S3_S3_: ; @_ZN9rocsolver6v33100L23getf2_npvt_small_kernelILi23EfiiPfEEvT1_T3_lS3_lPT2_S3_S3_
; %bb.0:
	s_load_dword s2, s[0:1], 0x44
	s_load_dwordx2 s[8:9], s[0:1], 0x30
	v_bfe_u32 v1, v0, 10, 10
	s_waitcnt lgkmcnt(0)
	s_lshr_b32 s10, s2, 16
	s_mul_i32 s3, s3, s10
	v_add_u32_e32 v250, s3, v1
	v_cmp_gt_i32_e32 vcc, s8, v250
	s_and_saveexec_b64 s[2:3], vcc
	s_cbranch_execz .LBB45_120
; %bb.1:
	s_load_dwordx4 s[12:15], s[0:1], 0x8
	s_load_dword s2, s[0:1], 0x18
	s_load_dwordx4 s[4:7], s[0:1], 0x20
	v_ashrrev_i32_e32 v251, 31, v250
	v_and_b32_e32 v248, 0x3ff, v0
	s_waitcnt lgkmcnt(0)
	v_mov_b32_e32 v2, s12
	v_mov_b32_e32 v3, s13
	v_mul_lo_u32 v0, s5, v250
	v_mul_lo_u32 v6, s4, v251
	v_mad_u64_u32 v[4:5], s[0:1], s4, v250, 0
	v_add3_u32 v5, v5, v6, v0
	v_lshl_add_u64 v[2:3], v[4:5], 2, v[2:3]
	v_lshl_add_u64 v[2:3], s[14:15], 2, v[2:3]
	v_lshlrev_b32_e32 v4, 2, v248
	v_mov_b32_e32 v5, 0
	s_add_i32 s0, s2, s2
	v_lshl_add_u64 v[24:25], v[2:3], 0, v[4:5]
	v_add_u32_e32 v4, s0, v248
	v_ashrrev_i32_e32 v5, 31, v4
	v_lshl_add_u64 v[20:21], v[4:5], 2, v[2:3]
	v_add_u32_e32 v4, s2, v4
	v_ashrrev_i32_e32 v5, 31, v4
	v_lshl_add_u64 v[22:23], v[4:5], 2, v[2:3]
	v_add_u32_e32 v4, s2, v4
	v_ashrrev_i32_e32 v5, 31, v4
	v_lshl_add_u64 v[26:27], v[4:5], 2, v[2:3]
	v_add_u32_e32 v4, s2, v4
	v_ashrrev_i32_e32 v5, 31, v4
	v_lshl_add_u64 v[28:29], v[4:5], 2, v[2:3]
	v_add_u32_e32 v4, s2, v4
	v_ashrrev_i32_e32 v5, 31, v4
	v_lshl_add_u64 v[30:31], v[4:5], 2, v[2:3]
	v_add_u32_e32 v4, s2, v4
	v_ashrrev_i32_e32 v5, 31, v4
	v_lshl_add_u64 v[32:33], v[4:5], 2, v[2:3]
	v_add_u32_e32 v4, s2, v4
	v_ashrrev_i32_e32 v5, 31, v4
	v_lshl_add_u64 v[16:17], v[4:5], 2, v[2:3]
	v_add_u32_e32 v4, s2, v4
	v_ashrrev_i32_e32 v5, 31, v4
	v_lshl_add_u64 v[10:11], v[4:5], 2, v[2:3]
	v_add_u32_e32 v4, s2, v4
	v_ashrrev_i32_e32 v5, 31, v4
	v_lshl_add_u64 v[14:15], v[4:5], 2, v[2:3]
	v_add_u32_e32 v4, s2, v4
	v_ashrrev_i32_e32 v5, 31, v4
	v_lshl_add_u64 v[34:35], v[4:5], 2, v[2:3]
	v_add_u32_e32 v4, s2, v4
	v_ashrrev_i32_e32 v5, 31, v4
	v_lshl_add_u64 v[36:37], v[4:5], 2, v[2:3]
	v_add_u32_e32 v4, s2, v4
	v_ashrrev_i32_e32 v5, 31, v4
	v_lshl_add_u64 v[38:39], v[4:5], 2, v[2:3]
	v_add_u32_e32 v4, s2, v4
	v_ashrrev_i32_e32 v5, 31, v4
	v_lshl_add_u64 v[40:41], v[4:5], 2, v[2:3]
	v_add_u32_e32 v4, s2, v4
	v_ashrrev_i32_e32 v5, 31, v4
	v_lshl_add_u64 v[42:43], v[4:5], 2, v[2:3]
	v_add_u32_e32 v4, s2, v4
	v_ashrrev_i32_e32 v5, 31, v4
	v_lshl_add_u64 v[8:9], v[4:5], 2, v[2:3]
	v_add_u32_e32 v4, s2, v4
	v_ashrrev_i32_e32 v5, 31, v4
	v_lshl_add_u64 v[6:7], v[4:5], 2, v[2:3]
	v_add_u32_e32 v4, s2, v4
	v_ashrrev_i32_e32 v5, 31, v4
	v_lshl_add_u64 v[12:13], v[4:5], 2, v[2:3]
	v_add_u32_e32 v4, s2, v4
	v_ashrrev_i32_e32 v5, 31, v4
	v_lshl_add_u64 v[44:45], v[4:5], 2, v[2:3]
	v_add_u32_e32 v4, s2, v4
	v_ashrrev_i32_e32 v5, 31, v4
	v_lshl_add_u64 v[46:47], v[4:5], 2, v[2:3]
	v_add_u32_e32 v4, s2, v4
	v_ashrrev_i32_e32 v5, 31, v4
	v_lshl_add_u64 v[48:49], v[4:5], 2, v[2:3]
	v_add_u32_e32 v4, s2, v4
	s_ashr_i32 s3, s2, 31
	v_ashrrev_i32_e32 v5, 31, v4
	v_lshl_add_u64 v[18:19], s[2:3], 2, v[24:25]
	v_lshl_add_u64 v[2:3], v[4:5], 2, v[2:3]
	scratch_store_dwordx2 off, v[6:7], off offset:3336 ; 8-byte Folded Spill
	global_load_dword v4, v[6:7], off
	global_load_dword v5, v[12:13], off
	;; [unrolled: 1-line block ×4, first 2 shown]
	s_mulk_i32 s10, 0x5c
	scratch_store_dwordx2 off, v[12:13], off offset:3344 ; 8-byte Folded Spill
	scratch_store_dwordx2 off, v[8:9], off offset:3328 ; 8-byte Folded Spill
	global_load_dword v9, v[8:9], off
	s_movk_i32 s0, 0x5c
	scratch_store_dwordx2 off, v[10:11], off offset:3272 ; 8-byte Folded Spill
	scratch_store_dwordx2 off, v[14:15], off offset:3280 ; 8-byte Folded Spill
	;; [unrolled: 1-line block ×3, first 2 shown]
	global_load_dword v17, v[16:17], off
	s_add_i32 s1, s10, 0
	global_load_dword v12, v[10:11], off
	global_load_dword v13, v[14:15], off
	;; [unrolled: 1-line block ×3, first 2 shown]
	v_mad_u32_u24 v255, v1, s0, 0
	scratch_store_dwordx2 off, v[18:19], off offset:3208 ; 8-byte Folded Spill
	global_load_dword v18, v[18:19], off
	v_lshl_add_u32 v254, v1, 2, s1
	global_load_dword v253, v[2:3], off
	global_load_dword v6, v[44:45], off
	;; [unrolled: 1-line block ×9, first 2 shown]
	v_cmp_ne_u32_e64 s[2:3], 0, v248
	scratch_store_dwordx2 off, v[20:21], off offset:3216 ; 8-byte Folded Spill
	scratch_store_dwordx2 off, v[22:23], off offset:3224 ; 8-byte Folded Spill
	global_load_dword v20, v[22:23], off
	v_cmp_eq_u32_e64 s[0:1], 0, v248
	global_load_dword v21, v[26:27], off
	global_load_dword v22, v[28:29], off
	global_load_dword v23, v[30:31], off
	s_nop 0
	scratch_store_dwordx2 off, v[44:45], off offset:3352 ; 8-byte Folded Spill
	scratch_store_dwordx2 off, v[46:47], off offset:3360 ; 8-byte Folded Spill
	;; [unrolled: 1-line block ×14, first 2 shown]
	s_and_saveexec_b64 s[4:5], s[0:1]
	s_cbranch_execz .LBB45_4
; %bb.2:
	s_waitcnt vmcnt(41)
	ds_write_b32 v254, v0
	s_waitcnt vmcnt(22)
	ds_write2_b32 v255, v18, v19 offset0:1 offset1:2
	s_waitcnt vmcnt(16)
	ds_write2_b32 v255, v20, v21 offset0:3 offset1:4
	;; [unrolled: 2-line block ×3, first 2 shown]
	ds_write2_b32 v255, v16, v17 offset0:7 offset1:8
	ds_write2_b32 v255, v12, v13 offset0:9 offset1:10
	ds_write2_b32 v255, v14, v15 offset0:11 offset1:12
	ds_write2_b32 v255, v10, v11 offset0:13 offset1:14
	ds_write2_b32 v255, v8, v9 offset0:15 offset1:16
	ds_write2_b32 v255, v4, v5 offset0:17 offset1:18
	ds_write2_b32 v255, v6, v7 offset0:19 offset1:20
	ds_write2_b32 v255, v252, v253 offset0:21 offset1:22
	ds_read_b32 v1, v254
	s_waitcnt lgkmcnt(0)
	v_cmp_neq_f32_e32 vcc, 0, v1
	s_and_b64 exec, exec, vcc
	s_cbranch_execz .LBB45_4
; %bb.3:
	v_div_scale_f32 v2, s[10:11], v1, v1, 1.0
	v_rcp_f32_e32 v3, v2
	v_div_scale_f32 v24, vcc, 1.0, v1, 1.0
	v_fma_f32 v25, -v2, v3, 1.0
	v_fmac_f32_e32 v3, v25, v3
	v_mul_f32_e32 v25, v24, v3
	v_fma_f32 v26, -v2, v25, v24
	v_fmac_f32_e32 v25, v26, v3
	v_fma_f32 v2, -v2, v25, v24
	v_div_fmas_f32 v2, v2, v3, v25
	v_div_fixup_f32 v1, v2, v1, 1.0
	ds_write_b32 v254, v1
.LBB45_4:
	s_or_b64 exec, exec, s[4:5]
	s_waitcnt lgkmcnt(0)
	s_barrier
	ds_read_b32 v1, v254
                                        ; implicit-def: $vgpr176
                                        ; implicit-def: $vgpr121
                                        ; implicit-def: $vgpr24
                                        ; implicit-def: $vgpr234
                                        ; implicit-def: $vgpr155
                                        ; implicit-def: $vgpr184
                                        ; implicit-def: $vgpr137
                                        ; implicit-def: $vgpr166
                                        ; implicit-def: $vgpr119
                                        ; implicit-def: $vgpr96
                                        ; implicit-def: $vgpr131
                                        ; implicit-def: $vgpr130
                                        ; implicit-def: $vgpr205
                                        ; implicit-def: $vgpr192
                                        ; implicit-def: $vgpr231
                                        ; implicit-def: $vgpr202
                                        ; implicit-def: $vgpr25
                                        ; implicit-def: $vgpr28
                                        ; implicit-def: $vgpr3
	s_waitcnt lgkmcnt(0)
	scratch_store_dword off, v1, off offset:3384 ; 4-byte Folded Spill
	s_and_saveexec_b64 s[4:5], s[2:3]
	s_xor_b64 s[2:3], exec, s[4:5]
	s_cbranch_execz .LBB45_6
; %bb.5:
	ds_read2_b32 v[2:3], v255 offset0:1 offset1:2
	ds_read2_b32 v[26:27], v255 offset0:3 offset1:4
	;; [unrolled: 1-line block ×3, first 2 shown]
	scratch_load_dword v1, off, off offset:3384 ; 4-byte Folded Reload
	ds_read2_b32 v[30:31], v255 offset0:7 offset1:8
	s_waitcnt vmcnt(0)
	v_mul_f32_e32 v0, v0, v1
	s_waitcnt lgkmcnt(3)
	v_pk_fma_f32 v[24:25], v[0:1], v[2:3], v[18:19] op_sel_hi:[0,1,1] neg_lo:[1,0,0] neg_hi:[1,0,0]
	ds_read2_b32 v[2:3], v255 offset0:9 offset1:10
	ds_read2_b32 v[18:19], v255 offset0:11 offset1:12
	s_waitcnt lgkmcnt(4)
	v_pk_fma_f32 v[26:27], v[0:1], v[26:27], v[20:21] op_sel_hi:[0,1,1] neg_lo:[1,0,0] neg_hi:[1,0,0]
	s_waitcnt lgkmcnt(2)
	v_pk_fma_f32 v[30:31], v[0:1], v[30:31], v[16:17] op_sel_hi:[0,1,1] neg_lo:[1,0,0] neg_hi:[1,0,0]
	ds_read2_b32 v[16:17], v255 offset0:13 offset1:14
	ds_read2_b32 v[20:21], v255 offset0:15 offset1:16
	s_waitcnt lgkmcnt(3)
	v_pk_fma_f32 v[32:33], v[0:1], v[2:3], v[12:13] op_sel_hi:[0,1,1] neg_lo:[1,0,0] neg_hi:[1,0,0]
	s_waitcnt lgkmcnt(2)
	v_pk_fma_f32 v[34:35], v[0:1], v[18:19], v[14:15] op_sel_hi:[0,1,1] neg_lo:[1,0,0] neg_hi:[1,0,0]
	ds_read2_b32 v[2:3], v255 offset0:17 offset1:18
	ds_read2_b32 v[12:13], v255 offset0:19 offset1:20
	;; [unrolled: 1-line block ×3, first 2 shown]
	v_pk_fma_f32 v[28:29], v[0:1], v[28:29], v[22:23] op_sel_hi:[0,1,1] neg_lo:[1,0,0] neg_hi:[1,0,0]
	s_waitcnt lgkmcnt(4)
	v_pk_fma_f32 v[36:37], v[0:1], v[16:17], v[10:11] op_sel_hi:[0,1,1] neg_lo:[1,0,0] neg_hi:[1,0,0]
	s_waitcnt lgkmcnt(3)
	;; [unrolled: 2-line block ×5, first 2 shown]
	v_pk_fma_f32 v[252:253], v[0:1], v[14:15], v[252:253] op_sel_hi:[0,1,1] neg_lo:[1,0,0] neg_hi:[1,0,0]
	v_mov_b32_e32 v2, v25
                                        ; implicit-def: $vgpr18
                                        ; implicit-def: $vgpr20
                                        ; implicit-def: $vgpr22
                                        ; implicit-def: $vgpr16
                                        ; implicit-def: $vgpr12
                                        ; implicit-def: $vgpr14
                                        ; implicit-def: $vgpr10
                                        ; implicit-def: $vgpr8
                                        ; implicit-def: $vgpr4
                                        ; implicit-def: $vgpr6
	v_mov_b32_e32 v176, v43
	v_mov_b32_e32 v121, v42
	;; [unrolled: 1-line block ×18, first 2 shown]
.LBB45_6:
	s_or_saveexec_b64 s[2:3], s[2:3]
	v_mov_b32_e32 v1, v24
	s_xor_b64 exec, exec, s[2:3]
	s_cbranch_execz .LBB45_8
; %bb.7:
	s_waitcnt vmcnt(30)
	v_mov_b32_e32 v1, v18
	s_waitcnt vmcnt(23)
	v_mov_b32_e32 v2, v19
	;; [unrolled: 2-line block ×6, first 2 shown]
	v_mov_b32_e32 v231, v16
	v_mov_b32_e32 v192, v17
	;; [unrolled: 1-line block ×14, first 2 shown]
.LBB45_8:
	s_or_b64 exec, exec, s[2:3]
	v_mov_b32_e32 v47, v3
	s_waitcnt vmcnt(45)
	v_mov_b32_e32 v4, v28
	v_mov_b32_e32 v30, v28
	s_waitcnt vmcnt(44)
	v_mov_b32_e32 v5, v25
	;; [unrolled: 3-line block ×3, first 2 shown]
	s_waitcnt vmcnt(26)
	v_mov_b32_e32 v7, v231
	v_mov_b32_e32 v145, v231
	s_waitcnt vmcnt(21)
	v_mov_b32_e32 v8, v192
	v_mov_b32_e32 v32, v192
	;; [unrolled: 1-line block ×17, first 2 shown]
	s_waitcnt vmcnt(18)
	v_mov_b32_e32 v20, v176
	s_waitcnt vmcnt(17)
	v_mov_b32_e32 v21, v252
	;; [unrolled: 2-line block ×3, first 2 shown]
	v_cmp_eq_u32_e32 vcc, 1, v248
	s_barrier
	s_and_saveexec_b64 s[2:3], vcc
	s_cbranch_execz .LBB45_11
; %bb.9:
	ds_write_b32 v254, v1
	ds_write2_b32 v255, v2, v47 offset0:2 offset1:3
	ds_write2_b32 v255, v30, v31 offset0:4 offset1:5
	ds_write2_b32 v255, v202, v145 offset0:6 offset1:7
	ds_write2_b32 v255, v32, v35 offset0:8 offset1:9
	ds_write2_b32 v255, v108, v197 offset0:10 offset1:11
	ds_write2_b32 v255, v96, v39 offset0:12 offset1:13
	ds_write2_b32 v255, v166, v137 offset0:14 offset1:15
	ds_write2_b32 v255, v184, v155 offset0:16 offset1:17
	ds_write2_b32 v255, v234, v121 offset0:18 offset1:19
	ds_write2_b32 v255, v176, v252 offset0:20 offset1:21
	ds_write_b32 v255, v253 offset:88
	s_waitcnt vmcnt(15)
	ds_read_b32 v23, v254
	s_waitcnt lgkmcnt(0)
	v_cmp_neq_f32_e32 vcc, 0, v23
	s_and_b64 exec, exec, vcc
	s_cbranch_execz .LBB45_11
; %bb.10:
	v_div_scale_f32 v24, s[4:5], v23, v23, 1.0
	v_rcp_f32_e32 v25, v24
	v_div_scale_f32 v26, vcc, 1.0, v23, 1.0
	v_fma_f32 v27, -v24, v25, 1.0
	v_fmac_f32_e32 v25, v27, v25
	v_mul_f32_e32 v27, v26, v25
	v_fma_f32 v28, -v24, v27, v26
	v_fmac_f32_e32 v27, v28, v25
	v_fma_f32 v24, -v24, v27, v26
	v_div_fmas_f32 v24, v24, v25, v27
	v_div_fixup_f32 v23, v24, v23, 1.0
	ds_write_b32 v254, v23
.LBB45_11:
	s_or_b64 exec, exec, s[2:3]
	v_mov_b32_e32 v46, v2
	v_mov_b32_e32 v44, v0
	;; [unrolled: 1-line block ×3, first 2 shown]
	v_mov_b64_e32 v[58:59], v[46:47]
	v_mov_b32_e32 v26, v0
	v_mov_b32_e32 v27, v1
	;; [unrolled: 1-line block ×4, first 2 shown]
	v_mov_b64_e32 v[56:57], v[44:45]
	v_mov_b32_e32 v46, v0
	v_mov_b32_e32 v47, v1
	;; [unrolled: 1-line block ×21, first 2 shown]
	v_mov_b64_e32 v[24:25], v[46:47]
	v_mov_b64_e32 v[28:29], v[50:51]
	;; [unrolled: 1-line block ×3, first 2 shown]
	v_mov_b32_e32 v40, v0
	v_mov_b32_e32 v41, v1
	;; [unrolled: 1-line block ×9, first 2 shown]
	v_mov_b64_e32 v[130:131], v[56:57]
	v_mov_b32_e32 v76, v38
	v_mov_b64_e32 v[60:61], v[44:45]
	v_mov_b32_e32 v70, v52
	v_mov_b32_e32 v118, v54
	;; [unrolled: 1-line block ×3, first 2 shown]
	v_mov_b64_e32 v[56:57], v[40:41]
	v_mov_b32_e32 v154, v54
	v_mov_b64_e32 v[164:165], v[54:55]
	v_mov_b32_e32 v69, v51
	v_mov_b32_e32 v68, v50
	;; [unrolled: 1-line block ×14, first 2 shown]
	v_mov_b64_e32 v[26:27], v[48:49]
	v_mov_b64_e32 v[30:31], v[52:53]
	;; [unrolled: 1-line block ×3, first 2 shown]
	v_mov_b32_e32 v75, v37
	v_mov_b32_e32 v74, v36
	v_mov_b32_e32 v73, v35
	v_mov_b64_e32 v[58:59], v[42:43]
	v_mov_b32_e32 v153, v53
	v_mov_b32_e32 v152, v52
	;; [unrolled: 1-line block ×8, first 2 shown]
	v_mov_b64_e32 v[162:163], v[52:53]
	v_mov_b64_e32 v[160:161], v[50:51]
	;; [unrolled: 1-line block ×4, first 2 shown]
	v_mov_b32_e32 v40, v72
	v_mov_b64_e32 v[46:47], v[56:57]
	v_mov_b32_e32 v41, v73
	v_mov_b32_e32 v42, v74
	;; [unrolled: 1-line block ×4, first 2 shown]
	v_mov_b64_e32 v[48:49], v[58:59]
	v_mov_b64_e32 v[50:51], v[60:61]
	;; [unrolled: 1-line block ×4, first 2 shown]
	v_mov_b32_e32 v98, v0
	v_mov_b32_e32 v99, v1
	v_mov_b32_e32 v100, v2
	v_mov_b32_e32 v104, v70
	v_mov_b32_e32 v105, v145
	v_mov_b32_e32 v106, v118
	v_mov_b32_e32 v107, v33
	v_mov_b32_e32 v84, v0
	v_mov_b32_e32 v85, v1
	v_mov_b32_e32 v86, v2
	v_mov_b32_e32 v88, v38
	v_mov_b32_e32 v89, v45
	v_mov_b32_e32 v90, v70
	v_mov_b32_e32 v91, v145
	v_mov_b32_e32 v208, v108
	v_mov_b64_e32 v[74:75], v[158:159]
	v_mov_b64_e32 v[76:77], v[160:161]
	;; [unrolled: 1-line block ×5, first 2 shown]
	v_mov_b32_e32 v144, v70
	v_mov_b32_e32 v192, v70
	;; [unrolled: 1-line block ×14, first 2 shown]
	scratch_store_dwordx4 off, v[60:63], off offset:1280 ; 16-byte Folded Spill
	s_nop 0
	scratch_store_dwordx4 off, v[64:67], off offset:1296 ; 16-byte Folded Spill
	scratch_store_dwordx4 off, v[68:71], off offset:1312 ; 16-byte Folded Spill
	;; [unrolled: 1-line block ×7, first 2 shown]
	v_mov_b32_e32 v93, v55
	v_mov_b32_e32 v35, v55
	v_mov_b64_e32 v[52:53], v[156:157]
	v_mov_b64_e32 v[54:55], v[158:159]
	;; [unrolled: 1-line block ×5, first 2 shown]
	v_mov_b32_e32 v191, v45
	v_mov_b32_e32 v31, v45
	;; [unrolled: 1-line block ×37, first 2 shown]
	v_mov_b64_e32 v[112:113], v[108:109]
	v_mov_b64_e32 v[110:111], v[106:107]
	;; [unrolled: 1-line block ×6, first 2 shown]
	v_mov_b32_e32 v122, v0
	v_mov_b32_e32 v123, v1
	;; [unrolled: 1-line block ×25, first 2 shown]
	scratch_store_dwordx4 off, v[40:43], off offset:1664 ; 16-byte Folded Spill
	s_nop 0
	scratch_store_dwordx4 off, v[44:47], off offset:1680 ; 16-byte Folded Spill
	scratch_store_dwordx4 off, v[48:51], off offset:1696 ; 16-byte Folded Spill
	;; [unrolled: 1-line block ×8, first 2 shown]
	s_nop 0
	scratch_store_dwordx4 off, v[142:145], off offset:1808 ; 16-byte Folded Spill
	scratch_store_dwordx4 off, v[146:149], off offset:1824 ; 16-byte Folded Spill
	scratch_store_dwordx4 off, v[150:153], off offset:1840 ; 16-byte Folded Spill
	scratch_store_dwordx4 off, v[154:157], off offset:1856 ; 16-byte Folded Spill
	scratch_store_dwordx4 off, v[158:161], off offset:1872 ; 16-byte Folded Spill
	scratch_store_dwordx4 off, v[162:165], off offset:1888 ; 16-byte Folded Spill
	scratch_store_dwordx4 off, v[166:169], off offset:1904 ; 16-byte Folded Spill
	v_mov_b32_e32 v131, v81
	scratch_store_dwordx4 off, v[146:149], off offset:1920 ; 16-byte Folded Spill
	s_nop 0
	scratch_store_dwordx4 off, v[150:153], off offset:1936 ; 16-byte Folded Spill
	scratch_store_dwordx4 off, v[154:157], off offset:1952 ; 16-byte Folded Spill
	;; [unrolled: 1-line block ×7, first 2 shown]
	v_mov_b32_e32 v80, v70
	v_mov_b32_e32 v79, v69
	;; [unrolled: 1-line block ×8, first 2 shown]
	scratch_store_dwordx4 off, v[52:55], off offset:2048 ; 16-byte Folded Spill
	s_nop 0
	scratch_store_dwordx4 off, v[56:59], off offset:2064 ; 16-byte Folded Spill
	scratch_store_dwordx4 off, v[60:63], off offset:2080 ; 16-byte Folded Spill
	;; [unrolled: 1-line block ×7, first 2 shown]
	v_mov_b32_e32 v62, v198
	v_mov_b32_e32 v63, v199
	;; [unrolled: 1-line block ×11, first 2 shown]
	scratch_store_dwordx4 off, v[62:65], off offset:2176 ; 16-byte Folded Spill
	s_nop 0
	scratch_store_dwordx4 off, v[66:69], off offset:2192 ; 16-byte Folded Spill
	scratch_store_dwordx4 off, v[70:73], off offset:2208 ; 16-byte Folded Spill
	;; [unrolled: 1-line block ×7, first 2 shown]
	v_mov_b32_e32 v214, v44
	v_mov_b32_e32 v215, v51
	;; [unrolled: 1-line block ×17, first 2 shown]
	v_cmp_lt_u32_e32 vcc, 1, v248
	v_mov_b32_e32 v220, v72
	v_mov_b64_e32 v[156:157], v[210:211]
	v_mov_b64_e32 v[158:159], v[212:213]
	;; [unrolled: 1-line block ×8, first 2 shown]
	scratch_load_dwordx4 v[198:201], off, off offset:1280 ; 16-byte Folded Reload
	scratch_load_dwordx4 v[202:205], off, off offset:1296 ; 16-byte Folded Reload
	;; [unrolled: 1-line block ×8, first 2 shown]
	s_nop 0
	scratch_store_dwordx4 off, v[102:105], off offset:640 ; 16-byte Folded Spill
	s_nop 0
	scratch_store_dwordx4 off, v[106:109], off offset:656 ; 16-byte Folded Spill
	scratch_store_dwordx4 off, v[110:113], off offset:672 ; 16-byte Folded Spill
	;; [unrolled: 1-line block ×7, first 2 shown]
	s_waitcnt vmcnt(12)
	v_mov_b32_e32 v210, v80
	v_mov_b32_e32 v102, v0
	;; [unrolled: 1-line block ×8, first 2 shown]
	s_waitcnt vmcnt(8)
	v_mov_b32_e32 v228, v96
	v_mov_b32_e32 v144, v80
	;; [unrolled: 1-line block ×19, first 2 shown]
	v_mov_b64_e32 v[202:203], v[50:51]
	v_mov_b64_e32 v[200:201], v[48:49]
	;; [unrolled: 1-line block ×3, first 2 shown]
	scratch_load_dwordx4 v[40:43], off, off offset:1280 ; 16-byte Folded Reload
	scratch_load_dwordx4 v[44:47], off, off offset:1296 ; 16-byte Folded Reload
	;; [unrolled: 1-line block ×8, first 2 shown]
	v_mov_b32_e32 v107, v203
	v_mov_b32_e32 v221, v203
	s_waitcnt vmcnt(7)
	v_mov_b32_e32 v219, v43
	scratch_load_dwordx4 v[40:43], off, off offset:1664 ; 16-byte Folded Reload
	scratch_load_dwordx4 v[44:47], off, off offset:1680 ; 16-byte Folded Reload
	scratch_load_dwordx4 v[48:51], off, off offset:1696 ; 16-byte Folded Reload
	scratch_load_dwordx4 v[52:55], off, off offset:1712 ; 16-byte Folded Reload
	scratch_load_dwordx4 v[56:59], off, off offset:1728 ; 16-byte Folded Reload
	scratch_load_dwordx4 v[60:63], off, off offset:1744 ; 16-byte Folded Reload
	scratch_load_dwordx4 v[64:67], off, off offset:1760 ; 16-byte Folded Reload
	scratch_load_dwordx4 v[68:71], off, off offset:1776 ; 16-byte Folded Reload
	s_waitcnt vmcnt(6)
	v_mov_b32_e32 v220, v44
	scratch_load_dwordx4 v[40:43], off, off offset:1792 ; 16-byte Folded Reload
	scratch_load_dwordx4 v[44:47], off, off offset:1808 ; 16-byte Folded Reload
	scratch_load_dwordx4 v[48:51], off, off offset:1824 ; 16-byte Folded Reload
	scratch_load_dwordx4 v[52:55], off, off offset:1840 ; 16-byte Folded Reload
	scratch_load_dwordx4 v[56:59], off, off offset:1856 ; 16-byte Folded Reload
	scratch_load_dwordx4 v[60:63], off, off offset:1872 ; 16-byte Folded Reload
	scratch_load_dwordx4 v[64:67], off, off offset:1888 ; 16-byte Folded Reload
	scratch_load_dwordx4 v[68:71], off, off offset:1904 ; 16-byte Folded Reload
	;; [unrolled: 10-line block ×6, first 2 shown]
	s_nop 0
	scratch_store_dwordx4 off, v[156:159], off ; 16-byte Folded Spill
	s_nop 0
	scratch_store_dwordx4 off, v[160:163], off offset:16 ; 16-byte Folded Spill
	scratch_store_dwordx4 off, v[164:167], off offset:32 ; 16-byte Folded Spill
	;; [unrolled: 1-line block ×7, first 2 shown]
	v_mov_b32_e32 v156, v0
	v_mov_b32_e32 v157, v1
	;; [unrolled: 1-line block ×12, first 2 shown]
	s_waitcnt vmcnt(12)
	v_mov_b32_e32 v230, v54
	scratch_load_dwordx4 v[40:43], off, off offset:1280 ; 16-byte Folded Reload
	scratch_load_dwordx4 v[44:47], off, off offset:1296 ; 16-byte Folded Reload
	scratch_load_dwordx4 v[48:51], off, off offset:1312 ; 16-byte Folded Reload
	scratch_load_dwordx4 v[52:55], off, off offset:1328 ; 16-byte Folded Reload
	scratch_load_dwordx4 v[56:59], off, off offset:1344 ; 16-byte Folded Reload
	scratch_load_dwordx4 v[60:63], off, off offset:1360 ; 16-byte Folded Reload
	scratch_load_dwordx4 v[64:67], off, off offset:1376 ; 16-byte Folded Reload
	scratch_load_dwordx4 v[68:71], off, off offset:1392 ; 16-byte Folded Reload
	s_waitcnt vmcnt(7)
	v_mov_b32_e32 v105, v43
	scratch_load_dwordx4 v[40:43], off, off offset:1664 ; 16-byte Folded Reload
	scratch_load_dwordx4 v[44:47], off, off offset:1680 ; 16-byte Folded Reload
	scratch_load_dwordx4 v[48:51], off, off offset:1696 ; 16-byte Folded Reload
	scratch_load_dwordx4 v[52:55], off, off offset:1712 ; 16-byte Folded Reload
	scratch_load_dwordx4 v[56:59], off, off offset:1728 ; 16-byte Folded Reload
	scratch_load_dwordx4 v[60:63], off, off offset:1744 ; 16-byte Folded Reload
	scratch_load_dwordx4 v[64:67], off, off offset:1760 ; 16-byte Folded Reload
	scratch_load_dwordx4 v[68:71], off, off offset:1776 ; 16-byte Folded Reload
	;; [unrolled: 10-line block ×7, first 2 shown]
	s_waitcnt vmcnt(4)
	v_mov_b32_e32 v116, v54
	scratch_load_dwordx4 v[40:43], off, off ; 16-byte Folded Reload
	scratch_load_dwordx4 v[44:47], off, off offset:16 ; 16-byte Folded Reload
	scratch_load_dwordx4 v[48:51], off, off offset:32 ; 16-byte Folded Reload
	;; [unrolled: 1-line block ×7, first 2 shown]
	s_nop 0
	scratch_store_dwordx4 off, v[84:87], off offset:768 ; 16-byte Folded Spill
	s_nop 0
	scratch_store_dwordx4 off, v[88:91], off offset:784 ; 16-byte Folded Spill
	scratch_store_dwordx4 off, v[92:95], off offset:800 ; 16-byte Folded Spill
	;; [unrolled: 1-line block ×7, first 2 shown]
	s_waitcnt vmcnt(11)
	v_mov_b32_e32 v118, v56
	scratch_load_dwordx4 v[40:43], off, off offset:1280 ; 16-byte Folded Reload
	scratch_load_dwordx4 v[44:47], off, off offset:1296 ; 16-byte Folded Reload
	;; [unrolled: 1-line block ×16, first 2 shown]
	s_waitcnt vmcnt(2)
	v_mov_b32_e32 v84, v234
	v_mov_b32_e32 v159, v43
	;; [unrolled: 1-line block ×3, first 2 shown]
	scratch_load_dwordx4 v[40:43], off, off offset:1792 ; 16-byte Folded Reload
	scratch_load_dwordx4 v[44:47], off, off offset:1808 ; 16-byte Folded Reload
	scratch_load_dwordx4 v[48:51], off, off offset:1824 ; 16-byte Folded Reload
	scratch_load_dwordx4 v[52:55], off, off offset:1840 ; 16-byte Folded Reload
	scratch_load_dwordx4 v[56:59], off, off offset:1856 ; 16-byte Folded Reload
	scratch_load_dwordx4 v[60:63], off, off offset:1872 ; 16-byte Folded Reload
	scratch_load_dwordx4 v[64:67], off, off offset:1888 ; 16-byte Folded Reload
	scratch_load_dwordx4 v[68:71], off, off offset:1904 ; 16-byte Folded Reload
	s_waitcnt vmcnt(6)
	v_mov_b32_e32 v163, v47
	scratch_load_dwordx4 v[40:43], off, off offset:1920 ; 16-byte Folded Reload
	scratch_load_dwordx4 v[44:47], off, off offset:1936 ; 16-byte Folded Reload
	scratch_load_dwordx4 v[48:51], off, off offset:1952 ; 16-byte Folded Reload
	scratch_load_dwordx4 v[52:55], off, off offset:1968 ; 16-byte Folded Reload
	scratch_load_dwordx4 v[56:59], off, off offset:1984 ; 16-byte Folded Reload
	scratch_load_dwordx4 v[60:63], off, off offset:2000 ; 16-byte Folded Reload
	scratch_load_dwordx4 v[64:67], off, off offset:2016 ; 16-byte Folded Reload
	scratch_load_dwordx4 v[68:71], off, off offset:2032 ; 16-byte Folded Reload
	s_waitcnt vmcnt(5)
	v_mov_b32_e32 v164, v48
	;; [unrolled: 10-line block ×6, first 2 shown]
	scratch_load_dwordx4 v[40:43], off, off ; 16-byte Folded Reload
	scratch_load_dwordx4 v[44:47], off, off offset:16 ; 16-byte Folded Reload
	scratch_load_dwordx4 v[48:51], off, off offset:32 ; 16-byte Folded Reload
	;; [unrolled: 1-line block ×7, first 2 shown]
	s_waitcnt lgkmcnt(0)
	s_barrier
	ds_read_b32 v23, v254
	s_waitcnt vmcnt(0)
	v_mov_b64_e32 v[72:73], v[54:55]
	v_mov_b32_e32 v172, v56
	scratch_store_dwordx4 off, v[4:7], off  ; 16-byte Folded Spill
	s_nop 0
	scratch_store_dwordx4 off, v[8:11], off offset:16 ; 16-byte Folded Spill
	scratch_store_dwordx4 off, v[12:15], off offset:32 ; 16-byte Folded Spill
	;; [unrolled: 1-line block ×3, first 2 shown]
	s_waitcnt lgkmcnt(0)
	scratch_store_dwordx4 off, v[20:23], off offset:64 ; 16-byte Folded Spill
	scratch_store_dwordx4 off, v[24:27], off offset:80 ; 16-byte Folded Spill
	;; [unrolled: 1-line block ×5, first 2 shown]
	s_nop 0
	scratch_store_dwordx4 off, v[160:163], off offset:2832 ; 16-byte Folded Spill
	scratch_store_dwordx4 off, v[164:167], off offset:2848 ; 16-byte Folded Spill
	;; [unrolled: 1-line block ×7, first 2 shown]
	v_mov_b64_e32 v[70:71], v[52:53]
	v_mov_b64_e32 v[68:69], v[50:51]
	;; [unrolled: 1-line block ×7, first 2 shown]
	v_mov_b32_e32 v41, v121
	scratch_store_dwordx4 off, v[102:105], off offset:128 ; 16-byte Folded Spill
	s_nop 0
	scratch_store_dwordx4 off, v[106:109], off offset:144 ; 16-byte Folded Spill
	scratch_store_dwordx4 off, v[110:113], off offset:160 ; 16-byte Folded Spill
	;; [unrolled: 1-line block ×8, first 2 shown]
	s_nop 0
	scratch_store_dwordx4 off, v[220:223], off offset:3088 ; 16-byte Folded Spill
	scratch_store_dwordx4 off, v[224:227], off offset:3104 ; 16-byte Folded Spill
	;; [unrolled: 1-line block ×7, first 2 shown]
	v_mov_b32_e32 v25, v155
	scratch_store_dwordx4 off, v[138:141], off offset:256 ; 16-byte Folded Spill
	s_nop 0
	scratch_store_dwordx4 off, v[142:145], off offset:272 ; 16-byte Folded Spill
	scratch_store_dwordx4 off, v[146:149], off offset:288 ; 16-byte Folded Spill
	;; [unrolled: 1-line block ×7, first 2 shown]
	v_mov_b64_e32 v[102:103], v[72:73]
	v_mov_b64_e32 v[100:101], v[70:71]
	;; [unrolled: 1-line block ×8, first 2 shown]
	v_mov_b32_e32 v104, v56
	scratch_store_dwordx4 off, v[88:91], off offset:384 ; 16-byte Folded Spill
	s_nop 0
	scratch_store_dwordx4 off, v[92:95], off offset:400 ; 16-byte Folded Spill
	scratch_store_dwordx4 off, v[96:99], off offset:416 ; 16-byte Folded Spill
	scratch_store_dwordx4 off, v[100:103], off offset:432 ; 16-byte Folded Spill
	scratch_store_dwordx4 off, v[104:107], off offset:448 ; 16-byte Folded Spill
	scratch_store_dwordx4 off, v[108:111], off offset:464 ; 16-byte Folded Spill
	scratch_store_dwordx4 off, v[112:115], off offset:480 ; 16-byte Folded Spill
	scratch_store_dwordx4 off, v[116:119], off offset:496 ; 16-byte Folded Spill
	v_mov_b32_e32 v69, v137
	scratch_store_dwordx4 off, v[122:125], off offset:512 ; 16-byte Folded Spill
	s_nop 0
	scratch_store_dwordx4 off, v[126:129], off offset:528 ; 16-byte Folded Spill
	scratch_store_dwordx4 off, v[130:133], off offset:544 ; 16-byte Folded Spill
	;; [unrolled: 1-line block ×7, first 2 shown]
	v_mov_b32_e32 v74, v56
	v_mov_b32_e32 v70, v56
	scratch_load_dwordx4 v[152:155], off, off offset:640 ; 16-byte Folded Reload
	scratch_load_dwordx4 v[156:159], off, off offset:656 ; 16-byte Folded Reload
	;; [unrolled: 1-line block ×8, first 2 shown]
	s_nop 0
	scratch_store_dwordx4 off, v[26:29], off offset:640 ; 16-byte Folded Spill
	s_nop 0
	scratch_store_dwordx4 off, v[30:33], off offset:656 ; 16-byte Folded Spill
	scratch_store_dwordx4 off, v[34:37], off offset:672 ; 16-byte Folded Spill
	;; [unrolled: 1-line block ×7, first 2 shown]
	scratch_load_dwordx4 v[86:89], off, off offset:768 ; 16-byte Folded Reload
	scratch_load_dwordx4 v[90:93], off, off offset:784 ; 16-byte Folded Reload
	;; [unrolled: 1-line block ×8, first 2 shown]
	s_waitcnt vmcnt(20)
	v_mov_b32_e32 v68, v166
	s_waitcnt vmcnt(5)
	v_mov_b64_e32 v[26:27], v[86:87]
	v_mov_b64_e32 v[28:29], v[88:89]
	v_mov_b64_e32 v[30:31], v[90:91]
	v_mov_b64_e32 v[32:33], v[92:93]
	v_mov_b64_e32 v[34:35], v[94:95]
	v_mov_b64_e32 v[36:37], v[96:97]
	s_waitcnt vmcnt(4)
	v_mov_b32_e32 v38, v98
	scratch_store_dwordx4 off, v[26:29], off offset:768 ; 16-byte Folded Spill
	s_nop 0
	scratch_store_dwordx4 off, v[30:33], off offset:784 ; 16-byte Folded Spill
	scratch_store_dwordx4 off, v[34:37], off offset:800 ; 16-byte Folded Spill
	;; [unrolled: 1-line block ×8, first 2 shown]
	s_nop 0
	scratch_store_dwordx4 off, v[190:193], off offset:912 ; 16-byte Folded Spill
	scratch_store_dwordx4 off, v[194:197], off offset:928 ; 16-byte Folded Spill
	;; [unrolled: 1-line block ×7, first 2 shown]
	v_mov_b32_e32 v88, v98
	scratch_load_dwordx4 v[90:93], off, off offset:2176 ; 16-byte Folded Reload
	scratch_load_dwordx4 v[94:97], off, off offset:2192 ; 16-byte Folded Reload
	;; [unrolled: 1-line block ×8, first 2 shown]
	s_waitcnt vmcnt(5)
	v_mov_b32_e32 v26, v90
	v_mov_b32_e32 v27, v91
	;; [unrolled: 1-line block ×11, first 2 shown]
	scratch_store_dwordx4 off, v[26:29], off offset:1024 ; 16-byte Folded Spill
	s_nop 0
	scratch_store_dwordx4 off, v[30:33], off offset:1040 ; 16-byte Folded Spill
	scratch_store_dwordx4 off, v[34:37], off offset:1056 ; 16-byte Folded Spill
	;; [unrolled: 1-line block ×7, first 2 shown]
	scratch_load_dwordx4 v[90:93], off, off offset:2048 ; 16-byte Folded Reload
	scratch_load_dwordx4 v[94:97], off, off offset:2064 ; 16-byte Folded Reload
	;; [unrolled: 1-line block ×8, first 2 shown]
	s_waitcnt vmcnt(5)
	v_mov_b64_e32 v[26:27], v[90:91]
	v_mov_b64_e32 v[28:29], v[92:93]
	;; [unrolled: 1-line block ×5, first 2 shown]
	scratch_store_dwordx4 off, v[26:29], off offset:1152 ; 16-byte Folded Spill
	s_nop 0
	scratch_store_dwordx4 off, v[30:33], off offset:1168 ; 16-byte Folded Spill
	scratch_store_dwordx4 off, v[34:37], off offset:1184 ; 16-byte Folded Spill
	;; [unrolled: 1-line block ×7, first 2 shown]
	scratch_load_dwordx4 v[90:93], off, off offset:1920 ; 16-byte Folded Reload
	scratch_load_dwordx4 v[94:97], off, off offset:1936 ; 16-byte Folded Reload
	;; [unrolled: 1-line block ×8, first 2 shown]
	s_waitcnt vmcnt(5)
	v_mov_b32_e32 v26, v90
	v_mov_b32_e32 v27, v91
	;; [unrolled: 1-line block ×10, first 2 shown]
	scratch_store_dwordx4 off, v[26:29], off offset:1408 ; 16-byte Folded Spill
	s_nop 0
	scratch_store_dwordx4 off, v[30:33], off offset:1424 ; 16-byte Folded Spill
	scratch_store_dwordx4 off, v[34:37], off offset:1440 ; 16-byte Folded Spill
	;; [unrolled: 1-line block ×7, first 2 shown]
	scratch_load_dwordx4 v[94:97], off, off offset:1792 ; 16-byte Folded Reload
	scratch_load_dwordx4 v[98:101], off, off offset:1808 ; 16-byte Folded Reload
	;; [unrolled: 1-line block ×8, first 2 shown]
	v_mov_b32_e32 v26, v204
	v_mov_b32_e32 v32, v210
	;; [unrolled: 1-line block ×7, first 2 shown]
	s_waitcnt vmcnt(6)
	v_mov_b64_e32 v[50:51], v[94:95]
	v_mov_b64_e32 v[52:53], v[96:97]
	;; [unrolled: 1-line block ×4, first 2 shown]
	scratch_store_dwordx4 off, v[50:53], off offset:1536 ; 16-byte Folded Spill
	s_nop 0
	scratch_store_dwordx4 off, v[54:57], off offset:1552 ; 16-byte Folded Spill
	scratch_store_dwordx4 off, v[58:61], off offset:1568 ; 16-byte Folded Spill
	;; [unrolled: 1-line block ×7, first 2 shown]
	v_mov_b32_e32 v56, v32
	scratch_store_dwordx4 off, v[26:29], off offset:2304 ; 16-byte Folded Spill
	s_nop 0
	scratch_store_dwordx4 off, v[30:33], off offset:2320 ; 16-byte Folded Spill
	scratch_store_dwordx4 off, v[34:37], off offset:2336 ; 16-byte Folded Spill
	;; [unrolled: 1-line block ×7, first 2 shown]
	v_mov_b64_e32 v[26:27], v[198:199]
	v_mov_b64_e32 v[28:29], v[200:201]
	;; [unrolled: 1-line block ×3, first 2 shown]
	scratch_store_dwordx4 off, v[26:29], off offset:2432 ; 16-byte Folded Spill
	s_nop 0
	scratch_store_dwordx4 off, v[30:33], off offset:2448 ; 16-byte Folded Spill
	scratch_store_dwordx4 off, v[34:37], off offset:2464 ; 16-byte Folded Spill
	;; [unrolled: 1-line block ×7, first 2 shown]
	scratch_load_dwordx4 v[94:97], off, off offset:1664 ; 16-byte Folded Reload
	scratch_load_dwordx4 v[98:101], off, off offset:1680 ; 16-byte Folded Reload
	;; [unrolled: 1-line block ×8, first 2 shown]
	s_waitcnt vmcnt(6)
	v_mov_b32_e32 v26, v94
	v_mov_b32_e32 v27, v95
	;; [unrolled: 1-line block ×5, first 2 shown]
	scratch_store_dwordx4 off, v[26:29], off offset:2560 ; 16-byte Folded Spill
	s_nop 0
	scratch_store_dwordx4 off, v[30:33], off offset:2576 ; 16-byte Folded Spill
	scratch_store_dwordx4 off, v[34:37], off offset:2592 ; 16-byte Folded Spill
	;; [unrolled: 1-line block ×7, first 2 shown]
	scratch_load_dwordx4 v[94:97], off, off offset:1280 ; 16-byte Folded Reload
	scratch_load_dwordx4 v[98:101], off, off offset:1296 ; 16-byte Folded Reload
	;; [unrolled: 1-line block ×8, first 2 shown]
	s_waitcnt vmcnt(7)
	v_mov_b64_e32 v[58:59], v[94:95]
	v_mov_b64_e32 v[60:61], v[96:97]
	scratch_store_dwordx4 off, v[58:61], off offset:2688 ; 16-byte Folded Spill
	s_nop 0
	scratch_store_dwordx4 off, v[62:65], off offset:2704 ; 16-byte Folded Spill
	scratch_store_dwordx4 off, v[66:69], off offset:2720 ; 16-byte Folded Spill
	scratch_store_dwordx4 off, v[70:73], off offset:2736 ; 16-byte Folded Spill
	scratch_store_dwordx4 off, v[74:77], off offset:2752 ; 16-byte Folded Spill
	scratch_store_dwordx4 off, v[78:81], off offset:2768 ; 16-byte Folded Spill
	scratch_store_dwordx4 off, v[82:85], off offset:2784 ; 16-byte Folded Spill
	scratch_store_dwordx4 off, v[86:89], off offset:2800 ; 16-byte Folded Spill
	scratch_store_dwordx4 off, v[0:3], off offset:2944 ; 16-byte Folded Spill
	s_nop 0
	scratch_store_dwordx4 off, v[4:7], off offset:2960 ; 16-byte Folded Spill
	scratch_store_dwordx4 off, v[8:11], off offset:2976 ; 16-byte Folded Spill
	scratch_store_dwordx4 off, v[12:15], off offset:2992 ; 16-byte Folded Spill
	scratch_store_dwordx4 off, v[16:19], off offset:3008 ; 16-byte Folded Spill
	scratch_store_dwordx4 off, v[20:23], off offset:3024 ; 16-byte Folded Spill
	scratch_store_dwordx4 off, v[24:27], off offset:3040 ; 16-byte Folded Spill
	scratch_store_dwordx4 off, v[28:31], off offset:3056 ; 16-byte Folded Spill
	;; [unrolled: 9-line block ×3, first 2 shown]
	s_mov_b64 s[2:3], exec
	s_and_b64 s[4:5], s[2:3], vcc
	v_mov_b32_e32 v90, v36
	v_mov_b32_e32 v91, v197
	;; [unrolled: 1-line block ×6, first 2 shown]
	s_mov_b64 exec, s[4:5]
	s_cbranch_execz .LBB45_13
; %bb.12:
	ds_read2_b32 v[4:5], v255 offset0:2 offset1:3
	ds_read2_b32 v[6:7], v255 offset0:4 offset1:5
	;; [unrolled: 1-line block ×4, first 2 shown]
	v_mov_b32_e32 v3, v61
	v_mul_f32_e32 v22, v1, v23
	s_waitcnt lgkmcnt(3)
	v_pk_fma_f32 v[2:3], v[22:23], v[4:5], v[2:3] op_sel_hi:[0,1,1] neg_lo:[1,0,0] neg_hi:[1,0,0]
	s_waitcnt lgkmcnt(2)
	v_pk_fma_f32 v[58:59], v[22:23], v[6:7], v[58:59] op_sel_hi:[0,1,1] neg_lo:[1,0,0] neg_hi:[1,0,0]
	;; [unrolled: 2-line block ×4, first 2 shown]
	ds_read2_b32 v[4:5], v255 offset0:10 offset1:11
	ds_read2_b32 v[6:7], v255 offset0:12 offset1:13
	;; [unrolled: 1-line block ×4, first 2 shown]
	v_mov_b32_e32 v89, v181
	v_mov_b32_e32 v71, v25
	;; [unrolled: 1-line block ×3, first 2 shown]
	s_waitcnt lgkmcnt(3)
	v_pk_fma_f32 v[90:91], v[22:23], v[4:5], v[90:91] op_sel_hi:[0,1,1] neg_lo:[1,0,0] neg_hi:[1,0,0]
	s_waitcnt lgkmcnt(2)
	v_pk_fma_f32 v[88:89], v[22:23], v[6:7], v[88:89] op_sel_hi:[0,1,1] neg_lo:[1,0,0] neg_hi:[1,0,0]
	ds_read2_b32 v[4:5], v255 offset0:18 offset1:19
	ds_read2_b32 v[6:7], v255 offset0:20 offset1:21
	scratch_load_dwordx4 v[24:27], off, off ; 16-byte Folded Reload
	scratch_load_dwordx4 v[28:31], off, off offset:16 ; 16-byte Folded Reload
	scratch_load_dwordx4 v[32:35], off, off offset:32 ; 16-byte Folded Reload
	;; [unrolled: 1-line block ×7, first 2 shown]
	ds_read_b32 v1, v255 offset:88
	s_waitcnt vmcnt(7)
	v_mov_b32_e32 v25, v252
	s_waitcnt lgkmcnt(4)
	v_pk_fma_f32 v[68:69], v[22:23], v[8:9], v[68:69] op_sel_hi:[0,1,1] neg_lo:[1,0,0] neg_hi:[1,0,0]
	s_waitcnt lgkmcnt(3)
	v_pk_fma_f32 v[70:71], v[22:23], v[10:11], v[70:71] op_sel_hi:[0,1,1] neg_lo:[1,0,0] neg_hi:[1,0,0]
	;; [unrolled: 2-line block ×3, first 2 shown]
	s_waitcnt lgkmcnt(0)
	v_fma_f32 v253, -v22, v1, v253
	v_mov_b32_e32 v1, v22
	s_waitcnt vmcnt(2)
	v_mov_b32_e32 v24, v44
	v_pk_fma_f32 v[24:25], v[22:23], v[6:7], v[24:25] op_sel_hi:[0,1,1] neg_lo:[1,0,0] neg_hi:[1,0,0]
	scratch_store_dwordx4 off, v[0:3], off offset:3388 ; 16-byte Folded Spill
	s_nop 0
	scratch_store_dwordx4 off, v[4:7], off offset:3404 ; 16-byte Folded Spill
	scratch_store_dwordx4 off, v[8:11], off offset:3420 ; 16-byte Folded Spill
	scratch_store_dwordx4 off, v[12:15], off offset:3436 ; 16-byte Folded Spill
	scratch_store_dwordx4 off, v[16:19], off offset:3452 ; 16-byte Folded Spill
	scratch_store_dwordx4 off, v[20:23], off offset:3468 ; 16-byte Folded Spill
	scratch_store_dwordx4 off, v[24:27], off offset:3484 ; 16-byte Folded Spill
	scratch_store_dwordx4 off, v[28:31], off offset:3500 ; 16-byte Folded Spill
	scratch_store_dwordx4 off, v[0:3], off offset:2944 ; 16-byte Folded Spill
	s_nop 0
	scratch_store_dwordx4 off, v[4:7], off offset:2960 ; 16-byte Folded Spill
	scratch_store_dwordx4 off, v[8:11], off offset:2976 ; 16-byte Folded Spill
	scratch_store_dwordx4 off, v[12:15], off offset:2992 ; 16-byte Folded Spill
	scratch_store_dwordx4 off, v[16:19], off offset:3008 ; 16-byte Folded Spill
	scratch_store_dwordx4 off, v[20:23], off offset:3024 ; 16-byte Folded Spill
	scratch_store_dwordx4 off, v[24:27], off offset:3040 ; 16-byte Folded Spill
	scratch_store_dwordx4 off, v[28:31], off offset:3056 ; 16-byte Folded Spill
	;; [unrolled: 9-line block ×3, first 2 shown]
	v_mov_b32_e32 v4, v58
	scratch_store_dwordx4 off, v[0:3], off offset:2560 ; 16-byte Folded Spill
	s_nop 0
	scratch_store_dwordx4 off, v[4:7], off offset:2576 ; 16-byte Folded Spill
	scratch_store_dwordx4 off, v[8:11], off offset:2592 ; 16-byte Folded Spill
	scratch_store_dwordx4 off, v[12:15], off offset:2608 ; 16-byte Folded Spill
	scratch_store_dwordx4 off, v[16:19], off offset:2624 ; 16-byte Folded Spill
	scratch_store_dwordx4 off, v[20:23], off offset:2640 ; 16-byte Folded Spill
	scratch_store_dwordx4 off, v[24:27], off offset:2656 ; 16-byte Folded Spill
	scratch_store_dwordx4 off, v[28:31], off offset:2672 ; 16-byte Folded Spill
	v_mov_b32_e32 v5, v59
	scratch_store_dwordx4 off, v[0:3], off offset:2432 ; 16-byte Folded Spill
	s_nop 0
	scratch_store_dwordx4 off, v[4:7], off offset:2448 ; 16-byte Folded Spill
	scratch_store_dwordx4 off, v[8:11], off offset:2464 ; 16-byte Folded Spill
	scratch_store_dwordx4 off, v[12:15], off offset:2480 ; 16-byte Folded Spill
	scratch_store_dwordx4 off, v[16:19], off offset:2496 ; 16-byte Folded Spill
	scratch_store_dwordx4 off, v[20:23], off offset:2512 ; 16-byte Folded Spill
	scratch_store_dwordx4 off, v[24:27], off offset:2528 ; 16-byte Folded Spill
	scratch_store_dwordx4 off, v[28:31], off offset:2544 ; 16-byte Folded Spill
	;; [unrolled: 10-line block ×10, first 2 shown]
	v_mov_b32_e32 v14, v68
	v_mov_b64_e32 v[182:183], v[30:31]
	v_mov_b64_e32 v[180:181], v[28:29]
	;; [unrolled: 1-line block ×16, first 2 shown]
	v_mov_b32_e32 v15, v69
	scratch_store_dwordx4 off, v[0:3], off offset:512 ; 16-byte Folded Spill
	s_nop 0
	scratch_store_dwordx4 off, v[4:7], off offset:528 ; 16-byte Folded Spill
	scratch_store_dwordx4 off, v[8:11], off offset:544 ; 16-byte Folded Spill
	;; [unrolled: 1-line block ×7, first 2 shown]
	v_mov_b32_e32 v16, v70
	v_mov_b32_e32 v181, v89
	scratch_store_dwordx4 off, v[0:3], off offset:384 ; 16-byte Folded Spill
	s_nop 0
	scratch_store_dwordx4 off, v[4:7], off offset:400 ; 16-byte Folded Spill
	scratch_store_dwordx4 off, v[8:11], off offset:416 ; 16-byte Folded Spill
	scratch_store_dwordx4 off, v[12:15], off offset:432 ; 16-byte Folded Spill
	scratch_store_dwordx4 off, v[16:19], off offset:448 ; 16-byte Folded Spill
	scratch_store_dwordx4 off, v[20:23], off offset:464 ; 16-byte Folded Spill
	scratch_store_dwordx4 off, v[24:27], off offset:480 ; 16-byte Folded Spill
	scratch_store_dwordx4 off, v[28:31], off offset:496 ; 16-byte Folded Spill
	v_mov_b32_e32 v17, v71
	scratch_store_dwordx4 off, v[0:3], off offset:256 ; 16-byte Folded Spill
	s_nop 0
	scratch_store_dwordx4 off, v[4:7], off offset:272 ; 16-byte Folded Spill
	scratch_store_dwordx4 off, v[8:11], off offset:288 ; 16-byte Folded Spill
	scratch_store_dwordx4 off, v[12:15], off offset:304 ; 16-byte Folded Spill
	scratch_store_dwordx4 off, v[16:19], off offset:320 ; 16-byte Folded Spill
	scratch_store_dwordx4 off, v[20:23], off offset:336 ; 16-byte Folded Spill
	scratch_store_dwordx4 off, v[24:27], off offset:352 ; 16-byte Folded Spill
	scratch_store_dwordx4 off, v[28:31], off offset:368 ; 16-byte Folded Spill
	;; [unrolled: 10-line block ×5, first 2 shown]
	v_mov_b32_e32 v22, v253
	v_mov_b32_e32 v44, v24
	;; [unrolled: 1-line block ×3, first 2 shown]
	scratch_store_dwordx4 off, v[24:27], off ; 16-byte Folded Spill
	s_nop 0
	scratch_store_dwordx4 off, v[28:31], off offset:16 ; 16-byte Folded Spill
	scratch_store_dwordx4 off, v[32:35], off offset:32 ; 16-byte Folded Spill
	;; [unrolled: 1-line block ×5, first 2 shown]
	s_waitcnt vmcnt(62)
	scratch_store_dwordx4 off, v[48:51], off offset:96 ; 16-byte Folded Spill
	scratch_store_dwordx4 off, v[52:55], off offset:112 ; 16-byte Folded Spill
	v_mov_b32_e32 v61, v3
	v_mov_b32_e32 v41, v85
	;; [unrolled: 1-line block ×4, first 2 shown]
.LBB45_13:
	s_or_b64 exec, exec, s[2:3]
	v_cmp_eq_u32_e32 vcc, 2, v248
	scratch_store_dword off, v23, off offset:1280 ; 4-byte Folded Spill
	s_waitcnt vmcnt(63) expcnt(7) lgkmcnt(15)
	s_barrier
	s_and_saveexec_b64 s[2:3], vcc
	s_cbranch_execz .LBB45_16
; %bb.14:
	ds_write_b32 v254, v2
	ds_write2_b32 v255, v3, v4 offset0:3 offset1:4
	ds_write2_b32 v255, v5, v6 offset0:5 offset1:6
	;; [unrolled: 1-line block ×10, first 2 shown]
	ds_read_b32 v23, v254
	s_waitcnt lgkmcnt(0)
	v_cmp_neq_f32_e32 vcc, 0, v23
	s_and_b64 exec, exec, vcc
	s_cbranch_execz .LBB45_16
; %bb.15:
	v_div_scale_f32 v43, s[4:5], v23, v23, 1.0
	v_rcp_f32_e32 v44, v43
	v_div_scale_f32 v45, vcc, 1.0, v23, 1.0
	v_fma_f32 v46, -v43, v44, 1.0
	v_fmac_f32_e32 v44, v46, v44
	v_mul_f32_e32 v46, v45, v44
	v_fma_f32 v47, -v43, v46, v45
	v_fmac_f32_e32 v46, v47, v44
	v_fma_f32 v43, -v43, v46, v45
	v_div_fmas_f32 v43, v43, v44, v46
	v_div_fixup_f32 v23, v43, v23, 1.0
	ds_write_b32 v254, v23
.LBB45_16:
	s_or_b64 exec, exec, s[2:3]
	s_waitcnt lgkmcnt(0)
	s_barrier
	s_waitcnt vmcnt(29)
	ds_read_b32 v107, v254
	v_cmp_lt_u32_e32 vcc, 2, v248
	s_mov_b64 s[2:3], exec
	scratch_load_dwordx4 v[216:219], off, off offset:2816 ; 16-byte Folded Reload
	scratch_load_dwordx4 v[220:223], off, off offset:2832 ; 16-byte Folded Reload
	;; [unrolled: 1-line block ×16, first 2 shown]
	s_and_b64 s[4:5], s[2:3], vcc
	s_mov_b64 exec, s[4:5]
	s_cbranch_execz .LBB45_18
; %bb.17:
	scratch_load_dwordx4 v[56:59], off, off offset:3388 ; 16-byte Folded Reload
	scratch_load_dwordx4 v[60:63], off, off offset:3404 ; 16-byte Folded Reload
	;; [unrolled: 1-line block ×8, first 2 shown]
	ds_read2_b32 v[0:1], v255 offset0:3 offset1:4
	ds_read2_b32 v[24:25], v255 offset0:5 offset1:6
	;; [unrolled: 1-line block ×4, first 2 shown]
	s_waitcnt vmcnt(7) lgkmcnt(4)
	v_mul_f32_e32 v58, v2, v107
	v_mov_b32_e32 v2, v3
	v_mov_b32_e32 v3, v4
	v_mov_b32_e32 v154, v58
	v_mov_b32_e32 v186, v58
	v_mov_b32_e32 v218, v58
	s_waitcnt lgkmcnt(3)
	v_pk_fma_f32 v[44:45], v[58:59], v[0:1], v[2:3] op_sel_hi:[0,1,1] neg_lo:[1,0,0] neg_hi:[1,0,0]
	v_mov_b32_e32 v0, v5
	v_mov_b32_e32 v1, v6
	s_waitcnt lgkmcnt(2)
	v_pk_fma_f32 v[46:47], v[58:59], v[24:25], v[0:1] op_sel_hi:[0,1,1] neg_lo:[1,0,0] neg_hi:[1,0,0]
	v_mov_b32_e32 v0, v7
	v_mov_b32_e32 v1, v8
	;; [unrolled: 4-line block ×3, first 2 shown]
	s_waitcnt lgkmcnt(0)
	v_pk_fma_f32 v[50:51], v[58:59], v[28:29], v[0:1] op_sel_hi:[0,1,1] neg_lo:[1,0,0] neg_hi:[1,0,0]
	ds_read2_b32 v[0:1], v255 offset0:11 offset1:12
	ds_read2_b32 v[4:5], v255 offset0:13 offset1:14
	;; [unrolled: 1-line block ×4, first 2 shown]
	v_mov_b32_e32 v2, v11
	v_mov_b32_e32 v3, v12
	;; [unrolled: 1-line block ×3, first 2 shown]
	s_waitcnt lgkmcnt(3)
	v_pk_fma_f32 v[52:53], v[58:59], v[0:1], v[2:3] op_sel_hi:[0,1,1] neg_lo:[1,0,0] neg_hi:[1,0,0]
	v_mov_b32_e32 v0, v13
	v_mov_b32_e32 v1, v14
	ds_read2_b32 v[2:3], v255 offset0:19 offset1:20
	s_waitcnt lgkmcnt(3)
	v_pk_fma_f32 v[54:55], v[58:59], v[4:5], v[0:1] op_sel_hi:[0,1,1] neg_lo:[1,0,0] neg_hi:[1,0,0]
	ds_read2_b32 v[4:5], v255 offset0:21 offset1:22
	v_mov_b32_e32 v0, v15
	v_mov_b32_e32 v1, v16
	s_waitcnt vmcnt(2) lgkmcnt(3)
	v_pk_fma_f32 v[76:77], v[58:59], v[6:7], v[0:1] op_sel_hi:[0,1,1] neg_lo:[1,0,0] neg_hi:[1,0,0]
	v_mov_b32_e32 v0, v17
	v_mov_b32_e32 v1, v18
	s_waitcnt lgkmcnt(2)
	v_pk_fma_f32 v[78:79], v[58:59], v[8:9], v[0:1] op_sel_hi:[0,1,1] neg_lo:[1,0,0] neg_hi:[1,0,0]
	v_mov_b32_e32 v0, v19
	v_mov_b32_e32 v1, v20
	s_waitcnt vmcnt(1) lgkmcnt(1)
	v_pk_fma_f32 v[80:81], v[58:59], v[2:3], v[0:1] op_sel_hi:[0,1,1] neg_lo:[1,0,0] neg_hi:[1,0,0]
	v_mov_b32_e32 v0, v21
	v_mov_b32_e32 v1, v22
	s_waitcnt lgkmcnt(0)
	v_pk_fma_f32 v[252:253], v[58:59], v[4:5], v[0:1] op_sel_hi:[0,1,1] neg_lo:[1,0,0] neg_hi:[1,0,0]
	v_mov_b32_e32 v0, v56
	v_mov_b32_e32 v1, v57
	;; [unrolled: 1-line block ×5, first 2 shown]
	scratch_store_dwordx4 off, v[0:3], off offset:2560 ; 16-byte Folded Spill
	s_nop 0
	scratch_store_dwordx4 off, v[4:7], off offset:2576 ; 16-byte Folded Spill
	scratch_store_dwordx4 off, v[8:11], off offset:2592 ; 16-byte Folded Spill
	scratch_store_dwordx4 off, v[12:15], off offset:2608 ; 16-byte Folded Spill
	scratch_store_dwordx4 off, v[16:19], off offset:2624 ; 16-byte Folded Spill
	scratch_store_dwordx4 off, v[20:23], off offset:2640 ; 16-byte Folded Spill
	scratch_store_dwordx4 off, v[24:27], off offset:2656 ; 16-byte Folded Spill
	scratch_store_dwordx4 off, v[28:31], off offset:2672 ; 16-byte Folded Spill
	v_mov_b32_e32 v5, v46
	v_mov_b32_e32 v59, v44
	;; [unrolled: 1-line block ×49, first 2 shown]
	scratch_store_dwordx4 off, v[0:3], off offset:2432 ; 16-byte Folded Spill
	s_nop 0
	scratch_store_dwordx4 off, v[4:7], off offset:2448 ; 16-byte Folded Spill
	scratch_store_dwordx4 off, v[8:11], off offset:2464 ; 16-byte Folded Spill
	;; [unrolled: 1-line block ×7, first 2 shown]
	v_mov_b32_e32 v6, v47
	v_mov_b32_e32 v227, v52
	;; [unrolled: 1-line block ×11, first 2 shown]
	scratch_store_dwordx4 off, v[0:3], off offset:2304 ; 16-byte Folded Spill
	s_nop 0
	scratch_store_dwordx4 off, v[4:7], off offset:2320 ; 16-byte Folded Spill
	scratch_store_dwordx4 off, v[8:11], off offset:2336 ; 16-byte Folded Spill
	scratch_store_dwordx4 off, v[12:15], off offset:2352 ; 16-byte Folded Spill
	scratch_store_dwordx4 off, v[16:19], off offset:2368 ; 16-byte Folded Spill
	scratch_store_dwordx4 off, v[20:23], off offset:2384 ; 16-byte Folded Spill
	scratch_store_dwordx4 off, v[24:27], off offset:2400 ; 16-byte Folded Spill
	scratch_store_dwordx4 off, v[28:31], off offset:2416 ; 16-byte Folded Spill
	v_mov_b32_e32 v7, v48
	scratch_store_dwordx4 off, v[0:3], off offset:1536 ; 16-byte Folded Spill
	s_nop 0
	scratch_store_dwordx4 off, v[4:7], off offset:1552 ; 16-byte Folded Spill
	scratch_store_dwordx4 off, v[8:11], off offset:1568 ; 16-byte Folded Spill
	scratch_store_dwordx4 off, v[12:15], off offset:1584 ; 16-byte Folded Spill
	scratch_store_dwordx4 off, v[16:19], off offset:1600 ; 16-byte Folded Spill
	scratch_store_dwordx4 off, v[20:23], off offset:1616 ; 16-byte Folded Spill
	scratch_store_dwordx4 off, v[24:27], off offset:1632 ; 16-byte Folded Spill
	scratch_store_dwordx4 off, v[28:31], off offset:1648 ; 16-byte Folded Spill
	v_mov_b32_e32 v8, v49
	;; [unrolled: 10-line block ×8, first 2 shown]
	v_mov_b32_e32 v15, v76
	scratch_store_dwordx4 off, v[0:3], off offset:512 ; 16-byte Folded Spill
	s_nop 0
	scratch_store_dwordx4 off, v[4:7], off offset:528 ; 16-byte Folded Spill
	scratch_store_dwordx4 off, v[8:11], off offset:544 ; 16-byte Folded Spill
	scratch_store_dwordx4 off, v[12:15], off offset:560 ; 16-byte Folded Spill
	scratch_store_dwordx4 off, v[16:19], off offset:576 ; 16-byte Folded Spill
	scratch_store_dwordx4 off, v[20:23], off offset:592 ; 16-byte Folded Spill
	scratch_store_dwordx4 off, v[24:27], off offset:608 ; 16-byte Folded Spill
	scratch_store_dwordx4 off, v[28:31], off offset:624 ; 16-byte Folded Spill
	v_mov_b32_e32 v16, v77
	scratch_store_dwordx4 off, v[0:3], off offset:384 ; 16-byte Folded Spill
	s_nop 0
	scratch_store_dwordx4 off, v[4:7], off offset:400 ; 16-byte Folded Spill
	scratch_store_dwordx4 off, v[8:11], off offset:416 ; 16-byte Folded Spill
	scratch_store_dwordx4 off, v[12:15], off offset:432 ; 16-byte Folded Spill
	scratch_store_dwordx4 off, v[16:19], off offset:448 ; 16-byte Folded Spill
	scratch_store_dwordx4 off, v[20:23], off offset:464 ; 16-byte Folded Spill
	scratch_store_dwordx4 off, v[24:27], off offset:480 ; 16-byte Folded Spill
	scratch_store_dwordx4 off, v[28:31], off offset:496 ; 16-byte Folded Spill
	;; [unrolled: 10-line block ×3, first 2 shown]
	v_mov_b32_e32 v18, v79
	v_mov_b32_e32 v19, v80
	scratch_store_dwordx4 off, v[0:3], off offset:128 ; 16-byte Folded Spill
	s_nop 0
	scratch_store_dwordx4 off, v[4:7], off offset:144 ; 16-byte Folded Spill
	scratch_store_dwordx4 off, v[8:11], off offset:160 ; 16-byte Folded Spill
	;; [unrolled: 1-line block ×7, first 2 shown]
	v_mov_b32_e32 v20, v81
	scratch_store_dwordx4 off, v[56:59], off offset:2688 ; 16-byte Folded Spill
	s_nop 0
	scratch_store_dwordx4 off, v[60:63], off offset:2704 ; 16-byte Folded Spill
	scratch_store_dwordx4 off, v[64:67], off offset:2720 ; 16-byte Folded Spill
	;; [unrolled: 1-line block ×6, first 2 shown]
	s_waitcnt vmcnt(62)
	scratch_store_dwordx4 off, v[84:87], off offset:2800 ; 16-byte Folded Spill
	scratch_store_dwordx4 off, v[56:59], off offset:2944 ; 16-byte Folded Spill
	s_nop 0
	scratch_store_dwordx4 off, v[60:63], off offset:2960 ; 16-byte Folded Spill
	scratch_store_dwordx4 off, v[64:67], off offset:2976 ; 16-byte Folded Spill
	;; [unrolled: 1-line block ×7, first 2 shown]
	v_mov_b32_e32 v21, v252
	v_mov_b32_e32 v22, v253
	;; [unrolled: 1-line block ×14, first 2 shown]
	scratch_store_dwordx4 off, v[24:27], off ; 16-byte Folded Spill
	s_nop 0
	scratch_store_dwordx4 off, v[28:31], off offset:16 ; 16-byte Folded Spill
	scratch_store_dwordx4 off, v[32:35], off offset:32 ; 16-byte Folded Spill
	;; [unrolled: 1-line block ×7, first 2 shown]
.LBB45_18:
	s_or_b64 exec, exec, s[2:3]
	v_cmp_eq_u32_e32 vcc, 3, v248
	s_waitcnt lgkmcnt(0)
	s_barrier
	s_and_saveexec_b64 s[2:3], vcc
	s_cbranch_execz .LBB45_21
; %bb.19:
	ds_write_b32 v254, v61
	ds_write2_b32 v255, v4, v5 offset0:4 offset1:5
	ds_write2_b32 v255, v6, v7 offset0:6 offset1:7
	;; [unrolled: 1-line block ×9, first 2 shown]
	ds_write_b32 v255, v253 offset:88
	ds_read_b32 v23, v254
	s_waitcnt lgkmcnt(0)
	v_cmp_neq_f32_e32 vcc, 0, v23
	s_and_b64 exec, exec, vcc
	s_cbranch_execz .LBB45_21
; %bb.20:
	v_div_scale_f32 v43, s[4:5], v23, v23, 1.0
	v_rcp_f32_e32 v44, v43
	v_div_scale_f32 v45, vcc, 1.0, v23, 1.0
	v_fma_f32 v46, -v43, v44, 1.0
	v_fmac_f32_e32 v44, v46, v44
	v_mul_f32_e32 v46, v45, v44
	v_fma_f32 v47, -v43, v46, v45
	v_fmac_f32_e32 v46, v47, v44
	v_fma_f32 v43, -v43, v46, v45
	v_div_fmas_f32 v43, v43, v44, v46
	v_div_fixup_f32 v23, v43, v23, 1.0
	ds_write_b32 v254, v23
.LBB45_21:
	s_or_b64 exec, exec, s[2:3]
	s_waitcnt lgkmcnt(0)
	s_barrier
	ds_read_b32 v108, v254
	v_cmp_lt_u32_e32 vcc, 3, v248
	s_and_saveexec_b64 s[2:3], vcc
	s_cbranch_execz .LBB45_23
; %bb.22:
	ds_read2_b32 v[2:3], v255 offset0:4 offset1:5
	ds_read2_b32 v[22:23], v255 offset0:6 offset1:7
	;; [unrolled: 1-line block ×3, first 2 shown]
	s_waitcnt lgkmcnt(3)
	v_mul_f32_e32 v0, v61, v108
	ds_read2_b32 v[26:27], v255 offset0:10 offset1:11
	s_waitcnt lgkmcnt(3)
	v_pk_fma_f32 v[90:91], v[0:1], v[2:3], v[4:5] op_sel_hi:[0,1,1] neg_lo:[1,0,0] neg_hi:[1,0,0]
	ds_read2_b32 v[2:3], v255 offset0:12 offset1:13
	s_waitcnt vmcnt(43) lgkmcnt(3)
	v_pk_fma_f32 v[116:117], v[0:1], v[22:23], v[6:7] op_sel_hi:[0,1,1] neg_lo:[1,0,0] neg_hi:[1,0,0]
	s_waitcnt lgkmcnt(2)
	v_pk_fma_f32 v[84:85], v[0:1], v[24:25], v[8:9] op_sel_hi:[0,1,1] neg_lo:[1,0,0] neg_hi:[1,0,0]
	s_waitcnt lgkmcnt(1)
	v_pk_fma_f32 v[54:55], v[0:1], v[26:27], v[10:11] op_sel_hi:[0,1,1] neg_lo:[1,0,0] neg_hi:[1,0,0]
	ds_read2_b32 v[4:5], v255 offset0:14 offset1:15
	ds_read2_b32 v[6:7], v255 offset0:16 offset1:17
	;; [unrolled: 1-line block ×3, first 2 shown]
	s_waitcnt lgkmcnt(3)
	v_pk_fma_f32 v[180:181], v[0:1], v[2:3], v[12:13] op_sel_hi:[0,1,1] neg_lo:[1,0,0] neg_hi:[1,0,0]
	ds_read2_b32 v[2:3], v255 offset0:20 offset1:21
	ds_read_b32 v1, v255 offset:88
	v_mov_b32_e32 v95, v0
	v_mov_b32_e32 v113, v0
	;; [unrolled: 1-line block ×4, first 2 shown]
	s_waitcnt lgkmcnt(0)
	v_pk_fma_f32 v[166:167], v[0:1], v[4:5], v[14:15] op_sel_hi:[0,1,1] neg_lo:[1,0,0] neg_hi:[1,0,0]
	s_waitcnt vmcnt(15)
	v_pk_fma_f32 v[218:219], v[0:1], v[6:7], v[16:17] op_sel_hi:[0,1,1] neg_lo:[1,0,0] neg_hi:[1,0,0]
	v_pk_fma_f32 v[42:43], v[0:1], v[8:9], v[18:19] op_sel_hi:[0,1,1] neg_lo:[1,0,0] neg_hi:[1,0,0]
	;; [unrolled: 1-line block ×3, first 2 shown]
	scratch_load_dwordx4 v[2:5], off, off offset:2944 ; 16-byte Folded Reload
	scratch_load_dwordx4 v[6:9], off, off offset:2960 ; 16-byte Folded Reload
	;; [unrolled: 1-line block ×8, first 2 shown]
	s_waitcnt vmcnt(7)
	v_mov_b32_e32 v5, v0
	s_waitcnt vmcnt(6)
	v_mov_b32_e32 v6, v90
	v_mov_b32_e32 v7, v91
	;; [unrolled: 1-line block ×74, first 2 shown]
	scratch_store_dwordx4 off, v[2:5], off offset:2432 ; 16-byte Folded Spill
	s_nop 0
	scratch_store_dwordx4 off, v[6:9], off offset:2448 ; 16-byte Folded Spill
	s_waitcnt vmcnt(7)
	scratch_store_dwordx4 off, v[10:13], off offset:2464 ; 16-byte Folded Spill
	s_waitcnt vmcnt(7)
	;; [unrolled: 2-line block ×6, first 2 shown]
	scratch_store_dwordx4 off, v[30:33], off offset:2544 ; 16-byte Folded Spill
	v_mov_b32_e32 v8, v116
	v_mov_b32_e32 v9, v117
	;; [unrolled: 1-line block ×47, first 2 shown]
	scratch_store_dwordx4 off, v[2:5], off offset:1536 ; 16-byte Folded Spill
	s_nop 0
	scratch_store_dwordx4 off, v[6:9], off offset:1552 ; 16-byte Folded Spill
	scratch_store_dwordx4 off, v[10:13], off offset:1568 ; 16-byte Folded Spill
	scratch_store_dwordx4 off, v[14:17], off offset:1584 ; 16-byte Folded Spill
	scratch_store_dwordx4 off, v[18:21], off offset:1600 ; 16-byte Folded Spill
	scratch_store_dwordx4 off, v[22:25], off offset:1616 ; 16-byte Folded Spill
	scratch_store_dwordx4 off, v[26:29], off offset:1632 ; 16-byte Folded Spill
	scratch_store_dwordx4 off, v[30:33], off offset:1648 ; 16-byte Folded Spill
	v_mov_b32_e32 v10, v84
	v_mov_b32_e32 v11, v85
	scratch_store_dwordx4 off, v[2:5], off offset:1152 ; 16-byte Folded Spill
	s_nop 0
	scratch_store_dwordx4 off, v[6:9], off offset:1168 ; 16-byte Folded Spill
	scratch_store_dwordx4 off, v[10:13], off offset:1184 ; 16-byte Folded Spill
	scratch_store_dwordx4 off, v[14:17], off offset:1200 ; 16-byte Folded Spill
	scratch_store_dwordx4 off, v[18:21], off offset:1216 ; 16-byte Folded Spill
	scratch_store_dwordx4 off, v[22:25], off offset:1232 ; 16-byte Folded Spill
	scratch_store_dwordx4 off, v[26:29], off offset:1248 ; 16-byte Folded Spill
	scratch_store_dwordx4 off, v[30:33], off offset:1264 ; 16-byte Folded Spill
	v_mov_b32_e32 v12, v54
	v_mov_b32_e32 v13, v55
	;; [unrolled: 11-line block ×6, first 2 shown]
	v_mov_b32_e32 v26, v94
	v_mov_b32_e32 v27, v0
	v_mov_b32_e32 v30, v116
	v_mov_b32_e32 v31, v117
	v_mov_b32_e32 v32, v84
	v_mov_b32_e32 v33, v85
	v_fma_f32 v22, -v0, v1, v253
	v_mov_b32_e32 v3, v0
	scratch_store_dwordx4 off, v[56:59], off offset:128 ; 16-byte Folded Spill
	s_nop 0
	scratch_store_dwordx4 off, v[60:63], off offset:144 ; 16-byte Folded Spill
	scratch_store_dwordx4 off, v[64:67], off offset:160 ; 16-byte Folded Spill
	;; [unrolled: 1-line block ×7, first 2 shown]
	v_mov_b32_e32 v0, v92
	v_mov_b32_e32 v1, v93
	;; [unrolled: 1-line block ×5, first 2 shown]
	scratch_store_dwordx4 off, v[92:95], off offset:2688 ; 16-byte Folded Spill
	s_nop 0
	scratch_store_dwordx4 off, v[96:99], off offset:2704 ; 16-byte Folded Spill
	scratch_store_dwordx4 off, v[100:103], off offset:2720 ; 16-byte Folded Spill
	;; [unrolled: 1-line block ×7, first 2 shown]
	v_mov_b32_e32 v28, v90
	v_mov_b32_e32 v29, v91
	;; [unrolled: 1-line block ×18, first 2 shown]
	scratch_store_dwordx4 off, v[86:89], off offset:2560 ; 16-byte Folded Spill
	s_nop 0
	scratch_store_dwordx4 off, v[90:93], off offset:2576 ; 16-byte Folded Spill
	scratch_store_dwordx4 off, v[94:97], off offset:2592 ; 16-byte Folded Spill
	;; [unrolled: 1-line block ×7, first 2 shown]
	v_mov_b32_e32 v126, v84
	v_mov_b32_e32 v127, v85
	;; [unrolled: 1-line block ×6, first 2 shown]
	scratch_store_dwordx4 off, v[110:113], off offset:2304 ; 16-byte Folded Spill
	s_nop 0
	scratch_store_dwordx4 off, v[114:117], off offset:2320 ; 16-byte Folded Spill
	scratch_store_dwordx4 off, v[118:121], off offset:2336 ; 16-byte Folded Spill
	;; [unrolled: 1-line block ×7, first 2 shown]
	v_mov_b32_e32 v59, v91
	scratch_store_dwordx4 off, v[76:79], off offset:1408 ; 16-byte Folded Spill
	s_nop 0
	scratch_store_dwordx4 off, v[80:83], off offset:1424 ; 16-byte Folded Spill
	scratch_store_dwordx4 off, v[84:87], off offset:1440 ; 16-byte Folded Spill
	;; [unrolled: 1-line block ×7, first 2 shown]
	v_mov_b32_e32 v90, v54
	v_mov_b32_e32 v88, v180
	;; [unrolled: 1-line block ×3, first 2 shown]
	scratch_store_dwordx4 off, v[44:47], off offset:1024 ; 16-byte Folded Spill
	s_nop 0
	scratch_store_dwordx4 off, v[48:51], off offset:1040 ; 16-byte Folded Spill
	scratch_store_dwordx4 off, v[52:55], off offset:1056 ; 16-byte Folded Spill
	;; [unrolled: 1-line block ×8, first 2 shown]
	s_nop 0
	scratch_store_dwordx4 off, v[172:175], off offset:784 ; 16-byte Folded Spill
	scratch_store_dwordx4 off, v[176:179], off offset:800 ; 16-byte Folded Spill
	;; [unrolled: 1-line block ×7, first 2 shown]
	v_mov_b32_e32 v70, v218
	scratch_store_dwordx4 off, v[202:205], off offset:384 ; 16-byte Folded Spill
	s_nop 0
	scratch_store_dwordx4 off, v[206:209], off offset:400 ; 16-byte Folded Spill
	scratch_store_dwordx4 off, v[210:213], off offset:416 ; 16-byte Folded Spill
	;; [unrolled: 1-line block ×7, first 2 shown]
	v_mov_b64_e32 v[198:199], v[38:39]
	v_mov_b64_e32 v[196:197], v[36:37]
	;; [unrolled: 1-line block ×9, first 2 shown]
	v_mov_b32_e32 v236, v138
	v_mov_b32_e32 v93, v85
	;; [unrolled: 1-line block ×4, first 2 shown]
	v_mov_b64_e32 v[200:201], v[40:41]
	v_mov_b32_e32 v235, v137
	v_mov_b32_e32 v234, v136
	;; [unrolled: 1-line block ×9, first 2 shown]
	v_mov_b64_e32 v[230:231], v[132:133]
	v_mov_b64_e32 v[228:229], v[130:131]
	;; [unrolled: 1-line block ×8, first 2 shown]
	scratch_store_dwordx4 off, v[24:27], off ; 16-byte Folded Spill
	s_nop 0
	scratch_store_dwordx4 off, v[28:31], off offset:16 ; 16-byte Folded Spill
	scratch_store_dwordx4 off, v[32:35], off offset:32 ; 16-byte Folded Spill
	;; [unrolled: 1-line block ×7, first 2 shown]
.LBB45_23:
	s_or_b64 exec, exec, s[2:3]
	v_cmp_eq_u32_e32 vcc, 4, v248
	s_waitcnt lgkmcnt(0)
	s_barrier
	s_and_saveexec_b64 s[2:3], vcc
	s_cbranch_execz .LBB45_26
; %bb.24:
	ds_write_b32 v254, v58
	ds_write2_b32 v255, v5, v6 offset0:5 offset1:6
	ds_write2_b32 v255, v7, v8 offset0:7 offset1:8
	;; [unrolled: 1-line block ×9, first 2 shown]
	ds_read_b32 v23, v254
	s_waitcnt lgkmcnt(0)
	v_cmp_neq_f32_e32 vcc, 0, v23
	s_and_b64 exec, exec, vcc
	s_cbranch_execz .LBB45_26
; %bb.25:
	v_div_scale_f32 v43, s[4:5], v23, v23, 1.0
	v_rcp_f32_e32 v44, v43
	v_div_scale_f32 v45, vcc, 1.0, v23, 1.0
	v_fma_f32 v46, -v43, v44, 1.0
	v_fmac_f32_e32 v44, v46, v44
	v_mul_f32_e32 v46, v45, v44
	v_fma_f32 v47, -v43, v46, v45
	v_fmac_f32_e32 v46, v47, v44
	v_fma_f32 v43, -v43, v46, v45
	v_div_fmas_f32 v43, v43, v44, v46
	v_div_fixup_f32 v23, v43, v23, 1.0
	ds_write_b32 v254, v23
.LBB45_26:
	s_or_b64 exec, exec, s[2:3]
	s_waitcnt lgkmcnt(0)
	s_barrier
	ds_read_b32 v109, v254
	v_cmp_lt_u32_e32 vcc, 4, v248
	s_and_saveexec_b64 s[2:3], vcc
	s_cbranch_execz .LBB45_28
; %bb.27:
	scratch_load_dwordx4 v[60:63], off, off offset:2688 ; 16-byte Folded Reload
	scratch_load_dwordx4 v[64:67], off, off offset:2704 ; 16-byte Folded Reload
	;; [unrolled: 1-line block ×8, first 2 shown]
	ds_read2_b32 v[0:1], v255 offset0:5 offset1:6
	v_mov_b32_e32 v2, v5
	ds_read2_b32 v[4:5], v255 offset0:7 offset1:8
	ds_read2_b32 v[24:25], v255 offset0:9 offset1:10
	;; [unrolled: 1-line block ×3, first 2 shown]
	s_waitcnt vmcnt(6) lgkmcnt(4)
	v_mul_f32_e32 v64, v58, v109
	v_mov_b32_e32 v3, v6
	v_mov_b32_e32 v156, v64
	;; [unrolled: 1-line block ×5, first 2 shown]
	s_waitcnt lgkmcnt(3)
	v_pk_fma_f32 v[44:45], v[64:65], v[0:1], v[2:3] op_sel_hi:[0,1,1] neg_lo:[1,0,0] neg_hi:[1,0,0]
	v_mov_b32_e32 v0, v7
	v_mov_b32_e32 v1, v8
	s_waitcnt lgkmcnt(2)
	v_pk_fma_f32 v[46:47], v[64:65], v[4:5], v[0:1] op_sel_hi:[0,1,1] neg_lo:[1,0,0] neg_hi:[1,0,0]
	v_mov_b32_e32 v0, v9
	v_mov_b32_e32 v1, v10
	s_waitcnt lgkmcnt(1)
	v_pk_fma_f32 v[48:49], v[64:65], v[24:25], v[0:1] op_sel_hi:[0,1,1] neg_lo:[1,0,0] neg_hi:[1,0,0]
	v_mov_b32_e32 v0, v11
	v_mov_b32_e32 v1, v12
	s_waitcnt lgkmcnt(0)
	v_pk_fma_f32 v[50:51], v[64:65], v[26:27], v[0:1] op_sel_hi:[0,1,1] neg_lo:[1,0,0] neg_hi:[1,0,0]
	ds_read2_b32 v[0:1], v255 offset0:13 offset1:14
	v_mov_b32_e32 v2, v13
	v_mov_b32_e32 v3, v14
	ds_read2_b32 v[4:5], v255 offset0:15 offset1:16
	ds_read2_b32 v[6:7], v255 offset0:17 offset1:18
	;; [unrolled: 1-line block ×3, first 2 shown]
	v_mov_b32_e32 v153, v61
	s_waitcnt lgkmcnt(3)
	v_pk_fma_f32 v[52:53], v[64:65], v[0:1], v[2:3] op_sel_hi:[0,1,1] neg_lo:[1,0,0] neg_hi:[1,0,0]
	ds_read2_b32 v[2:3], v255 offset0:21 offset1:22
	v_mov_b32_e32 v0, v15
	v_mov_b32_e32 v1, v16
	s_waitcnt lgkmcnt(3)
	v_pk_fma_f32 v[54:55], v[64:65], v[4:5], v[0:1] op_sel_hi:[0,1,1] neg_lo:[1,0,0] neg_hi:[1,0,0]
	v_mov_b32_e32 v0, v17
	v_mov_b32_e32 v1, v18
	s_waitcnt vmcnt(3) lgkmcnt(2)
	v_pk_fma_f32 v[76:77], v[64:65], v[6:7], v[0:1] op_sel_hi:[0,1,1] neg_lo:[1,0,0] neg_hi:[1,0,0]
	v_mov_b32_e32 v0, v19
	v_mov_b32_e32 v1, v20
	s_waitcnt lgkmcnt(1)
	v_pk_fma_f32 v[78:79], v[64:65], v[8:9], v[0:1] op_sel_hi:[0,1,1] neg_lo:[1,0,0] neg_hi:[1,0,0]
	v_mov_b32_e32 v0, v21
	v_mov_b32_e32 v1, v22
	s_waitcnt lgkmcnt(0)
	v_pk_fma_f32 v[252:253], v[64:65], v[2:3], v[0:1] op_sel_hi:[0,1,1] neg_lo:[1,0,0] neg_hi:[1,0,0]
	v_mov_b32_e32 v0, v60
	v_mov_b32_e32 v1, v61
	;; [unrolled: 1-line block ×7, first 2 shown]
	scratch_store_dwordx4 off, v[0:3], off offset:2304 ; 16-byte Folded Spill
	s_nop 0
	scratch_store_dwordx4 off, v[4:7], off offset:2320 ; 16-byte Folded Spill
	scratch_store_dwordx4 off, v[8:11], off offset:2336 ; 16-byte Folded Spill
	;; [unrolled: 1-line block ×7, first 2 shown]
	v_mov_b32_e32 v7, v46
	v_mov_b32_e32 v65, v44
	;; [unrolled: 1-line block ×50, first 2 shown]
	scratch_store_dwordx4 off, v[0:3], off offset:1536 ; 16-byte Folded Spill
	s_nop 0
	scratch_store_dwordx4 off, v[4:7], off offset:1552 ; 16-byte Folded Spill
	scratch_store_dwordx4 off, v[8:11], off offset:1568 ; 16-byte Folded Spill
	;; [unrolled: 1-line block ×7, first 2 shown]
	v_mov_b32_e32 v8, v47
	v_mov_b32_e32 v231, v54
	;; [unrolled: 1-line block ×9, first 2 shown]
	scratch_store_dwordx4 off, v[0:3], off offset:1408 ; 16-byte Folded Spill
	s_nop 0
	scratch_store_dwordx4 off, v[4:7], off offset:1424 ; 16-byte Folded Spill
	scratch_store_dwordx4 off, v[8:11], off offset:1440 ; 16-byte Folded Spill
	scratch_store_dwordx4 off, v[12:15], off offset:1456 ; 16-byte Folded Spill
	scratch_store_dwordx4 off, v[16:19], off offset:1472 ; 16-byte Folded Spill
	scratch_store_dwordx4 off, v[20:23], off offset:1488 ; 16-byte Folded Spill
	scratch_store_dwordx4 off, v[24:27], off offset:1504 ; 16-byte Folded Spill
	scratch_store_dwordx4 off, v[28:31], off offset:1520 ; 16-byte Folded Spill
	v_mov_b32_e32 v9, v48
	scratch_store_dwordx4 off, v[0:3], off offset:1152 ; 16-byte Folded Spill
	s_nop 0
	scratch_store_dwordx4 off, v[4:7], off offset:1168 ; 16-byte Folded Spill
	scratch_store_dwordx4 off, v[8:11], off offset:1184 ; 16-byte Folded Spill
	scratch_store_dwordx4 off, v[12:15], off offset:1200 ; 16-byte Folded Spill
	scratch_store_dwordx4 off, v[16:19], off offset:1216 ; 16-byte Folded Spill
	scratch_store_dwordx4 off, v[20:23], off offset:1232 ; 16-byte Folded Spill
	scratch_store_dwordx4 off, v[24:27], off offset:1248 ; 16-byte Folded Spill
	scratch_store_dwordx4 off, v[28:31], off offset:1264 ; 16-byte Folded Spill
	v_mov_b32_e32 v10, v49
	;; [unrolled: 10-line block ×6, first 2 shown]
	v_mov_b32_e32 v15, v54
	scratch_store_dwordx4 off, v[0:3], off offset:512 ; 16-byte Folded Spill
	s_nop 0
	scratch_store_dwordx4 off, v[4:7], off offset:528 ; 16-byte Folded Spill
	scratch_store_dwordx4 off, v[8:11], off offset:544 ; 16-byte Folded Spill
	scratch_store_dwordx4 off, v[12:15], off offset:560 ; 16-byte Folded Spill
	scratch_store_dwordx4 off, v[16:19], off offset:576 ; 16-byte Folded Spill
	scratch_store_dwordx4 off, v[20:23], off offset:592 ; 16-byte Folded Spill
	scratch_store_dwordx4 off, v[24:27], off offset:608 ; 16-byte Folded Spill
	scratch_store_dwordx4 off, v[28:31], off offset:624 ; 16-byte Folded Spill
	v_mov_b32_e32 v16, v55
	scratch_store_dwordx4 off, v[0:3], off offset:384 ; 16-byte Folded Spill
	s_nop 0
	scratch_store_dwordx4 off, v[4:7], off offset:400 ; 16-byte Folded Spill
	scratch_store_dwordx4 off, v[8:11], off offset:416 ; 16-byte Folded Spill
	scratch_store_dwordx4 off, v[12:15], off offset:432 ; 16-byte Folded Spill
	scratch_store_dwordx4 off, v[16:19], off offset:448 ; 16-byte Folded Spill
	scratch_store_dwordx4 off, v[20:23], off offset:464 ; 16-byte Folded Spill
	scratch_store_dwordx4 off, v[24:27], off offset:480 ; 16-byte Folded Spill
	scratch_store_dwordx4 off, v[28:31], off offset:496 ; 16-byte Folded Spill
	v_mov_b32_e32 v17, v76
	scratch_store_dwordx4 off, v[0:3], off offset:256 ; 16-byte Folded Spill
	s_nop 0
	scratch_store_dwordx4 off, v[4:7], off offset:272 ; 16-byte Folded Spill
	scratch_store_dwordx4 off, v[8:11], off offset:288 ; 16-byte Folded Spill
	scratch_store_dwordx4 off, v[12:15], off offset:304 ; 16-byte Folded Spill
	scratch_store_dwordx4 off, v[16:19], off offset:320 ; 16-byte Folded Spill
	scratch_store_dwordx4 off, v[20:23], off offset:336 ; 16-byte Folded Spill
	scratch_store_dwordx4 off, v[24:27], off offset:352 ; 16-byte Folded Spill
	scratch_store_dwordx4 off, v[28:31], off offset:368 ; 16-byte Folded Spill
	v_mov_b32_e32 v18, v77
	v_mov_b32_e32 v19, v78
	scratch_store_dwordx4 off, v[0:3], off offset:128 ; 16-byte Folded Spill
	s_nop 0
	scratch_store_dwordx4 off, v[4:7], off offset:144 ; 16-byte Folded Spill
	scratch_store_dwordx4 off, v[8:11], off offset:160 ; 16-byte Folded Spill
	scratch_store_dwordx4 off, v[12:15], off offset:176 ; 16-byte Folded Spill
	scratch_store_dwordx4 off, v[16:19], off offset:192 ; 16-byte Folded Spill
	scratch_store_dwordx4 off, v[20:23], off offset:208 ; 16-byte Folded Spill
	scratch_store_dwordx4 off, v[24:27], off offset:224 ; 16-byte Folded Spill
	scratch_store_dwordx4 off, v[28:31], off offset:240 ; 16-byte Folded Spill
	v_mov_b32_e32 v20, v79
	scratch_store_dwordx4 off, v[60:63], off offset:2432 ; 16-byte Folded Spill
	s_nop 0
	scratch_store_dwordx4 off, v[64:67], off offset:2448 ; 16-byte Folded Spill
	scratch_store_dwordx4 off, v[68:71], off offset:2464 ; 16-byte Folded Spill
	;; [unrolled: 1-line block ×4, first 2 shown]
	s_waitcnt vmcnt(62)
	scratch_store_dwordx4 off, v[80:83], off offset:2512 ; 16-byte Folded Spill
	scratch_store_dwordx4 off, v[84:87], off offset:2528 ; 16-byte Folded Spill
	;; [unrolled: 1-line block ×4, first 2 shown]
	s_nop 0
	scratch_store_dwordx4 off, v[64:67], off offset:2576 ; 16-byte Folded Spill
	scratch_store_dwordx4 off, v[68:71], off offset:2592 ; 16-byte Folded Spill
	;; [unrolled: 1-line block ×7, first 2 shown]
	v_mov_b32_e32 v21, v252
	v_mov_b32_e32 v22, v253
	v_mov_b32_e32 v90, v49
	v_mov_b32_e32 v91, v50
	v_mov_b32_e32 v88, v51
	v_mov_b32_e32 v68, v53
	v_mov_b32_e32 v69, v54
	v_mov_b32_e32 v70, v55
	v_mov_b32_e32 v25, v76
	v_mov_b32_e32 v84, v77
	v_mov_b32_e32 v41, v78
	v_mov_b32_e32 v44, v79
	scratch_store_dwordx4 off, v[24:27], off ; 16-byte Folded Spill
	s_nop 0
	scratch_store_dwordx4 off, v[28:31], off offset:16 ; 16-byte Folded Spill
	scratch_store_dwordx4 off, v[32:35], off offset:32 ; 16-byte Folded Spill
	;; [unrolled: 1-line block ×7, first 2 shown]
.LBB45_28:
	s_or_b64 exec, exec, s[2:3]
	v_mov_b32_e32 v85, v93
	v_mov_b32_e32 v79, v91
	;; [unrolled: 1-line block ×3, first 2 shown]
	v_cmp_eq_u32_e32 vcc, 5, v248
	s_waitcnt lgkmcnt(0)
	s_barrier
	s_and_saveexec_b64 s[2:3], vcc
	s_cbranch_execz .LBB45_31
; %bb.29:
	ds_write_b32 v254, v59
	ds_write2_b32 v255, v6, v7 offset0:6 offset1:7
	ds_write2_b32 v255, v8, v9 offset0:8 offset1:9
	;; [unrolled: 1-line block ×8, first 2 shown]
	ds_write_b32 v255, v253 offset:88
	ds_read_b32 v23, v254
	s_waitcnt lgkmcnt(0)
	v_cmp_neq_f32_e32 vcc, 0, v23
	s_and_b64 exec, exec, vcc
	s_cbranch_execz .LBB45_31
; %bb.30:
	v_div_scale_f32 v43, s[4:5], v23, v23, 1.0
	v_rcp_f32_e32 v44, v43
	v_div_scale_f32 v45, vcc, 1.0, v23, 1.0
	v_fma_f32 v46, -v43, v44, 1.0
	v_fmac_f32_e32 v44, v46, v44
	v_mul_f32_e32 v46, v45, v44
	v_fma_f32 v47, -v43, v46, v45
	v_fmac_f32_e32 v46, v47, v44
	v_fma_f32 v43, -v43, v46, v45
	v_div_fmas_f32 v43, v43, v44, v46
	v_div_fixup_f32 v23, v43, v23, 1.0
	ds_write_b32 v254, v23
.LBB45_31:
	s_or_b64 exec, exec, s[2:3]
	s_waitcnt lgkmcnt(0)
	s_barrier
	s_waitcnt vmcnt(44)
	ds_read_b32 v110, v254
	v_cmp_lt_u32_e32 vcc, 5, v248
	s_and_saveexec_b64 s[2:3], vcc
	s_cbranch_execz .LBB45_33
; %bb.32:
	ds_read2_b32 v[2:3], v255 offset0:6 offset1:7
	ds_read2_b32 v[4:5], v255 offset0:8 offset1:9
	;; [unrolled: 1-line block ×3, first 2 shown]
	s_waitcnt lgkmcnt(3)
	v_mul_f32_e32 v0, v59, v110
	ds_read2_b32 v[24:25], v255 offset0:12 offset1:13
	s_waitcnt vmcnt(42) lgkmcnt(3)
	v_pk_fma_f32 v[118:119], v[0:1], v[2:3], v[6:7] op_sel_hi:[0,1,1] neg_lo:[1,0,0] neg_hi:[1,0,0]
	s_waitcnt lgkmcnt(2)
	v_pk_fma_f32 v[84:85], v[0:1], v[4:5], v[8:9] op_sel_hi:[0,1,1] neg_lo:[1,0,0] neg_hi:[1,0,0]
	ds_read2_b32 v[2:3], v255 offset0:14 offset1:15
	ds_read2_b32 v[4:5], v255 offset0:16 offset1:17
	;; [unrolled: 1-line block ×4, first 2 shown]
	s_waitcnt lgkmcnt(5)
	v_pk_fma_f32 v[54:55], v[0:1], v[22:23], v[10:11] op_sel_hi:[0,1,1] neg_lo:[1,0,0] neg_hi:[1,0,0]
	s_waitcnt lgkmcnt(4)
	v_pk_fma_f32 v[180:181], v[0:1], v[24:25], v[12:13] op_sel_hi:[0,1,1] neg_lo:[1,0,0] neg_hi:[1,0,0]
	;; [unrolled: 2-line block ×3, first 2 shown]
	s_waitcnt vmcnt(15) lgkmcnt(2)
	v_pk_fma_f32 v[218:219], v[0:1], v[4:5], v[16:17] op_sel_hi:[0,1,1] neg_lo:[1,0,0] neg_hi:[1,0,0]
	s_waitcnt lgkmcnt(1)
	v_pk_fma_f32 v[42:43], v[0:1], v[6:7], v[18:19] op_sel_hi:[0,1,1] neg_lo:[1,0,0] neg_hi:[1,0,0]
	s_waitcnt lgkmcnt(0)
	v_pk_fma_f32 v[140:141], v[0:1], v[8:9], v[20:21] op_sel_hi:[0,1,1] neg_lo:[1,0,0] neg_hi:[1,0,0]
	scratch_load_dwordx4 v[2:5], off, off offset:2560 ; 16-byte Folded Reload
	scratch_load_dwordx4 v[6:9], off, off offset:2576 ; 16-byte Folded Reload
	;; [unrolled: 1-line block ×8, first 2 shown]
	s_waitcnt vmcnt(6)
	v_mov_b32_e32 v7, v0
	v_mov_b32_e32 v8, v118
	;; [unrolled: 1-line block ×78, first 2 shown]
	scratch_store_dwordx4 off, v[2:5], off offset:1536 ; 16-byte Folded Spill
	s_nop 0
	scratch_store_dwordx4 off, v[6:9], off offset:1552 ; 16-byte Folded Spill
	s_waitcnt vmcnt(7)
	scratch_store_dwordx4 off, v[10:13], off offset:1568 ; 16-byte Folded Spill
	s_waitcnt vmcnt(7)
	;; [unrolled: 2-line block ×6, first 2 shown]
	scratch_store_dwordx4 off, v[30:33], off offset:1648 ; 16-byte Folded Spill
	v_mov_b32_e32 v10, v84
	v_mov_b32_e32 v11, v85
	;; [unrolled: 1-line block ×44, first 2 shown]
	scratch_store_dwordx4 off, v[2:5], off offset:1152 ; 16-byte Folded Spill
	s_nop 0
	scratch_store_dwordx4 off, v[6:9], off offset:1168 ; 16-byte Folded Spill
	scratch_store_dwordx4 off, v[10:13], off offset:1184 ; 16-byte Folded Spill
	scratch_store_dwordx4 off, v[14:17], off offset:1200 ; 16-byte Folded Spill
	scratch_store_dwordx4 off, v[18:21], off offset:1216 ; 16-byte Folded Spill
	scratch_store_dwordx4 off, v[22:25], off offset:1232 ; 16-byte Folded Spill
	scratch_store_dwordx4 off, v[26:29], off offset:1248 ; 16-byte Folded Spill
	scratch_store_dwordx4 off, v[30:33], off offset:1264 ; 16-byte Folded Spill
	v_mov_b32_e32 v12, v54
	v_mov_b32_e32 v13, v55
	scratch_store_dwordx4 off, v[2:5], off offset:896 ; 16-byte Folded Spill
	s_nop 0
	scratch_store_dwordx4 off, v[6:9], off offset:912 ; 16-byte Folded Spill
	scratch_store_dwordx4 off, v[10:13], off offset:928 ; 16-byte Folded Spill
	scratch_store_dwordx4 off, v[14:17], off offset:944 ; 16-byte Folded Spill
	scratch_store_dwordx4 off, v[18:21], off offset:960 ; 16-byte Folded Spill
	scratch_store_dwordx4 off, v[22:25], off offset:976 ; 16-byte Folded Spill
	scratch_store_dwordx4 off, v[26:29], off offset:992 ; 16-byte Folded Spill
	scratch_store_dwordx4 off, v[30:33], off offset:1008 ; 16-byte Folded Spill
	v_mov_b32_e32 v14, v180
	v_mov_b32_e32 v15, v181
	;; [unrolled: 11-line block ×5, first 2 shown]
	v_mov_b32_e32 v32, v84
	v_mov_b32_e32 v33, v85
	ds_read_b32 v1, v255 offset:88
	scratch_store_dwordx4 off, v[56:59], off offset:128 ; 16-byte Folded Spill
	s_nop 0
	scratch_store_dwordx4 off, v[60:63], off offset:144 ; 16-byte Folded Spill
	scratch_store_dwordx4 off, v[64:67], off offset:160 ; 16-byte Folded Spill
	;; [unrolled: 1-line block ×7, first 2 shown]
	v_mov_b32_e32 v26, v88
	v_mov_b32_e32 v27, v89
	;; [unrolled: 1-line block ×4, first 2 shown]
	s_waitcnt lgkmcnt(0)
	v_fma_f32 v22, -v0, v1, v253
	v_mov_b32_e32 v5, v0
	v_mov_b32_e32 v2, v88
	;; [unrolled: 1-line block ×26, first 2 shown]
	scratch_store_dwordx4 off, v[86:89], off offset:2432 ; 16-byte Folded Spill
	s_nop 0
	scratch_store_dwordx4 off, v[90:93], off offset:2448 ; 16-byte Folded Spill
	scratch_store_dwordx4 off, v[94:97], off offset:2464 ; 16-byte Folded Spill
	;; [unrolled: 1-line block ×7, first 2 shown]
	v_mov_b32_e32 v128, v84
	v_mov_b32_e32 v129, v85
	;; [unrolled: 1-line block ×5, first 2 shown]
	scratch_store_dwordx4 off, v[112:115], off offset:2304 ; 16-byte Folded Spill
	s_nop 0
	scratch_store_dwordx4 off, v[116:119], off offset:2320 ; 16-byte Folded Spill
	scratch_store_dwordx4 off, v[120:123], off offset:2336 ; 16-byte Folded Spill
	;; [unrolled: 1-line block ×8, first 2 shown]
	s_nop 0
	scratch_store_dwordx4 off, v[80:83], off offset:1424 ; 16-byte Folded Spill
	scratch_store_dwordx4 off, v[84:87], off offset:1440 ; 16-byte Folded Spill
	scratch_store_dwordx4 off, v[88:91], off offset:1456 ; 16-byte Folded Spill
	scratch_store_dwordx4 off, v[92:95], off offset:1472 ; 16-byte Folded Spill
	scratch_store_dwordx4 off, v[96:99], off offset:1488 ; 16-byte Folded Spill
	scratch_store_dwordx4 off, v[100:103], off offset:1504 ; 16-byte Folded Spill
	scratch_store_dwordx4 off, v[104:107], off offset:1520 ; 16-byte Folded Spill
	v_mov_b32_e32 v76, v54
	v_mov_b32_e32 v88, v180
	v_mov_b32_e32 v57, v119
	scratch_store_dwordx4 off, v[44:47], off offset:1024 ; 16-byte Folded Spill
	s_nop 0
	scratch_store_dwordx4 off, v[48:51], off offset:1040 ; 16-byte Folded Spill
	scratch_store_dwordx4 off, v[52:55], off offset:1056 ; 16-byte Folded Spill
	;; [unrolled: 1-line block ×8, first 2 shown]
	s_nop 0
	scratch_store_dwordx4 off, v[172:175], off offset:784 ; 16-byte Folded Spill
	scratch_store_dwordx4 off, v[176:179], off offset:800 ; 16-byte Folded Spill
	;; [unrolled: 1-line block ×7, first 2 shown]
	v_mov_b32_e32 v70, v218
	scratch_store_dwordx4 off, v[202:205], off offset:384 ; 16-byte Folded Spill
	s_nop 0
	scratch_store_dwordx4 off, v[206:209], off offset:400 ; 16-byte Folded Spill
	scratch_store_dwordx4 off, v[210:213], off offset:416 ; 16-byte Folded Spill
	;; [unrolled: 1-line block ×7, first 2 shown]
	v_mov_b64_e32 v[198:199], v[38:39]
	v_mov_b64_e32 v[196:197], v[36:37]
	;; [unrolled: 1-line block ×9, first 2 shown]
	v_mov_b32_e32 v236, v140
	v_mov_b32_e32 v68, v166
	;; [unrolled: 1-line block ×3, first 2 shown]
	v_mov_b64_e32 v[200:201], v[40:41]
	v_mov_b32_e32 v235, v139
	v_mov_b32_e32 v234, v138
	v_mov_b32_e32 v233, v137
	v_mov_b32_e32 v232, v136
	v_mov_b32_e32 v84, v202
	v_mov_b32_e32 v41, v203
	v_mov_b32_e32 v44, v236
	v_mov_b32_e32 v79, v55
	v_mov_b32_e32 v25, v219
	v_mov_b64_e32 v[230:231], v[134:135]
	v_mov_b64_e32 v[228:229], v[132:133]
	;; [unrolled: 1-line block ×8, first 2 shown]
	scratch_store_dwordx4 off, v[24:27], off ; 16-byte Folded Spill
	s_nop 0
	scratch_store_dwordx4 off, v[28:31], off offset:16 ; 16-byte Folded Spill
	scratch_store_dwordx4 off, v[32:35], off offset:32 ; 16-byte Folded Spill
	;; [unrolled: 1-line block ×7, first 2 shown]
.LBB45_33:
	s_or_b64 exec, exec, s[2:3]
	v_cmp_eq_u32_e32 vcc, 6, v248
	s_waitcnt lgkmcnt(0)
	s_barrier
	s_and_saveexec_b64 s[2:3], vcc
	s_cbranch_execz .LBB45_36
; %bb.34:
	ds_write_b32 v254, v56
	ds_write2_b32 v255, v7, v8 offset0:7 offset1:8
	ds_write2_b32 v255, v9, v10 offset0:9 offset1:10
	;; [unrolled: 1-line block ×8, first 2 shown]
	ds_read_b32 v23, v254
	s_waitcnt lgkmcnt(0)
	v_cmp_neq_f32_e32 vcc, 0, v23
	s_and_b64 exec, exec, vcc
	s_cbranch_execz .LBB45_36
; %bb.35:
	v_div_scale_f32 v43, s[4:5], v23, v23, 1.0
	v_rcp_f32_e32 v44, v43
	v_div_scale_f32 v45, vcc, 1.0, v23, 1.0
	v_fma_f32 v46, -v43, v44, 1.0
	v_fmac_f32_e32 v44, v46, v44
	v_mul_f32_e32 v46, v45, v44
	v_fma_f32 v47, -v43, v46, v45
	v_fmac_f32_e32 v46, v47, v44
	v_fma_f32 v43, -v43, v46, v45
	v_div_fmas_f32 v43, v43, v44, v46
	v_div_fixup_f32 v23, v43, v23, 1.0
	ds_write_b32 v254, v23
.LBB45_36:
	s_or_b64 exec, exec, s[2:3]
	s_waitcnt lgkmcnt(0)
	s_barrier
	ds_read_b32 v111, v254
	v_cmp_lt_u32_e32 vcc, 6, v248
	s_mov_b64 s[2:3], exec
	s_and_b64 s[4:5], s[2:3], vcc
	v_mov_b32_e32 v90, v76
	s_mov_b64 exec, s[4:5]
	s_cbranch_execz .LBB45_38
; %bb.37:
	scratch_load_dwordx4 v[24:27], off, off offset:2432 ; 16-byte Folded Reload
	scratch_load_dwordx4 v[28:31], off, off offset:2448 ; 16-byte Folded Reload
	scratch_load_dwordx4 v[32:35], off, off offset:2464 ; 16-byte Folded Reload
	scratch_load_dwordx4 v[36:39], off, off offset:2480 ; 16-byte Folded Reload
	scratch_load_dwordx4 v[40:43], off, off offset:2496 ; 16-byte Folded Reload
	scratch_load_dwordx4 v[44:47], off, off offset:2512 ; 16-byte Folded Reload
	scratch_load_dwordx4 v[48:51], off, off offset:2528 ; 16-byte Folded Reload
	scratch_load_dwordx4 v[52:55], off, off offset:2544 ; 16-byte Folded Reload
	ds_read2_b32 v[0:1], v255 offset0:7 offset1:8
	v_mov_b32_e32 v2, v7
	s_waitcnt lgkmcnt(1)
	v_mul_f32_e32 v84, v56, v111
	v_mov_b32_e32 v3, v8
	v_mov_b32_e32 v158, v84
	s_waitcnt vmcnt(2) lgkmcnt(0)
	v_pk_fma_f32 v[44:45], v[84:85], v[0:1], v[2:3] op_sel_hi:[0,1,1] neg_lo:[1,0,0] neg_hi:[1,0,0]
	v_mov_b32_e32 v0, v9
	v_mov_b32_e32 v1, v10
	v_mov_b32_e32 v2, v15
	v_mov_b32_e32 v3, v16
	v_mov_b32_e32 v190, v84
	v_mov_b32_e32 v222, v84
	v_mov_b32_e32 v159, v44
	v_mov_b32_e32 v160, v45
	v_mov_b32_e32 v191, v44
	v_mov_b32_e32 v192, v45
	v_mov_b32_e32 v223, v44
	v_mov_b32_e32 v224, v45
	v_mov_b32_e32 v57, v44
	v_mov_b64_e32 v[82:83], v[28:29]
	v_mov_b64_e32 v[80:81], v[26:27]
	;; [unrolled: 1-line block ×3, first 2 shown]
	ds_read2_b32 v[4:5], v255 offset0:9 offset1:10
	ds_read2_b32 v[6:7], v255 offset0:11 offset1:12
	;; [unrolled: 1-line block ×3, first 2 shown]
	v_mov_b32_e32 v152, v78
	v_mov_b32_e32 v153, v79
	s_waitcnt lgkmcnt(2)
	v_pk_fma_f32 v[46:47], v[84:85], v[4:5], v[0:1] op_sel_hi:[0,1,1] neg_lo:[1,0,0] neg_hi:[1,0,0]
	v_mov_b32_e32 v0, v11
	v_mov_b32_e32 v1, v12
	s_waitcnt vmcnt(1) lgkmcnt(1)
	v_pk_fma_f32 v[48:49], v[84:85], v[6:7], v[0:1] op_sel_hi:[0,1,1] neg_lo:[1,0,0] neg_hi:[1,0,0]
	v_mov_b32_e32 v0, v13
	v_mov_b32_e32 v1, v14
	s_waitcnt lgkmcnt(0)
	v_pk_fma_f32 v[50:51], v[84:85], v[24:25], v[0:1] op_sel_hi:[0,1,1] neg_lo:[1,0,0] neg_hi:[1,0,0]
	ds_read2_b32 v[0:1], v255 offset0:15 offset1:16
	ds_read2_b32 v[4:5], v255 offset0:17 offset1:18
	;; [unrolled: 1-line block ×4, first 2 shown]
	v_mov_b32_e32 v154, v80
	v_mov_b32_e32 v155, v81
	;; [unrolled: 1-line block ×3, first 2 shown]
	s_waitcnt vmcnt(0) lgkmcnt(3)
	v_pk_fma_f32 v[52:53], v[84:85], v[0:1], v[2:3] op_sel_hi:[0,1,1] neg_lo:[1,0,0] neg_hi:[1,0,0]
	v_mov_b32_e32 v0, v17
	v_mov_b32_e32 v1, v18
	s_waitcnt lgkmcnt(2)
	v_pk_fma_f32 v[54:55], v[84:85], v[4:5], v[0:1] op_sel_hi:[0,1,1] neg_lo:[1,0,0] neg_hi:[1,0,0]
	v_mov_b32_e32 v0, v19
	v_mov_b32_e32 v1, v20
	s_waitcnt lgkmcnt(1)
	;; [unrolled: 4-line block ×3, first 2 shown]
	v_pk_fma_f32 v[252:253], v[84:85], v[8:9], v[0:1] op_sel_hi:[0,1,1] neg_lo:[1,0,0] neg_hi:[1,0,0]
	v_mov_b32_e32 v0, v78
	v_mov_b32_e32 v1, v79
	v_mov_b32_e32 v2, v80
	v_mov_b32_e32 v3, v81
	v_mov_b32_e32 v4, v82
	v_mov_b32_e32 v5, v83
	v_mov_b32_e32 v6, v84
	v_mov_b32_e32 v7, v44
	v_mov_b32_e32 v8, v45
	scratch_store_dwordx4 off, v[0:3], off offset:1408 ; 16-byte Folded Spill
	s_nop 0
	scratch_store_dwordx4 off, v[4:7], off offset:1424 ; 16-byte Folded Spill
	scratch_store_dwordx4 off, v[8:11], off offset:1440 ; 16-byte Folded Spill
	;; [unrolled: 1-line block ×7, first 2 shown]
	v_mov_b32_e32 v9, v46
	v_mov_b32_e32 v85, v44
	;; [unrolled: 1-line block ×49, first 2 shown]
	scratch_store_dwordx4 off, v[0:3], off offset:1152 ; 16-byte Folded Spill
	s_nop 0
	scratch_store_dwordx4 off, v[4:7], off offset:1168 ; 16-byte Folded Spill
	scratch_store_dwordx4 off, v[8:11], off offset:1184 ; 16-byte Folded Spill
	scratch_store_dwordx4 off, v[12:15], off offset:1200 ; 16-byte Folded Spill
	scratch_store_dwordx4 off, v[16:19], off offset:1216 ; 16-byte Folded Spill
	scratch_store_dwordx4 off, v[20:23], off offset:1232 ; 16-byte Folded Spill
	scratch_store_dwordx4 off, v[24:27], off offset:1248 ; 16-byte Folded Spill
	scratch_store_dwordx4 off, v[28:31], off offset:1264 ; 16-byte Folded Spill
	v_mov_b32_e32 v10, v47
	scratch_store_dwordx4 off, v[0:3], off offset:1024 ; 16-byte Folded Spill
	s_nop 0
	scratch_store_dwordx4 off, v[4:7], off offset:1040 ; 16-byte Folded Spill
	scratch_store_dwordx4 off, v[8:11], off offset:1056 ; 16-byte Folded Spill
	scratch_store_dwordx4 off, v[12:15], off offset:1072 ; 16-byte Folded Spill
	scratch_store_dwordx4 off, v[16:19], off offset:1088 ; 16-byte Folded Spill
	scratch_store_dwordx4 off, v[20:23], off offset:1104 ; 16-byte Folded Spill
	scratch_store_dwordx4 off, v[24:27], off offset:1120 ; 16-byte Folded Spill
	scratch_store_dwordx4 off, v[28:31], off offset:1136 ; 16-byte Folded Spill
	v_mov_b32_e32 v11, v48
	;; [unrolled: 10-line block ×5, first 2 shown]
	v_mov_b32_e32 v15, v52
	scratch_store_dwordx4 off, v[0:3], off offset:512 ; 16-byte Folded Spill
	s_nop 0
	scratch_store_dwordx4 off, v[4:7], off offset:528 ; 16-byte Folded Spill
	scratch_store_dwordx4 off, v[8:11], off offset:544 ; 16-byte Folded Spill
	scratch_store_dwordx4 off, v[12:15], off offset:560 ; 16-byte Folded Spill
	scratch_store_dwordx4 off, v[16:19], off offset:576 ; 16-byte Folded Spill
	scratch_store_dwordx4 off, v[20:23], off offset:592 ; 16-byte Folded Spill
	scratch_store_dwordx4 off, v[24:27], off offset:608 ; 16-byte Folded Spill
	scratch_store_dwordx4 off, v[28:31], off offset:624 ; 16-byte Folded Spill
	v_mov_b32_e32 v16, v53
	scratch_store_dwordx4 off, v[0:3], off offset:384 ; 16-byte Folded Spill
	s_nop 0
	scratch_store_dwordx4 off, v[4:7], off offset:400 ; 16-byte Folded Spill
	scratch_store_dwordx4 off, v[8:11], off offset:416 ; 16-byte Folded Spill
	scratch_store_dwordx4 off, v[12:15], off offset:432 ; 16-byte Folded Spill
	scratch_store_dwordx4 off, v[16:19], off offset:448 ; 16-byte Folded Spill
	scratch_store_dwordx4 off, v[20:23], off offset:464 ; 16-byte Folded Spill
	scratch_store_dwordx4 off, v[24:27], off offset:480 ; 16-byte Folded Spill
	scratch_store_dwordx4 off, v[28:31], off offset:496 ; 16-byte Folded Spill
	;; [unrolled: 10-line block ×3, first 2 shown]
	v_mov_b32_e32 v18, v55
	v_mov_b32_e32 v19, v76
	scratch_store_dwordx4 off, v[0:3], off offset:128 ; 16-byte Folded Spill
	s_nop 0
	scratch_store_dwordx4 off, v[4:7], off offset:144 ; 16-byte Folded Spill
	scratch_store_dwordx4 off, v[8:11], off offset:160 ; 16-byte Folded Spill
	scratch_store_dwordx4 off, v[12:15], off offset:176 ; 16-byte Folded Spill
	scratch_store_dwordx4 off, v[16:19], off offset:192 ; 16-byte Folded Spill
	scratch_store_dwordx4 off, v[20:23], off offset:208 ; 16-byte Folded Spill
	scratch_store_dwordx4 off, v[24:27], off offset:224 ; 16-byte Folded Spill
	scratch_store_dwordx4 off, v[28:31], off offset:240 ; 16-byte Folded Spill
	scratch_store_dwordx4 off, v[78:81], off offset:1536 ; 16-byte Folded Spill
	s_nop 0
	scratch_store_dwordx4 off, v[82:85], off offset:1552 ; 16-byte Folded Spill
	scratch_store_dwordx4 off, v[86:89], off offset:1568 ; 16-byte Folded Spill
	scratch_store_dwordx4 off, v[90:93], off offset:1584 ; 16-byte Folded Spill
	scratch_store_dwordx4 off, v[94:97], off offset:1600 ; 16-byte Folded Spill
	scratch_store_dwordx4 off, v[98:101], off offset:1616 ; 16-byte Folded Spill
	scratch_store_dwordx4 off, v[102:105], off offset:1632 ; 16-byte Folded Spill
	scratch_store_dwordx4 off, v[106:109], off offset:1648 ; 16-byte Folded Spill
	;; [unrolled: 9-line block ×3, first 2 shown]
	v_mov_b32_e32 v20, v77
	v_mov_b32_e32 v21, v252
	;; [unrolled: 1-line block ×10, first 2 shown]
	scratch_store_dwordx4 off, v[24:27], off ; 16-byte Folded Spill
	s_nop 0
	scratch_store_dwordx4 off, v[28:31], off offset:16 ; 16-byte Folded Spill
	scratch_store_dwordx4 off, v[32:35], off offset:32 ; 16-byte Folded Spill
	;; [unrolled: 1-line block ×7, first 2 shown]
.LBB45_38:
	s_or_b64 exec, exec, s[2:3]
	v_cmp_eq_u32_e32 vcc, 7, v248
	s_waitcnt lgkmcnt(0)
	s_barrier
	s_and_saveexec_b64 s[2:3], vcc
	s_cbranch_execz .LBB45_41
; %bb.39:
	ds_write_b32 v254, v57
	ds_write2_b32 v255, v8, v9 offset0:8 offset1:9
	ds_write2_b32 v255, v10, v11 offset0:10 offset1:11
	;; [unrolled: 1-line block ×7, first 2 shown]
	ds_write_b32 v255, v253 offset:88
	ds_read_b32 v23, v254
	s_waitcnt lgkmcnt(0)
	v_cmp_neq_f32_e32 vcc, 0, v23
	s_and_b64 exec, exec, vcc
	s_cbranch_execz .LBB45_41
; %bb.40:
	v_div_scale_f32 v43, s[4:5], v23, v23, 1.0
	v_rcp_f32_e32 v44, v43
	v_div_scale_f32 v45, vcc, 1.0, v23, 1.0
	v_fma_f32 v46, -v43, v44, 1.0
	v_fmac_f32_e32 v44, v46, v44
	v_mul_f32_e32 v46, v45, v44
	v_fma_f32 v47, -v43, v46, v45
	v_fmac_f32_e32 v46, v47, v44
	v_fma_f32 v43, -v43, v46, v45
	v_div_fmas_f32 v43, v43, v44, v46
	v_div_fixup_f32 v23, v43, v23, 1.0
	ds_write_b32 v254, v23
.LBB45_41:
	s_or_b64 exec, exec, s[2:3]
	s_waitcnt lgkmcnt(0)
	s_barrier
	ds_read_b32 v112, v254
	v_cmp_lt_u32_e32 vcc, 7, v248
	s_and_saveexec_b64 s[2:3], vcc
	s_cbranch_execz .LBB45_43
; %bb.42:
	ds_read2_b32 v[2:3], v255 offset0:8 offset1:9
	ds_read2_b32 v[4:5], v255 offset0:10 offset1:11
	;; [unrolled: 1-line block ×4, first 2 shown]
	s_waitcnt lgkmcnt(4)
	v_mul_f32_e32 v0, v57, v112
	s_waitcnt lgkmcnt(3)
	v_pk_fma_f32 v[84:85], v[0:1], v[2:3], v[8:9] op_sel_hi:[0,1,1] neg_lo:[1,0,0] neg_hi:[1,0,0]
	s_waitcnt lgkmcnt(2)
	v_pk_fma_f32 v[54:55], v[0:1], v[4:5], v[10:11] op_sel_hi:[0,1,1] neg_lo:[1,0,0] neg_hi:[1,0,0]
	s_waitcnt lgkmcnt(1)
	v_pk_fma_f32 v[180:181], v[0:1], v[6:7], v[12:13] op_sel_hi:[0,1,1] neg_lo:[1,0,0] neg_hi:[1,0,0]
	ds_read2_b32 v[2:3], v255 offset0:16 offset1:17
	ds_read2_b32 v[4:5], v255 offset0:18 offset1:19
	;; [unrolled: 1-line block ×3, first 2 shown]
	s_waitcnt lgkmcnt(3)
	v_pk_fma_f32 v[166:167], v[0:1], v[22:23], v[14:15] op_sel_hi:[0,1,1] neg_lo:[1,0,0] neg_hi:[1,0,0]
	ds_read_b32 v1, v255 offset:88
	v_mov_b32_e32 v83, v0
	v_mov_b32_e32 v63, v0
	v_mov_b32_e32 v64, v84
	v_mov_b32_e32 v65, v85
	s_waitcnt vmcnt(11) lgkmcnt(0)
	v_pk_fma_f32 v[232:233], v[0:1], v[2:3], v[16:17] op_sel_hi:[0,1,1] neg_lo:[1,0,0] neg_hi:[1,0,0]
	s_waitcnt vmcnt(3)
	v_pk_fma_f32 v[202:203], v[0:1], v[4:5], v[18:19] op_sel_hi:[0,1,1] neg_lo:[1,0,0] neg_hi:[1,0,0]
	v_pk_fma_f32 v[134:135], v[0:1], v[6:7], v[20:21] op_sel_hi:[0,1,1] neg_lo:[1,0,0] neg_hi:[1,0,0]
	scratch_load_dwordx4 v[2:5], off, off offset:2304 ; 16-byte Folded Reload
	scratch_load_dwordx4 v[6:9], off, off offset:2320 ; 16-byte Folded Reload
	;; [unrolled: 1-line block ×8, first 2 shown]
	s_waitcnt vmcnt(6)
	v_mov_b32_e32 v9, v0
	s_waitcnt vmcnt(5)
	v_mov_b32_e32 v10, v84
	v_mov_b32_e32 v11, v85
	;; [unrolled: 1-line block ×68, first 2 shown]
	scratch_store_dwordx4 off, v[2:5], off offset:1152 ; 16-byte Folded Spill
	s_nop 0
	scratch_store_dwordx4 off, v[6:9], off offset:1168 ; 16-byte Folded Spill
	scratch_store_dwordx4 off, v[10:13], off offset:1184 ; 16-byte Folded Spill
	s_waitcnt vmcnt(7)
	scratch_store_dwordx4 off, v[14:17], off offset:1200 ; 16-byte Folded Spill
	s_waitcnt vmcnt(7)
	;; [unrolled: 2-line block ×5, first 2 shown]
	scratch_store_dwordx4 off, v[30:33], off offset:1264 ; 16-byte Folded Spill
	v_mov_b32_e32 v12, v54
	v_mov_b32_e32 v13, v55
	;; [unrolled: 1-line block ×58, first 2 shown]
	scratch_store_dwordx4 off, v[2:5], off offset:896 ; 16-byte Folded Spill
	s_nop 0
	scratch_store_dwordx4 off, v[6:9], off offset:912 ; 16-byte Folded Spill
	scratch_store_dwordx4 off, v[10:13], off offset:928 ; 16-byte Folded Spill
	scratch_store_dwordx4 off, v[14:17], off offset:944 ; 16-byte Folded Spill
	scratch_store_dwordx4 off, v[18:21], off offset:960 ; 16-byte Folded Spill
	scratch_store_dwordx4 off, v[22:25], off offset:976 ; 16-byte Folded Spill
	scratch_store_dwordx4 off, v[26:29], off offset:992 ; 16-byte Folded Spill
	scratch_store_dwordx4 off, v[30:33], off offset:1008 ; 16-byte Folded Spill
	v_mov_b32_e32 v14, v180
	v_mov_b32_e32 v15, v181
	scratch_store_dwordx4 off, v[2:5], off offset:640 ; 16-byte Folded Spill
	s_nop 0
	scratch_store_dwordx4 off, v[6:9], off offset:656 ; 16-byte Folded Spill
	scratch_store_dwordx4 off, v[10:13], off offset:672 ; 16-byte Folded Spill
	scratch_store_dwordx4 off, v[14:17], off offset:688 ; 16-byte Folded Spill
	scratch_store_dwordx4 off, v[18:21], off offset:704 ; 16-byte Folded Spill
	scratch_store_dwordx4 off, v[22:25], off offset:720 ; 16-byte Folded Spill
	scratch_store_dwordx4 off, v[26:29], off offset:736 ; 16-byte Folded Spill
	scratch_store_dwordx4 off, v[30:33], off offset:752 ; 16-byte Folded Spill
	v_mov_b32_e32 v16, v166
	v_mov_b32_e32 v17, v167
	;; [unrolled: 11-line block ×3, first 2 shown]
	scratch_store_dwordx4 off, v[2:5], off offset:256 ; 16-byte Folded Spill
	s_nop 0
	scratch_store_dwordx4 off, v[6:9], off offset:272 ; 16-byte Folded Spill
	scratch_store_dwordx4 off, v[10:13], off offset:288 ; 16-byte Folded Spill
	;; [unrolled: 1-line block ×8, first 2 shown]
	s_nop 0
	scratch_store_dwordx4 off, v[60:63], off offset:144 ; 16-byte Folded Spill
	scratch_store_dwordx4 off, v[64:67], off offset:160 ; 16-byte Folded Spill
	;; [unrolled: 1-line block ×7, first 2 shown]
	v_fma_f32 v22, -v0, v1, v253
	v_mov_b32_e32 v7, v0
	v_mov_b32_e32 v0, v142
	;; [unrolled: 1-line block ×10, first 2 shown]
	scratch_store_dwordx4 off, v[142:145], off offset:1536 ; 16-byte Folded Spill
	s_nop 0
	scratch_store_dwordx4 off, v[146:149], off offset:1552 ; 16-byte Folded Spill
	scratch_store_dwordx4 off, v[150:153], off offset:1568 ; 16-byte Folded Spill
	scratch_store_dwordx4 off, v[154:157], off offset:1584 ; 16-byte Folded Spill
	scratch_store_dwordx4 off, v[158:161], off offset:1600 ; 16-byte Folded Spill
	scratch_store_dwordx4 off, v[162:165], off offset:1616 ; 16-byte Folded Spill
	scratch_store_dwordx4 off, v[166:169], off offset:1632 ; 16-byte Folded Spill
	scratch_store_dwordx4 off, v[170:173], off offset:1648 ; 16-byte Folded Spill
	v_mov_b32_e32 v10, v54
	v_mov_b32_e32 v11, v55
	v_mov_b32_e32 v12, v180
	v_mov_b32_e32 v13, v181
	v_mov_b32_e32 v16, v232
	v_mov_b32_e32 v17, v233
	v_mov_b32_e32 v18, v202
	v_mov_b32_e32 v19, v203
	v_mov_b32_e32 v20, v134
	v_mov_b32_e32 v21, v135
	v_mov_b32_e32 v253, v22
	v_mov_b32_e32 v92, v84
	v_mov_b32_e32 v122, v84
	v_mov_b32_e32 v123, v85
	v_mov_b32_e32 v8, v84
	v_mov_b32_e32 v9, v85
	scratch_store_dwordx4 off, v[76:79], off offset:1408 ; 16-byte Folded Spill
	s_nop 0
	scratch_store_dwordx4 off, v[80:83], off offset:1424 ; 16-byte Folded Spill
	scratch_store_dwordx4 off, v[84:87], off offset:1440 ; 16-byte Folded Spill
	scratch_store_dwordx4 off, v[88:91], off offset:1456 ; 16-byte Folded Spill
	scratch_store_dwordx4 off, v[92:95], off offset:1472 ; 16-byte Folded Spill
	scratch_store_dwordx4 off, v[96:99], off offset:1488 ; 16-byte Folded Spill
	scratch_store_dwordx4 off, v[100:103], off offset:1504 ; 16-byte Folded Spill
	scratch_store_dwordx4 off, v[104:107], off offset:1520 ; 16-byte Folded Spill
	v_mov_b32_e32 v90, v54
	scratch_store_dwordx4 off, v[44:47], off offset:1024 ; 16-byte Folded Spill
	s_nop 0
	scratch_store_dwordx4 off, v[48:51], off offset:1040 ; 16-byte Folded Spill
	scratch_store_dwordx4 off, v[52:55], off offset:1056 ; 16-byte Folded Spill
	scratch_store_dwordx4 off, v[56:59], off offset:1072 ; 16-byte Folded Spill
	scratch_store_dwordx4 off, v[60:63], off offset:1088 ; 16-byte Folded Spill
	scratch_store_dwordx4 off, v[64:67], off offset:1104 ; 16-byte Folded Spill
	scratch_store_dwordx4 off, v[68:71], off offset:1120 ; 16-byte Folded Spill
	scratch_store_dwordx4 off, v[72:75], off offset:1136 ; 16-byte Folded Spill
	v_mov_b32_e32 v88, v180
	;; [unrolled: 10-line block ×3, first 2 shown]
	scratch_store_dwordx4 off, v[216:219], off offset:384 ; 16-byte Folded Spill
	s_nop 0
	scratch_store_dwordx4 off, v[220:223], off offset:400 ; 16-byte Folded Spill
	scratch_store_dwordx4 off, v[224:227], off offset:416 ; 16-byte Folded Spill
	;; [unrolled: 1-line block ×7, first 2 shown]
	v_mov_b64_e32 v[230:231], v[128:129]
	v_mov_b32_e32 v68, v166
	v_mov_b32_e32 v69, v167
	v_mov_b64_e32 v[228:229], v[126:127]
	v_mov_b64_e32 v[226:227], v[124:125]
	;; [unrolled: 1-line block ×7, first 2 shown]
	v_mov_b32_e32 v84, v202
	v_mov_b32_e32 v79, v55
	v_mov_b32_e32 v25, v233
	v_mov_b32_e32 v236, v134
	v_mov_b32_e32 v235, v133
	v_mov_b32_e32 v234, v132
	v_mov_b32_e32 v233, v131
	v_mov_b32_e32 v232, v130
	v_mov_b32_e32 v44, v236
	scratch_store_dwordx4 off, v[24:27], off ; 16-byte Folded Spill
	s_nop 0
	scratch_store_dwordx4 off, v[28:31], off offset:16 ; 16-byte Folded Spill
	scratch_store_dwordx4 off, v[32:35], off offset:32 ; 16-byte Folded Spill
	;; [unrolled: 1-line block ×7, first 2 shown]
.LBB45_43:
	s_or_b64 exec, exec, s[2:3]
	v_cmp_eq_u32_e32 vcc, 8, v248
	s_waitcnt lgkmcnt(0)
	s_barrier
	s_and_saveexec_b64 s[2:3], vcc
	s_cbranch_execz .LBB45_46
; %bb.44:
	ds_write_b32 v254, v92
	ds_write2_b32 v255, v9, v10 offset0:9 offset1:10
	ds_write2_b32 v255, v11, v12 offset0:11 offset1:12
	;; [unrolled: 1-line block ×7, first 2 shown]
	ds_read_b32 v23, v254
	s_waitcnt lgkmcnt(0)
	v_cmp_neq_f32_e32 vcc, 0, v23
	s_and_b64 exec, exec, vcc
	s_cbranch_execz .LBB45_46
; %bb.45:
	v_div_scale_f32 v43, s[4:5], v23, v23, 1.0
	v_rcp_f32_e32 v44, v43
	v_div_scale_f32 v45, vcc, 1.0, v23, 1.0
	v_fma_f32 v46, -v43, v44, 1.0
	v_fmac_f32_e32 v44, v46, v44
	v_mul_f32_e32 v46, v45, v44
	v_fma_f32 v47, -v43, v46, v45
	v_fmac_f32_e32 v46, v47, v44
	v_fma_f32 v43, -v43, v46, v45
	v_div_fmas_f32 v43, v43, v44, v46
	v_div_fixup_f32 v23, v43, v23, 1.0
	ds_write_b32 v254, v23
.LBB45_46:
	s_or_b64 exec, exec, s[2:3]
	s_waitcnt lgkmcnt(0)
	s_barrier
	ds_read_b32 v113, v254
	v_cmp_lt_u32_e32 vcc, 8, v248
	s_and_saveexec_b64 s[2:3], vcc
	s_cbranch_execz .LBB45_48
; %bb.47:
	scratch_load_dwordx4 v[24:27], off, off offset:1536 ; 16-byte Folded Reload
	scratch_load_dwordx4 v[28:31], off, off offset:1552 ; 16-byte Folded Reload
	;; [unrolled: 1-line block ×8, first 2 shown]
	ds_read2_b32 v[0:1], v255 offset0:9 offset1:10
	v_mov_b32_e32 v2, v9
	ds_read2_b32 v[4:5], v255 offset0:11 offset1:12
	ds_read2_b32 v[6:7], v255 offset0:13 offset1:14
	;; [unrolled: 1-line block ×3, first 2 shown]
	s_waitcnt lgkmcnt(4)
	v_mul_f32_e32 v84, v92, v113
	v_mov_b32_e32 v3, v10
	s_waitcnt vmcnt(2) lgkmcnt(3)
	v_pk_fma_f32 v[44:45], v[84:85], v[0:1], v[2:3] op_sel_hi:[0,1,1] neg_lo:[1,0,0] neg_hi:[1,0,0]
	v_mov_b32_e32 v0, v11
	v_mov_b32_e32 v1, v12
	s_waitcnt lgkmcnt(2)
	v_pk_fma_f32 v[46:47], v[84:85], v[4:5], v[0:1] op_sel_hi:[0,1,1] neg_lo:[1,0,0] neg_hi:[1,0,0]
	v_mov_b32_e32 v0, v13
	v_mov_b32_e32 v1, v14
	s_waitcnt vmcnt(1) lgkmcnt(1)
	v_pk_fma_f32 v[48:49], v[84:85], v[6:7], v[0:1] op_sel_hi:[0,1,1] neg_lo:[1,0,0] neg_hi:[1,0,0]
	v_mov_b32_e32 v0, v15
	v_mov_b32_e32 v1, v16
	s_waitcnt lgkmcnt(0)
	v_pk_fma_f32 v[50:51], v[84:85], v[8:9], v[0:1] op_sel_hi:[0,1,1] neg_lo:[1,0,0] neg_hi:[1,0,0]
	ds_read2_b32 v[0:1], v255 offset0:17 offset1:18
	ds_read2_b32 v[4:5], v255 offset0:19 offset1:20
	;; [unrolled: 1-line block ×3, first 2 shown]
	v_mov_b32_e32 v2, v17
	v_mov_b32_e32 v3, v18
	;; [unrolled: 1-line block ×3, first 2 shown]
	s_waitcnt vmcnt(0) lgkmcnt(2)
	v_pk_fma_f32 v[52:53], v[84:85], v[0:1], v[2:3] op_sel_hi:[0,1,1] neg_lo:[1,0,0] neg_hi:[1,0,0]
	v_mov_b32_e32 v0, v19
	v_mov_b32_e32 v1, v20
	s_waitcnt lgkmcnt(1)
	v_pk_fma_f32 v[54:55], v[84:85], v[4:5], v[0:1] op_sel_hi:[0,1,1] neg_lo:[1,0,0] neg_hi:[1,0,0]
	v_mov_b32_e32 v0, v21
	v_mov_b32_e32 v1, v22
	s_waitcnt lgkmcnt(0)
	v_pk_fma_f32 v[252:253], v[84:85], v[6:7], v[0:1] op_sel_hi:[0,1,1] neg_lo:[1,0,0] neg_hi:[1,0,0]
	v_mov_b32_e32 v9, v44
	v_mov_b32_e32 v10, v45
	;; [unrolled: 1-line block ×40, first 2 shown]
	v_mov_b64_e32 v[82:83], v[30:31]
	v_mov_b64_e32 v[80:81], v[28:29]
	;; [unrolled: 1-line block ×4, first 2 shown]
	v_mov_b32_e32 v0, v76
	v_mov_b32_e32 v1, v77
	;; [unrolled: 1-line block ×8, first 2 shown]
	scratch_store_dwordx4 off, v[0:3], off offset:1024 ; 16-byte Folded Spill
	s_nop 0
	scratch_store_dwordx4 off, v[4:7], off offset:1040 ; 16-byte Folded Spill
	scratch_store_dwordx4 off, v[8:11], off offset:1056 ; 16-byte Folded Spill
	;; [unrolled: 1-line block ×7, first 2 shown]
	v_mov_b32_e32 v11, v46
	v_mov_b32_e32 v152, v76
	;; [unrolled: 1-line block ×25, first 2 shown]
	scratch_store_dwordx4 off, v[0:3], off offset:896 ; 16-byte Folded Spill
	s_nop 0
	scratch_store_dwordx4 off, v[4:7], off offset:912 ; 16-byte Folded Spill
	scratch_store_dwordx4 off, v[8:11], off offset:928 ; 16-byte Folded Spill
	scratch_store_dwordx4 off, v[12:15], off offset:944 ; 16-byte Folded Spill
	scratch_store_dwordx4 off, v[16:19], off offset:960 ; 16-byte Folded Spill
	scratch_store_dwordx4 off, v[20:23], off offset:976 ; 16-byte Folded Spill
	scratch_store_dwordx4 off, v[24:27], off offset:992 ; 16-byte Folded Spill
	scratch_store_dwordx4 off, v[28:31], off offset:1008 ; 16-byte Folded Spill
	v_mov_b32_e32 v12, v47
	scratch_store_dwordx4 off, v[0:3], off offset:768 ; 16-byte Folded Spill
	s_nop 0
	scratch_store_dwordx4 off, v[4:7], off offset:784 ; 16-byte Folded Spill
	scratch_store_dwordx4 off, v[8:11], off offset:800 ; 16-byte Folded Spill
	scratch_store_dwordx4 off, v[12:15], off offset:816 ; 16-byte Folded Spill
	scratch_store_dwordx4 off, v[16:19], off offset:832 ; 16-byte Folded Spill
	scratch_store_dwordx4 off, v[20:23], off offset:848 ; 16-byte Folded Spill
	scratch_store_dwordx4 off, v[24:27], off offset:864 ; 16-byte Folded Spill
	scratch_store_dwordx4 off, v[28:31], off offset:880 ; 16-byte Folded Spill
	v_mov_b32_e32 v13, v48
	;; [unrolled: 10-line block ×3, first 2 shown]
	v_mov_b32_e32 v15, v50
	scratch_store_dwordx4 off, v[0:3], off offset:512 ; 16-byte Folded Spill
	s_nop 0
	scratch_store_dwordx4 off, v[4:7], off offset:528 ; 16-byte Folded Spill
	scratch_store_dwordx4 off, v[8:11], off offset:544 ; 16-byte Folded Spill
	scratch_store_dwordx4 off, v[12:15], off offset:560 ; 16-byte Folded Spill
	scratch_store_dwordx4 off, v[16:19], off offset:576 ; 16-byte Folded Spill
	scratch_store_dwordx4 off, v[20:23], off offset:592 ; 16-byte Folded Spill
	scratch_store_dwordx4 off, v[24:27], off offset:608 ; 16-byte Folded Spill
	scratch_store_dwordx4 off, v[28:31], off offset:624 ; 16-byte Folded Spill
	v_mov_b32_e32 v16, v51
	scratch_store_dwordx4 off, v[0:3], off offset:384 ; 16-byte Folded Spill
	s_nop 0
	scratch_store_dwordx4 off, v[4:7], off offset:400 ; 16-byte Folded Spill
	scratch_store_dwordx4 off, v[8:11], off offset:416 ; 16-byte Folded Spill
	scratch_store_dwordx4 off, v[12:15], off offset:432 ; 16-byte Folded Spill
	scratch_store_dwordx4 off, v[16:19], off offset:448 ; 16-byte Folded Spill
	scratch_store_dwordx4 off, v[20:23], off offset:464 ; 16-byte Folded Spill
	scratch_store_dwordx4 off, v[24:27], off offset:480 ; 16-byte Folded Spill
	scratch_store_dwordx4 off, v[28:31], off offset:496 ; 16-byte Folded Spill
	;; [unrolled: 10-line block ×3, first 2 shown]
	v_mov_b32_e32 v18, v53
	v_mov_b32_e32 v19, v54
	scratch_store_dwordx4 off, v[0:3], off offset:128 ; 16-byte Folded Spill
	s_nop 0
	scratch_store_dwordx4 off, v[4:7], off offset:144 ; 16-byte Folded Spill
	scratch_store_dwordx4 off, v[8:11], off offset:160 ; 16-byte Folded Spill
	scratch_store_dwordx4 off, v[12:15], off offset:176 ; 16-byte Folded Spill
	scratch_store_dwordx4 off, v[16:19], off offset:192 ; 16-byte Folded Spill
	scratch_store_dwordx4 off, v[20:23], off offset:208 ; 16-byte Folded Spill
	scratch_store_dwordx4 off, v[24:27], off offset:224 ; 16-byte Folded Spill
	scratch_store_dwordx4 off, v[28:31], off offset:240 ; 16-byte Folded Spill
	scratch_store_dwordx4 off, v[76:79], off offset:1152 ; 16-byte Folded Spill
	s_nop 0
	scratch_store_dwordx4 off, v[80:83], off offset:1168 ; 16-byte Folded Spill
	scratch_store_dwordx4 off, v[84:87], off offset:1184 ; 16-byte Folded Spill
	scratch_store_dwordx4 off, v[88:91], off offset:1200 ; 16-byte Folded Spill
	scratch_store_dwordx4 off, v[92:95], off offset:1216 ; 16-byte Folded Spill
	scratch_store_dwordx4 off, v[96:99], off offset:1232 ; 16-byte Folded Spill
	scratch_store_dwordx4 off, v[100:103], off offset:1248 ; 16-byte Folded Spill
	scratch_store_dwordx4 off, v[104:107], off offset:1264 ; 16-byte Folded Spill
	;; [unrolled: 9-line block ×3, first 2 shown]
	v_mov_b32_e32 v20, v55
	v_mov_b32_e32 v21, v252
	;; [unrolled: 1-line block ×8, first 2 shown]
	scratch_store_dwordx4 off, v[24:27], off ; 16-byte Folded Spill
	s_nop 0
	scratch_store_dwordx4 off, v[28:31], off offset:16 ; 16-byte Folded Spill
	scratch_store_dwordx4 off, v[32:35], off offset:32 ; 16-byte Folded Spill
	;; [unrolled: 1-line block ×7, first 2 shown]
.LBB45_48:
	s_or_b64 exec, exec, s[2:3]
	v_cmp_eq_u32_e32 vcc, 9, v248
	s_waitcnt lgkmcnt(0)
	s_barrier
	s_and_saveexec_b64 s[2:3], vcc
	s_cbranch_execz .LBB45_51
; %bb.49:
	ds_write_b32 v254, v85
	ds_write2_b32 v255, v10, v11 offset0:10 offset1:11
	ds_write2_b32 v255, v12, v13 offset0:12 offset1:13
	;; [unrolled: 1-line block ×6, first 2 shown]
	ds_write_b32 v255, v253 offset:88
	ds_read_b32 v23, v254
	s_waitcnt lgkmcnt(0)
	v_cmp_neq_f32_e32 vcc, 0, v23
	s_and_b64 exec, exec, vcc
	s_cbranch_execz .LBB45_51
; %bb.50:
	v_div_scale_f32 v43, s[4:5], v23, v23, 1.0
	v_rcp_f32_e32 v44, v43
	v_div_scale_f32 v45, vcc, 1.0, v23, 1.0
	v_fma_f32 v46, -v43, v44, 1.0
	v_fmac_f32_e32 v44, v46, v44
	v_mul_f32_e32 v46, v45, v44
	v_fma_f32 v47, -v43, v46, v45
	v_fmac_f32_e32 v46, v47, v44
	v_fma_f32 v43, -v43, v46, v45
	v_div_fmas_f32 v43, v43, v44, v46
	v_div_fixup_f32 v23, v43, v23, 1.0
	ds_write_b32 v254, v23
.LBB45_51:
	s_or_b64 exec, exec, s[2:3]
	s_waitcnt lgkmcnt(0)
	s_barrier
	s_waitcnt vmcnt(43)
	ds_read_b32 v114, v254
	v_cmp_lt_u32_e32 vcc, 9, v248
	s_and_saveexec_b64 s[2:3], vcc
	s_cbranch_execz .LBB45_53
; %bb.52:
	ds_read2_b32 v[0:1], v255 offset0:10 offset1:11
	ds_read2_b32 v[2:3], v255 offset0:12 offset1:13
	;; [unrolled: 1-line block ×4, first 2 shown]
	s_waitcnt lgkmcnt(4)
	v_mul_f32_e32 v4, v85, v114
	v_mov_b32_e32 v85, v4
	s_waitcnt lgkmcnt(3)
	v_pk_fma_f32 v[54:55], v[4:5], v[0:1], v[10:11] op_sel_hi:[0,1,1] neg_lo:[1,0,0] neg_hi:[1,0,0]
	s_waitcnt lgkmcnt(2)
	v_pk_fma_f32 v[180:181], v[4:5], v[2:3], v[12:13] op_sel_hi:[0,1,1] neg_lo:[1,0,0] neg_hi:[1,0,0]
	ds_read2_b32 v[0:1], v255 offset0:18 offset1:19
	ds_read2_b32 v[2:3], v255 offset0:20 offset1:21
	s_waitcnt lgkmcnt(3)
	v_pk_fma_f32 v[166:167], v[4:5], v[6:7], v[14:15] op_sel_hi:[0,1,1] neg_lo:[1,0,0] neg_hi:[1,0,0]
	s_waitcnt vmcnt(15) lgkmcnt(2)
	v_pk_fma_f32 v[218:219], v[4:5], v[8:9], v[16:17] op_sel_hi:[0,1,1] neg_lo:[1,0,0] neg_hi:[1,0,0]
	ds_read_b32 v5, v255 offset:88
	v_mov_b32_e32 v65, v4
	v_mov_b32_e32 v66, v54
	;; [unrolled: 1-line block ×4, first 2 shown]
	s_waitcnt lgkmcnt(0)
	v_pk_fma_f32 v[42:43], v[4:5], v[0:1], v[18:19] op_sel_hi:[0,1,1] neg_lo:[1,0,0] neg_hi:[1,0,0]
	v_pk_fma_f32 v[136:137], v[4:5], v[2:3], v[20:21] op_sel_hi:[0,1,1] neg_lo:[1,0,0] neg_hi:[1,0,0]
	scratch_load_dwordx4 v[6:9], off, off offset:1408 ; 16-byte Folded Reload
	scratch_load_dwordx4 v[10:13], off, off offset:1424 ; 16-byte Folded Reload
	scratch_load_dwordx4 v[14:17], off, off offset:1440 ; 16-byte Folded Reload
	scratch_load_dwordx4 v[18:21], off, off offset:1456 ; 16-byte Folded Reload
	scratch_load_dwordx4 v[22:25], off, off offset:1472 ; 16-byte Folded Reload
	scratch_load_dwordx4 v[26:29], off, off offset:1488 ; 16-byte Folded Reload
	scratch_load_dwordx4 v[30:33], off, off offset:1504 ; 16-byte Folded Reload
	scratch_load_dwordx4 v[34:37], off, off offset:1520 ; 16-byte Folded Reload
	s_waitcnt vmcnt(5)
	v_mov_b32_e32 v15, v4
	v_mov_b32_e32 v16, v54
	;; [unrolled: 1-line block ×51, first 2 shown]
	scratch_store_dwordx4 off, v[6:9], off offset:896 ; 16-byte Folded Spill
	s_nop 0
	scratch_store_dwordx4 off, v[10:13], off offset:912 ; 16-byte Folded Spill
	scratch_store_dwordx4 off, v[14:17], off offset:928 ; 16-byte Folded Spill
	s_waitcnt vmcnt(7)
	scratch_store_dwordx4 off, v[18:21], off offset:944 ; 16-byte Folded Spill
	s_waitcnt vmcnt(7)
	;; [unrolled: 2-line block ×5, first 2 shown]
	scratch_store_dwordx4 off, v[34:37], off offset:1008 ; 16-byte Folded Spill
	v_mov_b32_e32 v18, v180
	v_mov_b32_e32 v19, v181
	;; [unrolled: 1-line block ×47, first 2 shown]
	scratch_store_dwordx4 off, v[6:9], off offset:640 ; 16-byte Folded Spill
	s_nop 0
	scratch_store_dwordx4 off, v[10:13], off offset:656 ; 16-byte Folded Spill
	scratch_store_dwordx4 off, v[14:17], off offset:672 ; 16-byte Folded Spill
	scratch_store_dwordx4 off, v[18:21], off offset:688 ; 16-byte Folded Spill
	scratch_store_dwordx4 off, v[22:25], off offset:704 ; 16-byte Folded Spill
	scratch_store_dwordx4 off, v[26:29], off offset:720 ; 16-byte Folded Spill
	scratch_store_dwordx4 off, v[30:33], off offset:736 ; 16-byte Folded Spill
	scratch_store_dwordx4 off, v[34:37], off offset:752 ; 16-byte Folded Spill
	v_mov_b32_e32 v20, v166
	v_mov_b32_e32 v21, v167
	scratch_store_dwordx4 off, v[6:9], off offset:512 ; 16-byte Folded Spill
	s_nop 0
	scratch_store_dwordx4 off, v[10:13], off offset:528 ; 16-byte Folded Spill
	scratch_store_dwordx4 off, v[14:17], off offset:544 ; 16-byte Folded Spill
	scratch_store_dwordx4 off, v[18:21], off offset:560 ; 16-byte Folded Spill
	scratch_store_dwordx4 off, v[22:25], off offset:576 ; 16-byte Folded Spill
	scratch_store_dwordx4 off, v[26:29], off offset:592 ; 16-byte Folded Spill
	scratch_store_dwordx4 off, v[30:33], off offset:608 ; 16-byte Folded Spill
	scratch_store_dwordx4 off, v[34:37], off offset:624 ; 16-byte Folded Spill
	v_mov_b32_e32 v22, v218
	v_mov_b32_e32 v23, v219
	;; [unrolled: 11-line block ×3, first 2 shown]
	v_mov_b32_e32 v26, v78
	v_mov_b32_e32 v27, v79
	;; [unrolled: 1-line block ×7, first 2 shown]
	scratch_store_dwordx4 off, v[56:59], off offset:128 ; 16-byte Folded Spill
	s_nop 0
	scratch_store_dwordx4 off, v[60:63], off offset:144 ; 16-byte Folded Spill
	scratch_store_dwordx4 off, v[64:67], off offset:160 ; 16-byte Folded Spill
	;; [unrolled: 1-line block ×7, first 2 shown]
	v_mov_b32_e32 v33, v4
	v_fma_f32 v22, -v4, v5, v253
	v_mov_b32_e32 v9, v4
	v_mov_b32_e32 v34, v54
	;; [unrolled: 1-line block ×36, first 2 shown]
	scratch_store_dwordx4 off, v[76:79], off offset:1152 ; 16-byte Folded Spill
	s_nop 0
	scratch_store_dwordx4 off, v[80:83], off offset:1168 ; 16-byte Folded Spill
	scratch_store_dwordx4 off, v[84:87], off offset:1184 ; 16-byte Folded Spill
	scratch_store_dwordx4 off, v[88:91], off offset:1200 ; 16-byte Folded Spill
	scratch_store_dwordx4 off, v[92:95], off offset:1216 ; 16-byte Folded Spill
	scratch_store_dwordx4 off, v[96:99], off offset:1232 ; 16-byte Folded Spill
	scratch_store_dwordx4 off, v[100:103], off offset:1248 ; 16-byte Folded Spill
	scratch_store_dwordx4 off, v[104:107], off offset:1264 ; 16-byte Folded Spill
	v_mov_b32_e32 v76, v54
	scratch_store_dwordx4 off, v[44:47], off offset:1024 ; 16-byte Folded Spill
	s_nop 0
	scratch_store_dwordx4 off, v[48:51], off offset:1040 ; 16-byte Folded Spill
	scratch_store_dwordx4 off, v[52:55], off offset:1056 ; 16-byte Folded Spill
	scratch_store_dwordx4 off, v[56:59], off offset:1072 ; 16-byte Folded Spill
	scratch_store_dwordx4 off, v[60:63], off offset:1088 ; 16-byte Folded Spill
	scratch_store_dwordx4 off, v[64:67], off offset:1104 ; 16-byte Folded Spill
	scratch_store_dwordx4 off, v[68:71], off offset:1120 ; 16-byte Folded Spill
	scratch_store_dwordx4 off, v[72:75], off offset:1136 ; 16-byte Folded Spill
	v_mov_b32_e32 v88, v180
	;; [unrolled: 10-line block ×3, first 2 shown]
	scratch_store_dwordx4 off, v[202:205], off offset:384 ; 16-byte Folded Spill
	s_nop 0
	scratch_store_dwordx4 off, v[206:209], off offset:400 ; 16-byte Folded Spill
	scratch_store_dwordx4 off, v[210:213], off offset:416 ; 16-byte Folded Spill
	;; [unrolled: 1-line block ×7, first 2 shown]
	v_mov_b64_e32 v[198:199], v[38:39]
	v_mov_b64_e32 v[196:197], v[36:37]
	;; [unrolled: 1-line block ×9, first 2 shown]
	v_mov_b32_e32 v236, v136
	v_mov_b32_e32 v68, v166
	;; [unrolled: 1-line block ×3, first 2 shown]
	v_mov_b64_e32 v[200:201], v[40:41]
	v_mov_b32_e32 v235, v135
	v_mov_b32_e32 v234, v134
	;; [unrolled: 1-line block ×10, first 2 shown]
	v_mov_b64_e32 v[230:231], v[130:131]
	v_mov_b64_e32 v[228:229], v[128:129]
	;; [unrolled: 1-line block ×8, first 2 shown]
	scratch_store_dwordx4 off, v[24:27], off ; 16-byte Folded Spill
	s_nop 0
	scratch_store_dwordx4 off, v[28:31], off offset:16 ; 16-byte Folded Spill
	scratch_store_dwordx4 off, v[32:35], off offset:32 ; 16-byte Folded Spill
	;; [unrolled: 1-line block ×7, first 2 shown]
.LBB45_53:
	s_or_b64 exec, exec, s[2:3]
	v_cmp_eq_u32_e32 vcc, 10, v248
	s_waitcnt lgkmcnt(0)
	s_barrier
	s_and_saveexec_b64 s[2:3], vcc
	s_cbranch_execz .LBB45_56
; %bb.54:
	ds_write_b32 v254, v90
	ds_write2_b32 v255, v11, v12 offset0:11 offset1:12
	ds_write2_b32 v255, v13, v14 offset0:13 offset1:14
	;; [unrolled: 1-line block ×6, first 2 shown]
	ds_read_b32 v23, v254
	s_waitcnt lgkmcnt(0)
	v_cmp_neq_f32_e32 vcc, 0, v23
	s_and_b64 exec, exec, vcc
	s_cbranch_execz .LBB45_56
; %bb.55:
	v_div_scale_f32 v43, s[4:5], v23, v23, 1.0
	v_rcp_f32_e32 v44, v43
	v_div_scale_f32 v45, vcc, 1.0, v23, 1.0
	v_fma_f32 v46, -v43, v44, 1.0
	v_fmac_f32_e32 v44, v46, v44
	v_mul_f32_e32 v46, v45, v44
	v_fma_f32 v47, -v43, v46, v45
	v_fmac_f32_e32 v46, v47, v44
	v_fma_f32 v43, -v43, v46, v45
	v_div_fmas_f32 v43, v43, v44, v46
	v_div_fixup_f32 v23, v43, v23, 1.0
	ds_write_b32 v254, v23
.LBB45_56:
	s_or_b64 exec, exec, s[2:3]
	s_waitcnt lgkmcnt(0)
	s_barrier
	ds_read_b32 v115, v254
	v_cmp_lt_u32_e32 vcc, 10, v248
	s_mov_b64 s[2:3], exec
	s_and_b64 s[4:5], s[2:3], vcc
	v_mov_b32_e32 v55, v79
	s_mov_b64 exec, s[4:5]
	s_cbranch_execz .LBB45_58
; %bb.57:
	scratch_load_dwordx4 v[24:27], off, off offset:1152 ; 16-byte Folded Reload
	scratch_load_dwordx4 v[28:31], off, off offset:1168 ; 16-byte Folded Reload
	scratch_load_dwordx4 v[32:35], off, off offset:1184 ; 16-byte Folded Reload
	scratch_load_dwordx4 v[36:39], off, off offset:1200 ; 16-byte Folded Reload
	scratch_load_dwordx4 v[40:43], off, off offset:1216 ; 16-byte Folded Reload
	scratch_load_dwordx4 v[44:47], off, off offset:1232 ; 16-byte Folded Reload
	scratch_load_dwordx4 v[48:51], off, off offset:1248 ; 16-byte Folded Reload
	scratch_load_dwordx4 v[52:55], off, off offset:1264 ; 16-byte Folded Reload
	ds_read2_b32 v[0:1], v255 offset0:11 offset1:12
	ds_read2_b32 v[4:5], v255 offset0:13 offset1:14
	;; [unrolled: 1-line block ×4, first 2 shown]
	s_waitcnt lgkmcnt(4)
	v_mul_f32_e32 v86, v90, v115
	v_mov_b32_e32 v2, v11
	v_mov_b32_e32 v3, v12
	s_waitcnt vmcnt(2) lgkmcnt(3)
	v_pk_fma_f32 v[44:45], v[86:87], v[0:1], v[2:3] op_sel_hi:[0,1,1] neg_lo:[1,0,0] neg_hi:[1,0,0]
	v_mov_b32_e32 v0, v13
	v_mov_b32_e32 v1, v14
	ds_read2_b32 v[2:3], v255 offset0:19 offset1:20
	s_waitcnt lgkmcnt(3)
	v_pk_fma_f32 v[46:47], v[86:87], v[4:5], v[0:1] op_sel_hi:[0,1,1] neg_lo:[1,0,0] neg_hi:[1,0,0]
	ds_read2_b32 v[4:5], v255 offset0:21 offset1:22
	v_mov_b32_e32 v0, v15
	v_mov_b32_e32 v1, v16
	s_waitcnt vmcnt(1) lgkmcnt(3)
	v_pk_fma_f32 v[48:49], v[86:87], v[6:7], v[0:1] op_sel_hi:[0,1,1] neg_lo:[1,0,0] neg_hi:[1,0,0]
	v_mov_b32_e32 v0, v17
	v_mov_b32_e32 v1, v18
	s_waitcnt lgkmcnt(2)
	v_pk_fma_f32 v[50:51], v[86:87], v[8:9], v[0:1] op_sel_hi:[0,1,1] neg_lo:[1,0,0] neg_hi:[1,0,0]
	v_mov_b32_e32 v0, v19
	v_mov_b32_e32 v1, v20
	s_waitcnt vmcnt(0) lgkmcnt(1)
	v_pk_fma_f32 v[52:53], v[86:87], v[2:3], v[0:1] op_sel_hi:[0,1,1] neg_lo:[1,0,0] neg_hi:[1,0,0]
	v_mov_b32_e32 v0, v21
	v_mov_b32_e32 v1, v22
	s_waitcnt lgkmcnt(0)
	v_pk_fma_f32 v[252:253], v[86:87], v[4:5], v[0:1] op_sel_hi:[0,1,1] neg_lo:[1,0,0] neg_hi:[1,0,0]
	v_mov_b32_e32 v10, v86
	v_mov_b32_e32 v11, v44
	;; [unrolled: 1-line block ×36, first 2 shown]
	v_mov_b64_e32 v[84:85], v[32:33]
	v_mov_b64_e32 v[82:83], v[30:31]
	;; [unrolled: 1-line block ×5, first 2 shown]
	v_mov_b32_e32 v0, v76
	v_mov_b32_e32 v1, v77
	;; [unrolled: 1-line block ×10, first 2 shown]
	scratch_store_dwordx4 off, v[0:3], off offset:768 ; 16-byte Folded Spill
	s_nop 0
	scratch_store_dwordx4 off, v[4:7], off offset:784 ; 16-byte Folded Spill
	scratch_store_dwordx4 off, v[8:11], off offset:800 ; 16-byte Folded Spill
	;; [unrolled: 1-line block ×7, first 2 shown]
	v_mov_b32_e32 v13, v46
	v_mov_b32_e32 v152, v76
	;; [unrolled: 1-line block ×31, first 2 shown]
	scratch_store_dwordx4 off, v[0:3], off offset:640 ; 16-byte Folded Spill
	s_nop 0
	scratch_store_dwordx4 off, v[4:7], off offset:656 ; 16-byte Folded Spill
	scratch_store_dwordx4 off, v[8:11], off offset:672 ; 16-byte Folded Spill
	;; [unrolled: 1-line block ×7, first 2 shown]
	v_mov_b32_e32 v14, v47
	v_mov_b32_e32 v15, v48
	scratch_store_dwordx4 off, v[0:3], off offset:512 ; 16-byte Folded Spill
	s_nop 0
	scratch_store_dwordx4 off, v[4:7], off offset:528 ; 16-byte Folded Spill
	scratch_store_dwordx4 off, v[8:11], off offset:544 ; 16-byte Folded Spill
	scratch_store_dwordx4 off, v[12:15], off offset:560 ; 16-byte Folded Spill
	scratch_store_dwordx4 off, v[16:19], off offset:576 ; 16-byte Folded Spill
	scratch_store_dwordx4 off, v[20:23], off offset:592 ; 16-byte Folded Spill
	scratch_store_dwordx4 off, v[24:27], off offset:608 ; 16-byte Folded Spill
	scratch_store_dwordx4 off, v[28:31], off offset:624 ; 16-byte Folded Spill
	v_mov_b32_e32 v16, v49
	scratch_store_dwordx4 off, v[0:3], off offset:384 ; 16-byte Folded Spill
	s_nop 0
	scratch_store_dwordx4 off, v[4:7], off offset:400 ; 16-byte Folded Spill
	scratch_store_dwordx4 off, v[8:11], off offset:416 ; 16-byte Folded Spill
	scratch_store_dwordx4 off, v[12:15], off offset:432 ; 16-byte Folded Spill
	scratch_store_dwordx4 off, v[16:19], off offset:448 ; 16-byte Folded Spill
	scratch_store_dwordx4 off, v[20:23], off offset:464 ; 16-byte Folded Spill
	scratch_store_dwordx4 off, v[24:27], off offset:480 ; 16-byte Folded Spill
	scratch_store_dwordx4 off, v[28:31], off offset:496 ; 16-byte Folded Spill
	;; [unrolled: 10-line block ×3, first 2 shown]
	v_mov_b32_e32 v18, v51
	v_mov_b32_e32 v19, v52
	scratch_store_dwordx4 off, v[0:3], off offset:128 ; 16-byte Folded Spill
	s_nop 0
	scratch_store_dwordx4 off, v[4:7], off offset:144 ; 16-byte Folded Spill
	scratch_store_dwordx4 off, v[8:11], off offset:160 ; 16-byte Folded Spill
	scratch_store_dwordx4 off, v[12:15], off offset:176 ; 16-byte Folded Spill
	scratch_store_dwordx4 off, v[16:19], off offset:192 ; 16-byte Folded Spill
	scratch_store_dwordx4 off, v[20:23], off offset:208 ; 16-byte Folded Spill
	scratch_store_dwordx4 off, v[24:27], off offset:224 ; 16-byte Folded Spill
	scratch_store_dwordx4 off, v[28:31], off offset:240 ; 16-byte Folded Spill
	scratch_store_dwordx4 off, v[76:79], off offset:896 ; 16-byte Folded Spill
	s_nop 0
	scratch_store_dwordx4 off, v[80:83], off offset:912 ; 16-byte Folded Spill
	scratch_store_dwordx4 off, v[84:87], off offset:928 ; 16-byte Folded Spill
	scratch_store_dwordx4 off, v[88:91], off offset:944 ; 16-byte Folded Spill
	scratch_store_dwordx4 off, v[92:95], off offset:960 ; 16-byte Folded Spill
	scratch_store_dwordx4 off, v[96:99], off offset:976 ; 16-byte Folded Spill
	scratch_store_dwordx4 off, v[100:103], off offset:992 ; 16-byte Folded Spill
	scratch_store_dwordx4 off, v[104:107], off offset:1008 ; 16-byte Folded Spill
	scratch_store_dwordx4 off, v[76:79], off offset:1024 ; 16-byte Folded Spill
	s_nop 0
	scratch_store_dwordx4 off, v[80:83], off offset:1040 ; 16-byte Folded Spill
	scratch_store_dwordx4 off, v[84:87], off offset:1056 ; 16-byte Folded Spill
	scratch_store_dwordx4 off, v[88:91], off offset:1072 ; 16-byte Folded Spill
	scratch_store_dwordx4 off, v[92:95], off offset:1088 ; 16-byte Folded Spill
	scratch_store_dwordx4 off, v[96:99], off offset:1104 ; 16-byte Folded Spill
	scratch_store_dwordx4 off, v[100:103], off offset:1120 ; 16-byte Folded Spill
	scratch_store_dwordx4 off, v[104:107], off offset:1136 ; 16-byte Folded Spill
	v_mov_b32_e32 v20, v53
	v_mov_b32_e32 v21, v252
	;; [unrolled: 1-line block ×6, first 2 shown]
	scratch_store_dwordx4 off, v[24:27], off ; 16-byte Folded Spill
	s_nop 0
	scratch_store_dwordx4 off, v[28:31], off offset:16 ; 16-byte Folded Spill
	scratch_store_dwordx4 off, v[32:35], off offset:32 ; 16-byte Folded Spill
	;; [unrolled: 1-line block ×7, first 2 shown]
.LBB45_58:
	s_or_b64 exec, exec, s[2:3]
	v_cmp_eq_u32_e32 vcc, 11, v248
	s_waitcnt lgkmcnt(0)
	s_barrier
	s_and_saveexec_b64 s[2:3], vcc
	s_cbranch_execz .LBB45_61
; %bb.59:
	ds_write_b32 v254, v55
	ds_write2_b32 v255, v12, v13 offset0:12 offset1:13
	ds_write2_b32 v255, v14, v15 offset0:14 offset1:15
	;; [unrolled: 1-line block ×5, first 2 shown]
	ds_write_b32 v255, v253 offset:88
	ds_read_b32 v23, v254
	s_waitcnt lgkmcnt(0)
	v_cmp_neq_f32_e32 vcc, 0, v23
	s_and_b64 exec, exec, vcc
	s_cbranch_execz .LBB45_61
; %bb.60:
	v_div_scale_f32 v43, s[4:5], v23, v23, 1.0
	v_rcp_f32_e32 v44, v43
	v_div_scale_f32 v45, vcc, 1.0, v23, 1.0
	v_fma_f32 v46, -v43, v44, 1.0
	v_fmac_f32_e32 v44, v46, v44
	v_mul_f32_e32 v46, v45, v44
	v_fma_f32 v47, -v43, v46, v45
	v_fmac_f32_e32 v46, v47, v44
	v_fma_f32 v43, -v43, v46, v45
	v_div_fmas_f32 v43, v43, v44, v46
	v_div_fixup_f32 v23, v43, v23, 1.0
	ds_write_b32 v254, v23
.LBB45_61:
	s_or_b64 exec, exec, s[2:3]
	s_waitcnt lgkmcnt(0)
	s_barrier
	ds_read_b32 v143, v254
	v_cmp_lt_u32_e32 vcc, 11, v248
	s_and_saveexec_b64 s[2:3], vcc
	s_cbranch_execz .LBB45_63
; %bb.62:
	ds_read2_b32 v[0:1], v255 offset0:12 offset1:13
	ds_read2_b32 v[4:5], v255 offset0:14 offset1:15
	;; [unrolled: 1-line block ×4, first 2 shown]
	s_waitcnt lgkmcnt(4)
	v_mul_f32_e32 v2, v55, v143
	v_mov_b32_e32 v179, v2
	s_waitcnt lgkmcnt(2)
	v_pk_fma_f32 v[166:167], v[2:3], v[4:5], v[14:15] op_sel_hi:[0,1,1] neg_lo:[1,0,0] neg_hi:[1,0,0]
	v_pk_fma_f32 v[180:181], v[2:3], v[0:1], v[12:13] op_sel_hi:[0,1,1] neg_lo:[1,0,0] neg_hi:[1,0,0]
	ds_read2_b32 v[0:1], v255 offset0:20 offset1:21
	s_waitcnt vmcnt(15) lgkmcnt(2)
	v_pk_fma_f32 v[218:219], v[2:3], v[6:7], v[16:17] op_sel_hi:[0,1,1] neg_lo:[1,0,0] neg_hi:[1,0,0]
	s_waitcnt lgkmcnt(1)
	v_pk_fma_f32 v[42:43], v[2:3], v[8:9], v[18:19] op_sel_hi:[0,1,1] neg_lo:[1,0,0] neg_hi:[1,0,0]
	ds_read_b32 v3, v255 offset:88
	scratch_load_dwordx4 v[44:47], off, off offset:1024 ; 16-byte Folded Reload
	scratch_load_dwordx4 v[48:51], off, off offset:1040 ; 16-byte Folded Reload
	;; [unrolled: 1-line block ×8, first 2 shown]
	v_mov_b32_e32 v15, v2
	v_mov_b32_e32 v16, v180
	;; [unrolled: 1-line block ×3, first 2 shown]
	s_waitcnt lgkmcnt(0)
	v_pk_fma_f32 v[136:137], v[2:3], v[0:1], v[20:21] op_sel_hi:[0,1,1] neg_lo:[1,0,0] neg_hi:[1,0,0]
	s_waitcnt vmcnt(2)
	v_mov_b32_e32 v67, v2
	s_waitcnt vmcnt(1)
	v_mov_b32_e32 v68, v180
	v_mov_b32_e32 v69, v181
	;; [unrolled: 1-line block ×4, first 2 shown]
	s_waitcnt vmcnt(0)
	v_mov_b32_e32 v72, v218
	v_mov_b32_e32 v73, v219
	;; [unrolled: 1-line block ×41, first 2 shown]
	scratch_store_dwordx4 off, v[4:7], off offset:640 ; 16-byte Folded Spill
	s_nop 0
	scratch_store_dwordx4 off, v[8:11], off offset:656 ; 16-byte Folded Spill
	scratch_store_dwordx4 off, v[12:15], off offset:672 ; 16-byte Folded Spill
	;; [unrolled: 1-line block ×7, first 2 shown]
	v_mov_b32_e32 v18, v166
	v_mov_b32_e32 v19, v167
	;; [unrolled: 1-line block ×59, first 2 shown]
	scratch_store_dwordx4 off, v[4:7], off offset:512 ; 16-byte Folded Spill
	s_nop 0
	scratch_store_dwordx4 off, v[8:11], off offset:528 ; 16-byte Folded Spill
	scratch_store_dwordx4 off, v[12:15], off offset:544 ; 16-byte Folded Spill
	;; [unrolled: 1-line block ×7, first 2 shown]
	v_mov_b32_e32 v20, v218
	v_mov_b32_e32 v21, v219
	scratch_store_dwordx4 off, v[4:7], off offset:256 ; 16-byte Folded Spill
	s_nop 0
	scratch_store_dwordx4 off, v[8:11], off offset:272 ; 16-byte Folded Spill
	scratch_store_dwordx4 off, v[12:15], off offset:288 ; 16-byte Folded Spill
	scratch_store_dwordx4 off, v[16:19], off offset:304 ; 16-byte Folded Spill
	scratch_store_dwordx4 off, v[20:23], off offset:320 ; 16-byte Folded Spill
	scratch_store_dwordx4 off, v[24:27], off offset:336 ; 16-byte Folded Spill
	scratch_store_dwordx4 off, v[28:31], off offset:352 ; 16-byte Folded Spill
	scratch_store_dwordx4 off, v[32:35], off offset:368 ; 16-byte Folded Spill
	scratch_store_dwordx4 off, v[56:59], off offset:128 ; 16-byte Folded Spill
	s_nop 0
	scratch_store_dwordx4 off, v[60:63], off offset:144 ; 16-byte Folded Spill
	scratch_store_dwordx4 off, v[64:67], off offset:160 ; 16-byte Folded Spill
	;; [unrolled: 1-line block ×7, first 2 shown]
	v_mov_b32_e32 v24, v44
	v_mov_b32_e32 v25, v45
	v_mov_b32_e32 v26, v46
	v_mov_b32_e32 v27, v47
	v_mov_b32_e32 v28, v48
	v_mov_b32_e32 v29, v49
	v_mov_b32_e32 v30, v50
	v_mov_b32_e32 v31, v51
	v_mov_b32_e32 v32, v52
	v_mov_b32_e32 v33, v53
	v_mov_b32_e32 v34, v54
	v_mov_b32_e32 v35, v2
	v_fma_f32 v22, -v2, v3, v253
	v_mov_b32_e32 v11, v2
	v_mov_b32_e32 v2, v46
	;; [unrolled: 1-line block ×21, first 2 shown]
	scratch_store_dwordx4 off, v[44:47], off offset:896 ; 16-byte Folded Spill
	s_nop 0
	scratch_store_dwordx4 off, v[48:51], off offset:912 ; 16-byte Folded Spill
	scratch_store_dwordx4 off, v[52:55], off offset:928 ; 16-byte Folded Spill
	;; [unrolled: 1-line block ×8, first 2 shown]
	s_nop 0
	scratch_store_dwordx4 off, v[172:175], off offset:784 ; 16-byte Folded Spill
	scratch_store_dwordx4 off, v[176:179], off offset:800 ; 16-byte Folded Spill
	;; [unrolled: 1-line block ×7, first 2 shown]
	v_mov_b32_e32 v70, v218
	scratch_store_dwordx4 off, v[202:205], off offset:384 ; 16-byte Folded Spill
	s_nop 0
	scratch_store_dwordx4 off, v[206:209], off offset:400 ; 16-byte Folded Spill
	scratch_store_dwordx4 off, v[210:213], off offset:416 ; 16-byte Folded Spill
	;; [unrolled: 1-line block ×7, first 2 shown]
	v_mov_b64_e32 v[198:199], v[38:39]
	v_mov_b64_e32 v[196:197], v[36:37]
	;; [unrolled: 1-line block ×9, first 2 shown]
	v_mov_b32_e32 v236, v136
	v_mov_b32_e32 v68, v166
	;; [unrolled: 1-line block ×3, first 2 shown]
	v_mov_b64_e32 v[200:201], v[40:41]
	v_mov_b32_e32 v235, v135
	v_mov_b32_e32 v234, v134
	;; [unrolled: 1-line block ×8, first 2 shown]
	v_mov_b64_e32 v[230:231], v[130:131]
	v_mov_b64_e32 v[228:229], v[128:129]
	;; [unrolled: 1-line block ×8, first 2 shown]
	scratch_store_dwordx4 off, v[24:27], off ; 16-byte Folded Spill
	s_nop 0
	scratch_store_dwordx4 off, v[28:31], off offset:16 ; 16-byte Folded Spill
	scratch_store_dwordx4 off, v[32:35], off offset:32 ; 16-byte Folded Spill
	;; [unrolled: 1-line block ×7, first 2 shown]
.LBB45_63:
	s_or_b64 exec, exec, s[2:3]
	v_cmp_eq_u32_e32 vcc, 12, v248
	s_waitcnt lgkmcnt(0)
	s_barrier
	s_and_saveexec_b64 s[2:3], vcc
	s_cbranch_execz .LBB45_66
; %bb.64:
	ds_write_b32 v254, v88
	ds_write2_b32 v255, v13, v14 offset0:13 offset1:14
	ds_write2_b32 v255, v15, v16 offset0:15 offset1:16
	;; [unrolled: 1-line block ×5, first 2 shown]
	ds_read_b32 v23, v254
	s_waitcnt lgkmcnt(0)
	v_cmp_neq_f32_e32 vcc, 0, v23
	s_and_b64 exec, exec, vcc
	s_cbranch_execz .LBB45_66
; %bb.65:
	v_div_scale_f32 v43, s[4:5], v23, v23, 1.0
	v_rcp_f32_e32 v44, v43
	v_div_scale_f32 v45, vcc, 1.0, v23, 1.0
	v_fma_f32 v46, -v43, v44, 1.0
	v_fmac_f32_e32 v44, v46, v44
	v_mul_f32_e32 v46, v45, v44
	v_fma_f32 v47, -v43, v46, v45
	v_fmac_f32_e32 v46, v47, v44
	v_fma_f32 v43, -v43, v46, v45
	v_div_fmas_f32 v43, v43, v44, v46
	v_div_fixup_f32 v23, v43, v23, 1.0
	ds_write_b32 v254, v23
.LBB45_66:
	s_or_b64 exec, exec, s[2:3]
	s_waitcnt lgkmcnt(0)
	s_barrier
	ds_read_b32 v55, v254
	v_cmp_lt_u32_e32 vcc, 12, v248
	s_and_saveexec_b64 s[2:3], vcc
	s_cbranch_execz .LBB45_68
; %bb.67:
	scratch_load_dwordx4 v[168:171], off, off offset:896 ; 16-byte Folded Reload
	scratch_load_dwordx4 v[172:175], off, off offset:912 ; 16-byte Folded Reload
	;; [unrolled: 1-line block ×8, first 2 shown]
	ds_read2_b32 v[0:1], v255 offset0:13 offset1:14
	s_waitcnt vmcnt(4) lgkmcnt(1)
	v_mul_f32_e32 v180, v88, v55
	v_mov_b32_e32 v2, v13
	v_mov_b32_e32 v3, v14
	ds_read2_b32 v[4:5], v255 offset0:15 offset1:16
	ds_read2_b32 v[6:7], v255 offset0:17 offset1:18
	;; [unrolled: 1-line block ×3, first 2 shown]
	v_mov_b32_e32 v12, v180
	v_mov_b32_e32 v164, v180
	s_waitcnt vmcnt(0)
	v_mov_b32_e32 v196, v180
	v_mov_b32_e32 v228, v180
	;; [unrolled: 1-line block ×5, first 2 shown]
	s_waitcnt lgkmcnt(3)
	v_pk_fma_f32 v[44:45], v[180:181], v[0:1], v[2:3] op_sel_hi:[0,1,1] neg_lo:[1,0,0] neg_hi:[1,0,0]
	ds_read2_b32 v[2:3], v255 offset0:21 offset1:22
	v_mov_b32_e32 v0, v15
	v_mov_b32_e32 v1, v16
	s_waitcnt lgkmcnt(3)
	v_pk_fma_f32 v[46:47], v[180:181], v[4:5], v[0:1] op_sel_hi:[0,1,1] neg_lo:[1,0,0] neg_hi:[1,0,0]
	v_mov_b32_e32 v0, v17
	v_mov_b32_e32 v1, v18
	s_waitcnt lgkmcnt(2)
	v_pk_fma_f32 v[48:49], v[180:181], v[6:7], v[0:1] op_sel_hi:[0,1,1] neg_lo:[1,0,0] neg_hi:[1,0,0]
	;; [unrolled: 4-line block ×4, first 2 shown]
	v_mov_b32_e32 v0, v168
	v_mov_b32_e32 v1, v169
	;; [unrolled: 1-line block ×14, first 2 shown]
	scratch_store_dwordx4 off, v[0:3], off offset:512 ; 16-byte Folded Spill
	s_nop 0
	scratch_store_dwordx4 off, v[4:7], off offset:528 ; 16-byte Folded Spill
	scratch_store_dwordx4 off, v[8:11], off offset:544 ; 16-byte Folded Spill
	;; [unrolled: 1-line block ×7, first 2 shown]
	v_mov_b32_e32 v16, v47
	v_mov_b32_e32 v181, v44
	;; [unrolled: 1-line block ×50, first 2 shown]
	scratch_store_dwordx4 off, v[0:3], off offset:384 ; 16-byte Folded Spill
	s_nop 0
	scratch_store_dwordx4 off, v[4:7], off offset:400 ; 16-byte Folded Spill
	scratch_store_dwordx4 off, v[8:11], off offset:416 ; 16-byte Folded Spill
	;; [unrolled: 1-line block ×7, first 2 shown]
	v_mov_b32_e32 v17, v48
	v_mov_b32_e32 v235, v50
	;; [unrolled: 1-line block ×9, first 2 shown]
	scratch_store_dwordx4 off, v[0:3], off offset:256 ; 16-byte Folded Spill
	s_nop 0
	scratch_store_dwordx4 off, v[4:7], off offset:272 ; 16-byte Folded Spill
	scratch_store_dwordx4 off, v[8:11], off offset:288 ; 16-byte Folded Spill
	;; [unrolled: 1-line block ×7, first 2 shown]
	v_mov_b32_e32 v18, v49
	v_mov_b32_e32 v19, v50
	scratch_store_dwordx4 off, v[0:3], off offset:128 ; 16-byte Folded Spill
	s_nop 0
	scratch_store_dwordx4 off, v[4:7], off offset:144 ; 16-byte Folded Spill
	scratch_store_dwordx4 off, v[8:11], off offset:160 ; 16-byte Folded Spill
	;; [unrolled: 1-line block ×7, first 2 shown]
	v_mov_b32_e32 v20, v51
	v_mov_b32_e32 v21, v252
	;; [unrolled: 1-line block ×4, first 2 shown]
	scratch_store_dwordx4 off, v[168:171], off offset:640 ; 16-byte Folded Spill
	s_nop 0
	scratch_store_dwordx4 off, v[172:175], off offset:656 ; 16-byte Folded Spill
	scratch_store_dwordx4 off, v[176:179], off offset:672 ; 16-byte Folded Spill
	;; [unrolled: 1-line block ×8, first 2 shown]
	s_nop 0
	scratch_store_dwordx4 off, v[172:175], off offset:784 ; 16-byte Folded Spill
	scratch_store_dwordx4 off, v[176:179], off offset:800 ; 16-byte Folded Spill
	scratch_store_dwordx4 off, v[180:183], off offset:816 ; 16-byte Folded Spill
	scratch_store_dwordx4 off, v[184:187], off offset:832 ; 16-byte Folded Spill
	scratch_store_dwordx4 off, v[188:191], off offset:848 ; 16-byte Folded Spill
	scratch_store_dwordx4 off, v[192:195], off offset:864 ; 16-byte Folded Spill
	scratch_store_dwordx4 off, v[196:199], off offset:880 ; 16-byte Folded Spill
	scratch_store_dwordx4 off, v[24:27], off ; 16-byte Folded Spill
	s_nop 0
	scratch_store_dwordx4 off, v[28:31], off offset:16 ; 16-byte Folded Spill
	scratch_store_dwordx4 off, v[32:35], off offset:32 ; 16-byte Folded Spill
	;; [unrolled: 1-line block ×7, first 2 shown]
.LBB45_68:
	s_or_b64 exec, exec, s[2:3]
	v_cmp_eq_u32_e32 vcc, 13, v248
	s_waitcnt lgkmcnt(0)
	s_barrier
	s_and_saveexec_b64 s[2:3], vcc
	s_cbranch_execz .LBB45_71
; %bb.69:
	ds_write_b32 v254, v181
	ds_write2_b32 v255, v14, v15 offset0:14 offset1:15
	ds_write2_b32 v255, v16, v17 offset0:16 offset1:17
	;; [unrolled: 1-line block ×4, first 2 shown]
	ds_write_b32 v255, v253 offset:88
	ds_read_b32 v23, v254
	s_waitcnt lgkmcnt(0)
	v_cmp_neq_f32_e32 vcc, 0, v23
	s_and_b64 exec, exec, vcc
	s_cbranch_execz .LBB45_71
; %bb.70:
	v_div_scale_f32 v43, s[4:5], v23, v23, 1.0
	v_rcp_f32_e32 v44, v43
	v_div_scale_f32 v45, vcc, 1.0, v23, 1.0
	v_fma_f32 v46, -v43, v44, 1.0
	v_fmac_f32_e32 v44, v46, v44
	v_mul_f32_e32 v46, v45, v44
	v_fma_f32 v47, -v43, v46, v45
	v_fmac_f32_e32 v46, v47, v44
	v_fma_f32 v43, -v43, v46, v45
	v_div_fmas_f32 v43, v43, v44, v46
	v_div_fixup_f32 v23, v43, v23, 1.0
	ds_write_b32 v254, v23
.LBB45_71:
	s_or_b64 exec, exec, s[2:3]
	s_waitcnt lgkmcnt(0)
	s_barrier
	ds_read_b32 v148, v254
	v_cmp_lt_u32_e32 vcc, 13, v248
	s_and_saveexec_b64 s[2:3], vcc
	s_cbranch_execz .LBB45_73
; %bb.72:
	ds_read2_b32 v[0:1], v255 offset0:14 offset1:15
	ds_read2_b32 v[2:3], v255 offset0:16 offset1:17
	;; [unrolled: 1-line block ×4, first 2 shown]
	s_waitcnt lgkmcnt(4)
	v_mul_f32_e32 v8, v181, v148
	s_waitcnt lgkmcnt(3)
	v_pk_fma_f32 v[166:167], v[8:9], v[0:1], v[14:15] op_sel_hi:[0,1,1] neg_lo:[1,0,0] neg_hi:[1,0,0]
	ds_read_b32 v0, v255 offset:88
	scratch_load_dwordx4 v[168:171], off, off offset:768 ; 16-byte Folded Reload
	scratch_load_dwordx4 v[172:175], off, off offset:784 ; 16-byte Folded Reload
	;; [unrolled: 1-line block ×8, first 2 shown]
	s_waitcnt lgkmcnt(3)
	v_pk_fma_f32 v[104:105], v[8:9], v[2:3], v[16:17] op_sel_hi:[0,1,1] neg_lo:[1,0,0] neg_hi:[1,0,0]
	s_waitcnt vmcnt(11) lgkmcnt(2)
	v_pk_fma_f32 v[202:203], v[8:9], v[4:5], v[18:19] op_sel_hi:[0,1,1] neg_lo:[1,0,0] neg_hi:[1,0,0]
	s_waitcnt lgkmcnt(1)
	v_pk_fma_f32 v[236:237], v[8:9], v[6:7], v[20:21] op_sel_hi:[0,1,1] neg_lo:[1,0,0] neg_hi:[1,0,0]
	v_mov_b32_e32 v23, v8
	v_mov_b32_e32 v24, v166
	;; [unrolled: 1-line block ×10, first 2 shown]
	s_waitcnt vmcnt(4)
	v_mov_b32_e32 v181, v8
	v_mov_b32_e32 v101, v8
	;; [unrolled: 1-line block ×4, first 2 shown]
	s_waitcnt vmcnt(0)
	v_mov_b32_e32 v197, v8
	v_mov_b32_e32 v198, v166
	;; [unrolled: 1-line block ×28, first 2 shown]
	scratch_store_dwordx4 off, v[10:13], off offset:512 ; 16-byte Folded Spill
	s_nop 0
	scratch_store_dwordx4 off, v[14:17], off offset:528 ; 16-byte Folded Spill
	scratch_store_dwordx4 off, v[18:21], off offset:544 ; 16-byte Folded Spill
	;; [unrolled: 1-line block ×7, first 2 shown]
	v_mov_b32_e32 v26, v104
	v_mov_b32_e32 v27, v105
	;; [unrolled: 1-line block ×61, first 2 shown]
	scratch_store_dwordx4 off, v[10:13], off offset:256 ; 16-byte Folded Spill
	s_nop 0
	scratch_store_dwordx4 off, v[14:17], off offset:272 ; 16-byte Folded Spill
	scratch_store_dwordx4 off, v[18:21], off offset:288 ; 16-byte Folded Spill
	;; [unrolled: 1-line block ×8, first 2 shown]
	s_nop 0
	scratch_store_dwordx4 off, v[60:63], off offset:144 ; 16-byte Folded Spill
	scratch_store_dwordx4 off, v[64:67], off offset:160 ; 16-byte Folded Spill
	;; [unrolled: 1-line block ×7, first 2 shown]
	s_waitcnt lgkmcnt(0)
	v_fma_f32 v22, -v8, v0, v253
	v_mov_b32_e32 v13, v8
	v_mov_b32_e32 v223, v175
	;; [unrolled: 1-line block ×22, first 2 shown]
	scratch_store_dwordx4 off, v[168:171], off offset:640 ; 16-byte Folded Spill
	s_nop 0
	scratch_store_dwordx4 off, v[172:175], off offset:656 ; 16-byte Folded Spill
	scratch_store_dwordx4 off, v[176:179], off offset:672 ; 16-byte Folded Spill
	;; [unrolled: 1-line block ×7, first 2 shown]
	v_mov_b32_e32 v70, v104
	scratch_store_dwordx4 off, v[88:91], off offset:384 ; 16-byte Folded Spill
	s_nop 0
	scratch_store_dwordx4 off, v[92:95], off offset:400 ; 16-byte Folded Spill
	scratch_store_dwordx4 off, v[96:99], off offset:416 ; 16-byte Folded Spill
	;; [unrolled: 1-line block ×7, first 2 shown]
	v_mov_b32_e32 v14, v166
	v_mov_b32_e32 v15, v167
	;; [unrolled: 1-line block ×12, first 2 shown]
	scratch_store_dwordx4 off, v[24:27], off ; 16-byte Folded Spill
	s_nop 0
	scratch_store_dwordx4 off, v[28:31], off offset:16 ; 16-byte Folded Spill
	scratch_store_dwordx4 off, v[32:35], off offset:32 ; 16-byte Folded Spill
	;; [unrolled: 1-line block ×7, first 2 shown]
.LBB45_73:
	s_or_b64 exec, exec, s[2:3]
	v_cmp_eq_u32_e32 vcc, 14, v248
	s_waitcnt lgkmcnt(0)
	s_barrier
	s_and_saveexec_b64 s[2:3], vcc
	s_cbranch_execz .LBB45_76
; %bb.74:
	ds_write_b32 v254, v68
	ds_write2_b32 v255, v15, v16 offset0:15 offset1:16
	ds_write2_b32 v255, v17, v18 offset0:17 offset1:18
	;; [unrolled: 1-line block ×4, first 2 shown]
	ds_read_b32 v23, v254
	s_waitcnt lgkmcnt(0)
	v_cmp_neq_f32_e32 vcc, 0, v23
	s_and_b64 exec, exec, vcc
	s_cbranch_execz .LBB45_76
; %bb.75:
	v_div_scale_f32 v43, s[4:5], v23, v23, 1.0
	v_rcp_f32_e32 v44, v43
	v_div_scale_f32 v45, vcc, 1.0, v23, 1.0
	v_fma_f32 v46, -v43, v44, 1.0
	v_fmac_f32_e32 v44, v46, v44
	v_mul_f32_e32 v46, v45, v44
	v_fma_f32 v47, -v43, v46, v45
	v_fmac_f32_e32 v46, v47, v44
	v_fma_f32 v43, -v43, v46, v45
	v_div_fmas_f32 v43, v43, v44, v46
	v_div_fixup_f32 v23, v43, v23, 1.0
	ds_write_b32 v254, v23
.LBB45_76:
	s_or_b64 exec, exec, s[2:3]
	s_waitcnt lgkmcnt(0)
	s_barrier
	ds_read_b32 v249, v254
	v_cmp_lt_u32_e32 vcc, 14, v248
	s_and_saveexec_b64 s[2:3], vcc
	s_cbranch_execz .LBB45_78
; %bb.77:
	scratch_load_dwordx4 v[152:155], off, off offset:640 ; 16-byte Folded Reload
	scratch_load_dwordx4 v[156:159], off, off offset:656 ; 16-byte Folded Reload
	;; [unrolled: 1-line block ×8, first 2 shown]
	ds_read2_b32 v[0:1], v255 offset0:15 offset1:16
	ds_read2_b32 v[4:5], v255 offset0:17 offset1:18
	;; [unrolled: 1-line block ×4, first 2 shown]
	s_waitcnt vmcnt(4) lgkmcnt(4)
	v_mul_f32_e32 v166, v68, v249
	v_mov_b32_e32 v2, v15
	v_mov_b32_e32 v3, v16
	;; [unrolled: 1-line block ×8, first 2 shown]
	s_waitcnt lgkmcnt(3)
	v_pk_fma_f32 v[44:45], v[166:167], v[0:1], v[2:3] op_sel_hi:[0,1,1] neg_lo:[1,0,0] neg_hi:[1,0,0]
	v_mov_b32_e32 v0, v17
	v_mov_b32_e32 v1, v18
	s_waitcnt lgkmcnt(2)
	v_pk_fma_f32 v[46:47], v[166:167], v[4:5], v[0:1] op_sel_hi:[0,1,1] neg_lo:[1,0,0] neg_hi:[1,0,0]
	v_mov_b32_e32 v0, v19
	v_mov_b32_e32 v1, v20
	;; [unrolled: 4-line block ×4, first 2 shown]
	v_mov_b32_e32 v2, v154
	v_mov_b32_e32 v3, v155
	;; [unrolled: 1-line block ×13, first 2 shown]
	scratch_store_dwordx4 off, v[0:3], off offset:384 ; 16-byte Folded Spill
	s_nop 0
	scratch_store_dwordx4 off, v[4:7], off offset:400 ; 16-byte Folded Spill
	scratch_store_dwordx4 off, v[8:11], off offset:416 ; 16-byte Folded Spill
	;; [unrolled: 1-line block ×7, first 2 shown]
	v_mov_b32_e32 v17, v46
	v_mov_b32_e32 v167, v44
	;; [unrolled: 1-line block ×43, first 2 shown]
	scratch_store_dwordx4 off, v[0:3], off offset:256 ; 16-byte Folded Spill
	s_nop 0
	scratch_store_dwordx4 off, v[4:7], off offset:272 ; 16-byte Folded Spill
	scratch_store_dwordx4 off, v[8:11], off offset:288 ; 16-byte Folded Spill
	;; [unrolled: 1-line block ×7, first 2 shown]
	v_mov_b32_e32 v18, v47
	v_mov_b32_e32 v19, v48
	scratch_store_dwordx4 off, v[0:3], off offset:128 ; 16-byte Folded Spill
	s_nop 0
	scratch_store_dwordx4 off, v[4:7], off offset:144 ; 16-byte Folded Spill
	scratch_store_dwordx4 off, v[8:11], off offset:160 ; 16-byte Folded Spill
	;; [unrolled: 1-line block ×7, first 2 shown]
	v_mov_b32_e32 v20, v49
	v_mov_b32_e32 v21, v252
	;; [unrolled: 1-line block ×4, first 2 shown]
	scratch_store_dwordx4 off, v[152:155], off offset:512 ; 16-byte Folded Spill
	s_nop 0
	scratch_store_dwordx4 off, v[156:159], off offset:528 ; 16-byte Folded Spill
	scratch_store_dwordx4 off, v[160:163], off offset:544 ; 16-byte Folded Spill
	scratch_store_dwordx4 off, v[164:167], off offset:560 ; 16-byte Folded Spill
	s_waitcnt vmcnt(31)
	scratch_store_dwordx4 off, v[168:171], off offset:576 ; 16-byte Folded Spill
	s_waitcnt vmcnt(31)
	scratch_store_dwordx4 off, v[172:175], off offset:592 ; 16-byte Folded Spill
	;; [unrolled: 2-line block ×4, first 2 shown]
	scratch_store_dwordx4 off, v[24:27], off ; 16-byte Folded Spill
	s_nop 0
	scratch_store_dwordx4 off, v[28:31], off offset:16 ; 16-byte Folded Spill
	scratch_store_dwordx4 off, v[32:35], off offset:32 ; 16-byte Folded Spill
	;; [unrolled: 1-line block ×7, first 2 shown]
.LBB45_78:
	s_or_b64 exec, exec, s[2:3]
	v_cmp_eq_u32_e32 vcc, 15, v248
	s_waitcnt lgkmcnt(0)
	s_barrier
	s_and_saveexec_b64 s[2:3], vcc
	s_cbranch_execz .LBB45_81
; %bb.79:
	ds_write_b32 v254, v69
	ds_write2_b32 v255, v16, v17 offset0:16 offset1:17
	ds_write2_b32 v255, v18, v19 offset0:18 offset1:19
	;; [unrolled: 1-line block ×3, first 2 shown]
	ds_write_b32 v255, v253 offset:88
	ds_read_b32 v23, v254
	s_waitcnt lgkmcnt(0)
	v_cmp_neq_f32_e32 vcc, 0, v23
	s_and_b64 exec, exec, vcc
	s_cbranch_execz .LBB45_81
; %bb.80:
	v_div_scale_f32 v43, s[4:5], v23, v23, 1.0
	v_rcp_f32_e32 v44, v43
	v_div_scale_f32 v45, vcc, 1.0, v23, 1.0
	v_fma_f32 v46, -v43, v44, 1.0
	v_fmac_f32_e32 v44, v46, v44
	v_mul_f32_e32 v46, v45, v44
	v_fma_f32 v47, -v43, v46, v45
	v_fmac_f32_e32 v46, v47, v44
	v_fma_f32 v43, -v43, v46, v45
	v_div_fmas_f32 v43, v43, v44, v46
	v_div_fixup_f32 v23, v43, v23, 1.0
	ds_write_b32 v254, v23
.LBB45_81:
	s_or_b64 exec, exec, s[2:3]
	s_waitcnt lgkmcnt(0)
	s_barrier
	ds_read_b32 v168, v254
	v_cmp_lt_u32_e32 vcc, 15, v248
	s_and_saveexec_b64 s[2:3], vcc
	s_cbranch_execz .LBB45_83
; %bb.82:
	ds_read2_b32 v[0:1], v255 offset0:16 offset1:17
	ds_read2_b32 v[2:3], v255 offset0:18 offset1:19
	;; [unrolled: 1-line block ×3, first 2 shown]
	ds_read_b32 v6, v255 offset:88
	s_waitcnt lgkmcnt(4)
	v_mul_f32_e32 v44, v69, v168
	s_waitcnt lgkmcnt(3)
	v_pk_fma_f32 v[102:103], v[44:45], v[0:1], v[16:17] op_sel_hi:[0,1,1] neg_lo:[1,0,0] neg_hi:[1,0,0]
	s_waitcnt vmcnt(3) lgkmcnt(2)
	v_pk_fma_f32 v[202:203], v[44:45], v[2:3], v[18:19] op_sel_hi:[0,1,1] neg_lo:[1,0,0] neg_hi:[1,0,0]
	s_waitcnt lgkmcnt(1)
	v_pk_fma_f32 v[236:237], v[44:45], v[4:5], v[20:21] op_sel_hi:[0,1,1] neg_lo:[1,0,0] neg_hi:[1,0,0]
	s_waitcnt lgkmcnt(0)
	v_fma_f32 v22, -v44, v6, v253
	v_mov_b32_e32 v0, v152
	v_mov_b32_e32 v1, v153
	;; [unrolled: 1-line block ×18, first 2 shown]
	scratch_store_dwordx4 off, v[0:3], off offset:256 ; 16-byte Folded Spill
	s_nop 0
	scratch_store_dwordx4 off, v[4:7], off offset:272 ; 16-byte Folded Spill
	scratch_store_dwordx4 off, v[8:11], off offset:288 ; 16-byte Folded Spill
	;; [unrolled: 1-line block ×7, first 2 shown]
	v_mov_b32_e32 v167, v44
	v_mov_b32_e32 v86, v152
	;; [unrolled: 1-line block ×54, first 2 shown]
	scratch_store_dwordx4 off, v[0:3], off offset:128 ; 16-byte Folded Spill
	s_nop 0
	scratch_store_dwordx4 off, v[4:7], off offset:144 ; 16-byte Folded Spill
	scratch_store_dwordx4 off, v[8:11], off offset:160 ; 16-byte Folded Spill
	scratch_store_dwordx4 off, v[12:15], off offset:176 ; 16-byte Folded Spill
	scratch_store_dwordx4 off, v[16:19], off offset:192 ; 16-byte Folded Spill
	scratch_store_dwordx4 off, v[20:23], off offset:208 ; 16-byte Folded Spill
	scratch_store_dwordx4 off, v[24:27], off offset:224 ; 16-byte Folded Spill
	scratch_store_dwordx4 off, v[28:31], off offset:240 ; 16-byte Folded Spill
	scratch_store_dwordx4 off, v[152:155], off offset:512 ; 16-byte Folded Spill
	s_nop 0
	scratch_store_dwordx4 off, v[156:159], off offset:528 ; 16-byte Folded Spill
	scratch_store_dwordx4 off, v[160:163], off offset:544 ; 16-byte Folded Spill
	scratch_store_dwordx4 off, v[164:167], off offset:560 ; 16-byte Folded Spill
	scratch_store_dwordx4 off, v[168:171], off offset:576 ; 16-byte Folded Spill
	scratch_store_dwordx4 off, v[172:175], off offset:592 ; 16-byte Folded Spill
	scratch_store_dwordx4 off, v[176:179], off offset:608 ; 16-byte Folded Spill
	scratch_store_dwordx4 off, v[180:183], off offset:624 ; 16-byte Folded Spill
	;; [unrolled: 9-line block ×3, first 2 shown]
	v_mov_b32_e32 v199, v44
	v_mov_b32_e32 v231, v44
	;; [unrolled: 1-line block ×12, first 2 shown]
	scratch_store_dwordx4 off, v[24:27], off ; 16-byte Folded Spill
	s_nop 0
	scratch_store_dwordx4 off, v[28:31], off offset:16 ; 16-byte Folded Spill
	scratch_store_dwordx4 off, v[32:35], off offset:32 ; 16-byte Folded Spill
	scratch_store_dwordx4 off, v[36:39], off offset:48 ; 16-byte Folded Spill
	scratch_store_dwordx4 off, v[40:43], off offset:64 ; 16-byte Folded Spill
	scratch_store_dwordx4 off, v[44:47], off offset:80 ; 16-byte Folded Spill
	scratch_store_dwordx4 off, v[48:51], off offset:96 ; 16-byte Folded Spill
	scratch_store_dwordx4 off, v[52:55], off offset:112 ; 16-byte Folded Spill
.LBB45_83:
	s_or_b64 exec, exec, s[2:3]
	v_cmp_eq_u32_e32 vcc, 16, v248
	s_waitcnt lgkmcnt(0)
	s_barrier
	s_and_saveexec_b64 s[2:3], vcc
	s_cbranch_execz .LBB45_86
; %bb.84:
	ds_write_b32 v254, v70
	ds_write2_b32 v255, v17, v18 offset0:17 offset1:18
	ds_write2_b32 v255, v19, v20 offset0:19 offset1:20
	;; [unrolled: 1-line block ×3, first 2 shown]
	ds_read_b32 v23, v254
	s_waitcnt lgkmcnt(0)
	v_cmp_neq_f32_e32 vcc, 0, v23
	s_and_b64 exec, exec, vcc
	s_cbranch_execz .LBB45_86
; %bb.85:
	v_div_scale_f32 v43, s[4:5], v23, v23, 1.0
	v_rcp_f32_e32 v44, v43
	v_div_scale_f32 v45, vcc, 1.0, v23, 1.0
	v_fma_f32 v46, -v43, v44, 1.0
	v_fmac_f32_e32 v44, v46, v44
	v_mul_f32_e32 v46, v45, v44
	v_fma_f32 v47, -v43, v46, v45
	v_fmac_f32_e32 v46, v47, v44
	v_fma_f32 v43, -v43, v46, v45
	v_div_fmas_f32 v43, v43, v44, v46
	v_div_fixup_f32 v23, v43, v23, 1.0
	ds_write_b32 v254, v23
.LBB45_86:
	s_or_b64 exec, exec, s[2:3]
	s_waitcnt lgkmcnt(0)
	s_barrier
	ds_read_b32 v152, v254
	v_cmp_lt_u32_e32 vcc, 16, v248
	s_and_saveexec_b64 s[2:3], vcc
	s_cbranch_execz .LBB45_88
; %bb.87:
	scratch_load_dwordx4 v[170:173], off, off offset:512 ; 16-byte Folded Reload
	scratch_load_dwordx4 v[174:177], off, off offset:528 ; 16-byte Folded Reload
	;; [unrolled: 1-line block ×8, first 2 shown]
	ds_read2_b32 v[0:1], v255 offset0:17 offset1:18
	ds_read2_b32 v[4:5], v255 offset0:19 offset1:20
	;; [unrolled: 1-line block ×3, first 2 shown]
	s_waitcnt lgkmcnt(3)
	v_mul_f32_e32 v102, v70, v152
	v_mov_b32_e32 v2, v17
	v_mov_b32_e32 v3, v18
	s_waitcnt lgkmcnt(2)
	v_pk_fma_f32 v[44:45], v[102:103], v[0:1], v[2:3] op_sel_hi:[0,1,1] neg_lo:[1,0,0] neg_hi:[1,0,0]
	v_mov_b32_e32 v0, v19
	v_mov_b32_e32 v1, v20
	s_waitcnt lgkmcnt(1)
	v_pk_fma_f32 v[46:47], v[102:103], v[4:5], v[0:1] op_sel_hi:[0,1,1] neg_lo:[1,0,0] neg_hi:[1,0,0]
	v_mov_b32_e32 v0, v21
	v_mov_b32_e32 v1, v22
	s_waitcnt lgkmcnt(0)
	v_pk_fma_f32 v[252:253], v[102:103], v[6:7], v[0:1] op_sel_hi:[0,1,1] neg_lo:[1,0,0] neg_hi:[1,0,0]
	v_mov_b32_e32 v103, v44
	v_mov_b32_e32 v16, v102
	;; [unrolled: 1-line block ×5, first 2 shown]
	s_waitcnt vmcnt(0)
	v_mov_b32_e32 v200, v102
	v_mov_b32_e32 v232, v102
	;; [unrolled: 1-line block ×10, first 2 shown]
	v_mov_b64_e32 v[86:87], v[170:171]
	v_mov_b64_e32 v[88:89], v[172:173]
	;; [unrolled: 1-line block ×8, first 2 shown]
	v_mov_b32_e32 v0, v86
	v_mov_b32_e32 v1, v87
	;; [unrolled: 1-line block ×32, first 2 shown]
	scratch_store_dwordx4 off, v[0:3], off offset:128 ; 16-byte Folded Spill
	s_nop 0
	scratch_store_dwordx4 off, v[4:7], off offset:144 ; 16-byte Folded Spill
	scratch_store_dwordx4 off, v[8:11], off offset:160 ; 16-byte Folded Spill
	;; [unrolled: 1-line block ×7, first 2 shown]
	v_mov_b32_e32 v216, v86
	v_mov_b32_e32 v217, v87
	;; [unrolled: 1-line block ×16, first 2 shown]
	scratch_store_dwordx4 off, v[86:89], off offset:256 ; 16-byte Folded Spill
	s_nop 0
	scratch_store_dwordx4 off, v[90:93], off offset:272 ; 16-byte Folded Spill
	scratch_store_dwordx4 off, v[94:97], off offset:288 ; 16-byte Folded Spill
	scratch_store_dwordx4 off, v[98:101], off offset:304 ; 16-byte Folded Spill
	scratch_store_dwordx4 off, v[102:105], off offset:320 ; 16-byte Folded Spill
	scratch_store_dwordx4 off, v[106:109], off offset:336 ; 16-byte Folded Spill
	scratch_store_dwordx4 off, v[110:113], off offset:352 ; 16-byte Folded Spill
	scratch_store_dwordx4 off, v[114:117], off offset:368 ; 16-byte Folded Spill
	v_mov_b32_e32 v20, v47
	v_mov_b32_e32 v21, v252
	;; [unrolled: 1-line block ×13, first 2 shown]
	scratch_store_dwordx4 off, v[86:89], off offset:384 ; 16-byte Folded Spill
	s_nop 0
	scratch_store_dwordx4 off, v[90:93], off offset:400 ; 16-byte Folded Spill
	scratch_store_dwordx4 off, v[94:97], off offset:416 ; 16-byte Folded Spill
	;; [unrolled: 1-line block ×7, first 2 shown]
	scratch_store_dwordx4 off, v[24:27], off ; 16-byte Folded Spill
	s_nop 0
	scratch_store_dwordx4 off, v[28:31], off offset:16 ; 16-byte Folded Spill
	scratch_store_dwordx4 off, v[32:35], off offset:32 ; 16-byte Folded Spill
	;; [unrolled: 1-line block ×7, first 2 shown]
.LBB45_88:
	s_or_b64 exec, exec, s[2:3]
	v_cmp_eq_u32_e32 vcc, 17, v248
	s_waitcnt lgkmcnt(0)
	s_barrier
	s_and_saveexec_b64 s[2:3], vcc
	s_cbranch_execz .LBB45_91
; %bb.89:
	ds_write_b32 v254, v25
	ds_write2_b32 v255, v18, v19 offset0:18 offset1:19
	ds_write2_b32 v255, v20, v21 offset0:20 offset1:21
	ds_write_b32 v255, v253 offset:88
	ds_read_b32 v23, v254
	s_waitcnt lgkmcnt(0)
	v_cmp_neq_f32_e32 vcc, 0, v23
	s_and_b64 exec, exec, vcc
	s_cbranch_execz .LBB45_91
; %bb.90:
	v_div_scale_f32 v43, s[4:5], v23, v23, 1.0
	v_rcp_f32_e32 v44, v43
	v_div_scale_f32 v45, vcc, 1.0, v23, 1.0
	v_fma_f32 v46, -v43, v44, 1.0
	v_fmac_f32_e32 v44, v46, v44
	v_mul_f32_e32 v46, v45, v44
	v_fma_f32 v47, -v43, v46, v45
	v_fmac_f32_e32 v46, v47, v44
	v_fma_f32 v43, -v43, v46, v45
	v_div_fmas_f32 v43, v43, v44, v46
	v_div_fixup_f32 v23, v43, v23, 1.0
	ds_write_b32 v254, v23
.LBB45_91:
	s_or_b64 exec, exec, s[2:3]
	s_waitcnt lgkmcnt(0)
	s_barrier
	ds_read_b32 v106, v254
	v_cmp_lt_u32_e32 vcc, 17, v248
	s_and_saveexec_b64 s[2:3], vcc
	s_cbranch_execz .LBB45_93
; %bb.92:
	ds_read2_b32 v[0:1], v255 offset0:18 offset1:19
	ds_read2_b32 v[2:3], v255 offset0:20 offset1:21
	ds_read_b32 v4, v255 offset:88
	scratch_load_dwordx4 v[184:187], off, off offset:384 ; 16-byte Folded Reload
	scratch_load_dwordx4 v[188:191], off, off offset:400 ; 16-byte Folded Reload
	;; [unrolled: 1-line block ×8, first 2 shown]
	s_waitcnt lgkmcnt(3)
	v_mul_f32_e32 v44, v25, v106
	s_waitcnt lgkmcnt(2)
	v_pk_fma_f32 v[42:43], v[44:45], v[0:1], v[18:19] op_sel_hi:[0,1,1] neg_lo:[1,0,0] neg_hi:[1,0,0]
	s_waitcnt vmcnt(18) lgkmcnt(1)
	v_pk_fma_f32 v[236:237], v[44:45], v[2:3], v[20:21] op_sel_hi:[0,1,1] neg_lo:[1,0,0] neg_hi:[1,0,0]
	s_waitcnt lgkmcnt(0)
	v_fma_f32 v22, -v44, v4, v253
	v_mov_b32_e32 v17, v44
	v_mov_b32_e32 v18, v42
	v_mov_b32_e32 v19, v43
	s_waitcnt vmcnt(3)
	v_mov_b32_e32 v201, v44
	v_mov_b32_e32 v41, v44
	;; [unrolled: 1-line block ×32, first 2 shown]
	scratch_store_dwordx4 off, v[0:3], off offset:128 ; 16-byte Folded Spill
	s_nop 0
	scratch_store_dwordx4 off, v[4:7], off offset:144 ; 16-byte Folded Spill
	scratch_store_dwordx4 off, v[8:11], off offset:160 ; 16-byte Folded Spill
	;; [unrolled: 1-line block ×7, first 2 shown]
	v_mov_b32_e32 v32, v192
	v_mov_b32_e32 v33, v193
	;; [unrolled: 1-line block ×26, first 2 shown]
	scratch_store_dwordx4 off, v[184:187], off offset:256 ; 16-byte Folded Spill
	s_nop 0
	scratch_store_dwordx4 off, v[188:191], off offset:272 ; 16-byte Folded Spill
	scratch_store_dwordx4 off, v[192:195], off offset:288 ; 16-byte Folded Spill
	scratch_store_dwordx4 off, v[196:199], off offset:304 ; 16-byte Folded Spill
	scratch_store_dwordx4 off, v[200:203], off offset:320 ; 16-byte Folded Spill
	s_waitcnt vmcnt(15)
	scratch_store_dwordx4 off, v[204:207], off offset:336 ; 16-byte Folded Spill
	s_waitcnt vmcnt(15)
	scratch_store_dwordx4 off, v[208:211], off offset:352 ; 16-byte Folded Spill
	s_waitcnt vmcnt(15)
	scratch_store_dwordx4 off, v[212:215], off offset:368 ; 16-byte Folded Spill
	v_mov_b64_e32 v[202:203], v[42:43]
	v_mov_b32_e32 v20, v236
	v_mov_b32_e32 v21, v237
	v_mov_b64_e32 v[200:201], v[40:41]
	v_mov_b32_e32 v84, v202
	v_mov_b32_e32 v41, v203
	v_mov_b64_e32 v[198:199], v[38:39]
	v_mov_b64_e32 v[196:197], v[36:37]
	;; [unrolled: 1-line block ×8, first 2 shown]
	v_mov_b32_e32 v253, v22
	scratch_store_dwordx4 off, v[24:27], off ; 16-byte Folded Spill
	s_nop 0
	scratch_store_dwordx4 off, v[28:31], off offset:16 ; 16-byte Folded Spill
	scratch_store_dwordx4 off, v[32:35], off offset:32 ; 16-byte Folded Spill
	scratch_store_dwordx4 off, v[36:39], off offset:48 ; 16-byte Folded Spill
	scratch_store_dwordx4 off, v[40:43], off offset:64 ; 16-byte Folded Spill
	scratch_store_dwordx4 off, v[44:47], off offset:80 ; 16-byte Folded Spill
	scratch_store_dwordx4 off, v[48:51], off offset:96 ; 16-byte Folded Spill
	scratch_store_dwordx4 off, v[52:55], off offset:112 ; 16-byte Folded Spill
.LBB45_93:
	s_or_b64 exec, exec, s[2:3]
	v_cmp_eq_u32_e32 vcc, 18, v248
	s_waitcnt lgkmcnt(0)
	s_barrier
	s_and_saveexec_b64 s[2:3], vcc
	s_cbranch_execz .LBB45_96
; %bb.94:
	ds_write_b32 v254, v84
	ds_write2_b32 v255, v19, v20 offset0:19 offset1:20
	ds_write2_b32 v255, v21, v22 offset0:21 offset1:22
	ds_read_b32 v23, v254
	s_waitcnt lgkmcnt(0)
	v_cmp_neq_f32_e32 vcc, 0, v23
	s_and_b64 exec, exec, vcc
	s_cbranch_execz .LBB45_96
; %bb.95:
	v_div_scale_f32 v43, s[4:5], v23, v23, 1.0
	v_rcp_f32_e32 v44, v43
	v_div_scale_f32 v45, vcc, 1.0, v23, 1.0
	v_fma_f32 v46, -v43, v44, 1.0
	v_fmac_f32_e32 v44, v46, v44
	v_mul_f32_e32 v46, v45, v44
	v_fma_f32 v47, -v43, v46, v45
	v_fmac_f32_e32 v46, v47, v44
	v_fma_f32 v43, -v43, v46, v45
	v_div_fmas_f32 v43, v43, v44, v46
	v_div_fixup_f32 v23, v43, v23, 1.0
	ds_write_b32 v254, v23
.LBB45_96:
	s_or_b64 exec, exec, s[2:3]
	s_waitcnt lgkmcnt(0)
	s_barrier
	ds_read_b32 v88, v254
	v_cmp_lt_u32_e32 vcc, 18, v248
	s_and_saveexec_b64 s[2:3], vcc
	s_cbranch_execz .LBB45_98
; %bb.97:
	ds_read2_b32 v[0:1], v255 offset0:19 offset1:20
	scratch_load_dwordx4 v[170:173], off, off offset:256 ; 16-byte Folded Reload
	scratch_load_dwordx4 v[174:177], off, off offset:272 ; 16-byte Folded Reload
	;; [unrolled: 1-line block ×8, first 2 shown]
	ds_read2_b32 v[4:5], v255 offset0:21 offset1:22
	s_waitcnt lgkmcnt(2)
	v_mul_f32_e32 v42, v84, v88
	v_mov_b32_e32 v2, v19
	v_mov_b32_e32 v3, v20
	s_waitcnt lgkmcnt(1)
	v_pk_fma_f32 v[90:91], v[42:43], v[0:1], v[2:3] op_sel_hi:[0,1,1] neg_lo:[1,0,0] neg_hi:[1,0,0]
	v_mov_b32_e32 v0, v21
	v_mov_b32_e32 v1, v22
	s_waitcnt lgkmcnt(0)
	v_pk_fma_f32 v[252:253], v[42:43], v[4:5], v[0:1] op_sel_hi:[0,1,1] neg_lo:[1,0,0] neg_hi:[1,0,0]
	v_mov_b32_e32 v43, v90
	s_waitcnt vmcnt(19)
	v_mov_b32_e32 v234, v42
	v_mov_b32_e32 v18, v42
	;; [unrolled: 1-line block ×3, first 2 shown]
	s_waitcnt vmcnt(18)
	v_mov_b32_e32 v236, v91
	v_mov_b32_e32 v19, v90
	;; [unrolled: 1-line block ×5, first 2 shown]
	s_waitcnt vmcnt(4)
	v_mov_b64_e32 v[24:25], v[170:171]
	v_mov_b64_e32 v[26:27], v[172:173]
	;; [unrolled: 1-line block ×8, first 2 shown]
	s_waitcnt vmcnt(3)
	v_mov_b64_e32 v[40:41], v[186:187]
	v_mov_b32_e32 v216, v24
	v_mov_b32_e32 v217, v25
	;; [unrolled: 1-line block ×36, first 2 shown]
	scratch_store_dwordx4 off, v[24:27], off offset:128 ; 16-byte Folded Spill
	s_nop 0
	scratch_store_dwordx4 off, v[28:31], off offset:144 ; 16-byte Folded Spill
	scratch_store_dwordx4 off, v[32:35], off offset:160 ; 16-byte Folded Spill
	;; [unrolled: 1-line block ×7, first 2 shown]
	s_waitcnt vmcnt(8)
	v_mov_b64_e32 v[214:215], v[54:55]
	v_mov_b64_e32 v[212:213], v[52:53]
	;; [unrolled: 1-line block ×16, first 2 shown]
	v_mov_b32_e32 v41, v90
	v_mov_b32_e32 v44, v91
	scratch_store_dwordx4 off, v[24:27], off ; 16-byte Folded Spill
	s_nop 0
	scratch_store_dwordx4 off, v[28:31], off offset:16 ; 16-byte Folded Spill
	scratch_store_dwordx4 off, v[32:35], off offset:32 ; 16-byte Folded Spill
	;; [unrolled: 1-line block ×7, first 2 shown]
.LBB45_98:
	s_or_b64 exec, exec, s[2:3]
	v_cmp_eq_u32_e32 vcc, 19, v248
	s_waitcnt lgkmcnt(0)
	s_barrier
	s_and_saveexec_b64 s[2:3], vcc
	s_cbranch_execz .LBB45_101
; %bb.99:
	ds_write_b32 v254, v41
	ds_write2_b32 v255, v20, v21 offset0:20 offset1:21
	ds_write_b32 v255, v253 offset:88
	ds_read_b32 v23, v254
	s_waitcnt lgkmcnt(0)
	v_cmp_neq_f32_e32 vcc, 0, v23
	s_and_b64 exec, exec, vcc
	s_cbranch_execz .LBB45_101
; %bb.100:
	v_div_scale_f32 v43, s[4:5], v23, v23, 1.0
	v_rcp_f32_e32 v44, v43
	v_div_scale_f32 v45, vcc, 1.0, v23, 1.0
	v_fma_f32 v46, -v43, v44, 1.0
	v_fmac_f32_e32 v44, v46, v44
	v_mul_f32_e32 v46, v45, v44
	v_fma_f32 v47, -v43, v46, v45
	v_fmac_f32_e32 v46, v47, v44
	v_fma_f32 v43, -v43, v46, v45
	v_div_fmas_f32 v43, v43, v44, v46
	v_div_fixup_f32 v23, v43, v23, 1.0
	ds_write_b32 v254, v23
.LBB45_101:
	s_or_b64 exec, exec, s[2:3]
	s_waitcnt lgkmcnt(0)
	s_barrier
	ds_read_b32 v44, v254
	v_cmp_lt_u32_e32 vcc, 19, v248
	s_and_saveexec_b64 s[2:3], vcc
	s_cbranch_execz .LBB45_103
; %bb.102:
	ds_read2_b32 v[0:1], v255 offset0:20 offset1:21
	ds_read_b32 v2, v255 offset:88
	s_waitcnt lgkmcnt(2)
	v_mul_f32_e32 v46, v41, v44
	s_waitcnt vmcnt(3)
	v_mov_b32_e32 v203, v46
	v_mov_b32_e32 v4, v188
	s_waitcnt lgkmcnt(1)
	v_pk_fma_f32 v[236:237], v[46:47], v[0:1], v[20:21] op_sel_hi:[0,1,1] neg_lo:[1,0,0] neg_hi:[1,0,0]
	s_waitcnt lgkmcnt(0)
	v_fma_f32 v22, -v46, v2, v253
	v_mov_b32_e32 v5, v189
	v_mov_b32_e32 v6, v190
	;; [unrolled: 1-line block ×41, first 2 shown]
	scratch_store_dwordx4 off, v[184:187], off offset:128 ; 16-byte Folded Spill
	s_nop 0
	scratch_store_dwordx4 off, v[188:191], off offset:144 ; 16-byte Folded Spill
	scratch_store_dwordx4 off, v[192:195], off offset:160 ; 16-byte Folded Spill
	;; [unrolled: 1-line block ×4, first 2 shown]
	s_waitcnt vmcnt(7)
	scratch_store_dwordx4 off, v[204:207], off offset:208 ; 16-byte Folded Spill
	s_waitcnt vmcnt(7)
	scratch_store_dwordx4 off, v[208:211], off offset:224 ; 16-byte Folded Spill
	;; [unrolled: 2-line block ×3, first 2 shown]
	scratch_store_dwordx4 off, v[4:7], off  ; 16-byte Folded Spill
	s_nop 0
	scratch_store_dwordx4 off, v[8:11], off offset:16 ; 16-byte Folded Spill
	scratch_store_dwordx4 off, v[12:15], off offset:32 ; 16-byte Folded Spill
	;; [unrolled: 1-line block ×7, first 2 shown]
	v_mov_b32_e32 v235, v46
	v_mov_b32_e32 v252, v237
	;; [unrolled: 1-line block ×3, first 2 shown]
.LBB45_103:
	s_or_b64 exec, exec, s[2:3]
	v_cmp_eq_u32_e32 vcc, 20, v248
	s_waitcnt lgkmcnt(0)
	s_barrier
	s_and_saveexec_b64 s[2:3], vcc
	s_cbranch_execz .LBB45_106
; %bb.104:
	scratch_load_dwordx4 v[170:173], off, off ; 16-byte Folded Reload
	scratch_load_dwordx4 v[174:177], off, off offset:16 ; 16-byte Folded Reload
	scratch_load_dwordx4 v[178:181], off, off offset:32 ; 16-byte Folded Reload
	;; [unrolled: 1-line block ×7, first 2 shown]
	s_waitcnt vmcnt(2)
	ds_write_b32 v254, v190
	ds_write2_b32 v255, v21, v22 offset0:21 offset1:22
	ds_read_b32 v23, v254
	s_waitcnt lgkmcnt(0)
	v_cmp_neq_f32_e32 vcc, 0, v23
	s_and_b64 exec, exec, vcc
	s_cbranch_execz .LBB45_106
; %bb.105:
	v_div_scale_f32 v24, s[4:5], v23, v23, 1.0
	v_rcp_f32_e32 v25, v24
	v_div_scale_f32 v26, vcc, 1.0, v23, 1.0
	v_fma_f32 v27, -v24, v25, 1.0
	v_fmac_f32_e32 v25, v27, v25
	v_mul_f32_e32 v27, v26, v25
	v_fma_f32 v28, -v24, v27, v26
	v_fmac_f32_e32 v27, v28, v25
	v_fma_f32 v24, -v24, v27, v26
	v_div_fmas_f32 v24, v24, v25, v27
	v_div_fixup_f32 v23, v24, v23, 1.0
	ds_write_b32 v254, v23
.LBB45_106:
	s_or_b64 exec, exec, s[2:3]
	s_waitcnt lgkmcnt(0)
	s_barrier
	ds_read_b32 v32, v254
	v_cmp_lt_u32_e32 vcc, 20, v248
	s_and_saveexec_b64 s[2:3], vcc
	s_cbranch_execz .LBB45_108
; %bb.107:
	ds_read2_b32 v[0:1], v255 offset0:21 offset1:22
	v_mov_b32_e32 v33, v143
	scratch_load_dwordx4 v[116:119], off, off ; 16-byte Folded Reload
	scratch_load_dwordx4 v[120:123], off, off offset:16 ; 16-byte Folded Reload
	scratch_load_dwordx4 v[124:127], off, off offset:32 ; 16-byte Folded Reload
	;; [unrolled: 1-line block ×15, first 2 shown]
	v_mov_b32_e32 v2, v21
	v_mov_b32_e32 v3, v22
	s_waitcnt vmcnt(9)
	v_mov_b32_e32 v143, v33
	s_waitcnt vmcnt(2) lgkmcnt(1)
	v_mul_f32_e32 v236, v136, v32
	s_waitcnt lgkmcnt(0)
	v_pk_fma_f32 v[252:253], v[236:237], v[0:1], v[2:3] op_sel_hi:[0,1,1] neg_lo:[1,0,0] neg_hi:[1,0,0]
	v_mov_b32_e32 v237, v252
	v_mov_b32_e32 v238, v253
	s_waitcnt vmcnt(0)
	v_mov_b64_e32 v[0:1], v[216:217]
	v_mov_b64_e32 v[2:3], v[218:219]
	v_mov_b64_e32 v[4:5], v[220:221]
	v_mov_b64_e32 v[6:7], v[222:223]
	v_mov_b64_e32 v[8:9], v[224:225]
	v_mov_b64_e32 v[10:11], v[226:227]
	v_mov_b64_e32 v[12:13], v[228:229]
	v_mov_b64_e32 v[14:15], v[230:231]
	v_mov_b64_e32 v[16:17], v[232:233]
	v_mov_b64_e32 v[18:19], v[234:235]
	v_mov_b64_e32 v[20:21], v[236:237]
	v_mov_b64_e32 v[22:23], v[238:239]
	v_mov_b64_e32 v[24:25], v[240:241]
	v_mov_b64_e32 v[26:27], v[242:243]
	v_mov_b64_e32 v[28:29], v[244:245]
	v_mov_b64_e32 v[30:31], v[246:247]
.LBB45_108:
	s_or_b64 exec, exec, s[2:3]
	v_cmp_eq_u32_e32 vcc, 21, v248
	s_waitcnt lgkmcnt(0)
	s_barrier
	s_and_saveexec_b64 s[2:3], vcc
	s_cbranch_execz .LBB45_111
; %bb.109:
	ds_write_b32 v254, v252
	ds_write_b32 v255, v253 offset:88
	ds_read_b32 v23, v254
	s_waitcnt lgkmcnt(0)
	v_cmp_neq_f32_e32 vcc, 0, v23
	s_and_b64 exec, exec, vcc
	s_cbranch_execz .LBB45_111
; %bb.110:
	v_div_scale_f32 v24, s[4:5], v23, v23, 1.0
	v_rcp_f32_e32 v25, v24
	v_div_scale_f32 v26, vcc, 1.0, v23, 1.0
	v_fma_f32 v27, -v24, v25, 1.0
	v_fmac_f32_e32 v25, v27, v25
	v_mul_f32_e32 v27, v26, v25
	v_fma_f32 v28, -v24, v27, v26
	v_fmac_f32_e32 v27, v28, v25
	v_fma_f32 v24, -v24, v27, v26
	v_div_fmas_f32 v24, v24, v25, v27
	v_div_fixup_f32 v23, v24, v23, 1.0
	ds_write_b32 v254, v23
.LBB45_111:
	s_or_b64 exec, exec, s[2:3]
	s_waitcnt lgkmcnt(0)
	s_barrier
	ds_read_b32 v33, v254
	v_cmp_lt_u32_e32 vcc, 21, v248
	s_and_saveexec_b64 s[2:3], vcc
	s_cbranch_execz .LBB45_113
; %bb.112:
	ds_read_b32 v0, v255 offset:88
	s_waitcnt vmcnt(10) lgkmcnt(1)
	v_mul_f32_e32 v237, v252, v33
	s_waitcnt lgkmcnt(0)
	v_fma_f32 v238, -v237, v0, v253
	s_waitcnt vmcnt(8)
	v_mov_b64_e32 v[0:1], v[216:217]
	v_mov_b64_e32 v[2:3], v[218:219]
	;; [unrolled: 1-line block ×12, first 2 shown]
	v_mov_b32_e32 v253, v238
	v_mov_b64_e32 v[24:25], v[240:241]
	v_mov_b64_e32 v[26:27], v[242:243]
	;; [unrolled: 1-line block ×4, first 2 shown]
.LBB45_113:
	s_or_b64 exec, exec, s[2:3]
	v_cmp_eq_u32_e32 vcc, 22, v248
	s_waitcnt lgkmcnt(0)
	s_barrier
	s_and_saveexec_b64 s[2:3], vcc
	s_cbranch_execz .LBB45_116
; %bb.114:
	v_cmp_neq_f32_e32 vcc, 0, v253
	ds_write_b32 v254, v253
	s_and_b64 exec, exec, vcc
	s_cbranch_execz .LBB45_116
; %bb.115:
	v_div_scale_f32 v23, s[4:5], v253, v253, 1.0
	v_rcp_f32_e32 v24, v23
	v_div_scale_f32 v25, vcc, 1.0, v253, 1.0
	v_fma_f32 v26, -v23, v24, 1.0
	v_fmac_f32_e32 v24, v26, v24
	v_mul_f32_e32 v26, v25, v24
	v_fma_f32 v27, -v23, v26, v25
	v_fmac_f32_e32 v26, v27, v24
	v_fma_f32 v23, -v23, v26, v25
	v_div_fmas_f32 v23, v23, v24, v26
	v_div_fixup_f32 v23, v23, v253, 1.0
	ds_write_b32 v254, v23
.LBB45_116:
	s_or_b64 exec, exec, s[2:3]
	s_waitcnt lgkmcnt(0)
	s_barrier
	ds_read_b32 v23, v254
	s_waitcnt lgkmcnt(0)
	s_barrier
	s_and_saveexec_b64 s[2:3], s[0:1]
	s_cbranch_execz .LBB45_119
; %bb.117:
	scratch_load_dword v24, off, off offset:3384 ; 4-byte Folded Reload
	scratch_load_dword v25, off, off offset:1280 ; 4-byte Folded Reload
	s_waitcnt vmcnt(1)
	v_cmp_eq_f32_e32 vcc, 0, v24
	s_waitcnt vmcnt(0)
	v_cmp_neq_f32_e64 s[0:1], 0, v25
	v_cndmask_b32_e64 v24, 0, 1, vcc
	s_or_b64 vcc, s[0:1], vcc
	v_cndmask_b32_e32 v24, 2, v24, vcc
	v_cmp_eq_f32_e32 vcc, 0, v107
	v_cmp_eq_u32_e64 s[0:1], 0, v24
	s_and_b64 s[0:1], vcc, s[0:1]
	v_mov_b32_e32 v25, s7
	v_cndmask_b32_e64 v26, v24, 3, s[0:1]
	v_mov_b32_e32 v24, s6
	v_lshl_add_u64 v[24:25], v[250:251], 2, v[24:25]
	global_load_dword v27, v[24:25], off
	v_cmp_eq_f32_e32 vcc, 0, v108
	v_cmp_eq_u32_e64 s[0:1], 0, v26
	s_and_b64 s[0:1], vcc, s[0:1]
	v_cmp_eq_f32_e32 vcc, 0, v109
	v_cndmask_b32_e64 v26, v26, 4, s[0:1]
	v_cmp_eq_u32_e64 s[0:1], 0, v26
	s_and_b64 s[0:1], vcc, s[0:1]
	v_cmp_eq_f32_e32 vcc, 0, v110
	v_cndmask_b32_e64 v26, v26, 5, s[0:1]
	;; [unrolled: 4-line block ×19, first 2 shown]
	v_cmp_eq_u32_e64 s[0:1], 0, v26
	s_and_b64 s[0:1], vcc, s[0:1]
	s_waitcnt vmcnt(0)
	v_cmp_eq_u32_e32 vcc, 0, v27
	v_cndmask_b32_e64 v26, v26, 23, s[0:1]
	v_cmp_ne_u32_e64 s[0:1], 0, v26
	s_and_b64 s[0:1], vcc, s[0:1]
	s_and_b64 exec, exec, s[0:1]
	s_cbranch_execz .LBB45_119
; %bb.118:
	v_add_u32_e32 v26, s9, v26
	global_store_dword v[24:25], v26, off
.LBB45_119:
	s_or_b64 exec, exec, s[2:3]
	scratch_load_dwordx2 v[24:25], off, off offset:3200 ; 8-byte Folded Reload
	v_mul_f32_e32 v23, v253, v23
	v_cmp_lt_u32_e32 vcc, 22, v248
	s_waitcnt vmcnt(0)
	global_store_dword v[24:25], v0, off
	scratch_load_dwordx2 v[24:25], off, off offset:3208 ; 8-byte Folded Reload
	v_cndmask_b32_e32 v22, v22, v23, vcc
	s_waitcnt vmcnt(0)
	global_store_dword v[24:25], v1, off
	scratch_load_dwordx2 v[0:1], off, off offset:3216 ; 8-byte Folded Reload
	s_waitcnt vmcnt(0)
	global_store_dword v[0:1], v2, off
	scratch_load_dwordx2 v[0:1], off, off offset:3224 ; 8-byte Folded Reload
	;; [unrolled: 3-line block ×21, first 2 shown]
	s_waitcnt vmcnt(0)
	global_store_dword v[0:1], v22, off
.LBB45_120:
	s_endpgm
	.section	.rodata,"a",@progbits
	.p2align	6, 0x0
	.amdhsa_kernel _ZN9rocsolver6v33100L23getf2_npvt_small_kernelILi23EfiiPfEEvT1_T3_lS3_lPT2_S3_S3_
		.amdhsa_group_segment_fixed_size 0
		.amdhsa_private_segment_fixed_size 3520
		.amdhsa_kernarg_size 312
		.amdhsa_user_sgpr_count 2
		.amdhsa_user_sgpr_dispatch_ptr 0
		.amdhsa_user_sgpr_queue_ptr 0
		.amdhsa_user_sgpr_kernarg_segment_ptr 1
		.amdhsa_user_sgpr_dispatch_id 0
		.amdhsa_user_sgpr_kernarg_preload_length 0
		.amdhsa_user_sgpr_kernarg_preload_offset 0
		.amdhsa_user_sgpr_private_segment_size 0
		.amdhsa_uses_dynamic_stack 0
		.amdhsa_enable_private_segment 1
		.amdhsa_system_sgpr_workgroup_id_x 1
		.amdhsa_system_sgpr_workgroup_id_y 1
		.amdhsa_system_sgpr_workgroup_id_z 0
		.amdhsa_system_sgpr_workgroup_info 0
		.amdhsa_system_vgpr_workitem_id 1
		.amdhsa_next_free_vgpr 256
		.amdhsa_next_free_sgpr 16
		.amdhsa_accum_offset 256
		.amdhsa_reserve_vcc 1
		.amdhsa_float_round_mode_32 0
		.amdhsa_float_round_mode_16_64 0
		.amdhsa_float_denorm_mode_32 3
		.amdhsa_float_denorm_mode_16_64 3
		.amdhsa_dx10_clamp 1
		.amdhsa_ieee_mode 1
		.amdhsa_fp16_overflow 0
		.amdhsa_tg_split 0
		.amdhsa_exception_fp_ieee_invalid_op 0
		.amdhsa_exception_fp_denorm_src 0
		.amdhsa_exception_fp_ieee_div_zero 0
		.amdhsa_exception_fp_ieee_overflow 0
		.amdhsa_exception_fp_ieee_underflow 0
		.amdhsa_exception_fp_ieee_inexact 0
		.amdhsa_exception_int_div_zero 0
	.end_amdhsa_kernel
	.section	.text._ZN9rocsolver6v33100L23getf2_npvt_small_kernelILi23EfiiPfEEvT1_T3_lS3_lPT2_S3_S3_,"axG",@progbits,_ZN9rocsolver6v33100L23getf2_npvt_small_kernelILi23EfiiPfEEvT1_T3_lS3_lPT2_S3_S3_,comdat
.Lfunc_end45:
	.size	_ZN9rocsolver6v33100L23getf2_npvt_small_kernelILi23EfiiPfEEvT1_T3_lS3_lPT2_S3_S3_, .Lfunc_end45-_ZN9rocsolver6v33100L23getf2_npvt_small_kernelILi23EfiiPfEEvT1_T3_lS3_lPT2_S3_S3_
                                        ; -- End function
	.set _ZN9rocsolver6v33100L23getf2_npvt_small_kernelILi23EfiiPfEEvT1_T3_lS3_lPT2_S3_S3_.num_vgpr, 256
	.set _ZN9rocsolver6v33100L23getf2_npvt_small_kernelILi23EfiiPfEEvT1_T3_lS3_lPT2_S3_S3_.num_agpr, 0
	.set _ZN9rocsolver6v33100L23getf2_npvt_small_kernelILi23EfiiPfEEvT1_T3_lS3_lPT2_S3_S3_.numbered_sgpr, 16
	.set _ZN9rocsolver6v33100L23getf2_npvt_small_kernelILi23EfiiPfEEvT1_T3_lS3_lPT2_S3_S3_.num_named_barrier, 0
	.set _ZN9rocsolver6v33100L23getf2_npvt_small_kernelILi23EfiiPfEEvT1_T3_lS3_lPT2_S3_S3_.private_seg_size, 3520
	.set _ZN9rocsolver6v33100L23getf2_npvt_small_kernelILi23EfiiPfEEvT1_T3_lS3_lPT2_S3_S3_.uses_vcc, 1
	.set _ZN9rocsolver6v33100L23getf2_npvt_small_kernelILi23EfiiPfEEvT1_T3_lS3_lPT2_S3_S3_.uses_flat_scratch, 0
	.set _ZN9rocsolver6v33100L23getf2_npvt_small_kernelILi23EfiiPfEEvT1_T3_lS3_lPT2_S3_S3_.has_dyn_sized_stack, 0
	.set _ZN9rocsolver6v33100L23getf2_npvt_small_kernelILi23EfiiPfEEvT1_T3_lS3_lPT2_S3_S3_.has_recursion, 0
	.set _ZN9rocsolver6v33100L23getf2_npvt_small_kernelILi23EfiiPfEEvT1_T3_lS3_lPT2_S3_S3_.has_indirect_call, 0
	.section	.AMDGPU.csdata,"",@progbits
; Kernel info:
; codeLenInByte = 38964
; TotalNumSgprs: 22
; NumVgprs: 256
; NumAgprs: 0
; TotalNumVgprs: 256
; ScratchSize: 3520
; MemoryBound: 0
; FloatMode: 240
; IeeeMode: 1
; LDSByteSize: 0 bytes/workgroup (compile time only)
; SGPRBlocks: 2
; VGPRBlocks: 31
; NumSGPRsForWavesPerEU: 22
; NumVGPRsForWavesPerEU: 256
; AccumOffset: 256
; Occupancy: 2
; WaveLimiterHint : 0
; COMPUTE_PGM_RSRC2:SCRATCH_EN: 1
; COMPUTE_PGM_RSRC2:USER_SGPR: 2
; COMPUTE_PGM_RSRC2:TRAP_HANDLER: 0
; COMPUTE_PGM_RSRC2:TGID_X_EN: 1
; COMPUTE_PGM_RSRC2:TGID_Y_EN: 1
; COMPUTE_PGM_RSRC2:TGID_Z_EN: 0
; COMPUTE_PGM_RSRC2:TIDIG_COMP_CNT: 1
; COMPUTE_PGM_RSRC3_GFX90A:ACCUM_OFFSET: 63
; COMPUTE_PGM_RSRC3_GFX90A:TG_SPLIT: 0
	.section	.text._ZN9rocsolver6v33100L18getf2_small_kernelILi24EfiiPfEEvT1_T3_lS3_lPS3_llPT2_S3_S3_S5_l,"axG",@progbits,_ZN9rocsolver6v33100L18getf2_small_kernelILi24EfiiPfEEvT1_T3_lS3_lPS3_llPT2_S3_S3_S5_l,comdat
	.globl	_ZN9rocsolver6v33100L18getf2_small_kernelILi24EfiiPfEEvT1_T3_lS3_lPS3_llPT2_S3_S3_S5_l ; -- Begin function _ZN9rocsolver6v33100L18getf2_small_kernelILi24EfiiPfEEvT1_T3_lS3_lPS3_llPT2_S3_S3_S5_l
	.p2align	8
	.type	_ZN9rocsolver6v33100L18getf2_small_kernelILi24EfiiPfEEvT1_T3_lS3_lPS3_llPT2_S3_S3_S5_l,@function
_ZN9rocsolver6v33100L18getf2_small_kernelILi24EfiiPfEEvT1_T3_lS3_lPS3_llPT2_S3_S3_S5_l: ; @_ZN9rocsolver6v33100L18getf2_small_kernelILi24EfiiPfEEvT1_T3_lS3_lPS3_llPT2_S3_S3_S5_l
; %bb.0:
	s_load_dword s2, s[0:1], 0x6c
	s_load_dwordx2 s[14:15], s[0:1], 0x48
	v_bfe_u32 v4, v0, 10, 10
	s_waitcnt lgkmcnt(0)
	s_lshr_b32 s2, s2, 16
	s_mul_i32 s3, s3, s2
	v_add_u32_e32 v6, s3, v4
	v_cmp_gt_i32_e32 vcc, s14, v6
	s_and_saveexec_b64 s[2:3], vcc
	s_cbranch_execz .LBB46_408
; %bb.1:
	s_load_dwordx4 s[4:7], s[0:1], 0x50
	v_ashrrev_i32_e32 v7, 31, v6
	v_mov_b64_e32 v[2:3], 0
	scratch_store_dwordx2 off, v[2:3], off offset:2692 ; 8-byte Folded Spill
	s_waitcnt lgkmcnt(0)
	s_cmp_eq_u64 s[4:5], 0
	s_cselect_b64 s[16:17], -1, 0
	s_and_b64 vcc, exec, s[16:17]
	s_cbranch_vccnz .LBB46_3
; %bb.2:
	v_mul_lo_u32 v1, s7, v6
	v_mul_lo_u32 v5, s6, v7
	v_mad_u64_u32 v[2:3], s[2:3], s6, v6, 0
	v_add3_u32 v3, v3, v5, v1
	v_lshl_add_u64 v[2:3], v[2:3], 2, s[4:5]
	scratch_store_dwordx2 off, v[2:3], off offset:2692 ; 8-byte Folded Spill
.LBB46_3:
	s_load_dwordx4 s[24:27], s[0:1], 0x8
	s_load_dwordx8 s[4:11], s[0:1], 0x20
	s_load_dword s12, s[0:1], 0x18
	s_load_dword s22, s[0:1], 0x0
	scratch_store_dwordx2 off, v[6:7], off offset:3852 ; 8-byte Folded Spill
	s_waitcnt lgkmcnt(0)
	v_mov_b32_e32 v2, s24
	v_mul_lo_u32 v1, s5, v6
	v_mul_lo_u32 v5, s4, v7
	v_mad_u64_u32 v[6:7], s[2:3], s4, v6, 0
	v_mov_b32_e32 v3, s25
	v_add3_u32 v7, v7, v5, v1
	v_lshl_add_u64 v[2:3], v[6:7], 2, v[2:3]
	v_and_b32_e32 v1, 0x3ff, v0
	v_lshl_add_u64 v[248:249], s[26:27], 2, v[2:3]
	v_lshlrev_b32_e32 v2, 2, v1
	v_mov_b32_e32 v3, 0
	v_lshl_add_u64 v[6:7], v[248:249], 0, v[2:3]
	global_load_dword v0, v[6:7], off
	s_max_i32 s2, s22, 24
	s_add_i32 s14, s12, s12
	v_mul_lo_u32 v36, s2, v4
	v_add_u32_e32 v4, s14, v1
	v_add_u32_e32 v8, s12, v4
	;; [unrolled: 1-line block ×5, first 2 shown]
	s_ashr_i32 s13, s12, 31
	v_ashrrev_i32_e32 v5, 31, v4
	v_add_u32_e32 v16, s12, v14
	v_ashrrev_i32_e32 v9, 31, v8
	v_lshl_add_u64 v[4:5], v[4:5], 2, v[248:249]
	v_ashrrev_i32_e32 v11, 31, v10
	v_lshl_add_u64 v[6:7], s[12:13], 2, v[6:7]
	v_ashrrev_i32_e32 v13, 31, v12
	v_ashrrev_i32_e32 v15, 31, v14
	v_ashrrev_i32_e32 v17, 31, v16
	v_lshl_add_u64 v[8:9], v[8:9], 2, v[248:249]
	v_lshl_add_u64 v[10:11], v[10:11], 2, v[248:249]
	;; [unrolled: 1-line block ×5, first 2 shown]
	global_load_dword v37, v[6:7], off
	global_load_dword v42, v[4:5], off
	global_load_dword v39, v[8:9], off
	global_load_dword v38, v[10:11], off
	global_load_dword v155, v[12:13], off
	global_load_dword v148, v[14:15], off
	global_load_dword v189, v[18:19], off
	v_add_u32_e32 v4, s12, v16
	v_add_u32_e32 v6, s12, v4
	;; [unrolled: 1-line block ×13, first 2 shown]
	v_ashrrev_i32_e32 v29, 31, v28
	v_lshl_add_u64 v[30:31], v[28:29], 2, v[248:249]
	v_add_u32_e32 v28, s12, v28
	v_ashrrev_i32_e32 v29, 31, v28
	v_lshl_add_u64 v[32:33], v[28:29], 2, v[248:249]
	v_add_u32_e32 v28, s12, v28
	v_lshl_add_u32 v250, v36, 2, 0
	v_ashrrev_i32_e32 v29, 31, v28
	v_add_u32_e32 v2, v250, v2
	v_lshl_add_u64 v[34:35], v[28:29], 2, v[248:249]
	v_add_u32_e32 v28, s12, v28
	v_ashrrev_i32_e32 v5, 31, v4
	v_ashrrev_i32_e32 v7, 31, v6
	;; [unrolled: 1-line block ×13, first 2 shown]
	v_lshl_add_u64 v[4:5], v[4:5], 2, v[248:249]
	v_lshl_add_u64 v[6:7], v[6:7], 2, v[248:249]
	v_lshl_add_u64 v[8:9], v[8:9], 2, v[248:249]
	v_lshl_add_u64 v[10:11], v[10:11], 2, v[248:249]
	v_lshl_add_u64 v[12:13], v[12:13], 2, v[248:249]
	v_lshl_add_u64 v[14:15], v[14:15], 2, v[248:249]
	v_lshl_add_u64 v[16:17], v[16:17], 2, v[248:249]
	v_lshl_add_u64 v[18:19], v[18:19], 2, v[248:249]
	v_lshl_add_u64 v[20:21], v[20:21], 2, v[248:249]
	v_lshl_add_u64 v[22:23], v[22:23], 2, v[248:249]
	v_lshl_add_u64 v[24:25], v[24:25], 2, v[248:249]
	v_lshl_add_u64 v[26:27], v[26:27], 2, v[248:249]
	v_lshl_add_u64 v[28:29], v[28:29], 2, v[248:249]
	s_load_dwordx2 s[4:5], s[0:1], 0x40
	s_cmp_lt_i32 s22, 2
	v_lshlrev_b32_e32 v254, 2, v36
	s_waitcnt vmcnt(7)
	ds_write_b32 v2, v0
	global_load_dword v253, v[34:35], off
	global_load_dword v255, v[28:29], off
	;; [unrolled: 1-line block ×15, first 2 shown]
                                        ; kill: killed $vgpr30_vgpr31
                                        ; kill: killed $vgpr10_vgpr11
                                        ; kill: killed $vgpr32_vgpr33
                                        ; kill: killed $vgpr12_vgpr13
                                        ; kill: killed $vgpr34_vgpr35
                                        ; kill: killed $vgpr14_vgpr15
                                        ; kill: killed $vgpr28_vgpr29
                                        ; kill: killed $vgpr16_vgpr17
                                        ; kill: killed $vgpr20_vgpr21
                                        ; kill: killed $vgpr22_vgpr23
                                        ; kill: killed $vgpr4_vgpr5
                                        ; kill: killed $vgpr24_vgpr25
                                        ; kill: killed $vgpr6_vgpr7
                                        ; kill: killed $vgpr26_vgpr27
                                        ; kill: killed $vgpr8_vgpr9
	global_load_dword v137, v[18:19], off
	s_waitcnt lgkmcnt(0)
	s_barrier
	ds_read_b32 v2, v250
	s_cbranch_scc1 .LBB46_6
; %bb.4:
	v_add3_u32 v4, v254, 0, 4
	v_mov_b32_e32 v3, 0
	s_mov_b32 s0, 1
.LBB46_5:                               ; =>This Inner Loop Header: Depth=1
	ds_read_b32 v5, v4
	v_mov_b32_e32 v6, s0
	s_add_i32 s0, s0, 1
	v_add_u32_e32 v4, 4, v4
	s_cmp_eq_u32 s22, s0
	s_waitcnt lgkmcnt(0)
	v_cmp_lt_f32_e64 vcc, |v2|, |v5|
	s_nop 1
	v_cndmask_b32_e32 v2, v2, v5, vcc
	v_cndmask_b32_e32 v3, v3, v6, vcc
	s_cbranch_scc0 .LBB46_5
.LBB46_6:
	s_waitcnt vmcnt(10)
	v_mov_b32_e32 v19, v203
	v_cmp_ne_u32_e32 vcc, v1, v3
                                        ; implicit-def: $vgpr251
	s_and_saveexec_b64 s[0:1], vcc
	s_xor_b64 s[0:1], exec, s[0:1]
	s_cbranch_execz .LBB46_12
; %bb.7:
	v_cmp_eq_u32_e32 vcc, 0, v1
	s_and_saveexec_b64 s[2:3], vcc
	s_cbranch_execz .LBB46_11
; %bb.8:
	v_cmp_ne_u32_e32 vcc, 0, v3
	s_xor_b64 s[18:19], s[16:17], -1
	s_and_b64 s[20:21], s[18:19], vcc
	s_and_saveexec_b64 s[18:19], s[20:21]
	s_cbranch_execz .LBB46_10
; %bb.9:
	scratch_load_dwordx2 v[8:9], off, off offset:2692 ; 8-byte Folded Reload
	v_ashrrev_i32_e32 v5, 31, v3
	v_mov_b32_e32 v4, v3
	s_waitcnt vmcnt(0)
	v_lshl_add_u64 v[4:5], v[4:5], 2, v[8:9]
	global_load_dword v1, v[4:5], off
	global_load_dword v6, v[8:9], off
	s_waitcnt vmcnt(1)
	global_store_dword v[8:9], v1, off
	s_waitcnt vmcnt(1)
	global_store_dword v[4:5], v6, off
.LBB46_10:
	s_or_b64 exec, exec, s[18:19]
	v_mov_b32_e32 v1, v3
.LBB46_11:
	s_or_b64 exec, exec, s[2:3]
	v_mov_b32_e32 v251, v1
                                        ; implicit-def: $vgpr1
.LBB46_12:
	s_or_saveexec_b64 s[0:1], s[0:1]
	scratch_store_dword off, v251, off offset:1024 ; 4-byte Folded Spill
	s_xor_b64 exec, exec, s[0:1]
	s_cbranch_execz .LBB46_14
; %bb.13:
	v_mov_b32_e32 v251, 0
	ds_write2_b32 v250, v37, v42 offset0:1 offset1:2
	ds_write2_b32 v250, v39, v38 offset0:3 offset1:4
	;; [unrolled: 1-line block ×3, first 2 shown]
	s_waitcnt vmcnt(8)
	ds_write2_b32 v250, v189, v140 offset0:7 offset1:8
	s_waitcnt vmcnt(6)
	ds_write2_b32 v250, v141, v130 offset0:9 offset1:10
	;; [unrolled: 2-line block ×5, first 2 shown]
	ds_write2_b32 v250, v199, v82 offset0:17 offset1:18
	ds_write2_b32 v250, v19, v204 offset0:19 offset1:20
	;; [unrolled: 1-line block ×3, first 2 shown]
	ds_write_b32 v250, v255 offset:92
	scratch_store_dword off, v1, off offset:1024 ; 4-byte Folded Spill
.LBB46_14:
	s_or_b64 exec, exec, s[0:1]
	s_waitcnt lgkmcnt(0)
	v_cmp_eq_f32_e64 s[0:1], 0, v2
	v_cmp_gt_i32_e32 vcc, 1, v251
	s_barrier
	s_and_saveexec_b64 s[2:3], vcc
	s_xor_b64 s[2:3], exec, s[2:3]
; %bb.15:
                                        ; implicit-def: $vgpr2
; %bb.16:
	s_or_saveexec_b64 s[2:3], s[2:3]
	v_mov_b32_e32 v8, v38
	s_xor_b64 exec, exec, s[2:3]
	s_cbranch_execz .LBB46_18
; %bb.17:
	v_div_scale_f32 v1, s[18:19], v2, v2, 1.0
	v_rcp_f32_e32 v3, v1
	v_mov_b32_e32 v4, v37
	v_mov_b32_e32 v5, v42
	;; [unrolled: 1-line block ×3, first 2 shown]
	v_fma_f32 v24, -v1, v3, 1.0
	v_fmac_f32_e32 v3, v24, v3
	v_div_scale_f32 v24, vcc, 1.0, v2, 1.0
	v_mul_f32_e32 v25, v24, v3
	v_fma_f32 v26, -v1, v25, v24
	v_fmac_f32_e32 v25, v26, v3
	v_fma_f32 v1, -v1, v25, v24
	v_div_fmas_f32 v1, v1, v3, v25
	v_div_fixup_f32 v1, v1, v2, 1.0
	v_cndmask_b32_e64 v1, v1, v2, s[0:1]
	ds_read2_b32 v[2:3], v250 offset0:1 offset1:2
	ds_read2_b32 v[24:25], v250 offset0:3 offset1:4
	;; [unrolled: 1-line block ×3, first 2 shown]
	v_mov_b32_e32 v7, v8
	v_mov_b32_e32 v8, v155
	;; [unrolled: 1-line block ×3, first 2 shown]
	v_mul_f32_e32 v0, v0, v1
	ds_read2_b32 v[28:29], v250 offset0:7 offset1:8
	s_waitcnt lgkmcnt(3)
	v_pk_fma_f32 v[2:3], v[0:1], v[2:3], v[4:5] op_sel_hi:[0,1,1] neg_lo:[1,0,0] neg_hi:[1,0,0]
	s_waitcnt lgkmcnt(2)
	v_pk_fma_f32 v[4:5], v[0:1], v[24:25], v[6:7] op_sel_hi:[0,1,1] neg_lo:[1,0,0] neg_hi:[1,0,0]
	s_waitcnt lgkmcnt(1)
	v_pk_fma_f32 v[6:7], v[0:1], v[26:27], v[8:9] op_sel_hi:[0,1,1] neg_lo:[1,0,0] neg_hi:[1,0,0]
	ds_read2_b32 v[8:9], v250 offset0:9 offset1:10
	ds_read2_b32 v[24:25], v250 offset0:11 offset1:12
	v_mov_b32_e32 v10, v189
	s_waitcnt vmcnt(8)
	v_mov_b32_e32 v11, v140
	s_waitcnt vmcnt(7)
	;; [unrolled: 2-line block ×5, first 2 shown]
	v_mov_b32_e32 v15, v120
	s_waitcnt lgkmcnt(2)
	v_pk_fma_f32 v[10:11], v[0:1], v[28:29], v[10:11] op_sel_hi:[0,1,1] neg_lo:[1,0,0] neg_hi:[1,0,0]
	ds_read2_b32 v[26:27], v250 offset0:13 offset1:14
	ds_read2_b32 v[28:29], v250 offset0:15 offset1:16
	s_waitcnt lgkmcnt(3)
	v_pk_fma_f32 v[8:9], v[0:1], v[8:9], v[12:13] op_sel_hi:[0,1,1] neg_lo:[1,0,0] neg_hi:[1,0,0]
	s_waitcnt lgkmcnt(2)
	v_pk_fma_f32 v[12:13], v[0:1], v[24:25], v[14:15] op_sel_hi:[0,1,1] neg_lo:[1,0,0] neg_hi:[1,0,0]
	ds_read2_b32 v[14:15], v250 offset0:17 offset1:18
	ds_read_b32 v1, v250 offset:92
	ds_read2_b32 v[24:25], v250 offset0:19 offset1:20
	ds_read2_b32 v[30:31], v250 offset0:21 offset1:22
	s_waitcnt vmcnt(3)
	v_mov_b32_e32 v16, v113
	s_waitcnt vmcnt(2)
	v_mov_b32_e32 v17, v214
	;; [unrolled: 2-line block ×3, first 2 shown]
	v_mov_b32_e32 v19, v40
	v_mov_b32_e32 v20, v199
	;; [unrolled: 1-line block ×6, first 2 shown]
	s_waitcnt lgkmcnt(2)
	v_pk_fma_f32 v[16:17], v[0:1], v[26:27], v[16:17] op_sel_hi:[0,1,1] neg_lo:[1,0,0] neg_hi:[1,0,0]
	v_pk_fma_f32 v[18:19], v[0:1], v[28:29], v[18:19] op_sel_hi:[0,1,1] neg_lo:[1,0,0] neg_hi:[1,0,0]
	;; [unrolled: 1-line block ×3, first 2 shown]
	s_waitcnt lgkmcnt(1)
	v_pk_fma_f32 v[20:21], v[0:1], v[24:25], v[22:23] op_sel_hi:[0,1,1] neg_lo:[1,0,0] neg_hi:[1,0,0]
	s_waitcnt lgkmcnt(0)
	v_pk_fma_f32 v[252:253], v[0:1], v[30:31], v[252:253] op_sel_hi:[0,1,1] neg_lo:[1,0,0] neg_hi:[1,0,0]
	v_fma_f32 v255, -v0, v1, v255
	v_mov_b32_e32 v37, v2
	v_mov_b32_e32 v42, v3
	v_mov_b32_e32 v39, v4
	v_mov_b32_e32 v155, v6
	v_mov_b32_e32 v148, v7
	v_mov_b32_e32 v189, v10
	v_mov_b32_e32 v140, v11
	v_mov_b32_e32 v141, v8
	v_mov_b32_e32 v130, v9
	v_mov_b32_e32 v97, v12
	v_mov_b32_e32 v120, v13
	v_mov_b32_e32 v113, v16
	v_mov_b32_e32 v214, v17
	v_mov_b32_e32 v137, v18
	v_mov_b32_e32 v40, v19
	v_mov_b32_e32 v199, v14
	v_mov_b32_e32 v82, v15
	v_mov_b32_e32 v203, v20
	v_mov_b32_e32 v204, v21
	v_mov_b32_e32 v8, v5
	v_mov_b32_e32 v45, v252
.LBB46_18:
	s_or_b64 exec, exec, s[2:3]
	v_lshl_add_u32 v1, v251, 2, v250
	s_barrier
	ds_write_b32 v1, v37
	s_waitcnt lgkmcnt(0)
	s_barrier
	ds_read_b32 v252, v250 offset:4
	s_mov_b32 s2, 2
	s_cmp_lt_i32 s22, 3
	v_mov_b32_e32 v2, 1
	s_cbranch_scc1 .LBB46_21
; %bb.19:
	v_add3_u32 v1, v254, 0, 8
	v_mov_b32_e32 v2, 1
.LBB46_20:                              ; =>This Inner Loop Header: Depth=1
	ds_read_b32 v3, v1
	v_mov_b32_e32 v4, s2
	s_add_i32 s2, s2, 1
	v_add_u32_e32 v1, 4, v1
	s_cmp_lg_u32 s22, s2
	s_waitcnt lgkmcnt(0)
	v_cmp_lt_f32_e64 vcc, |v252|, |v3|
	s_nop 1
	v_cndmask_b32_e32 v252, v252, v3, vcc
	v_cndmask_b32_e32 v2, v2, v4, vcc
	s_cbranch_scc1 .LBB46_20
.LBB46_21:
	v_cmp_ne_u32_e32 vcc, v251, v2
	s_and_saveexec_b64 s[2:3], vcc
	s_xor_b64 s[2:3], exec, s[2:3]
	s_cbranch_execz .LBB46_27
; %bb.22:
	v_cmp_eq_u32_e32 vcc, 1, v251
	s_and_saveexec_b64 s[18:19], vcc
	s_cbranch_execz .LBB46_26
; %bb.23:
	v_cmp_ne_u32_e32 vcc, 1, v2
	s_xor_b64 s[20:21], s[16:17], -1
	s_and_b64 s[24:25], s[20:21], vcc
	s_and_saveexec_b64 s[20:21], s[24:25]
	s_cbranch_execz .LBB46_25
; %bb.24:
	scratch_load_dwordx2 v[6:7], off, off offset:2692 ; 8-byte Folded Reload
	v_ashrrev_i32_e32 v3, 31, v2
	s_waitcnt vmcnt(0)
	v_lshl_add_u64 v[4:5], v[2:3], 2, v[6:7]
	global_load_dword v1, v[4:5], off
	global_load_dword v3, v[6:7], off offset:4
	s_waitcnt vmcnt(1)
	global_store_dword v[6:7], v1, off offset:4
	s_waitcnt vmcnt(1)
	global_store_dword v[4:5], v3, off
.LBB46_25:
	s_or_b64 exec, exec, s[20:21]
	v_mov_b32_e32 v1, v2
	v_mov_b32_e32 v251, v2
	scratch_store_dword off, v1, off offset:1024 ; 4-byte Folded Spill
.LBB46_26:
	s_or_b64 exec, exec, s[18:19]
.LBB46_27:
	s_or_saveexec_b64 s[2:3], s[2:3]
	v_mov_b32_e32 v1, v37
	v_mov_b32_e32 v2, v42
	;; [unrolled: 1-line block ×10, first 2 shown]
	s_waitcnt vmcnt(8)
	v_mov_b32_e32 v8, v140
	s_waitcnt vmcnt(7)
	v_mov_b32_e32 v9, v141
	v_mov_b32_e32 v105, v141
	s_waitcnt vmcnt(6)
	v_mov_b32_e32 v10, v130
	;; [unrolled: 3-line block ×4, first 2 shown]
	s_waitcnt vmcnt(3)
	v_mov_b32_e32 v13, v113
	v_mov_b32_e32 v231, v113
	s_waitcnt vmcnt(2)
	v_mov_b32_e32 v14, v214
	s_waitcnt vmcnt(1)
	v_mov_b32_e32 v15, v137
	v_mov_b32_e32 v16, v40
	;; [unrolled: 1-line block ×9, first 2 shown]
	s_xor_b64 exec, exec, s[2:3]
	s_cbranch_execz .LBB46_29
; %bb.28:
	v_mov_b32_e32 v251, 1
	ds_write2_b32 v250, v24, v25 offset0:2 offset1:3
	ds_write2_b32 v250, v26, v155 offset0:4 offset1:5
	;; [unrolled: 1-line block ×11, first 2 shown]
.LBB46_29:
	s_or_b64 exec, exec, s[2:3]
	v_mov_b32_e32 v50, v26
	v_mov_b32_e32 v46, v0
	;; [unrolled: 1-line block ×81, first 2 shown]
	v_mov_b64_e32 v[90:91], v[68:69]
	v_mov_b32_e32 v25, v29
	v_mov_b32_e32 v26, v30
	v_mov_b64_e32 v[28:29], v[32:33]
	v_mov_b32_e32 v43, v37
	v_mov_b32_e32 v183, v37
	;; [unrolled: 1-line block ×9, first 2 shown]
	v_mov_b64_e32 v[88:89], v[66:67]
	v_mov_b64_e32 v[86:87], v[64:65]
	v_mov_b64_e32 v[84:85], v[62:63]
	v_mov_b64_e32 v[82:83], v[60:61]
	v_mov_b64_e32 v[80:81], v[58:59]
	v_mov_b32_e32 v201, v37
	v_mov_b64_e32 v[30:31], v[34:35]
	v_mov_b32_e32 v62, v50
	v_mov_b64_e32 v[32:33], v[46:47]
	v_mov_b32_e32 v216, v204
	v_mov_b32_e32 v53, v47
	;; [unrolled: 1-line block ×15, first 2 shown]
	v_mov_b64_e32 v[34:35], v[48:49]
	v_mov_b64_e32 v[36:37], v[50:51]
	v_mov_b32_e32 v52, v26
	v_mov_b64_e32 v[56:57], v[30:31]
	v_mov_b32_e32 v202, v26
	v_mov_b32_e32 v124, v26
	v_mov_b32_e32 v51, v25
	v_mov_b32_e32 v50, v24
	v_mov_b64_e32 v[54:55], v[28:29]
	v_mov_b32_e32 v24, v58
	v_mov_b32_e32 v42, v0
	;; [unrolled: 1-line block ×18, first 2 shown]
	scratch_store_dwordx4 off, v[24:27], off offset:1284 ; 16-byte Folded Spill
	s_nop 0
	scratch_store_dwordx4 off, v[28:31], off offset:1300 ; 16-byte Folded Spill
	scratch_store_dwordx4 off, v[32:35], off offset:1316 ; 16-byte Folded Spill
	;; [unrolled: 1-line block ×8, first 2 shown]
	s_nop 0
	scratch_store_dwordx4 off, v[74:77], off offset:1812 ; 16-byte Folded Spill
	scratch_store_dwordx4 off, v[78:81], off offset:1828 ; 16-byte Folded Spill
	;; [unrolled: 1-line block ×7, first 2 shown]
	v_mov_b32_e32 v176, v148
	v_mov_b32_e32 v182, v0
	;; [unrolled: 1-line block ×17, first 2 shown]
	scratch_store_dwordx4 off, v[152:155], off offset:2436 ; 16-byte Folded Spill
	s_nop 0
	scratch_store_dwordx4 off, v[156:159], off offset:2452 ; 16-byte Folded Spill
	scratch_store_dwordx4 off, v[160:163], off offset:2468 ; 16-byte Folded Spill
	;; [unrolled: 1-line block ×7, first 2 shown]
	v_mov_b32_e32 v200, v0
	v_mov_b32_e32 v207, v189
	v_mov_b32_e32 v209, v105
	v_mov_b32_e32 v212, v120
	v_mov_b32_e32 v213, v231
	v_mov_b32_e32 v103, v189
	v_mov_b32_e32 v115, v189
	v_mov_b32_e32 v225, v189
	v_mov_b32_e32 v129, v189
	v_mov_b32_e32 v31, v189
	v_mov_b32_e32 v126, v62
	v_mov_b32_e32 v27, v57
	v_mov_b32_e32 v108, v0
	v_mov_b32_e32 v117, v105
	v_mov_b32_e32 v134, v120
	v_mov_b32_e32 v135, v231
	v_mov_b32_e32 v136, v214
	v_mov_b32_e32 v119, v217
	v_mov_b32_e32 v122, v0
	v_mov_b32_e32 v131, v105
	v_mov_b32_e32 v39, v137
	v_mov_b64_e32 v[106:107], v[108:109]
	v_mov_b32_e32 v230, v120
	v_mov_b64_e32 v[108:109], v[110:111]
	v_mov_b64_e32 v[110:111], v[112:113]
	;; [unrolled: 1-line block ×5, first 2 shown]
	v_mov_b32_e32 v118, v120
	v_mov_b32_e32 v24, v0
	;; [unrolled: 1-line block ×5, first 2 shown]
	s_waitcnt lgkmcnt(0)
	v_cmp_neq_f32_e64 s[2:3], 0, v252
	v_cmp_lt_i32_e32 vcc, 1, v251
	v_mov_b32_e32 v26, v52
	v_mov_b64_e32 v[66:67], v[80:81]
	v_mov_b64_e32 v[68:69], v[82:83]
	;; [unrolled: 1-line block ×6, first 2 shown]
	v_mov_b32_e32 v130, v78
	v_mov_b32_e32 v133, v91
	scratch_store_dwordx4 off, v[66:69], off offset:1412 ; 16-byte Folded Spill
	s_nop 0
	scratch_store_dwordx4 off, v[70:73], off offset:1428 ; 16-byte Folded Spill
	scratch_store_dwordx4 off, v[74:77], off offset:1444 ; 16-byte Folded Spill
	;; [unrolled: 1-line block ×8, first 2 shown]
	s_nop 0
	scratch_store_dwordx4 off, v[186:189], off offset:2324 ; 16-byte Folded Spill
	scratch_store_dwordx4 off, v[190:193], off offset:2340 ; 16-byte Folded Spill
	;; [unrolled: 1-line block ×7, first 2 shown]
	v_mov_b64_e32 v[90:91], v[36:37]
	v_mov_b64_e32 v[88:89], v[34:35]
	;; [unrolled: 1-line block ×4, first 2 shown]
	v_mov_b32_e32 v184, v52
	v_mov_b64_e32 v[82:83], v[54:55]
	v_mov_b32_e32 v132, v162
	v_mov_b32_e32 v34, v162
	;; [unrolled: 1-line block ×23, first 2 shown]
	scratch_load_dwordx4 v[46:49], off, off offset:1284 ; 16-byte Folded Reload
	scratch_load_dwordx4 v[50:53], off, off offset:1300 ; 16-byte Folded Reload
	;; [unrolled: 1-line block ×8, first 2 shown]
	s_waitcnt vmcnt(6)
	v_mov_b32_e32 v186, v50
	v_mov_b64_e32 v[46:47], v[86:87]
	v_mov_b64_e32 v[48:49], v[88:89]
	;; [unrolled: 1-line block ×3, first 2 shown]
	scratch_store_dwordx4 off, v[46:49], off offset:2180 ; 16-byte Folded Spill
	s_nop 0
	scratch_store_dwordx4 off, v[50:53], off offset:2196 ; 16-byte Folded Spill
	s_waitcnt vmcnt(7)
	scratch_store_dwordx4 off, v[54:57], off offset:2212 ; 16-byte Folded Spill
	s_waitcnt vmcnt(7)
	;; [unrolled: 2-line block ×6, first 2 shown]
	scratch_store_dwordx4 off, v[74:77], off offset:2292 ; 16-byte Folded Spill
	v_mov_b32_e32 v52, v142
	v_mov_b32_e32 v53, v143
	;; [unrolled: 1-line block ×7, first 2 shown]
	scratch_store_dwordx4 off, v[52:55], off offset:2956 ; 16-byte Folded Spill
	s_nop 0
	scratch_store_dwordx4 off, v[56:59], off offset:2972 ; 16-byte Folded Spill
	scratch_store_dwordx4 off, v[60:63], off offset:2988 ; 16-byte Folded Spill
	;; [unrolled: 1-line block ×7, first 2 shown]
	scratch_load_dwordx4 v[140:143], off, off offset:1796 ; 16-byte Folded Reload
	scratch_load_dwordx4 v[144:147], off, off offset:1812 ; 16-byte Folded Reload
	;; [unrolled: 1-line block ×16, first 2 shown]
	s_waitcnt vmcnt(14)
	v_mov_b64_e32 v[146:147], v[136:137]
	v_mov_b64_e32 v[144:145], v[134:135]
	;; [unrolled: 1-line block ×8, first 2 shown]
	v_mov_b32_e32 v122, v80
	v_mov_b32_e32 v188, v58
	;; [unrolled: 1-line block ×3, first 2 shown]
	s_waitcnt vmcnt(13)
	v_mov_b32_e32 v190, v148
	s_waitcnt vmcnt(5)
	v_mov_b32_e32 v192, v160
	scratch_load_dwordx4 v[150:153], off, off offset:1412 ; 16-byte Folded Reload
	scratch_load_dwordx4 v[154:157], off, off offset:1428 ; 16-byte Folded Reload
	;; [unrolled: 1-line block ×8, first 2 shown]
	v_mov_b32_e32 v120, v78
	s_waitcnt vmcnt(3)
	v_mov_b64_e32 v[166:167], v[84:85]
	s_waitcnt vmcnt(2)
	v_mov_b32_e32 v171, v85
	v_mov_b64_e32 v[164:165], v[82:83]
	s_waitcnt vmcnt(1)
	v_mov_b32_e32 v174, v58
	v_mov_b32_e32 v168, v0
	;; [unrolled: 1-line block ×3, first 2 shown]
	s_waitcnt vmcnt(0)
	v_mov_b32_e32 v180, v118
	v_mov_b32_e32 v181, v231
	;; [unrolled: 1-line block ×3, first 2 shown]
	scratch_store_dwordx4 off, v[24:27], off offset:128 ; 16-byte Folded Spill
	s_nop 0
	scratch_store_dwordx4 off, v[28:31], off offset:144 ; 16-byte Folded Spill
	scratch_store_dwordx4 off, v[32:35], off offset:160 ; 16-byte Folded Spill
	scratch_store_dwordx4 off, v[36:39], off offset:176 ; 16-byte Folded Spill
	scratch_store_dwordx4 off, v[40:43], off offset:192 ; 16-byte Folded Spill
	scratch_store_dwordx4 off, v[44:47], off offset:208 ; 16-byte Folded Spill
	scratch_store_dwordx4 off, v[48:51], off offset:224 ; 16-byte Folded Spill
	scratch_store_dwordx4 off, v[52:55], off offset:240 ; 16-byte Folded Spill
	scratch_store_dwordx4 off, v[182:185], off offset:2564 ; 16-byte Folded Spill
	s_nop 0
	scratch_store_dwordx4 off, v[186:189], off offset:2580 ; 16-byte Folded Spill
	scratch_store_dwordx4 off, v[190:193], off offset:2596 ; 16-byte Folded Spill
	scratch_store_dwordx4 off, v[194:197], off offset:2612 ; 16-byte Folded Spill
	scratch_store_dwordx4 off, v[198:201], off offset:2628 ; 16-byte Folded Spill
	scratch_store_dwordx4 off, v[202:205], off offset:2644 ; 16-byte Folded Spill
	scratch_store_dwordx4 off, v[206:209], off offset:2660 ; 16-byte Folded Spill
	scratch_store_dwordx4 off, v[210:213], off offset:2676 ; 16-byte Folded Spill
	;; [unrolled: 9-line block ×3, first 2 shown]
	scratch_load_dwordx4 v[64:67], off, off offset:1284 ; 16-byte Folded Reload
	scratch_load_dwordx4 v[68:71], off, off offset:1300 ; 16-byte Folded Reload
	;; [unrolled: 1-line block ×8, first 2 shown]
	v_mov_b32_e32 v196, v118
	v_mov_b32_e32 v187, v167
	;; [unrolled: 1-line block ×10, first 2 shown]
	s_waitcnt vmcnt(6)
	v_mov_b32_e32 v172, v68
	scratch_load_dwordx4 v[46:49], off, off offset:2308 ; 16-byte Folded Reload
	scratch_load_dwordx4 v[50:53], off, off offset:2324 ; 16-byte Folded Reload
	scratch_load_dwordx4 v[54:57], off, off offset:2340 ; 16-byte Folded Reload
	scratch_load_dwordx4 v[58:61], off, off offset:2356 ; 16-byte Folded Reload
	scratch_load_dwordx4 v[62:65], off, off offset:2372 ; 16-byte Folded Reload
	scratch_load_dwordx4 v[66:69], off, off offset:2388 ; 16-byte Folded Reload
	scratch_load_dwordx4 v[70:73], off, off offset:2404 ; 16-byte Folded Reload
	scratch_load_dwordx4 v[74:77], off, off offset:2420 ; 16-byte Folded Reload
	v_mov_b64_e32 v[24:25], v[200:201]
	v_mov_b32_e32 v38, v214
	v_mov_b64_e32 v[26:27], v[202:203]
	v_mov_b64_e32 v[28:29], v[204:205]
	;; [unrolled: 1-line block ×5, first 2 shown]
	v_mov_b32_e32 v37, v213
	v_mov_b32_e32 v182, v38
	;; [unrolled: 1-line block ×4, first 2 shown]
	s_waitcnt vmcnt(6)
	v_mov_b32_e32 v175, v53
	scratch_load_dwordx4 v[52:55], off, off offset:2436 ; 16-byte Folded Reload
	scratch_load_dwordx4 v[56:59], off, off offset:2452 ; 16-byte Folded Reload
	;; [unrolled: 1-line block ×16, first 2 shown]
	s_waitcnt vmcnt(13)
	v_mov_b64_e32 v[46:47], v[132:133]
	v_mov_b64_e32 v[48:49], v[134:135]
	;; [unrolled: 1-line block ×8, first 2 shown]
	v_mov_b32_e32 v178, v62
	s_waitcnt vmcnt(5)
	v_mov_b32_e32 v179, v75
	scratch_store_dwordx4 off, v[46:49], off offset:3084 ; 16-byte Folded Spill
	s_nop 0
	scratch_store_dwordx4 off, v[50:53], off offset:3100 ; 16-byte Folded Spill
	scratch_store_dwordx4 off, v[54:57], off offset:3116 ; 16-byte Folded Spill
	;; [unrolled: 1-line block ×6, first 2 shown]
	s_waitcnt vmcnt(11)
	scratch_store_dwordx4 off, v[74:77], off offset:3196 ; 16-byte Folded Spill
	scratch_load_dwordx4 v[64:67], off, off offset:128 ; 16-byte Folded Reload
	s_nop 0
	scratch_load_dwordx4 v[68:71], off, off offset:144 ; 16-byte Folded Reload
	scratch_load_dwordx4 v[72:75], off, off offset:160 ; 16-byte Folded Reload
	;; [unrolled: 1-line block ×7, first 2 shown]
	v_mov_b32_e32 v183, v61
	v_mov_b32_e32 v194, v62
	;; [unrolled: 1-line block ×3, first 2 shown]
	s_waitcnt vmcnt(3)
	v_mov_b32_e32 v184, v80
	scratch_load_dwordx4 v[64:67], off, off offset:2564 ; 16-byte Folded Reload
	scratch_load_dwordx4 v[68:71], off, off offset:2580 ; 16-byte Folded Reload
	;; [unrolled: 1-line block ×16, first 2 shown]
	s_waitcnt vmcnt(12)
	v_mov_b64_e32 v[64:65], v[168:169]
	v_mov_b64_e32 v[66:67], v[170:171]
	;; [unrolled: 1-line block ×14, first 2 shown]
	s_waitcnt vmcnt(0)
	v_mov_b32_e32 v160, v216
	v_mov_b32_e32 v188, v136
	;; [unrolled: 1-line block ×7, first 2 shown]
	scratch_load_dwordx4 v[122:125], off, off offset:2180 ; 16-byte Folded Reload
	scratch_load_dwordx4 v[126:129], off, off offset:2196 ; 16-byte Folded Reload
	;; [unrolled: 1-line block ×8, first 2 shown]
	v_mov_b32_e32 v185, v43
	v_mov_b32_e32 v184, v0
	;; [unrolled: 1-line block ×4, first 2 shown]
	s_waitcnt vmcnt(0)
	v_mov_b32_e32 v152, v180
	v_mov_b32_e32 v153, v231
	;; [unrolled: 1-line block ×3, first 2 shown]
	scratch_load_dwordx4 v[120:123], off, off offset:2956 ; 16-byte Folded Reload
	scratch_load_dwordx4 v[124:127], off, off offset:2972 ; 16-byte Folded Reload
	scratch_load_dwordx4 v[128:131], off, off offset:2988 ; 16-byte Folded Reload
	scratch_load_dwordx4 v[132:135], off, off offset:3004 ; 16-byte Folded Reload
	scratch_load_dwordx4 v[136:139], off, off offset:3020 ; 16-byte Folded Reload
	scratch_load_dwordx4 v[140:143], off, off offset:3036 ; 16-byte Folded Reload
	scratch_load_dwordx4 v[144:147], off, off offset:3052 ; 16-byte Folded Reload
	scratch_load_dwordx4 v[148:151], off, off offset:3068 ; 16-byte Folded Reload
	s_waitcnt vmcnt(6)
	v_mov_b32_e32 v190, v126
	scratch_load_dwordx4 v[120:123], off, off offset:2308 ; 16-byte Folded Reload
	scratch_load_dwordx4 v[124:127], off, off offset:2324 ; 16-byte Folded Reload
	scratch_load_dwordx4 v[128:131], off, off offset:2340 ; 16-byte Folded Reload
	scratch_load_dwordx4 v[132:135], off, off offset:2356 ; 16-byte Folded Reload
	scratch_load_dwordx4 v[136:139], off, off offset:2372 ; 16-byte Folded Reload
	scratch_load_dwordx4 v[140:143], off, off offset:2388 ; 16-byte Folded Reload
	scratch_load_dwordx4 v[144:147], off, off offset:2404 ; 16-byte Folded Reload
	scratch_load_dwordx4 v[148:151], off, off offset:2420 ; 16-byte Folded Reload
	s_waitcnt vmcnt(6)
	v_mov_b32_e32 v191, v127
	;; [unrolled: 10-line block ×3, first 2 shown]
	scratch_load_dwordx4 v[120:123], off, off offset:1412 ; 16-byte Folded Reload
	scratch_load_dwordx4 v[124:127], off, off offset:1428 ; 16-byte Folded Reload
	;; [unrolled: 1-line block ×8, first 2 shown]
	s_nop 0
	scratch_store_dwordx4 off, v[24:27], off ; 16-byte Folded Spill
	s_nop 0
	scratch_store_dwordx4 off, v[28:31], off offset:16 ; 16-byte Folded Spill
	scratch_store_dwordx4 off, v[32:35], off offset:32 ; 16-byte Folded Spill
	;; [unrolled: 1-line block ×7, first 2 shown]
	s_waitcnt vmcnt(10)
	v_mov_b32_e32 v140, v0
	v_mov_b32_e32 v143, v167
	s_waitcnt vmcnt(8)
	v_mov_b32_e32 v149, v105
	v_mov_b32_e32 v141, v43
	;; [unrolled: 1-line block ×3, first 2 shown]
	scratch_load_dwordx4 v[106:109], off, off offset:128 ; 16-byte Folded Reload
	scratch_load_dwordx4 v[110:113], off, off offset:144 ; 16-byte Folded Reload
	;; [unrolled: 1-line block ×8, first 2 shown]
	s_waitcnt vmcnt(4)
	v_mov_b64_e32 v[24:25], v[106:107]
	v_mov_b64_e32 v[26:27], v[108:109]
	;; [unrolled: 1-line block ×8, first 2 shown]
	s_waitcnt vmcnt(3)
	v_mov_b32_e32 v40, v122
	v_mov_b32_e32 v200, v122
	scratch_load_dwordx4 v[106:109], off, off offset:2564 ; 16-byte Folded Reload
	scratch_load_dwordx4 v[110:113], off, off offset:2580 ; 16-byte Folded Reload
	;; [unrolled: 1-line block ×8, first 2 shown]
	v_mov_b32_e32 v156, v40
	s_waitcnt vmcnt(3)
	v_mov_b64_e32 v[62:63], v[122:123]
	v_mov_b32_e32 v201, v63
	scratch_store_dwordx4 off, v[184:187], off offset:256 ; 16-byte Folded Spill
	s_nop 0
	scratch_store_dwordx4 off, v[188:191], off offset:272 ; 16-byte Folded Spill
	scratch_store_dwordx4 off, v[192:195], off offset:288 ; 16-byte Folded Spill
	scratch_store_dwordx4 off, v[196:199], off offset:304 ; 16-byte Folded Spill
	scratch_store_dwordx4 off, v[200:203], off offset:320 ; 16-byte Folded Spill
	scratch_store_dwordx4 off, v[204:207], off offset:336 ; 16-byte Folded Spill
	scratch_store_dwordx4 off, v[208:211], off offset:352 ; 16-byte Folded Spill
	scratch_store_dwordx4 off, v[212:215], off offset:368 ; 16-byte Folded Spill
	scratch_load_dwordx4 v[106:109], off, off offset:2828 ; 16-byte Folded Reload
	scratch_load_dwordx4 v[110:113], off, off offset:2844 ; 16-byte Folded Reload
	scratch_load_dwordx4 v[114:117], off, off offset:2860 ; 16-byte Folded Reload
	scratch_load_dwordx4 v[118:121], off, off offset:2876 ; 16-byte Folded Reload
	scratch_load_dwordx4 v[122:125], off, off offset:2892 ; 16-byte Folded Reload
	scratch_load_dwordx4 v[126:129], off, off offset:2908 ; 16-byte Folded Reload
	scratch_load_dwordx4 v[130:133], off, off offset:2924 ; 16-byte Folded Reload
	scratch_load_dwordx4 v[134:137], off, off offset:2940 ; 16-byte Folded Reload
	v_mov_b32_e32 v157, v63
	v_mov_b32_e32 v189, v45
	v_mov_b64_e32 v[200:201], v[178:179]
	v_mov_b64_e32 v[198:199], v[176:177]
	;; [unrolled: 1-line block ×6, first 2 shown]
	v_mov_b32_e32 v168, v0
	v_mov_b32_e32 v171, v167
	;; [unrolled: 1-line block ×4, first 2 shown]
	s_waitcnt vmcnt(7)
	v_mov_b32_e32 v142, v108
	scratch_load_dwordx4 v[108:111], off, off offset:1284 ; 16-byte Folded Reload
	scratch_load_dwordx4 v[112:115], off, off offset:1300 ; 16-byte Folded Reload
	scratch_load_dwordx4 v[116:119], off, off offset:1316 ; 16-byte Folded Reload
	scratch_load_dwordx4 v[120:123], off, off offset:1332 ; 16-byte Folded Reload
	scratch_load_dwordx4 v[124:127], off, off offset:1348 ; 16-byte Folded Reload
	scratch_load_dwordx4 v[128:131], off, off offset:1364 ; 16-byte Folded Reload
	scratch_load_dwordx4 v[132:135], off, off offset:1380 ; 16-byte Folded Reload
	scratch_load_dwordx4 v[136:139], off, off offset:1396 ; 16-byte Folded Reload
	s_waitcnt vmcnt(6)
	v_mov_b32_e32 v144, v112
	scratch_load_dwordx4 v[106:109], off, off offset:2180 ; 16-byte Folded Reload
	scratch_load_dwordx4 v[110:113], off, off offset:2196 ; 16-byte Folded Reload
	scratch_load_dwordx4 v[114:117], off, off offset:2212 ; 16-byte Folded Reload
	scratch_load_dwordx4 v[118:121], off, off offset:2228 ; 16-byte Folded Reload
	scratch_load_dwordx4 v[122:125], off, off offset:2244 ; 16-byte Folded Reload
	scratch_load_dwordx4 v[126:129], off, off offset:2260 ; 16-byte Folded Reload
	scratch_load_dwordx4 v[130:133], off, off offset:2276 ; 16-byte Folded Reload
	scratch_load_dwordx4 v[134:137], off, off offset:2292 ; 16-byte Folded Reload
	;; [unrolled: 10-line block ×7, first 2 shown]
	s_waitcnt vmcnt(5)
	v_mov_b32_e32 v151, v117
	scratch_load_dwordx4 v[106:109], off, off ; 16-byte Folded Reload
	scratch_load_dwordx4 v[110:113], off, off offset:16 ; 16-byte Folded Reload
	scratch_load_dwordx4 v[114:117], off, off offset:32 ; 16-byte Folded Reload
	;; [unrolled: 1-line block ×7, first 2 shown]
	s_waitcnt vmcnt(4)
	v_mov_b32_e32 v154, v120
	scratch_load_dwordx4 v[106:109], off, off offset:3084 ; 16-byte Folded Reload
	scratch_load_dwordx4 v[110:113], off, off offset:3100 ; 16-byte Folded Reload
	;; [unrolled: 1-line block ×8, first 2 shown]
	s_nop 0
	scratch_store_dwordx4 off, v[64:67], off offset:384 ; 16-byte Folded Spill
	s_nop 0
	scratch_store_dwordx4 off, v[68:71], off offset:400 ; 16-byte Folded Spill
	scratch_store_dwordx4 off, v[72:75], off offset:416 ; 16-byte Folded Spill
	;; [unrolled: 1-line block ×7, first 2 shown]
	scratch_load_dwordx4 v[46:49], off, off offset:256 ; 16-byte Folded Reload
	s_nop 0
	scratch_load_dwordx4 v[50:53], off, off offset:272 ; 16-byte Folded Reload
	scratch_load_dwordx4 v[54:57], off, off offset:288 ; 16-byte Folded Reload
	;; [unrolled: 1-line block ×7, first 2 shown]
	s_waitcnt vmcnt(19)
	v_mov_b32_e32 v124, v40
	v_mov_b32_e32 v184, v124
	;; [unrolled: 1-line block ×3, first 2 shown]
	v_mov_b64_e32 v[122:123], v[38:39]
	v_mov_b64_e32 v[120:121], v[36:37]
	;; [unrolled: 1-line block ×8, first 2 shown]
	s_waitcnt vmcnt(3)
	v_mov_b32_e32 v159, v65
	s_waitcnt vmcnt(1)
	v_mov_b64_e32 v[56:57], v[140:141]
	v_mov_b64_e32 v[26:27], v[42:43]
	scratch_store_dwordx4 off, v[26:29], off offset:3596 ; 16-byte Folded Spill
	s_nop 0
	scratch_store_dwordx4 off, v[30:33], off offset:3612 ; 16-byte Folded Spill
	scratch_store_dwordx4 off, v[34:37], off offset:3628 ; 16-byte Folded Spill
	;; [unrolled: 1-line block ×7, first 2 shown]
	s_waitcnt vmcnt(8)
	v_mov_b32_e32 v72, v156
	v_mov_b64_e32 v[58:59], v[142:143]
	v_mov_b64_e32 v[60:61], v[144:145]
	v_mov_b64_e32 v[62:63], v[146:147]
	v_mov_b64_e32 v[64:65], v[148:149]
	v_mov_b64_e32 v[66:67], v[150:151]
	v_mov_b64_e32 v[68:69], v[152:153]
	v_mov_b64_e32 v[70:71], v[154:155]
	v_mov_b32_e32 v73, v157
	v_mov_b32_e32 v74, v158
	v_mov_b32_e32 v75, v159
	v_mov_b32_e32 v76, v160
	v_mov_b32_e32 v188, v76
	v_mov_b32_e32 v169, v43
	scratch_load_dwordx4 v[24:27], off, off offset:2828 ; 16-byte Folded Reload
	scratch_load_dwordx4 v[28:31], off, off offset:2844 ; 16-byte Folded Reload
	;; [unrolled: 1-line block ×16, first 2 shown]
	s_waitcnt vmcnt(15)
	v_mov_b32_e32 v170, v26
	s_waitcnt vmcnt(6)
	v_mov_b32_e32 v172, v130
	scratch_load_dwordx4 v[126:129], off, off offset:2180 ; 16-byte Folded Reload
	scratch_load_dwordx4 v[130:133], off, off offset:2196 ; 16-byte Folded Reload
	;; [unrolled: 1-line block ×16, first 2 shown]
	s_waitcnt vmcnt(14)
	v_mov_b32_e32 v173, v131
	s_waitcnt vmcnt(6)
	v_mov_b32_e32 v94, v30
	v_mov_b32_e32 v93, v29
	;; [unrolled: 1-line block ×7, first 2 shown]
	scratch_load_dwordx4 v[126:129], off, off offset:2308 ; 16-byte Folded Reload
	scratch_load_dwordx4 v[130:133], off, off offset:2324 ; 16-byte Folded Reload
	;; [unrolled: 1-line block ×16, first 2 shown]
	v_mov_b32_e32 v174, v94
	s_waitcnt vmcnt(14)
	v_mov_b32_e32 v175, v133
	s_waitcnt vmcnt(5)
	v_mov_b32_e32 v176, v32
	scratch_load_dwordx4 v[24:27], off, off offset:2436 ; 16-byte Folded Reload
	scratch_load_dwordx4 v[28:31], off, off offset:2452 ; 16-byte Folded Reload
	;; [unrolled: 1-line block ×8, first 2 shown]
	s_waitcnt vmcnt(5)
	v_mov_b32_e32 v144, v34
	v_mov_b32_e32 v143, v33
	;; [unrolled: 1-line block ×11, first 2 shown]
	scratch_load_dwordx4 v[24:27], off, off offset:1412 ; 16-byte Folded Reload
	scratch_load_dwordx4 v[28:31], off, off offset:1428 ; 16-byte Folded Reload
	;; [unrolled: 1-line block ×8, first 2 shown]
	v_mov_b32_e32 v178, v144
	s_waitcnt vmcnt(5)
	v_mov_b32_e32 v179, v35
	scratch_load_dwordx4 v[24:27], off, off ; 16-byte Folded Reload
	scratch_load_dwordx4 v[28:31], off, off offset:16 ; 16-byte Folded Reload
	scratch_load_dwordx4 v[32:35], off, off offset:32 ; 16-byte Folded Reload
	;; [unrolled: 1-line block ×7, first 2 shown]
	s_waitcnt vmcnt(5)
	v_mov_b64_e32 v[156:157], v[34:35]
	s_waitcnt vmcnt(4)
	v_mov_b32_e32 v160, v38
	v_mov_b64_e32 v[154:155], v[32:33]
	v_mov_b64_e32 v[152:153], v[30:31]
	;; [unrolled: 1-line block ×5, first 2 shown]
	v_mov_b32_e32 v159, v37
	v_mov_b32_e32 v158, v36
	scratch_load_dwordx4 v[24:27], off, off offset:3084 ; 16-byte Folded Reload
	scratch_load_dwordx4 v[28:31], off, off offset:3100 ; 16-byte Folded Reload
	;; [unrolled: 1-line block ×8, first 2 shown]
	v_mov_b32_e32 v182, v160
	s_waitcnt vmcnt(4)
	v_mov_b32_e32 v183, v39
	scratch_load_dwordx4 v[24:27], off, off offset:2564 ; 16-byte Folded Reload
	scratch_load_dwordx4 v[28:31], off, off offset:2580 ; 16-byte Folded Reload
	scratch_load_dwordx4 v[32:35], off, off offset:2596 ; 16-byte Folded Reload
	scratch_load_dwordx4 v[36:39], off, off offset:2612 ; 16-byte Folded Reload
	scratch_load_dwordx4 v[40:43], off, off offset:2628 ; 16-byte Folded Reload
	scratch_load_dwordx4 v[44:47], off, off offset:2644 ; 16-byte Folded Reload
	scratch_load_dwordx4 v[48:51], off, off offset:2660 ; 16-byte Folded Reload
	scratch_load_dwordx4 v[52:55], off, off offset:2676 ; 16-byte Folded Reload
	s_waitcnt vmcnt(3)
	v_mov_b32_e32 v185, v41
	scratch_load_dwordx4 v[24:27], off, off offset:384 ; 16-byte Folded Reload
	scratch_load_dwordx4 v[28:31], off, off offset:400 ; 16-byte Folded Reload
	scratch_load_dwordx4 v[32:35], off, off offset:416 ; 16-byte Folded Reload
	scratch_load_dwordx4 v[36:39], off, off offset:432 ; 16-byte Folded Reload
	scratch_load_dwordx4 v[40:43], off, off offset:448 ; 16-byte Folded Reload
	scratch_load_dwordx4 v[44:47], off, off offset:464 ; 16-byte Folded Reload
	scratch_load_dwordx4 v[48:51], off, off offset:480 ; 16-byte Folded Reload
	scratch_load_dwordx4 v[52:55], off, off offset:496 ; 16-byte Folded Reload
	;; [unrolled: 10-line block ×3, first 2 shown]
	s_waitcnt vmcnt(2)
	v_mov_b32_e32 v47, v189
	s_barrier
	v_mov_b32_e32 v187, v43
	scratch_store_dwordx4 off, v[26:29], off ; 16-byte Folded Spill
	s_nop 0
	scratch_store_dwordx4 off, v[30:33], off offset:16 ; 16-byte Folded Spill
	scratch_store_dwordx4 off, v[34:37], off offset:32 ; 16-byte Folded Spill
	;; [unrolled: 1-line block ×4, first 2 shown]
	s_waitcnt vmcnt(6)
	scratch_store_dwordx4 off, v[46:49], off offset:80 ; 16-byte Folded Spill
	s_waitcnt vmcnt(6)
	scratch_store_dwordx4 off, v[50:53], off offset:96 ; 16-byte Folded Spill
	scratch_store_dwordx4 off, v[54:57], off offset:112 ; 16-byte Folded Spill
	;; [unrolled: 1-line block ×3, first 2 shown]
	s_nop 0
	scratch_store_dwordx4 off, v[172:175], off offset:528 ; 16-byte Folded Spill
	scratch_store_dwordx4 off, v[176:179], off offset:544 ; 16-byte Folded Spill
	;; [unrolled: 1-line block ×7, first 2 shown]
	v_mov_b32_e32 v32, v76
	scratch_store_dwordx4 off, v[56:59], off offset:128 ; 16-byte Folded Spill
	s_nop 0
	scratch_store_dwordx4 off, v[60:63], off offset:144 ; 16-byte Folded Spill
	scratch_store_dwordx4 off, v[64:67], off offset:160 ; 16-byte Folded Spill
	;; [unrolled: 1-line block ×7, first 2 shown]
	scratch_load_dwordx4 v[34:37], off, off offset:256 ; 16-byte Folded Reload
	s_nop 0
	scratch_load_dwordx4 v[38:41], off, off offset:272 ; 16-byte Folded Reload
	scratch_load_dwordx4 v[42:45], off, off offset:288 ; 16-byte Folded Reload
	;; [unrolled: 1-line block ×7, first 2 shown]
	v_mov_b32_e32 v80, v124
	v_mov_b32_e32 v28, v124
	v_mov_b32_e32 v26, v180
	s_waitcnt vmcnt(3)
	v_mov_b32_e32 v29, v53
	scratch_store_dwordx4 off, v[34:37], off offset:256 ; 16-byte Folded Spill
	s_nop 0
	scratch_store_dwordx4 off, v[38:41], off offset:272 ; 16-byte Folded Spill
	scratch_store_dwordx4 off, v[42:45], off offset:288 ; 16-byte Folded Spill
	scratch_store_dwordx4 off, v[46:49], off offset:304 ; 16-byte Folded Spill
	scratch_store_dwordx4 off, v[50:53], off offset:320 ; 16-byte Folded Spill
	s_waitcnt vmcnt(7)
	scratch_store_dwordx4 off, v[54:57], off offset:336 ; 16-byte Folded Spill
	s_waitcnt vmcnt(7)
	scratch_store_dwordx4 off, v[58:61], off offset:352 ; 16-byte Folded Spill
	;; [unrolled: 2-line block ×3, first 2 shown]
	scratch_load_dwordx4 v[34:37], off, off offset:384 ; 16-byte Folded Reload
	s_nop 0
	scratch_load_dwordx4 v[38:41], off, off offset:400 ; 16-byte Folded Reload
	scratch_load_dwordx4 v[42:45], off, off offset:416 ; 16-byte Folded Reload
	;; [unrolled: 1-line block ×7, first 2 shown]
	s_waitcnt vmcnt(0)
	v_mov_b32_e32 v62, v52
	v_mov_b32_e32 v61, v51
	;; [unrolled: 1-line block ×3, first 2 shown]
	v_mov_b64_e32 v[58:59], v[48:49]
	v_mov_b64_e32 v[56:57], v[46:47]
	;; [unrolled: 1-line block ×8, first 2 shown]
	v_mov_b32_e32 v42, v62
	scratch_store_dwordx4 off, v[44:47], off offset:3340 ; 16-byte Folded Spill
	s_nop 0
	scratch_store_dwordx4 off, v[48:51], off offset:3356 ; 16-byte Folded Spill
	scratch_store_dwordx4 off, v[52:55], off offset:3372 ; 16-byte Folded Spill
	;; [unrolled: 1-line block ×7, first 2 shown]
	scratch_load_dwordx4 v[44:47], off, off offset:2564 ; 16-byte Folded Reload
	s_nop 0
	scratch_load_dwordx4 v[48:51], off, off offset:2580 ; 16-byte Folded Reload
	scratch_load_dwordx4 v[52:55], off, off offset:2596 ; 16-byte Folded Reload
	;; [unrolled: 1-line block ×7, first 2 shown]
	v_mov_b32_e32 v37, v105
	s_waitcnt vmcnt(3)
	v_mov_b32_e32 v25, v61
	scratch_store_dwordx4 off, v[44:47], off offset:384 ; 16-byte Folded Spill
	s_nop 0
	scratch_store_dwordx4 off, v[48:51], off offset:400 ; 16-byte Folded Spill
	scratch_store_dwordx4 off, v[52:55], off offset:416 ; 16-byte Folded Spill
	;; [unrolled: 1-line block ×4, first 2 shown]
	s_waitcnt vmcnt(7)
	scratch_store_dwordx4 off, v[64:67], off offset:464 ; 16-byte Folded Spill
	s_waitcnt vmcnt(7)
	scratch_store_dwordx4 off, v[68:71], off offset:480 ; 16-byte Folded Spill
	;; [unrolled: 2-line block ×3, first 2 shown]
	v_mov_b64_e32 v[64:65], v[108:109]
	v_mov_b64_e32 v[66:67], v[110:111]
	;; [unrolled: 1-line block ×8, first 2 shown]
	scratch_store_dwordx4 off, v[64:67], off offset:640 ; 16-byte Folded Spill
	s_nop 0
	scratch_store_dwordx4 off, v[68:71], off offset:656 ; 16-byte Folded Spill
	scratch_store_dwordx4 off, v[72:75], off offset:672 ; 16-byte Folded Spill
	;; [unrolled: 1-line block ×7, first 2 shown]
	scratch_load_dwordx4 v[44:47], off, off offset:3084 ; 16-byte Folded Reload
	s_nop 0
	scratch_load_dwordx4 v[48:51], off, off offset:3100 ; 16-byte Folded Reload
	scratch_load_dwordx4 v[52:55], off, off offset:3116 ; 16-byte Folded Reload
	;; [unrolled: 1-line block ×7, first 2 shown]
	s_waitcnt vmcnt(3)
	v_mov_b32_e32 v63, v231
	s_waitcnt vmcnt(0)
	v_mov_b64_e32 v[78:79], v[58:59]
	v_mov_b64_e32 v[76:77], v[56:57]
	;; [unrolled: 1-line block ×8, first 2 shown]
	v_mov_b32_e32 v27, v79
	scratch_store_dwordx4 off, v[64:67], off offset:768 ; 16-byte Folded Spill
	s_nop 0
	scratch_store_dwordx4 off, v[68:71], off offset:784 ; 16-byte Folded Spill
	scratch_store_dwordx4 off, v[72:75], off offset:800 ; 16-byte Folded Spill
	;; [unrolled: 1-line block ×7, first 2 shown]
	v_mov_b64_e32 v[64:65], v[146:147]
	v_mov_b32_e32 v76, v158
	v_mov_b64_e32 v[66:67], v[148:149]
	v_mov_b64_e32 v[68:69], v[150:151]
	;; [unrolled: 1-line block ×5, first 2 shown]
	v_mov_b32_e32 v77, v159
	v_mov_b32_e32 v78, v160
	;; [unrolled: 1-line block ×3, first 2 shown]
	scratch_store_dwordx4 off, v[64:67], off offset:3468 ; 16-byte Folded Spill
	s_nop 0
	scratch_store_dwordx4 off, v[68:71], off offset:3484 ; 16-byte Folded Spill
	scratch_store_dwordx4 off, v[72:75], off offset:3500 ; 16-byte Folded Spill
	scratch_store_dwordx4 off, v[76:79], off offset:3516 ; 16-byte Folded Spill
	scratch_store_dwordx4 off, v[80:83], off offset:3532 ; 16-byte Folded Spill
	scratch_store_dwordx4 off, v[84:87], off offset:3548 ; 16-byte Folded Spill
	scratch_store_dwordx4 off, v[88:91], off offset:3564 ; 16-byte Folded Spill
	scratch_store_dwordx4 off, v[92:95], off offset:3580 ; 16-byte Folded Spill
	scratch_store_dwordx4 off, v[218:221], off offset:896 ; 16-byte Folded Spill
	s_nop 0
	scratch_store_dwordx4 off, v[222:225], off offset:912 ; 16-byte Folded Spill
	scratch_store_dwordx4 off, v[226:229], off offset:928 ; 16-byte Folded Spill
	scratch_store_dwordx4 off, v[230:233], off offset:944 ; 16-byte Folded Spill
	scratch_store_dwordx4 off, v[234:237], off offset:960 ; 16-byte Folded Spill
	scratch_store_dwordx4 off, v[238:241], off offset:976 ; 16-byte Folded Spill
	scratch_store_dwordx4 off, v[242:245], off offset:992 ; 16-byte Folded Spill
	scratch_store_dwordx4 off, v[246:249], off offset:1008 ; 16-byte Folded Spill
	;; [unrolled: 9-line block ×3, first 2 shown]
	scratch_load_dwordx4 v[168:171], off, off offset:1412 ; 16-byte Folded Reload
	s_nop 0
	scratch_load_dwordx4 v[172:175], off, off offset:1428 ; 16-byte Folded Reload
	scratch_load_dwordx4 v[176:179], off, off offset:1444 ; 16-byte Folded Reload
	;; [unrolled: 1-line block ×7, first 2 shown]
	v_mov_b32_e32 v86, v88
	v_mov_b32_e32 v87, v89
	;; [unrolled: 1-line block ×8, first 2 shown]
	s_waitcnt vmcnt(5)
	v_mov_b64_e32 v[44:45], v[168:169]
	v_mov_b64_e32 v[46:47], v[170:171]
	;; [unrolled: 1-line block ×6, first 2 shown]
	v_mov_b32_e32 v35, v55
	scratch_store_dwordx4 off, v[44:47], off offset:1156 ; 16-byte Folded Spill
	s_nop 0
	scratch_store_dwordx4 off, v[48:51], off offset:1172 ; 16-byte Folded Spill
	scratch_store_dwordx4 off, v[52:55], off offset:1188 ; 16-byte Folded Spill
	scratch_store_dwordx4 off, v[56:59], off offset:1204 ; 16-byte Folded Spill
	scratch_store_dwordx4 off, v[60:63], off offset:1220 ; 16-byte Folded Spill
	scratch_store_dwordx4 off, v[64:67], off offset:1236 ; 16-byte Folded Spill
	scratch_store_dwordx4 off, v[68:71], off offset:1252 ; 16-byte Folded Spill
	scratch_store_dwordx4 off, v[72:75], off offset:1268 ; 16-byte Folded Spill
	v_mov_b32_e32 v44, v134
	v_mov_b32_e32 v45, v135
	;; [unrolled: 1-line block ×12, first 2 shown]
	scratch_store_dwordx4 off, v[44:47], off offset:1540 ; 16-byte Folded Spill
	s_nop 0
	scratch_store_dwordx4 off, v[48:51], off offset:1556 ; 16-byte Folded Spill
	scratch_store_dwordx4 off, v[52:55], off offset:1572 ; 16-byte Folded Spill
	;; [unrolled: 1-line block ×8, first 2 shown]
	s_nop 0
	scratch_store_dwordx4 off, v[100:103], off offset:1684 ; 16-byte Folded Spill
	scratch_store_dwordx4 off, v[104:107], off offset:1700 ; 16-byte Folded Spill
	;; [unrolled: 1-line block ×7, first 2 shown]
	scratch_load_dwordx4 v[168:171], off, off offset:1796 ; 16-byte Folded Reload
	scratch_load_dwordx4 v[172:175], off, off offset:1812 ; 16-byte Folded Reload
	;; [unrolled: 1-line block ×8, first 2 shown]
	s_waitcnt vmcnt(5)
	v_mov_b32_e32 v44, v168
	v_mov_b32_e32 v45, v169
	;; [unrolled: 1-line block ×9, first 2 shown]
	scratch_store_dwordx4 off, v[44:47], off offset:1924 ; 16-byte Folded Spill
	s_nop 0
	scratch_store_dwordx4 off, v[48:51], off offset:1940 ; 16-byte Folded Spill
	scratch_store_dwordx4 off, v[52:55], off offset:1956 ; 16-byte Folded Spill
	;; [unrolled: 1-line block ×7, first 2 shown]
	v_mov_b64_e32 v[44:45], v[126:127]
	v_mov_b64_e32 v[46:47], v[128:129]
	;; [unrolled: 1-line block ×4, first 2 shown]
	v_mov_b32_e32 v39, v51
	scratch_store_dwordx4 off, v[44:47], off offset:2052 ; 16-byte Folded Spill
	s_nop 0
	scratch_store_dwordx4 off, v[48:51], off offset:2068 ; 16-byte Folded Spill
	scratch_store_dwordx4 off, v[52:55], off offset:2084 ; 16-byte Folded Spill
	;; [unrolled: 1-line block ×7, first 2 shown]
	scratch_load_dwordx4 v[94:97], off, off offset:2180 ; 16-byte Folded Reload
	scratch_load_dwordx4 v[98:101], off, off offset:2196 ; 16-byte Folded Reload
	;; [unrolled: 1-line block ×8, first 2 shown]
	s_waitcnt vmcnt(6)
	v_mov_b64_e32 v[44:45], v[94:95]
	v_mov_b64_e32 v[46:47], v[96:97]
	;; [unrolled: 1-line block ×3, first 2 shown]
	v_mov_b32_e32 v41, v49
	scratch_store_dwordx4 off, v[44:47], off offset:2700 ; 16-byte Folded Spill
	s_nop 0
	scratch_store_dwordx4 off, v[48:51], off offset:2716 ; 16-byte Folded Spill
	scratch_store_dwordx4 off, v[52:55], off offset:2732 ; 16-byte Folded Spill
	;; [unrolled: 1-line block ×7, first 2 shown]
	v_mov_b64_e32 v[44:45], v[164:165]
	v_mov_b64_e32 v[46:47], v[166:167]
	scratch_load_dwordx4 v[118:121], off, off offset:1284 ; 16-byte Folded Reload
	scratch_load_dwordx4 v[122:125], off, off offset:1300 ; 16-byte Folded Reload
	;; [unrolled: 1-line block ×8, first 2 shown]
	s_nop 0
	scratch_store_dwordx4 off, v[44:47], off offset:3212 ; 16-byte Folded Spill
	s_nop 0
	scratch_store_dwordx4 off, v[48:51], off offset:3228 ; 16-byte Folded Spill
	scratch_store_dwordx4 off, v[52:55], off offset:3244 ; 16-byte Folded Spill
	;; [unrolled: 1-line block ×7, first 2 shown]
	scratch_load_dwordx4 v[124:127], off, off offset:2828 ; 16-byte Folded Reload
	scratch_load_dwordx4 v[128:131], off, off offset:2844 ; 16-byte Folded Reload
	;; [unrolled: 1-line block ×8, first 2 shown]
	s_waitcnt vmcnt(22)
	v_mov_b32_e32 v40, v122
	s_waitcnt vmcnt(7)
	v_mov_b32_e32 v44, v124
	v_mov_b32_e32 v45, v125
	;; [unrolled: 1-line block ×3, first 2 shown]
	scratch_store_dwordx4 off, v[44:47], off offset:3724 ; 16-byte Folded Spill
	s_nop 0
	scratch_store_dwordx4 off, v[48:51], off offset:3740 ; 16-byte Folded Spill
	scratch_store_dwordx4 off, v[52:55], off offset:3756 ; 16-byte Folded Spill
	;; [unrolled: 1-line block ×7, first 2 shown]
	s_mov_b64 s[18:19], exec
	s_and_b64 s[20:21], s[18:19], vcc
	v_mov_b32_e32 v36, v52
	v_mov_b32_e32 v44, v46
	v_mov_b32_e32 v31, v47
	s_mov_b64 exec, s[20:21]
	s_cbranch_execz .LBB46_31
; %bb.30:
	v_mov_b32_e32 v45, v31
	v_mov_b32_e32 v62, v26
	;; [unrolled: 1-line block ×8, first 2 shown]
	scratch_load_dwordx4 v[2:5], off, off   ; 16-byte Folded Reload
	scratch_load_dwordx4 v[6:9], off, off offset:16 ; 16-byte Folded Reload
	scratch_load_dwordx4 v[10:13], off, off offset:32 ; 16-byte Folded Reload
	;; [unrolled: 1-line block ×7, first 2 shown]
	v_div_scale_f32 v1, s[20:21], v252, v252, 1.0
	s_waitcnt vmcnt(7)
	v_rcp_f32_e32 v2, v1
	s_waitcnt vmcnt(2)
	v_mov_b32_e32 v51, v23
	v_fma_f32 v3, -v1, v2, 1.0
	v_fmac_f32_e32 v2, v3, v2
	v_div_scale_f32 v3, vcc, 1.0, v252, 1.0
	v_mul_f32_e32 v4, v3, v2
	v_fma_f32 v5, -v1, v4, v3
	v_fmac_f32_e32 v4, v5, v2
	v_fma_f32 v1, -v1, v4, v3
	v_div_fmas_f32 v1, v1, v2, v4
	scratch_load_dwordx4 v[2:5], off, off offset:3596 ; 16-byte Folded Reload
	scratch_load_dwordx4 v[6:9], off, off offset:3612 ; 16-byte Folded Reload
	;; [unrolled: 1-line block ×8, first 2 shown]
	v_div_fixup_f32 v1, v1, v252, 1.0
	v_cndmask_b32_e64 v1, v252, v1, s[2:3]
	v_mov_b32_e32 v252, v254
	v_mov_b32_e32 v254, v253
	s_waitcnt vmcnt(2)
	v_mul_f32_e32 v22, v3, v1
	ds_read2_b32 v[2:3], v250 offset0:2 offset1:3
	ds_read2_b32 v[4:5], v250 offset0:4 offset1:5
	;; [unrolled: 1-line block ×4, first 2 shown]
	v_mov_b32_e32 v1, v22
	s_waitcnt lgkmcnt(3)
	v_pk_fma_f32 v[44:45], v[22:23], v[2:3], v[44:45] op_sel_hi:[0,1,1] neg_lo:[1,0,0] neg_hi:[1,0,0]
	s_waitcnt lgkmcnt(2)
	v_pk_fma_f32 v[40:41], v[22:23], v[4:5], v[40:41] op_sel_hi:[0,1,1] neg_lo:[1,0,0] neg_hi:[1,0,0]
	;; [unrolled: 2-line block ×4, first 2 shown]
	ds_read2_b32 v[2:3], v250 offset0:10 offset1:11
	ds_read2_b32 v[4:5], v250 offset0:12 offset1:13
	;; [unrolled: 1-line block ×4, first 2 shown]
	s_waitcnt lgkmcnt(3)
	v_pk_fma_f32 v[34:35], v[22:23], v[2:3], v[34:35] op_sel_hi:[0,1,1] neg_lo:[1,0,0] neg_hi:[1,0,0]
	s_waitcnt lgkmcnt(2)
	v_pk_fma_f32 v[62:63], v[22:23], v[4:5], v[62:63] op_sel_hi:[0,1,1] neg_lo:[1,0,0] neg_hi:[1,0,0]
	;; [unrolled: 2-line block ×3, first 2 shown]
	ds_read2_b32 v[2:3], v250 offset0:18 offset1:19
	ds_read2_b32 v[4:5], v250 offset0:20 offset1:21
	;; [unrolled: 1-line block ×3, first 2 shown]
	s_waitcnt lgkmcnt(3)
	v_pk_fma_f32 v[48:49], v[22:23], v[8:9], v[48:49] op_sel_hi:[0,1,1] neg_lo:[1,0,0] neg_hi:[1,0,0]
	s_waitcnt lgkmcnt(2)
	v_pk_fma_f32 v[42:43], v[22:23], v[2:3], v[42:43] op_sel_hi:[0,1,1] neg_lo:[1,0,0] neg_hi:[1,0,0]
	;; [unrolled: 2-line block ×4, first 2 shown]
	scratch_store_dwordx4 off, v[0:3], off offset:3596 ; 16-byte Folded Spill
	s_nop 0
	scratch_store_dwordx4 off, v[4:7], off offset:3612 ; 16-byte Folded Spill
	scratch_store_dwordx4 off, v[8:11], off offset:3628 ; 16-byte Folded Spill
	;; [unrolled: 1-line block ×5, first 2 shown]
	s_waitcnt vmcnt(7)
	scratch_store_dwordx4 off, v[24:27], off offset:3692 ; 16-byte Folded Spill
	s_waitcnt vmcnt(7)
	scratch_store_dwordx4 off, v[28:31], off offset:3708 ; 16-byte Folded Spill
	v_mov_b32_e32 v2, v44
	v_mov_b32_e32 v253, v254
	;; [unrolled: 1-line block ×3, first 2 shown]
	scratch_store_dwordx4 off, v[0:3], off offset:3724 ; 16-byte Folded Spill
	s_nop 0
	scratch_store_dwordx4 off, v[4:7], off offset:3740 ; 16-byte Folded Spill
	scratch_store_dwordx4 off, v[8:11], off offset:3756 ; 16-byte Folded Spill
	;; [unrolled: 1-line block ×7, first 2 shown]
	v_mov_b32_e32 v3, v45
	scratch_store_dwordx4 off, v[0:3], off offset:3212 ; 16-byte Folded Spill
	s_nop 0
	scratch_store_dwordx4 off, v[4:7], off offset:3228 ; 16-byte Folded Spill
	scratch_store_dwordx4 off, v[8:11], off offset:3244 ; 16-byte Folded Spill
	;; [unrolled: 1-line block ×7, first 2 shown]
	v_mov_b32_e32 v4, v40
	v_mov_b64_e32 v[148:149], v[30:31]
	v_mov_b64_e32 v[146:147], v[28:29]
	;; [unrolled: 1-line block ×16, first 2 shown]
	v_mov_b32_e32 v5, v41
	scratch_store_dwordx4 off, v[0:3], off offset:2700 ; 16-byte Folded Spill
	s_nop 0
	scratch_store_dwordx4 off, v[4:7], off offset:2716 ; 16-byte Folded Spill
	scratch_store_dwordx4 off, v[8:11], off offset:2732 ; 16-byte Folded Spill
	;; [unrolled: 1-line block ×7, first 2 shown]
	v_mov_b32_e32 v6, v38
	v_mov_b64_e32 v[116:117], v[30:31]
	v_mov_b64_e32 v[114:115], v[28:29]
	;; [unrolled: 1-line block ×16, first 2 shown]
	v_mov_b32_e32 v7, v39
	scratch_store_dwordx4 off, v[0:3], off offset:2052 ; 16-byte Folded Spill
	s_nop 0
	scratch_store_dwordx4 off, v[4:7], off offset:2068 ; 16-byte Folded Spill
	scratch_store_dwordx4 off, v[8:11], off offset:2084 ; 16-byte Folded Spill
	scratch_store_dwordx4 off, v[12:15], off offset:2100 ; 16-byte Folded Spill
	scratch_store_dwordx4 off, v[16:19], off offset:2116 ; 16-byte Folded Spill
	scratch_store_dwordx4 off, v[20:23], off offset:2132 ; 16-byte Folded Spill
	scratch_store_dwordx4 off, v[24:27], off offset:2148 ; 16-byte Folded Spill
	scratch_store_dwordx4 off, v[28:31], off offset:2164 ; 16-byte Folded Spill
	v_mov_b32_e32 v8, v36
	scratch_store_dwordx4 off, v[0:3], off offset:1924 ; 16-byte Folded Spill
	s_nop 0
	scratch_store_dwordx4 off, v[4:7], off offset:1940 ; 16-byte Folded Spill
	scratch_store_dwordx4 off, v[8:11], off offset:1956 ; 16-byte Folded Spill
	scratch_store_dwordx4 off, v[12:15], off offset:1972 ; 16-byte Folded Spill
	scratch_store_dwordx4 off, v[16:19], off offset:1988 ; 16-byte Folded Spill
	scratch_store_dwordx4 off, v[20:23], off offset:2004 ; 16-byte Folded Spill
	scratch_store_dwordx4 off, v[24:27], off offset:2020 ; 16-byte Folded Spill
	scratch_store_dwordx4 off, v[28:31], off offset:2036 ; 16-byte Folded Spill
	;; [unrolled: 10-line block ×15, first 2 shown]
	v_mov_b32_e32 v22, v254
	v_mov_b32_e32 v23, v255
	;; [unrolled: 1-line block ×11, first 2 shown]
	scratch_store_dwordx4 off, v[22:25], off ; 16-byte Folded Spill
	s_nop 0
	scratch_store_dwordx4 off, v[26:29], off offset:16 ; 16-byte Folded Spill
	scratch_store_dwordx4 off, v[30:33], off offset:32 ; 16-byte Folded Spill
	;; [unrolled: 1-line block ×7, first 2 shown]
.LBB46_31:
	s_or_b64 exec, exec, s[18:19]
	v_lshl_add_u32 v43, v251, 2, v250
	s_waitcnt vmcnt(63) expcnt(7) lgkmcnt(15)
	s_barrier
	ds_write_b32 v43, v44
	s_waitcnt lgkmcnt(0)
	s_barrier
	ds_read_b32 v43, v250 offset:8
	v_mov_b32_e32 v30, v44
	s_cmp_lt_i32 s22, 4
	v_mov_b32_e32 v44, 2
	s_cbranch_scc1 .LBB46_34
; %bb.32:
	scratch_load_dwordx4 v[170:173], off, off offset:3340 ; 16-byte Folded Reload
	scratch_load_dwordx4 v[174:177], off, off offset:3356 ; 16-byte Folded Reload
	;; [unrolled: 1-line block ×8, first 2 shown]
	v_mov_b32_e32 v44, 2
	v_add3_u32 v45, v254, 0, 12
	s_mov_b32 s18, 3
.LBB46_33:                              ; =>This Inner Loop Header: Depth=1
	ds_read_b32 v46, v45
	v_add_u32_e32 v45, 4, v45
	s_waitcnt lgkmcnt(0)
	v_cmp_lt_f32_e64 vcc, |v43|, |v46|
	s_nop 1
	v_cndmask_b32_e32 v43, v43, v46, vcc
	v_mov_b32_e32 v46, s18
	s_add_i32 s18, s18, 1
	v_cndmask_b32_e32 v44, v44, v46, vcc
	s_cmp_lg_u32 s22, s18
	s_cbranch_scc1 .LBB46_33
	s_branch .LBB46_35
.LBB46_34:
	scratch_load_dwordx4 v[170:173], off, off offset:3340 ; 16-byte Folded Reload
	scratch_load_dwordx4 v[174:177], off, off offset:3356 ; 16-byte Folded Reload
	scratch_load_dwordx4 v[178:181], off, off offset:3372 ; 16-byte Folded Reload
	scratch_load_dwordx4 v[182:185], off, off offset:3388 ; 16-byte Folded Reload
	scratch_load_dwordx4 v[186:189], off, off offset:3404 ; 16-byte Folded Reload
	scratch_load_dwordx4 v[190:193], off, off offset:3420 ; 16-byte Folded Reload
	scratch_load_dwordx4 v[194:197], off, off offset:3436 ; 16-byte Folded Reload
	scratch_load_dwordx4 v[198:201], off, off offset:3452 ; 16-byte Folded Reload
.LBB46_35:
	scratch_load_dwordx4 v[216:219], off, off offset:3468 ; 16-byte Folded Reload
	scratch_load_dwordx4 v[220:223], off, off offset:3484 ; 16-byte Folded Reload
	;; [unrolled: 1-line block ×8, first 2 shown]
	v_cndmask_b32_e64 v45, 2, 1, s[0:1]
	v_cndmask_b32_e64 v46, 0, 1, s[0:1]
	v_mov_b32_e32 v84, v254
	v_cndmask_b32_e64 v254, v45, v46, s[2:3]
	s_waitcnt lgkmcnt(0)
	v_cmp_eq_f32_e32 vcc, 0, v43
	s_and_saveexec_b64 s[0:1], vcc
	s_xor_b64 s[0:1], exec, s[0:1]
; %bb.36:
	v_cmp_ne_u32_e32 vcc, 0, v254
	s_nop 1
	v_cndmask_b32_e32 v254, 3, v254, vcc
; %bb.37:
	s_andn2_saveexec_b64 s[0:1], s[0:1]
	s_cbranch_execz .LBB46_39
; %bb.38:
	v_div_scale_f32 v45, s[2:3], v43, v43, 1.0
	v_rcp_f32_e32 v46, v45
	v_div_scale_f32 v47, vcc, 1.0, v43, 1.0
	v_fma_f32 v48, -v45, v46, 1.0
	v_fmac_f32_e32 v46, v48, v46
	v_mul_f32_e32 v48, v47, v46
	v_fma_f32 v49, -v45, v48, v47
	v_fmac_f32_e32 v48, v49, v46
	v_fma_f32 v45, -v45, v48, v47
	v_div_fmas_f32 v45, v45, v46, v48
	v_div_fixup_f32 v43, v45, v43, 1.0
.LBB46_39:
	s_or_b64 exec, exec, s[0:1]
	v_cmp_ne_u32_e32 vcc, v251, v44
	s_and_saveexec_b64 s[0:1], vcc
	s_xor_b64 s[0:1], exec, s[0:1]
	s_cbranch_execz .LBB46_45
; %bb.40:
	v_cmp_eq_u32_e32 vcc, 2, v251
	s_and_saveexec_b64 s[2:3], vcc
	s_cbranch_execz .LBB46_44
; %bb.41:
	v_cmp_ne_u32_e32 vcc, 2, v44
	s_xor_b64 s[18:19], s[16:17], -1
	s_and_b64 s[20:21], s[18:19], vcc
	s_and_saveexec_b64 s[18:19], s[20:21]
	s_cbranch_execz .LBB46_43
; %bb.42:
	scratch_load_dwordx2 v[50:51], off, off offset:2692 ; 8-byte Folded Reload
	v_ashrrev_i32_e32 v45, 31, v44
	s_waitcnt vmcnt(0)
	v_lshl_add_u64 v[46:47], v[44:45], 2, v[50:51]
	global_load_dword v45, v[46:47], off
	global_load_dword v48, v[50:51], off offset:8
	s_waitcnt vmcnt(1)
	global_store_dword v[50:51], v45, off offset:8
	s_waitcnt vmcnt(1)
	global_store_dword v[46:47], v48, off
.LBB46_43:
	s_or_b64 exec, exec, s[18:19]
	v_mov_b32_e32 v45, v44
	v_mov_b32_e32 v251, v44
	scratch_store_dword off, v45, off offset:1024 ; 4-byte Folded Spill
.LBB46_44:
	s_or_b64 exec, exec, s[2:3]
.LBB46_45:
	s_andn2_saveexec_b64 s[0:1], s[0:1]
	s_cbranch_execz .LBB46_47
; %bb.46:
	v_mov_b32_e32 v251, 2
	ds_write2_b32 v250, v3, v4 offset0:3 offset1:4
	ds_write2_b32 v250, v5, v6 offset0:5 offset1:6
	;; [unrolled: 1-line block ×10, first 2 shown]
	ds_write_b32 v250, v255 offset:92
.LBB46_47:
	s_or_b64 exec, exec, s[0:1]
	v_cmp_lt_i32_e32 vcc, 2, v251
	s_waitcnt lgkmcnt(0)
	s_barrier
	s_and_saveexec_b64 s[0:1], vcc
	s_cbranch_execz .LBB46_49
; %bb.48:
	scratch_load_dwordx4 v[124:127], off, off offset:3596 ; 16-byte Folded Reload
	scratch_load_dwordx4 v[128:131], off, off offset:3612 ; 16-byte Folded Reload
	;; [unrolled: 1-line block ×8, first 2 shown]
	ds_read2_b32 v[0:1], v250 offset0:3 offset1:4
	ds_read2_b32 v[24:25], v250 offset0:5 offset1:6
	;; [unrolled: 1-line block ×4, first 2 shown]
	s_waitcnt vmcnt(7)
	v_mul_f32_e32 v126, v30, v43
	v_mov_b32_e32 v2, v3
	v_mov_b32_e32 v3, v4
	;; [unrolled: 1-line block ×7, first 2 shown]
	s_waitcnt lgkmcnt(3)
	v_pk_fma_f32 v[44:45], v[126:127], v[0:1], v[2:3] op_sel_hi:[0,1,1] neg_lo:[1,0,0] neg_hi:[1,0,0]
	v_mov_b32_e32 v0, v5
	v_mov_b32_e32 v1, v6
	s_waitcnt lgkmcnt(2)
	v_pk_fma_f32 v[46:47], v[126:127], v[24:25], v[0:1] op_sel_hi:[0,1,1] neg_lo:[1,0,0] neg_hi:[1,0,0]
	v_mov_b32_e32 v0, v7
	v_mov_b32_e32 v1, v8
	s_waitcnt lgkmcnt(1)
	v_pk_fma_f32 v[48:49], v[126:127], v[26:27], v[0:1] op_sel_hi:[0,1,1] neg_lo:[1,0,0] neg_hi:[1,0,0]
	v_mov_b32_e32 v0, v9
	v_mov_b32_e32 v1, v10
	s_waitcnt lgkmcnt(0)
	v_pk_fma_f32 v[50:51], v[126:127], v[28:29], v[0:1] op_sel_hi:[0,1,1] neg_lo:[1,0,0] neg_hi:[1,0,0]
	ds_read2_b32 v[0:1], v250 offset0:11 offset1:12
	ds_read2_b32 v[4:5], v250 offset0:13 offset1:14
	;; [unrolled: 1-line block ×4, first 2 shown]
	v_mov_b32_e32 v2, v11
	v_mov_b32_e32 v3, v12
	;; [unrolled: 1-line block ×3, first 2 shown]
	s_waitcnt lgkmcnt(3)
	v_pk_fma_f32 v[52:53], v[126:127], v[0:1], v[2:3] op_sel_hi:[0,1,1] neg_lo:[1,0,0] neg_hi:[1,0,0]
	v_mov_b32_e32 v0, v13
	v_mov_b32_e32 v1, v14
	s_waitcnt lgkmcnt(2)
	v_pk_fma_f32 v[54:55], v[126:127], v[4:5], v[0:1] op_sel_hi:[0,1,1] neg_lo:[1,0,0] neg_hi:[1,0,0]
	v_mov_b32_e32 v0, v15
	v_mov_b32_e32 v1, v16
	;; [unrolled: 4-line block ×3, first 2 shown]
	s_waitcnt lgkmcnt(0)
	v_pk_fma_f32 v[80:81], v[126:127], v[8:9], v[0:1] op_sel_hi:[0,1,1] neg_lo:[1,0,0] neg_hi:[1,0,0]
	ds_read2_b32 v[0:1], v250 offset0:19 offset1:20
	ds_read2_b32 v[4:5], v250 offset0:21 offset1:22
	ds_read_b32 v6, v250 offset:92
	v_mov_b32_e32 v2, v19
	v_mov_b32_e32 v3, v20
	;; [unrolled: 1-line block ×3, first 2 shown]
	s_waitcnt lgkmcnt(2)
	v_pk_fma_f32 v[82:83], v[126:127], v[0:1], v[2:3] op_sel_hi:[0,1,1] neg_lo:[1,0,0] neg_hi:[1,0,0]
	v_mov_b32_e32 v0, v21
	v_mov_b32_e32 v1, v22
	s_waitcnt lgkmcnt(1)
	v_pk_fma_f32 v[252:253], v[126:127], v[4:5], v[0:1] op_sel_hi:[0,1,1] neg_lo:[1,0,0] neg_hi:[1,0,0]
	v_mov_b32_e32 v0, v124
	v_mov_b32_e32 v1, v125
	;; [unrolled: 1-line block ×6, first 2 shown]
	scratch_store_dwordx4 off, v[0:3], off offset:2700 ; 16-byte Folded Spill
	s_waitcnt lgkmcnt(0)
	scratch_store_dwordx4 off, v[4:7], off offset:2716 ; 16-byte Folded Spill
	scratch_store_dwordx4 off, v[8:11], off offset:2732 ; 16-byte Folded Spill
	;; [unrolled: 1-line block ×7, first 2 shown]
	v_mov_b32_e32 v8, v124
	v_mov_b32_e32 v9, v125
	;; [unrolled: 1-line block ×50, first 2 shown]
	scratch_store_dwordx4 off, v[8:11], off offset:2052 ; 16-byte Folded Spill
	s_nop 0
	scratch_store_dwordx4 off, v[12:15], off offset:2068 ; 16-byte Folded Spill
	scratch_store_dwordx4 off, v[16:19], off offset:2084 ; 16-byte Folded Spill
	;; [unrolled: 1-line block ×7, first 2 shown]
	v_mov_b32_e32 v16, v49
	v_mov_b32_e32 v225, v50
	;; [unrolled: 1-line block ×25, first 2 shown]
	scratch_store_dwordx4 off, v[8:11], off offset:1924 ; 16-byte Folded Spill
	s_nop 0
	scratch_store_dwordx4 off, v[12:15], off offset:1940 ; 16-byte Folded Spill
	scratch_store_dwordx4 off, v[16:19], off offset:1956 ; 16-byte Folded Spill
	scratch_store_dwordx4 off, v[20:23], off offset:1972 ; 16-byte Folded Spill
	scratch_store_dwordx4 off, v[24:27], off offset:1988 ; 16-byte Folded Spill
	scratch_store_dwordx4 off, v[28:31], off offset:2004 ; 16-byte Folded Spill
	scratch_store_dwordx4 off, v[32:35], off offset:2020 ; 16-byte Folded Spill
	scratch_store_dwordx4 off, v[36:39], off offset:2036 ; 16-byte Folded Spill
	v_mov_b32_e32 v17, v50
	scratch_store_dwordx4 off, v[8:11], off offset:1668 ; 16-byte Folded Spill
	s_nop 0
	scratch_store_dwordx4 off, v[12:15], off offset:1684 ; 16-byte Folded Spill
	scratch_store_dwordx4 off, v[16:19], off offset:1700 ; 16-byte Folded Spill
	scratch_store_dwordx4 off, v[20:23], off offset:1716 ; 16-byte Folded Spill
	scratch_store_dwordx4 off, v[24:27], off offset:1732 ; 16-byte Folded Spill
	scratch_store_dwordx4 off, v[28:31], off offset:1748 ; 16-byte Folded Spill
	scratch_store_dwordx4 off, v[32:35], off offset:1764 ; 16-byte Folded Spill
	scratch_store_dwordx4 off, v[36:39], off offset:1780 ; 16-byte Folded Spill
	v_mov_b32_e32 v18, v51
	;; [unrolled: 10-line block ×6, first 2 shown]
	v_mov_b32_e32 v23, v78
	scratch_store_dwordx4 off, v[8:11], off offset:768 ; 16-byte Folded Spill
	s_nop 0
	scratch_store_dwordx4 off, v[12:15], off offset:784 ; 16-byte Folded Spill
	scratch_store_dwordx4 off, v[16:19], off offset:800 ; 16-byte Folded Spill
	scratch_store_dwordx4 off, v[20:23], off offset:816 ; 16-byte Folded Spill
	scratch_store_dwordx4 off, v[24:27], off offset:832 ; 16-byte Folded Spill
	scratch_store_dwordx4 off, v[28:31], off offset:848 ; 16-byte Folded Spill
	scratch_store_dwordx4 off, v[32:35], off offset:864 ; 16-byte Folded Spill
	scratch_store_dwordx4 off, v[36:39], off offset:880 ; 16-byte Folded Spill
	v_mov_b32_e32 v24, v79
	scratch_store_dwordx4 off, v[8:11], off offset:640 ; 16-byte Folded Spill
	s_nop 0
	scratch_store_dwordx4 off, v[12:15], off offset:656 ; 16-byte Folded Spill
	scratch_store_dwordx4 off, v[16:19], off offset:672 ; 16-byte Folded Spill
	scratch_store_dwordx4 off, v[20:23], off offset:688 ; 16-byte Folded Spill
	scratch_store_dwordx4 off, v[24:27], off offset:704 ; 16-byte Folded Spill
	scratch_store_dwordx4 off, v[28:31], off offset:720 ; 16-byte Folded Spill
	scratch_store_dwordx4 off, v[32:35], off offset:736 ; 16-byte Folded Spill
	scratch_store_dwordx4 off, v[36:39], off offset:752 ; 16-byte Folded Spill
	;; [unrolled: 10-line block ×3, first 2 shown]
	v_mov_b32_e32 v26, v81
	v_mov_b32_e32 v27, v82
	scratch_store_dwordx4 off, v[8:11], off offset:256 ; 16-byte Folded Spill
	s_nop 0
	scratch_store_dwordx4 off, v[12:15], off offset:272 ; 16-byte Folded Spill
	scratch_store_dwordx4 off, v[16:19], off offset:288 ; 16-byte Folded Spill
	;; [unrolled: 1-line block ×7, first 2 shown]
	v_mov_b32_e32 v28, v83
	scratch_store_dwordx4 off, v[8:11], off offset:128 ; 16-byte Folded Spill
	s_nop 0
	scratch_store_dwordx4 off, v[12:15], off offset:144 ; 16-byte Folded Spill
	scratch_store_dwordx4 off, v[16:19], off offset:160 ; 16-byte Folded Spill
	;; [unrolled: 1-line block ×8, first 2 shown]
	s_nop 0
	scratch_store_dwordx4 off, v[60:63], off offset:528 ; 16-byte Folded Spill
	scratch_store_dwordx4 off, v[64:67], off offset:544 ; 16-byte Folded Spill
	scratch_store_dwordx4 off, v[68:71], off offset:560 ; 16-byte Folded Spill
	scratch_store_dwordx4 off, v[72:75], off offset:576 ; 16-byte Folded Spill
	scratch_store_dwordx4 off, v[76:79], off offset:592 ; 16-byte Folded Spill
	scratch_store_dwordx4 off, v[80:83], off offset:608 ; 16-byte Folded Spill
	scratch_store_dwordx4 off, v[84:87], off offset:624 ; 16-byte Folded Spill
	v_fma_f32 v23, -v126, v6, v255
	v_mov_b32_e32 v6, v47
	v_mov_b32_e32 v8, v49
	;; [unrolled: 1-line block ×21, first 2 shown]
	scratch_store_dwordx4 off, v[124:127], off offset:3212 ; 16-byte Folded Spill
	s_waitcnt vmcnt(62)
	scratch_store_dwordx4 off, v[128:131], off offset:3228 ; 16-byte Folded Spill
	scratch_store_dwordx4 off, v[132:135], off offset:3244 ; 16-byte Folded Spill
	;; [unrolled: 1-line block ×8, first 2 shown]
	s_nop 0
	scratch_store_dwordx4 off, v[128:131], off offset:3740 ; 16-byte Folded Spill
	scratch_store_dwordx4 off, v[132:135], off offset:3756 ; 16-byte Folded Spill
	;; [unrolled: 1-line block ×7, first 2 shown]
	v_mov_b32_e32 v15, v78
	v_mov_b32_e32 v16, v79
	;; [unrolled: 1-line block ×11, first 2 shown]
	scratch_store_dwordx4 off, v[22:25], off ; 16-byte Folded Spill
	s_nop 0
	scratch_store_dwordx4 off, v[26:29], off offset:16 ; 16-byte Folded Spill
	scratch_store_dwordx4 off, v[30:33], off offset:32 ; 16-byte Folded Spill
	;; [unrolled: 1-line block ×7, first 2 shown]
.LBB46_49:
	s_or_b64 exec, exec, s[0:1]
	v_lshl_add_u32 v43, v251, 2, v250
	s_waitcnt vmcnt(63) expcnt(7) lgkmcnt(15)
	s_barrier
	ds_write_b32 v43, v31
	s_waitcnt lgkmcnt(0)
	s_barrier
	ds_read_b32 v43, v250 offset:12
	s_cmp_lt_i32 s22, 5
	v_mov_b32_e32 v44, 3
	s_cbranch_scc1 .LBB46_52
; %bb.50:
	v_add3_u32 v45, v84, 0, 16
	v_mov_b32_e32 v44, 3
	s_mov_b32 s0, 4
.LBB46_51:                              ; =>This Inner Loop Header: Depth=1
	ds_read_b32 v46, v45
	v_add_u32_e32 v45, 4, v45
	s_waitcnt lgkmcnt(0)
	v_cmp_lt_f32_e64 vcc, |v43|, |v46|
	s_nop 1
	v_cndmask_b32_e32 v43, v43, v46, vcc
	v_mov_b32_e32 v46, s0
	s_add_i32 s0, s0, 1
	v_cndmask_b32_e32 v44, v44, v46, vcc
	s_cmp_lg_u32 s22, s0
	s_cbranch_scc1 .LBB46_51
.LBB46_52:
	s_waitcnt lgkmcnt(0)
	v_cmp_eq_f32_e32 vcc, 0, v43
	s_and_saveexec_b64 s[0:1], vcc
	s_xor_b64 s[0:1], exec, s[0:1]
; %bb.53:
	v_cmp_ne_u32_e32 vcc, 0, v254
	s_nop 1
	v_cndmask_b32_e32 v254, 4, v254, vcc
; %bb.54:
	s_andn2_saveexec_b64 s[0:1], s[0:1]
	s_cbranch_execz .LBB46_56
; %bb.55:
	v_div_scale_f32 v45, s[2:3], v43, v43, 1.0
	v_rcp_f32_e32 v46, v45
	v_div_scale_f32 v47, vcc, 1.0, v43, 1.0
	v_fma_f32 v48, -v45, v46, 1.0
	v_fmac_f32_e32 v46, v48, v46
	v_mul_f32_e32 v48, v47, v46
	v_fma_f32 v49, -v45, v48, v47
	v_fmac_f32_e32 v48, v49, v46
	v_fma_f32 v45, -v45, v48, v47
	v_div_fmas_f32 v45, v45, v46, v48
	v_div_fixup_f32 v43, v45, v43, 1.0
.LBB46_56:
	s_or_b64 exec, exec, s[0:1]
	v_cmp_ne_u32_e32 vcc, v251, v44
	s_and_saveexec_b64 s[0:1], vcc
	s_xor_b64 s[0:1], exec, s[0:1]
	s_cbranch_execz .LBB46_62
; %bb.57:
	v_cmp_eq_u32_e32 vcc, 3, v251
	s_and_saveexec_b64 s[2:3], vcc
	s_cbranch_execz .LBB46_61
; %bb.58:
	v_cmp_ne_u32_e32 vcc, 3, v44
	s_xor_b64 s[18:19], s[16:17], -1
	s_and_b64 s[20:21], s[18:19], vcc
	s_and_saveexec_b64 s[18:19], s[20:21]
	s_cbranch_execz .LBB46_60
; %bb.59:
	scratch_load_dwordx2 v[50:51], off, off offset:2692 ; 8-byte Folded Reload
	v_ashrrev_i32_e32 v45, 31, v44
	s_waitcnt vmcnt(0)
	v_lshl_add_u64 v[46:47], v[44:45], 2, v[50:51]
	global_load_dword v45, v[46:47], off
	global_load_dword v48, v[50:51], off offset:12
	s_waitcnt vmcnt(1)
	global_store_dword v[50:51], v45, off offset:12
	s_waitcnt vmcnt(1)
	global_store_dword v[46:47], v48, off
.LBB46_60:
	s_or_b64 exec, exec, s[18:19]
	v_mov_b32_e32 v45, v44
	v_mov_b32_e32 v251, v44
	scratch_store_dword off, v45, off offset:1024 ; 4-byte Folded Spill
.LBB46_61:
	s_or_b64 exec, exec, s[2:3]
.LBB46_62:
	s_or_saveexec_b64 s[0:1], s[0:1]
	v_mov_b32_e32 v94, v118
	v_mov_b32_e32 v95, v119
	;; [unrolled: 1-line block ×5, first 2 shown]
	s_xor_b64 exec, exec, s[0:1]
	s_cbranch_execz .LBB46_64
; %bb.63:
	v_mov_b32_e32 v251, 3
	ds_write2_b32 v250, v4, v5 offset0:4 offset1:5
	ds_write2_b32 v250, v6, v7 offset0:6 offset1:7
	;; [unrolled: 1-line block ×10, first 2 shown]
.LBB46_64:
	s_or_b64 exec, exec, s[0:1]
	v_cmp_lt_i32_e32 vcc, 3, v251
	s_waitcnt lgkmcnt(0)
	s_barrier
	s_and_saveexec_b64 s[0:1], vcc
	s_cbranch_execz .LBB46_66
; %bb.65:
	v_mul_f32_e32 v0, v31, v43
	ds_read2_b32 v[26:27], v250 offset0:4 offset1:5
	ds_read2_b32 v[28:29], v250 offset0:6 offset1:7
	;; [unrolled: 1-line block ×5, first 2 shown]
	scratch_load_dwordx4 v[94:97], off, off offset:3724 ; 16-byte Folded Reload
	scratch_load_dwordx4 v[98:101], off, off offset:3740 ; 16-byte Folded Reload
	;; [unrolled: 1-line block ×8, first 2 shown]
	s_waitcnt lgkmcnt(4)
	v_pk_fma_f32 v[82:83], v[0:1], v[26:27], v[4:5] op_sel_hi:[0,1,1] neg_lo:[1,0,0] neg_hi:[1,0,0]
	s_waitcnt lgkmcnt(3)
	v_pk_fma_f32 v[92:93], v[0:1], v[28:29], v[6:7] op_sel_hi:[0,1,1] neg_lo:[1,0,0] neg_hi:[1,0,0]
	;; [unrolled: 2-line block ×3, first 2 shown]
	v_mov_b32_e32 v27, v0
	v_mov_b32_e32 v28, v82
	;; [unrolled: 1-line block ×3, first 2 shown]
	s_waitcnt vmcnt(33)
	v_pk_fma_f32 v[150:151], v[0:1], v[30:31], v[8:9] op_sel_hi:[0,1,1] neg_lo:[1,0,0] neg_hi:[1,0,0]
	ds_read2_b32 v[4:5], v250 offset0:20 offset1:21
	s_waitcnt vmcnt(7)
	v_mov_b32_e32 v97, v0
	v_mov_b32_e32 v81, v0
	;; [unrolled: 1-line block ×4, first 2 shown]
	s_waitcnt lgkmcnt(0)
	v_pk_fma_f32 v[140:141], v[0:1], v[4:5], v[20:21] op_sel_hi:[0,1,1] neg_lo:[1,0,0] neg_hi:[1,0,0]
	v_mov_b32_e32 v147, v83
	v_mov_b32_e32 v148, v92
	;; [unrolled: 1-line block ×3, first 2 shown]
	s_waitcnt vmcnt(4)
	v_mov_b32_e32 v109, v0
	s_waitcnt vmcnt(3)
	v_mov_b32_e32 v110, v82
	v_mov_b32_e32 v111, v83
	;; [unrolled: 1-line block ×4, first 2 shown]
	s_waitcnt vmcnt(2)
	v_mov_b32_e32 v114, v150
	v_mov_b32_e32 v115, v151
	;; [unrolled: 1-line block ×10, first 2 shown]
	s_waitcnt vmcnt(0)
	v_mov_b32_e32 v123, v0
	v_mov_b32_e32 v124, v82
	;; [unrolled: 1-line block ×39, first 2 shown]
	scratch_store_dwordx4 off, v[24:27], off offset:2700 ; 16-byte Folded Spill
	s_nop 0
	scratch_store_dwordx4 off, v[28:31], off offset:2716 ; 16-byte Folded Spill
	scratch_store_dwordx4 off, v[32:35], off offset:2732 ; 16-byte Folded Spill
	;; [unrolled: 1-line block ×7, first 2 shown]
	v_mov_b32_e32 v30, v92
	v_mov_b32_e32 v31, v93
	;; [unrolled: 1-line block ×29, first 2 shown]
	scratch_store_dwordx4 off, v[24:27], off offset:2052 ; 16-byte Folded Spill
	s_nop 0
	scratch_store_dwordx4 off, v[28:31], off offset:2068 ; 16-byte Folded Spill
	scratch_store_dwordx4 off, v[32:35], off offset:2084 ; 16-byte Folded Spill
	;; [unrolled: 1-line block ×7, first 2 shown]
	v_mov_b32_e32 v32, v150
	v_mov_b32_e32 v33, v151
	scratch_store_dwordx4 off, v[24:27], off offset:1668 ; 16-byte Folded Spill
	s_nop 0
	scratch_store_dwordx4 off, v[28:31], off offset:1684 ; 16-byte Folded Spill
	scratch_store_dwordx4 off, v[32:35], off offset:1700 ; 16-byte Folded Spill
	;; [unrolled: 1-line block ×7, first 2 shown]
	s_nop 1
	v_pk_fma_f32 v[54:55], v[0:1], v[2:3], v[10:11] op_sel_hi:[0,1,1] neg_lo:[1,0,0] neg_hi:[1,0,0]
	v_mov_b32_e32 v44, v94
	v_mov_b32_e32 v45, v95
	;; [unrolled: 1-line block ×12, first 2 shown]
	scratch_store_dwordx4 off, v[24:27], off offset:1156 ; 16-byte Folded Spill
	s_nop 0
	scratch_store_dwordx4 off, v[28:31], off offset:1172 ; 16-byte Folded Spill
	scratch_store_dwordx4 off, v[32:35], off offset:1188 ; 16-byte Folded Spill
	;; [unrolled: 1-line block ×7, first 2 shown]
	ds_read2_b32 v[2:3], v250 offset0:12 offset1:13
	ds_read2_b32 v[6:7], v250 offset0:14 offset1:15
	;; [unrolled: 1-line block ×4, first 2 shown]
	s_waitcnt lgkmcnt(3)
	v_pk_fma_f32 v[118:119], v[0:1], v[2:3], v[12:13] op_sel_hi:[0,1,1] neg_lo:[1,0,0] neg_hi:[1,0,0]
	v_mov_b32_e32 v36, v118
	v_mov_b32_e32 v37, v119
	s_waitcnt lgkmcnt(2)
	v_pk_fma_f32 v[230:231], v[0:1], v[6:7], v[14:15] op_sel_hi:[0,1,1] neg_lo:[1,0,0] neg_hi:[1,0,0]
	s_waitcnt lgkmcnt(1)
	v_pk_fma_f32 v[168:169], v[0:1], v[8:9], v[16:17] op_sel_hi:[0,1,1] neg_lo:[1,0,0] neg_hi:[1,0,0]
	;; [unrolled: 2-line block ×3, first 2 shown]
	v_mov_b32_e32 v164, v118
	v_mov_b32_e32 v165, v119
	;; [unrolled: 1-line block ×46, first 2 shown]
	scratch_store_dwordx4 off, v[24:27], off offset:896 ; 16-byte Folded Spill
	s_nop 0
	scratch_store_dwordx4 off, v[28:31], off offset:912 ; 16-byte Folded Spill
	scratch_store_dwordx4 off, v[32:35], off offset:928 ; 16-byte Folded Spill
	scratch_store_dwordx4 off, v[36:39], off offset:944 ; 16-byte Folded Spill
	scratch_store_dwordx4 off, v[40:43], off offset:960 ; 16-byte Folded Spill
	scratch_store_dwordx4 off, v[44:47], off offset:976 ; 16-byte Folded Spill
	scratch_store_dwordx4 off, v[48:51], off offset:992 ; 16-byte Folded Spill
	scratch_store_dwordx4 off, v[52:55], off offset:1008 ; 16-byte Folded Spill
	v_mov_b32_e32 v38, v230
	v_mov_b32_e32 v39, v231
	v_mov_b32_e32 v226, v54
	v_mov_b32_e32 v227, v55
	scratch_store_dwordx4 off, v[24:27], off offset:768 ; 16-byte Folded Spill
	s_nop 0
	scratch_store_dwordx4 off, v[28:31], off offset:784 ; 16-byte Folded Spill
	scratch_store_dwordx4 off, v[32:35], off offset:800 ; 16-byte Folded Spill
	scratch_store_dwordx4 off, v[36:39], off offset:816 ; 16-byte Folded Spill
	scratch_store_dwordx4 off, v[40:43], off offset:832 ; 16-byte Folded Spill
	scratch_store_dwordx4 off, v[44:47], off offset:848 ; 16-byte Folded Spill
	scratch_store_dwordx4 off, v[48:51], off offset:864 ; 16-byte Folded Spill
	scratch_store_dwordx4 off, v[52:55], off offset:880 ; 16-byte Folded Spill
	v_mov_b32_e32 v40, v168
	v_mov_b32_e32 v41, v169
	v_mov_b32_e32 v162, v54
	v_mov_b32_e32 v163, v55
	;; [unrolled: 13-line block ×4, first 2 shown]
	v_mov_b32_e32 v27, v231
	v_mov_b32_e32 v29, v189
	;; [unrolled: 1-line block ×5, first 2 shown]
	scratch_store_dwordx4 off, v[56:59], off offset:512 ; 16-byte Folded Spill
	s_nop 0
	scratch_store_dwordx4 off, v[60:63], off offset:528 ; 16-byte Folded Spill
	scratch_store_dwordx4 off, v[64:67], off offset:544 ; 16-byte Folded Spill
	scratch_store_dwordx4 off, v[68:71], off offset:560 ; 16-byte Folded Spill
	scratch_store_dwordx4 off, v[72:75], off offset:576 ; 16-byte Folded Spill
	scratch_store_dwordx4 off, v[76:79], off offset:592 ; 16-byte Folded Spill
	scratch_store_dwordx4 off, v[80:83], off offset:608 ; 16-byte Folded Spill
	scratch_store_dwordx4 off, v[84:87], off offset:624 ; 16-byte Folded Spill
	scratch_store_dwordx4 off, v[94:97], off offset:3212 ; 16-byte Folded Spill
	s_nop 0
	scratch_store_dwordx4 off, v[98:101], off offset:3228 ; 16-byte Folded Spill
	scratch_store_dwordx4 off, v[102:105], off offset:3244 ; 16-byte Folded Spill
	scratch_store_dwordx4 off, v[106:109], off offset:3260 ; 16-byte Folded Spill
	scratch_store_dwordx4 off, v[110:113], off offset:3276 ; 16-byte Folded Spill
	scratch_store_dwordx4 off, v[114:117], off offset:3292 ; 16-byte Folded Spill
	scratch_store_dwordx4 off, v[118:121], off offset:3308 ; 16-byte Folded Spill
	scratch_store_dwordx4 off, v[122:125], off offset:3324 ; 16-byte Folded Spill
	;; [unrolled: 9-line block ×3, first 2 shown]
	v_mov_b32_e32 v130, v54
	v_mov_b32_e32 v131, v55
	;; [unrolled: 1-line block ×4, first 2 shown]
	scratch_store_dwordx4 off, v[44:47], off offset:1540 ; 16-byte Folded Spill
	s_nop 0
	scratch_store_dwordx4 off, v[48:51], off offset:1556 ; 16-byte Folded Spill
	scratch_store_dwordx4 off, v[52:55], off offset:1572 ; 16-byte Folded Spill
	scratch_store_dwordx4 off, v[56:59], off offset:1588 ; 16-byte Folded Spill
	scratch_store_dwordx4 off, v[60:63], off offset:1604 ; 16-byte Folded Spill
	scratch_store_dwordx4 off, v[64:67], off offset:1620 ; 16-byte Folded Spill
	scratch_store_dwordx4 off, v[68:71], off offset:1636 ; 16-byte Folded Spill
	scratch_store_dwordx4 off, v[72:75], off offset:1652 ; 16-byte Folded Spill
	v_mov_b32_e32 v26, v118
	scratch_store_dwordx4 off, v[106:109], off offset:1028 ; 16-byte Folded Spill
	s_nop 0
	scratch_store_dwordx4 off, v[110:113], off offset:1044 ; 16-byte Folded Spill
	scratch_store_dwordx4 off, v[114:117], off offset:1060 ; 16-byte Folded Spill
	scratch_store_dwordx4 off, v[118:121], off offset:1076 ; 16-byte Folded Spill
	scratch_store_dwordx4 off, v[122:125], off offset:1092 ; 16-byte Folded Spill
	scratch_store_dwordx4 off, v[126:129], off offset:1108 ; 16-byte Folded Spill
	scratch_store_dwordx4 off, v[130:133], off offset:1124 ; 16-byte Folded Spill
	scratch_store_dwordx4 off, v[134:137], off offset:1140 ; 16-byte Folded Spill
	v_mov_b32_e32 v28, v168
	;; [unrolled: 10-line block ×3, first 2 shown]
	v_mov_b32_e32 v4, v82
	v_mov_b32_e32 v5, v83
	;; [unrolled: 1-line block ×9, first 2 shown]
	scratch_store_dwordx4 off, v[120:123], off offset:128 ; 16-byte Folded Spill
	s_nop 0
	scratch_store_dwordx4 off, v[124:127], off offset:144 ; 16-byte Folded Spill
	scratch_store_dwordx4 off, v[128:131], off offset:160 ; 16-byte Folded Spill
	;; [unrolled: 1-line block ×7, first 2 shown]
	scratch_store_dwordx4 off, v[120:123], off ; 16-byte Folded Spill
	s_nop 0
	scratch_store_dwordx4 off, v[124:127], off offset:16 ; 16-byte Folded Spill
	scratch_store_dwordx4 off, v[128:131], off offset:32 ; 16-byte Folded Spill
	;; [unrolled: 1-line block ×7, first 2 shown]
	v_mov_b32_e32 v63, v119
	v_mov_b32_e32 v25, v169
.LBB46_66:
	s_or_b64 exec, exec, s[0:1]
	v_lshl_add_u32 v43, v251, 2, v250
	s_waitcnt vmcnt(63) expcnt(7) lgkmcnt(15)
	s_barrier
	ds_write_b32 v43, v40
	s_waitcnt lgkmcnt(0)
	s_barrier
	ds_read_b32 v43, v250 offset:16
	s_cmp_lt_i32 s22, 6
	v_mov_b32_e32 v44, 4
	s_cbranch_scc1 .LBB46_409
; %bb.67:
	v_add3_u32 v45, v84, 0, 20
	v_mov_b32_e32 v44, 4
	s_mov_b32 s0, 5
	v_mov_b32_e32 v30, v36
	v_mov_b32_e32 v36, v38
.LBB46_68:                              ; =>This Inner Loop Header: Depth=1
	ds_read_b32 v46, v45
	v_add_u32_e32 v45, 4, v45
	s_waitcnt lgkmcnt(0)
	v_cmp_lt_f32_e64 vcc, |v43|, |v46|
	s_nop 1
	v_cndmask_b32_e32 v43, v43, v46, vcc
	v_mov_b32_e32 v46, s0
	s_add_i32 s0, s0, 1
	v_cndmask_b32_e32 v44, v44, v46, vcc
	s_cmp_lg_u32 s22, s0
	s_cbranch_scc1 .LBB46_68
; %bb.69:
	v_cmp_eq_f32_e32 vcc, 0, v43
	s_and_saveexec_b64 s[0:1], vcc
	s_xor_b64 s[0:1], exec, s[0:1]
.LBB46_70:
	v_cmp_ne_u32_e32 vcc, 0, v254
	s_nop 1
	v_cndmask_b32_e32 v254, 5, v254, vcc
.LBB46_71:
	s_andn2_saveexec_b64 s[0:1], s[0:1]
	s_cbranch_execz .LBB46_73
; %bb.72:
	v_div_scale_f32 v45, s[2:3], v43, v43, 1.0
	v_rcp_f32_e32 v46, v45
	v_div_scale_f32 v47, vcc, 1.0, v43, 1.0
	v_fma_f32 v48, -v45, v46, 1.0
	v_fmac_f32_e32 v46, v48, v46
	v_mul_f32_e32 v48, v47, v46
	v_fma_f32 v49, -v45, v48, v47
	v_fmac_f32_e32 v48, v49, v46
	v_fma_f32 v45, -v45, v48, v47
	v_div_fmas_f32 v45, v45, v46, v48
	v_div_fixup_f32 v43, v45, v43, 1.0
.LBB46_73:
	s_or_b64 exec, exec, s[0:1]
	v_cmp_ne_u32_e32 vcc, v251, v44
	s_and_saveexec_b64 s[0:1], vcc
	s_xor_b64 s[0:1], exec, s[0:1]
	s_cbranch_execz .LBB46_79
; %bb.74:
	v_cmp_eq_u32_e32 vcc, 4, v251
	s_and_saveexec_b64 s[2:3], vcc
	s_cbranch_execz .LBB46_78
; %bb.75:
	v_cmp_ne_u32_e32 vcc, 4, v44
	s_xor_b64 s[18:19], s[16:17], -1
	s_and_b64 s[20:21], s[18:19], vcc
	s_and_saveexec_b64 s[18:19], s[20:21]
	s_cbranch_execz .LBB46_77
; %bb.76:
	scratch_load_dwordx2 v[50:51], off, off offset:2692 ; 8-byte Folded Reload
	v_ashrrev_i32_e32 v45, 31, v44
	s_waitcnt vmcnt(0)
	v_lshl_add_u64 v[46:47], v[44:45], 2, v[50:51]
	global_load_dword v45, v[46:47], off
	global_load_dword v48, v[50:51], off offset:16
	s_waitcnt vmcnt(1)
	global_store_dword v[50:51], v45, off offset:16
	s_waitcnt vmcnt(1)
	global_store_dword v[46:47], v48, off
.LBB46_77:
	s_or_b64 exec, exec, s[18:19]
	v_mov_b32_e32 v45, v44
	v_mov_b32_e32 v251, v44
	scratch_store_dword off, v45, off offset:1024 ; 4-byte Folded Spill
.LBB46_78:
	s_or_b64 exec, exec, s[2:3]
.LBB46_79:
	s_andn2_saveexec_b64 s[0:1], s[0:1]
	s_cbranch_execz .LBB46_81
; %bb.80:
	v_mov_b32_e32 v251, 4
	ds_write2_b32 v250, v5, v6 offset0:5 offset1:6
	ds_write2_b32 v250, v7, v8 offset0:7 offset1:8
	;; [unrolled: 1-line block ×9, first 2 shown]
	ds_write_b32 v250, v255 offset:92
.LBB46_81:
	s_or_b64 exec, exec, s[0:1]
	v_cmp_lt_i32_e32 vcc, 4, v251
	s_waitcnt lgkmcnt(0)
	s_barrier
	s_and_saveexec_b64 s[0:1], vcc
	s_cbranch_execz .LBB46_83
; %bb.82:
	scratch_load_dwordx4 v[94:97], off, off offset:3212 ; 16-byte Folded Reload
	scratch_load_dwordx4 v[98:101], off, off offset:3228 ; 16-byte Folded Reload
	scratch_load_dwordx4 v[102:105], off, off offset:3244 ; 16-byte Folded Reload
	scratch_load_dwordx4 v[106:109], off, off offset:3260 ; 16-byte Folded Reload
	scratch_load_dwordx4 v[110:113], off, off offset:3276 ; 16-byte Folded Reload
	scratch_load_dwordx4 v[114:117], off, off offset:3292 ; 16-byte Folded Reload
	scratch_load_dwordx4 v[118:121], off, off offset:3308 ; 16-byte Folded Reload
	scratch_load_dwordx4 v[122:125], off, off offset:3324 ; 16-byte Folded Reload
	ds_read2_b32 v[0:1], v250 offset0:5 offset1:6
	v_mov_b32_e32 v2, v5
	ds_read2_b32 v[4:5], v250 offset0:7 offset1:8
	ds_read2_b32 v[24:25], v250 offset0:9 offset1:10
	;; [unrolled: 1-line block ×3, first 2 shown]
	s_waitcnt vmcnt(6)
	v_mul_f32_e32 v98, v40, v43
	v_mov_b32_e32 v3, v6
	v_mov_b32_e32 v60, v98
	;; [unrolled: 1-line block ×6, first 2 shown]
	s_waitcnt lgkmcnt(3)
	v_pk_fma_f32 v[44:45], v[98:99], v[0:1], v[2:3] op_sel_hi:[0,1,1] neg_lo:[1,0,0] neg_hi:[1,0,0]
	v_mov_b32_e32 v0, v7
	v_mov_b32_e32 v1, v8
	s_waitcnt lgkmcnt(2)
	v_pk_fma_f32 v[46:47], v[98:99], v[4:5], v[0:1] op_sel_hi:[0,1,1] neg_lo:[1,0,0] neg_hi:[1,0,0]
	v_mov_b32_e32 v0, v9
	v_mov_b32_e32 v1, v10
	;; [unrolled: 4-line block ×3, first 2 shown]
	s_waitcnt lgkmcnt(0)
	v_pk_fma_f32 v[50:51], v[98:99], v[26:27], v[0:1] op_sel_hi:[0,1,1] neg_lo:[1,0,0] neg_hi:[1,0,0]
	ds_read2_b32 v[0:1], v250 offset0:13 offset1:14
	ds_read2_b32 v[4:5], v250 offset0:15 offset1:16
	;; [unrolled: 1-line block ×4, first 2 shown]
	v_mov_b32_e32 v2, v13
	v_mov_b32_e32 v3, v14
	;; [unrolled: 1-line block ×3, first 2 shown]
	s_waitcnt lgkmcnt(3)
	v_pk_fma_f32 v[52:53], v[98:99], v[0:1], v[2:3] op_sel_hi:[0,1,1] neg_lo:[1,0,0] neg_hi:[1,0,0]
	v_mov_b32_e32 v0, v15
	v_mov_b32_e32 v1, v16
	s_waitcnt lgkmcnt(2)
	v_pk_fma_f32 v[54:55], v[98:99], v[4:5], v[0:1] op_sel_hi:[0,1,1] neg_lo:[1,0,0] neg_hi:[1,0,0]
	v_mov_b32_e32 v0, v17
	v_mov_b32_e32 v1, v18
	;; [unrolled: 4-line block ×4, first 2 shown]
	v_mov_b32_e32 v8, v96
	v_mov_b32_e32 v9, v97
	;; [unrolled: 1-line block ×5, first 2 shown]
	ds_read2_b32 v[2:3], v250 offset0:21 offset1:22
	ds_read_b32 v4, v250 offset:92
	v_mov_b32_e32 v0, v21
	v_mov_b32_e32 v1, v22
	scratch_store_dwordx4 off, v[6:9], off offset:2052 ; 16-byte Folded Spill
	s_nop 0
	scratch_store_dwordx4 off, v[10:13], off offset:2068 ; 16-byte Folded Spill
	scratch_store_dwordx4 off, v[14:17], off offset:2084 ; 16-byte Folded Spill
	;; [unrolled: 1-line block ×7, first 2 shown]
	v_mov_b32_e32 v14, v47
	s_waitcnt lgkmcnt(1)
	v_pk_fma_f32 v[252:253], v[98:99], v[2:3], v[0:1] op_sel_hi:[0,1,1] neg_lo:[1,0,0] neg_hi:[1,0,0]
	v_mov_b32_e32 v87, v95
	v_mov_b32_e32 v56, v94
	;; [unrolled: 1-line block ×46, first 2 shown]
	scratch_store_dwordx4 off, v[6:9], off offset:1924 ; 16-byte Folded Spill
	s_nop 0
	scratch_store_dwordx4 off, v[10:13], off offset:1940 ; 16-byte Folded Spill
	scratch_store_dwordx4 off, v[14:17], off offset:1956 ; 16-byte Folded Spill
	;; [unrolled: 1-line block ×7, first 2 shown]
	v_mov_b32_e32 v15, v48
	v_mov_b32_e32 v173, v97
	;; [unrolled: 1-line block ×22, first 2 shown]
	scratch_store_dwordx4 off, v[6:9], off offset:1668 ; 16-byte Folded Spill
	s_nop 0
	scratch_store_dwordx4 off, v[10:13], off offset:1684 ; 16-byte Folded Spill
	scratch_store_dwordx4 off, v[14:17], off offset:1700 ; 16-byte Folded Spill
	scratch_store_dwordx4 off, v[18:21], off offset:1716 ; 16-byte Folded Spill
	scratch_store_dwordx4 off, v[22:25], off offset:1732 ; 16-byte Folded Spill
	scratch_store_dwordx4 off, v[26:29], off offset:1748 ; 16-byte Folded Spill
	scratch_store_dwordx4 off, v[30:33], off offset:1764 ; 16-byte Folded Spill
	scratch_store_dwordx4 off, v[34:37], off offset:1780 ; 16-byte Folded Spill
	v_mov_b32_e32 v16, v49
	scratch_store_dwordx4 off, v[6:9], off offset:1540 ; 16-byte Folded Spill
	s_nop 0
	scratch_store_dwordx4 off, v[10:13], off offset:1556 ; 16-byte Folded Spill
	scratch_store_dwordx4 off, v[14:17], off offset:1572 ; 16-byte Folded Spill
	scratch_store_dwordx4 off, v[18:21], off offset:1588 ; 16-byte Folded Spill
	scratch_store_dwordx4 off, v[22:25], off offset:1604 ; 16-byte Folded Spill
	scratch_store_dwordx4 off, v[26:29], off offset:1620 ; 16-byte Folded Spill
	scratch_store_dwordx4 off, v[30:33], off offset:1636 ; 16-byte Folded Spill
	scratch_store_dwordx4 off, v[34:37], off offset:1652 ; 16-byte Folded Spill
	v_mov_b32_e32 v17, v50
	scratch_store_dwordx4 off, v[6:9], off offset:1156 ; 16-byte Folded Spill
	s_nop 0
	scratch_store_dwordx4 off, v[10:13], off offset:1172 ; 16-byte Folded Spill
	scratch_store_dwordx4 off, v[14:17], off offset:1188 ; 16-byte Folded Spill
	scratch_store_dwordx4 off, v[18:21], off offset:1204 ; 16-byte Folded Spill
	scratch_store_dwordx4 off, v[22:25], off offset:1220 ; 16-byte Folded Spill
	scratch_store_dwordx4 off, v[26:29], off offset:1236 ; 16-byte Folded Spill
	scratch_store_dwordx4 off, v[30:33], off offset:1252 ; 16-byte Folded Spill
	scratch_store_dwordx4 off, v[34:37], off offset:1268 ; 16-byte Folded Spill
	v_mov_b32_e32 v18, v51
	scratch_store_dwordx4 off, v[6:9], off offset:1028 ; 16-byte Folded Spill
	s_nop 0
	scratch_store_dwordx4 off, v[10:13], off offset:1044 ; 16-byte Folded Spill
	scratch_store_dwordx4 off, v[14:17], off offset:1060 ; 16-byte Folded Spill
	scratch_store_dwordx4 off, v[18:21], off offset:1076 ; 16-byte Folded Spill
	scratch_store_dwordx4 off, v[22:25], off offset:1092 ; 16-byte Folded Spill
	scratch_store_dwordx4 off, v[26:29], off offset:1108 ; 16-byte Folded Spill
	scratch_store_dwordx4 off, v[30:33], off offset:1124 ; 16-byte Folded Spill
	scratch_store_dwordx4 off, v[34:37], off offset:1140 ; 16-byte Folded Spill
	v_mov_b32_e32 v19, v52
	scratch_store_dwordx4 off, v[6:9], off offset:896 ; 16-byte Folded Spill
	s_nop 0
	scratch_store_dwordx4 off, v[10:13], off offset:912 ; 16-byte Folded Spill
	scratch_store_dwordx4 off, v[14:17], off offset:928 ; 16-byte Folded Spill
	scratch_store_dwordx4 off, v[18:21], off offset:944 ; 16-byte Folded Spill
	scratch_store_dwordx4 off, v[22:25], off offset:960 ; 16-byte Folded Spill
	scratch_store_dwordx4 off, v[26:29], off offset:976 ; 16-byte Folded Spill
	scratch_store_dwordx4 off, v[30:33], off offset:992 ; 16-byte Folded Spill
	scratch_store_dwordx4 off, v[34:37], off offset:1008 ; 16-byte Folded Spill
	v_mov_b32_e32 v20, v53
	v_mov_b32_e32 v21, v54
	scratch_store_dwordx4 off, v[6:9], off offset:768 ; 16-byte Folded Spill
	s_nop 0
	scratch_store_dwordx4 off, v[10:13], off offset:784 ; 16-byte Folded Spill
	scratch_store_dwordx4 off, v[14:17], off offset:800 ; 16-byte Folded Spill
	scratch_store_dwordx4 off, v[18:21], off offset:816 ; 16-byte Folded Spill
	scratch_store_dwordx4 off, v[22:25], off offset:832 ; 16-byte Folded Spill
	scratch_store_dwordx4 off, v[26:29], off offset:848 ; 16-byte Folded Spill
	scratch_store_dwordx4 off, v[30:33], off offset:864 ; 16-byte Folded Spill
	scratch_store_dwordx4 off, v[34:37], off offset:880 ; 16-byte Folded Spill
	v_mov_b32_e32 v22, v55
	scratch_store_dwordx4 off, v[6:9], off offset:640 ; 16-byte Folded Spill
	s_nop 0
	scratch_store_dwordx4 off, v[10:13], off offset:656 ; 16-byte Folded Spill
	scratch_store_dwordx4 off, v[14:17], off offset:672 ; 16-byte Folded Spill
	scratch_store_dwordx4 off, v[18:21], off offset:688 ; 16-byte Folded Spill
	scratch_store_dwordx4 off, v[22:25], off offset:704 ; 16-byte Folded Spill
	scratch_store_dwordx4 off, v[26:29], off offset:720 ; 16-byte Folded Spill
	scratch_store_dwordx4 off, v[30:33], off offset:736 ; 16-byte Folded Spill
	scratch_store_dwordx4 off, v[34:37], off offset:752 ; 16-byte Folded Spill
	;; [unrolled: 10-line block ×3, first 2 shown]
	v_mov_b32_e32 v24, v79
	v_mov_b32_e32 v25, v80
	scratch_store_dwordx4 off, v[6:9], off offset:256 ; 16-byte Folded Spill
	s_nop 0
	scratch_store_dwordx4 off, v[10:13], off offset:272 ; 16-byte Folded Spill
	scratch_store_dwordx4 off, v[14:17], off offset:288 ; 16-byte Folded Spill
	scratch_store_dwordx4 off, v[18:21], off offset:304 ; 16-byte Folded Spill
	scratch_store_dwordx4 off, v[22:25], off offset:320 ; 16-byte Folded Spill
	scratch_store_dwordx4 off, v[26:29], off offset:336 ; 16-byte Folded Spill
	scratch_store_dwordx4 off, v[30:33], off offset:352 ; 16-byte Folded Spill
	scratch_store_dwordx4 off, v[34:37], off offset:368 ; 16-byte Folded Spill
	v_mov_b32_e32 v26, v81
	scratch_store_dwordx4 off, v[6:9], off offset:128 ; 16-byte Folded Spill
	s_nop 0
	scratch_store_dwordx4 off, v[10:13], off offset:144 ; 16-byte Folded Spill
	scratch_store_dwordx4 off, v[14:17], off offset:160 ; 16-byte Folded Spill
	;; [unrolled: 1-line block ×8, first 2 shown]
	s_nop 0
	scratch_store_dwordx4 off, v[60:63], off offset:528 ; 16-byte Folded Spill
	scratch_store_dwordx4 off, v[64:67], off offset:544 ; 16-byte Folded Spill
	;; [unrolled: 1-line block ×7, first 2 shown]
	s_waitcnt lgkmcnt(0)
	v_fma_f32 v23, -v98, v4, v255
	v_mov_b32_e32 v4, v98
	v_mov_b32_e32 v6, v45
	;; [unrolled: 1-line block ×25, first 2 shown]
	scratch_store_dwordx4 off, v[94:97], off offset:2700 ; 16-byte Folded Spill
	s_nop 0
	scratch_store_dwordx4 off, v[98:101], off offset:2716 ; 16-byte Folded Spill
	s_waitcnt vmcnt(62)
	scratch_store_dwordx4 off, v[102:105], off offset:2732 ; 16-byte Folded Spill
	scratch_store_dwordx4 off, v[106:109], off offset:2748 ; 16-byte Folded Spill
	;; [unrolled: 1-line block ×6, first 2 shown]
	v_mov_b32_e32 v17, v78
	v_mov_b32_e32 v18, v79
	;; [unrolled: 1-line block ×8, first 2 shown]
	scratch_store_dwordx4 off, v[22:25], off ; 16-byte Folded Spill
	s_nop 0
	scratch_store_dwordx4 off, v[26:29], off offset:16 ; 16-byte Folded Spill
	scratch_store_dwordx4 off, v[30:33], off offset:32 ; 16-byte Folded Spill
	scratch_store_dwordx4 off, v[34:37], off offset:48 ; 16-byte Folded Spill
	scratch_store_dwordx4 off, v[38:41], off offset:64 ; 16-byte Folded Spill
	scratch_store_dwordx4 off, v[42:45], off offset:80 ; 16-byte Folded Spill
	scratch_store_dwordx4 off, v[46:49], off offset:96 ; 16-byte Folded Spill
	scratch_store_dwordx4 off, v[50:53], off offset:112 ; 16-byte Folded Spill
.LBB46_83:
	s_or_b64 exec, exec, s[0:1]
	v_lshl_add_u32 v43, v251, 2, v250
	s_waitcnt vmcnt(63) expcnt(7) lgkmcnt(15)
	s_barrier
	ds_write_b32 v43, v41
	s_waitcnt lgkmcnt(0)
	s_barrier
	ds_read_b32 v43, v250 offset:20
	s_cmp_lt_i32 s22, 7
	v_mov_b32_e32 v44, 5
	s_cbranch_scc1 .LBB46_86
; %bb.84:
	v_add3_u32 v45, v84, 0, 24
	v_mov_b32_e32 v44, 5
	s_mov_b32 s0, 6
.LBB46_85:                              ; =>This Inner Loop Header: Depth=1
	ds_read_b32 v46, v45
	v_add_u32_e32 v45, 4, v45
	s_waitcnt lgkmcnt(0)
	v_cmp_lt_f32_e64 vcc, |v43|, |v46|
	s_nop 1
	v_cndmask_b32_e32 v43, v43, v46, vcc
	v_mov_b32_e32 v46, s0
	s_add_i32 s0, s0, 1
	v_cndmask_b32_e32 v44, v44, v46, vcc
	s_cmp_lg_u32 s22, s0
	s_cbranch_scc1 .LBB46_85
.LBB46_86:
	s_waitcnt lgkmcnt(0)
	v_cmp_eq_f32_e32 vcc, 0, v43
	s_and_saveexec_b64 s[0:1], vcc
	s_xor_b64 s[0:1], exec, s[0:1]
; %bb.87:
	v_cmp_ne_u32_e32 vcc, 0, v254
	s_nop 1
	v_cndmask_b32_e32 v254, 6, v254, vcc
; %bb.88:
	s_andn2_saveexec_b64 s[0:1], s[0:1]
	s_cbranch_execz .LBB46_90
; %bb.89:
	v_div_scale_f32 v45, s[2:3], v43, v43, 1.0
	v_rcp_f32_e32 v46, v45
	v_div_scale_f32 v47, vcc, 1.0, v43, 1.0
	v_fma_f32 v48, -v45, v46, 1.0
	v_fmac_f32_e32 v46, v48, v46
	v_mul_f32_e32 v48, v47, v46
	v_fma_f32 v49, -v45, v48, v47
	v_fmac_f32_e32 v48, v49, v46
	v_fma_f32 v45, -v45, v48, v47
	v_div_fmas_f32 v45, v45, v46, v48
	v_div_fixup_f32 v43, v45, v43, 1.0
.LBB46_90:
	s_or_b64 exec, exec, s[0:1]
	v_cmp_ne_u32_e32 vcc, v251, v44
	s_and_saveexec_b64 s[0:1], vcc
	s_xor_b64 s[0:1], exec, s[0:1]
	s_cbranch_execz .LBB46_96
; %bb.91:
	v_cmp_eq_u32_e32 vcc, 5, v251
	s_and_saveexec_b64 s[2:3], vcc
	s_cbranch_execz .LBB46_95
; %bb.92:
	v_cmp_ne_u32_e32 vcc, 5, v44
	s_xor_b64 s[18:19], s[16:17], -1
	s_and_b64 s[20:21], s[18:19], vcc
	s_and_saveexec_b64 s[18:19], s[20:21]
	s_cbranch_execz .LBB46_94
; %bb.93:
	scratch_load_dwordx2 v[50:51], off, off offset:2692 ; 8-byte Folded Reload
	v_ashrrev_i32_e32 v45, 31, v44
	s_waitcnt vmcnt(0)
	v_lshl_add_u64 v[46:47], v[44:45], 2, v[50:51]
	global_load_dword v45, v[46:47], off
	global_load_dword v48, v[50:51], off offset:20
	s_waitcnt vmcnt(1)
	global_store_dword v[50:51], v45, off offset:20
	s_waitcnt vmcnt(1)
	global_store_dword v[46:47], v48, off
.LBB46_94:
	s_or_b64 exec, exec, s[18:19]
	v_mov_b32_e32 v45, v44
	v_mov_b32_e32 v251, v44
	scratch_store_dword off, v45, off offset:1024 ; 4-byte Folded Spill
.LBB46_95:
	s_or_b64 exec, exec, s[2:3]
.LBB46_96:
	s_andn2_saveexec_b64 s[0:1], s[0:1]
	s_cbranch_execz .LBB46_98
; %bb.97:
	v_mov_b32_e32 v251, 5
	ds_write2_b32 v250, v6, v7 offset0:6 offset1:7
	ds_write2_b32 v250, v8, v9 offset0:8 offset1:9
	;; [unrolled: 1-line block ×9, first 2 shown]
.LBB46_98:
	s_or_b64 exec, exec, s[0:1]
	v_cmp_lt_i32_e32 vcc, 5, v251
	s_waitcnt lgkmcnt(0)
	s_barrier
	s_and_saveexec_b64 s[0:1], vcc
	s_cbranch_execz .LBB46_100
; %bb.99:
	ds_read2_b32 v[2:3], v250 offset0:6 offset1:7
	ds_read2_b32 v[4:5], v250 offset0:8 offset1:9
	;; [unrolled: 1-line block ×5, first 2 shown]
	v_mul_f32_e32 v0, v41, v43
	s_waitcnt lgkmcnt(4)
	v_pk_fma_f32 v[92:93], v[0:1], v[2:3], v[6:7] op_sel_hi:[0,1,1] neg_lo:[1,0,0] neg_hi:[1,0,0]
	s_waitcnt vmcnt(25) lgkmcnt(3)
	v_pk_fma_f32 v[150:151], v[0:1], v[4:5], v[8:9] op_sel_hi:[0,1,1] neg_lo:[1,0,0] neg_hi:[1,0,0]
	s_waitcnt lgkmcnt(1)
	v_pk_fma_f32 v[22:23], v[0:1], v[26:27], v[22:23] op_sel_hi:[0,1,1] neg_lo:[1,0,0] neg_hi:[1,0,0]
	v_mov_b32_e32 v2, v94
	v_mov_b32_e32 v3, v95
	;; [unrolled: 1-line block ×8, first 2 shown]
	v_pk_fma_f32 v[54:55], v[0:1], v[24:25], v[10:11] op_sel_hi:[0,1,1] neg_lo:[1,0,0] neg_hi:[1,0,0]
	scratch_store_dwordx4 off, v[2:5], off offset:2052 ; 16-byte Folded Spill
	s_nop 0
	scratch_store_dwordx4 off, v[6:9], off offset:2068 ; 16-byte Folded Spill
	scratch_store_dwordx4 off, v[10:13], off offset:2084 ; 16-byte Folded Spill
	;; [unrolled: 1-line block ×5, first 2 shown]
	s_waitcnt lgkmcnt(0)
	scratch_store_dwordx4 off, v[26:29], off offset:2148 ; 16-byte Folded Spill
	scratch_store_dwordx4 off, v[30:33], off offset:2164 ; 16-byte Folded Spill
	v_mov_b32_e32 v10, v150
	v_mov_b32_e32 v11, v151
	;; [unrolled: 1-line block ×41, first 2 shown]
	s_waitcnt vmcnt(32)
	v_mov_b32_e32 v152, v94
	v_mov_b32_e32 v153, v95
	v_mov_b32_e32 v154, v96
	v_mov_b32_e32 v155, v97
	v_mov_b32_e32 v156, v98
	v_mov_b32_e32 v157, v0
	v_mov_b32_e32 v158, v92
	v_mov_b32_e32 v159, v93
	v_mov_b32_e32 v160, v150
	v_mov_b32_e32 v161, v151
	s_waitcnt vmcnt(23)
	v_mov_b32_e32 v170, v94
	v_mov_b32_e32 v171, v95
	;; [unrolled: 1-line block ×12, first 2 shown]
	scratch_store_dwordx4 off, v[2:5], off offset:1668 ; 16-byte Folded Spill
	s_nop 0
	scratch_store_dwordx4 off, v[6:9], off offset:1684 ; 16-byte Folded Spill
	scratch_store_dwordx4 off, v[10:13], off offset:1700 ; 16-byte Folded Spill
	;; [unrolled: 1-line block ×7, first 2 shown]
	s_nop 1
	v_mov_b32_e32 v30, v94
	v_mov_b32_e32 v31, v95
	;; [unrolled: 1-line block ×4, first 2 shown]
	scratch_store_dwordx4 off, v[30:33], off offset:1156 ; 16-byte Folded Spill
	s_nop 0
	scratch_store_dwordx4 off, v[34:37], off offset:1172 ; 16-byte Folded Spill
	scratch_store_dwordx4 off, v[38:41], off offset:1188 ; 16-byte Folded Spill
	;; [unrolled: 1-line block ×7, first 2 shown]
	v_mov_b32_e32 v24, v94
	v_mov_b32_e32 v25, v95
	;; [unrolled: 1-line block ×20, first 2 shown]
	s_waitcnt vmcnt(31)
	v_mov_b32_e32 v216, v94
	v_mov_b32_e32 v217, v95
	;; [unrolled: 1-line block ×4, first 2 shown]
	s_waitcnt vmcnt(30)
	v_mov_b32_e32 v220, v98
	v_mov_b32_e32 v221, v0
	s_waitcnt vmcnt(29)
	v_mov_b32_e32 v224, v150
	v_mov_b32_e32 v225, v151
	;; [unrolled: 1-line block ×14, first 2 shown]
	v_pk_fma_f32 v[118:119], v[0:1], v[28:29], v[12:13] op_sel_hi:[0,1,1] neg_lo:[1,0,0] neg_hi:[1,0,0]
	v_mov_b32_e32 v28, v98
	v_mov_b32_e32 v29, v0
	;; [unrolled: 1-line block ×8, first 2 shown]
	scratch_store_dwordx4 off, v[24:27], off offset:896 ; 16-byte Folded Spill
	s_nop 0
	scratch_store_dwordx4 off, v[28:31], off offset:912 ; 16-byte Folded Spill
	scratch_store_dwordx4 off, v[32:35], off offset:928 ; 16-byte Folded Spill
	scratch_store_dwordx4 off, v[36:39], off offset:944 ; 16-byte Folded Spill
	scratch_store_dwordx4 off, v[40:43], off offset:960 ; 16-byte Folded Spill
	scratch_store_dwordx4 off, v[44:47], off offset:976 ; 16-byte Folded Spill
	scratch_store_dwordx4 off, v[48:51], off offset:992 ; 16-byte Folded Spill
	scratch_store_dwordx4 off, v[52:55], off offset:1008 ; 16-byte Folded Spill
	ds_read2_b32 v[2:3], v250 offset0:14 offset1:15
	ds_read2_b32 v[4:5], v250 offset0:16 offset1:17
	;; [unrolled: 1-line block ×4, first 2 shown]
	v_mov_b32_e32 v164, v118
	s_waitcnt vmcnt(36) lgkmcnt(3)
	v_pk_fma_f32 v[230:231], v[0:1], v[2:3], v[14:15] op_sel_hi:[0,1,1] neg_lo:[1,0,0] neg_hi:[1,0,0]
	v_mov_b32_e32 v38, v230
	v_mov_b32_e32 v39, v231
	s_waitcnt lgkmcnt(2)
	v_pk_fma_f32 v[168:169], v[0:1], v[4:5], v[16:17] op_sel_hi:[0,1,1] neg_lo:[1,0,0] neg_hi:[1,0,0]
	s_waitcnt lgkmcnt(1)
	v_pk_fma_f32 v[188:189], v[0:1], v[6:7], v[18:19] op_sel_hi:[0,1,1] neg_lo:[1,0,0] neg_hi:[1,0,0]
	;; [unrolled: 2-line block ×3, first 2 shown]
	v_mov_b32_e32 v165, v119
	v_mov_b32_e32 v166, v230
	;; [unrolled: 1-line block ×53, first 2 shown]
	scratch_store_dwordx4 off, v[24:27], off offset:768 ; 16-byte Folded Spill
	s_nop 0
	scratch_store_dwordx4 off, v[28:31], off offset:784 ; 16-byte Folded Spill
	scratch_store_dwordx4 off, v[32:35], off offset:800 ; 16-byte Folded Spill
	scratch_store_dwordx4 off, v[36:39], off offset:816 ; 16-byte Folded Spill
	scratch_store_dwordx4 off, v[40:43], off offset:832 ; 16-byte Folded Spill
	scratch_store_dwordx4 off, v[44:47], off offset:848 ; 16-byte Folded Spill
	scratch_store_dwordx4 off, v[48:51], off offset:864 ; 16-byte Folded Spill
	scratch_store_dwordx4 off, v[52:55], off offset:880 ; 16-byte Folded Spill
	v_mov_b32_e32 v40, v168
	v_mov_b32_e32 v41, v169
	v_mov_b32_e32 v162, v54
	v_mov_b32_e32 v163, v55
	scratch_store_dwordx4 off, v[24:27], off offset:384 ; 16-byte Folded Spill
	s_nop 0
	scratch_store_dwordx4 off, v[28:31], off offset:400 ; 16-byte Folded Spill
	scratch_store_dwordx4 off, v[32:35], off offset:416 ; 16-byte Folded Spill
	scratch_store_dwordx4 off, v[36:39], off offset:432 ; 16-byte Folded Spill
	scratch_store_dwordx4 off, v[40:43], off offset:448 ; 16-byte Folded Spill
	scratch_store_dwordx4 off, v[44:47], off offset:464 ; 16-byte Folded Spill
	scratch_store_dwordx4 off, v[48:51], off offset:480 ; 16-byte Folded Spill
	scratch_store_dwordx4 off, v[52:55], off offset:496 ; 16-byte Folded Spill
	v_mov_b32_e32 v42, v188
	v_mov_b32_e32 v43, v189
	v_mov_b32_e32 v180, v54
	v_mov_b32_e32 v181, v55
	;; [unrolled: 13-line block ×3, first 2 shown]
	v_mov_b32_e32 v27, v231
	v_mov_b32_e32 v29, v189
	;; [unrolled: 1-line block ×5, first 2 shown]
	scratch_store_dwordx4 off, v[56:59], off offset:512 ; 16-byte Folded Spill
	s_nop 0
	scratch_store_dwordx4 off, v[60:63], off offset:528 ; 16-byte Folded Spill
	scratch_store_dwordx4 off, v[64:67], off offset:544 ; 16-byte Folded Spill
	scratch_store_dwordx4 off, v[68:71], off offset:560 ; 16-byte Folded Spill
	scratch_store_dwordx4 off, v[72:75], off offset:576 ; 16-byte Folded Spill
	scratch_store_dwordx4 off, v[76:79], off offset:592 ; 16-byte Folded Spill
	scratch_store_dwordx4 off, v[80:83], off offset:608 ; 16-byte Folded Spill
	scratch_store_dwordx4 off, v[84:87], off offset:624 ; 16-byte Folded Spill
	scratch_store_dwordx4 off, v[94:97], off offset:2700 ; 16-byte Folded Spill
	s_nop 0
	scratch_store_dwordx4 off, v[98:101], off offset:2716 ; 16-byte Folded Spill
	scratch_store_dwordx4 off, v[102:105], off offset:2732 ; 16-byte Folded Spill
	scratch_store_dwordx4 off, v[106:109], off offset:2748 ; 16-byte Folded Spill
	scratch_store_dwordx4 off, v[110:113], off offset:2764 ; 16-byte Folded Spill
	scratch_store_dwordx4 off, v[114:117], off offset:2780 ; 16-byte Folded Spill
	scratch_store_dwordx4 off, v[118:121], off offset:2796 ; 16-byte Folded Spill
	scratch_store_dwordx4 off, v[122:125], off offset:2812 ; 16-byte Folded Spill
	;; [unrolled: 9-line block ×3, first 2 shown]
	v_mov_b32_e32 v130, v54
	v_mov_b32_e32 v131, v55
	;; [unrolled: 1-line block ×4, first 2 shown]
	scratch_store_dwordx4 off, v[44:47], off offset:1540 ; 16-byte Folded Spill
	s_nop 0
	scratch_store_dwordx4 off, v[48:51], off offset:1556 ; 16-byte Folded Spill
	scratch_store_dwordx4 off, v[52:55], off offset:1572 ; 16-byte Folded Spill
	scratch_store_dwordx4 off, v[56:59], off offset:1588 ; 16-byte Folded Spill
	scratch_store_dwordx4 off, v[60:63], off offset:1604 ; 16-byte Folded Spill
	scratch_store_dwordx4 off, v[64:67], off offset:1620 ; 16-byte Folded Spill
	scratch_store_dwordx4 off, v[68:71], off offset:1636 ; 16-byte Folded Spill
	scratch_store_dwordx4 off, v[72:75], off offset:1652 ; 16-byte Folded Spill
	v_mov_b32_e32 v26, v118
	scratch_store_dwordx4 off, v[106:109], off offset:1028 ; 16-byte Folded Spill
	s_nop 0
	scratch_store_dwordx4 off, v[110:113], off offset:1044 ; 16-byte Folded Spill
	scratch_store_dwordx4 off, v[114:117], off offset:1060 ; 16-byte Folded Spill
	scratch_store_dwordx4 off, v[118:121], off offset:1076 ; 16-byte Folded Spill
	scratch_store_dwordx4 off, v[122:125], off offset:1092 ; 16-byte Folded Spill
	scratch_store_dwordx4 off, v[126:129], off offset:1108 ; 16-byte Folded Spill
	scratch_store_dwordx4 off, v[130:133], off offset:1124 ; 16-byte Folded Spill
	scratch_store_dwordx4 off, v[134:137], off offset:1140 ; 16-byte Folded Spill
	v_mov_b32_e32 v28, v168
	;; [unrolled: 10-line block ×3, first 2 shown]
	scratch_store_dwordx4 off, v[120:123], off offset:128 ; 16-byte Folded Spill
	s_nop 0
	scratch_store_dwordx4 off, v[124:127], off offset:144 ; 16-byte Folded Spill
	scratch_store_dwordx4 off, v[128:131], off offset:160 ; 16-byte Folded Spill
	;; [unrolled: 1-line block ×7, first 2 shown]
	scratch_store_dwordx4 off, v[120:123], off ; 16-byte Folded Spill
	s_nop 0
	scratch_store_dwordx4 off, v[124:127], off offset:16 ; 16-byte Folded Spill
	scratch_store_dwordx4 off, v[128:131], off offset:32 ; 16-byte Folded Spill
	;; [unrolled: 1-line block ×7, first 2 shown]
	v_mov_b32_e32 v63, v119
	v_mov_b32_e32 v25, v169
.LBB46_100:
	s_or_b64 exec, exec, s[0:1]
	v_lshl_add_u32 v43, v251, 2, v250
	s_waitcnt vmcnt(63) expcnt(7) lgkmcnt(15)
	s_barrier
	ds_write_b32 v43, v36
	s_waitcnt lgkmcnt(0)
	s_barrier
	ds_read_b32 v43, v250 offset:24
	s_cmp_lt_i32 s22, 8
	v_mov_b32_e32 v44, 6
	s_cbranch_scc1 .LBB46_410
; %bb.101:
	v_add3_u32 v45, v84, 0, 28
	v_mov_b32_e32 v44, 6
	s_mov_b32 s0, 7
	v_mov_b32_e32 v38, v30
.LBB46_102:                             ; =>This Inner Loop Header: Depth=1
	ds_read_b32 v46, v45
	v_add_u32_e32 v45, 4, v45
	s_waitcnt lgkmcnt(0)
	v_cmp_lt_f32_e64 vcc, |v43|, |v46|
	s_nop 1
	v_cndmask_b32_e32 v43, v43, v46, vcc
	v_mov_b32_e32 v46, s0
	s_add_i32 s0, s0, 1
	v_cndmask_b32_e32 v44, v44, v46, vcc
	s_cmp_lg_u32 s22, s0
	s_cbranch_scc1 .LBB46_102
; %bb.103:
	v_cmp_eq_f32_e32 vcc, 0, v43
	s_and_saveexec_b64 s[0:1], vcc
	s_xor_b64 s[0:1], exec, s[0:1]
.LBB46_104:
	v_cmp_ne_u32_e32 vcc, 0, v254
	s_nop 1
	v_cndmask_b32_e32 v254, 7, v254, vcc
.LBB46_105:
	s_andn2_saveexec_b64 s[0:1], s[0:1]
	s_cbranch_execz .LBB46_107
; %bb.106:
	v_div_scale_f32 v45, s[2:3], v43, v43, 1.0
	v_rcp_f32_e32 v46, v45
	v_div_scale_f32 v47, vcc, 1.0, v43, 1.0
	v_fma_f32 v48, -v45, v46, 1.0
	v_fmac_f32_e32 v46, v48, v46
	v_mul_f32_e32 v48, v47, v46
	v_fma_f32 v49, -v45, v48, v47
	v_fmac_f32_e32 v48, v49, v46
	v_fma_f32 v45, -v45, v48, v47
	v_div_fmas_f32 v45, v45, v46, v48
	v_div_fixup_f32 v43, v45, v43, 1.0
.LBB46_107:
	s_or_b64 exec, exec, s[0:1]
	v_cmp_ne_u32_e32 vcc, v251, v44
	s_and_saveexec_b64 s[0:1], vcc
	s_xor_b64 s[0:1], exec, s[0:1]
	s_cbranch_execz .LBB46_113
; %bb.108:
	v_cmp_eq_u32_e32 vcc, 6, v251
	s_and_saveexec_b64 s[2:3], vcc
	s_cbranch_execz .LBB46_112
; %bb.109:
	v_cmp_ne_u32_e32 vcc, 6, v44
	s_xor_b64 s[18:19], s[16:17], -1
	s_and_b64 s[20:21], s[18:19], vcc
	s_and_saveexec_b64 s[18:19], s[20:21]
	s_cbranch_execz .LBB46_111
; %bb.110:
	scratch_load_dwordx2 v[50:51], off, off offset:2692 ; 8-byte Folded Reload
	v_ashrrev_i32_e32 v45, 31, v44
	s_waitcnt vmcnt(0)
	v_lshl_add_u64 v[46:47], v[44:45], 2, v[50:51]
	global_load_dword v45, v[46:47], off
	global_load_dword v48, v[50:51], off offset:24
	s_waitcnt vmcnt(1)
	global_store_dword v[50:51], v45, off offset:24
	s_waitcnt vmcnt(1)
	global_store_dword v[46:47], v48, off
.LBB46_111:
	s_or_b64 exec, exec, s[18:19]
	v_mov_b32_e32 v45, v44
	v_mov_b32_e32 v251, v44
	scratch_store_dword off, v45, off offset:1024 ; 4-byte Folded Spill
.LBB46_112:
	s_or_b64 exec, exec, s[2:3]
.LBB46_113:
	s_andn2_saveexec_b64 s[0:1], s[0:1]
	s_cbranch_execz .LBB46_115
; %bb.114:
	v_mov_b32_e32 v251, 6
	ds_write2_b32 v250, v7, v8 offset0:7 offset1:8
	ds_write2_b32 v250, v9, v10 offset0:9 offset1:10
	;; [unrolled: 1-line block ×8, first 2 shown]
	ds_write_b32 v250, v255 offset:92
.LBB46_115:
	s_or_b64 exec, exec, s[0:1]
	v_cmp_lt_i32_e32 vcc, 6, v251
	s_waitcnt lgkmcnt(0)
	s_barrier
	s_and_saveexec_b64 s[0:1], vcc
	s_cbranch_execz .LBB46_117
; %bb.116:
	scratch_load_dwordx4 v[86:89], off, off offset:2700 ; 16-byte Folded Reload
	scratch_load_dwordx4 v[90:93], off, off offset:2716 ; 16-byte Folded Reload
	;; [unrolled: 1-line block ×8, first 2 shown]
	ds_read2_b32 v[0:1], v250 offset0:7 offset1:8
	v_mov_b32_e32 v2, v7
	ds_read2_b32 v[4:5], v250 offset0:9 offset1:10
	ds_read2_b32 v[6:7], v250 offset0:11 offset1:12
	;; [unrolled: 1-line block ×3, first 2 shown]
	s_waitcnt vmcnt(6)
	v_mul_f32_e32 v92, v36, v43
	v_mov_b32_e32 v3, v8
	v_mov_b32_e32 v222, v92
	;; [unrolled: 1-line block ×4, first 2 shown]
	s_waitcnt lgkmcnt(3)
	v_pk_fma_f32 v[44:45], v[92:93], v[0:1], v[2:3] op_sel_hi:[0,1,1] neg_lo:[1,0,0] neg_hi:[1,0,0]
	v_mov_b32_e32 v0, v9
	v_mov_b32_e32 v1, v10
	s_waitcnt lgkmcnt(2)
	v_pk_fma_f32 v[46:47], v[92:93], v[4:5], v[0:1] op_sel_hi:[0,1,1] neg_lo:[1,0,0] neg_hi:[1,0,0]
	v_mov_b32_e32 v0, v11
	v_mov_b32_e32 v1, v12
	;; [unrolled: 4-line block ×3, first 2 shown]
	s_waitcnt lgkmcnt(0)
	v_pk_fma_f32 v[50:51], v[92:93], v[24:25], v[0:1] op_sel_hi:[0,1,1] neg_lo:[1,0,0] neg_hi:[1,0,0]
	ds_read2_b32 v[0:1], v250 offset0:15 offset1:16
	ds_read2_b32 v[4:5], v250 offset0:17 offset1:18
	;; [unrolled: 1-line block ×4, first 2 shown]
	v_mov_b32_e32 v2, v15
	v_mov_b32_e32 v3, v16
	;; [unrolled: 1-line block ×3, first 2 shown]
	s_waitcnt lgkmcnt(3)
	v_pk_fma_f32 v[52:53], v[92:93], v[0:1], v[2:3] op_sel_hi:[0,1,1] neg_lo:[1,0,0] neg_hi:[1,0,0]
	v_mov_b32_e32 v0, v17
	v_mov_b32_e32 v1, v18
	s_waitcnt lgkmcnt(2)
	v_pk_fma_f32 v[54:55], v[92:93], v[4:5], v[0:1] op_sel_hi:[0,1,1] neg_lo:[1,0,0] neg_hi:[1,0,0]
	v_mov_b32_e32 v0, v19
	v_mov_b32_e32 v1, v20
	;; [unrolled: 4-line block ×4, first 2 shown]
	v_mov_b32_e32 v2, v88
	v_mov_b32_e32 v3, v89
	;; [unrolled: 1-line block ×7, first 2 shown]
	scratch_store_dwordx4 off, v[0:3], off offset:1924 ; 16-byte Folded Spill
	s_nop 0
	scratch_store_dwordx4 off, v[4:7], off offset:1940 ; 16-byte Folded Spill
	scratch_store_dwordx4 off, v[8:11], off offset:1956 ; 16-byte Folded Spill
	;; [unrolled: 1-line block ×7, first 2 shown]
	v_mov_b32_e32 v9, v46
	v_mov_b32_e32 v93, v44
	;; [unrolled: 1-line block ×41, first 2 shown]
	scratch_store_dwordx4 off, v[0:3], off offset:1668 ; 16-byte Folded Spill
	s_nop 0
	scratch_store_dwordx4 off, v[4:7], off offset:1684 ; 16-byte Folded Spill
	scratch_store_dwordx4 off, v[8:11], off offset:1700 ; 16-byte Folded Spill
	scratch_store_dwordx4 off, v[12:15], off offset:1716 ; 16-byte Folded Spill
	scratch_store_dwordx4 off, v[16:19], off offset:1732 ; 16-byte Folded Spill
	scratch_store_dwordx4 off, v[20:23], off offset:1748 ; 16-byte Folded Spill
	scratch_store_dwordx4 off, v[24:27], off offset:1764 ; 16-byte Folded Spill
	scratch_store_dwordx4 off, v[28:31], off offset:1780 ; 16-byte Folded Spill
	v_mov_b32_e32 v10, v47
	scratch_store_dwordx4 off, v[0:3], off offset:1540 ; 16-byte Folded Spill
	s_nop 0
	scratch_store_dwordx4 off, v[4:7], off offset:1556 ; 16-byte Folded Spill
	scratch_store_dwordx4 off, v[8:11], off offset:1572 ; 16-byte Folded Spill
	scratch_store_dwordx4 off, v[12:15], off offset:1588 ; 16-byte Folded Spill
	scratch_store_dwordx4 off, v[16:19], off offset:1604 ; 16-byte Folded Spill
	scratch_store_dwordx4 off, v[20:23], off offset:1620 ; 16-byte Folded Spill
	scratch_store_dwordx4 off, v[24:27], off offset:1636 ; 16-byte Folded Spill
	scratch_store_dwordx4 off, v[28:31], off offset:1652 ; 16-byte Folded Spill
	v_mov_b32_e32 v11, v48
	;; [unrolled: 10-line block ×5, first 2 shown]
	v_mov_b32_e32 v15, v52
	scratch_store_dwordx4 off, v[0:3], off offset:768 ; 16-byte Folded Spill
	s_nop 0
	scratch_store_dwordx4 off, v[4:7], off offset:784 ; 16-byte Folded Spill
	scratch_store_dwordx4 off, v[8:11], off offset:800 ; 16-byte Folded Spill
	scratch_store_dwordx4 off, v[12:15], off offset:816 ; 16-byte Folded Spill
	scratch_store_dwordx4 off, v[16:19], off offset:832 ; 16-byte Folded Spill
	scratch_store_dwordx4 off, v[20:23], off offset:848 ; 16-byte Folded Spill
	scratch_store_dwordx4 off, v[24:27], off offset:864 ; 16-byte Folded Spill
	scratch_store_dwordx4 off, v[28:31], off offset:880 ; 16-byte Folded Spill
	v_mov_b32_e32 v16, v53
	scratch_store_dwordx4 off, v[0:3], off offset:640 ; 16-byte Folded Spill
	s_nop 0
	scratch_store_dwordx4 off, v[4:7], off offset:656 ; 16-byte Folded Spill
	scratch_store_dwordx4 off, v[8:11], off offset:672 ; 16-byte Folded Spill
	scratch_store_dwordx4 off, v[12:15], off offset:688 ; 16-byte Folded Spill
	scratch_store_dwordx4 off, v[16:19], off offset:704 ; 16-byte Folded Spill
	scratch_store_dwordx4 off, v[20:23], off offset:720 ; 16-byte Folded Spill
	scratch_store_dwordx4 off, v[24:27], off offset:736 ; 16-byte Folded Spill
	scratch_store_dwordx4 off, v[28:31], off offset:752 ; 16-byte Folded Spill
	;; [unrolled: 10-line block ×3, first 2 shown]
	v_mov_b32_e32 v18, v55
	v_mov_b32_e32 v19, v78
	scratch_store_dwordx4 off, v[0:3], off offset:256 ; 16-byte Folded Spill
	s_nop 0
	scratch_store_dwordx4 off, v[4:7], off offset:272 ; 16-byte Folded Spill
	scratch_store_dwordx4 off, v[8:11], off offset:288 ; 16-byte Folded Spill
	scratch_store_dwordx4 off, v[12:15], off offset:304 ; 16-byte Folded Spill
	scratch_store_dwordx4 off, v[16:19], off offset:320 ; 16-byte Folded Spill
	scratch_store_dwordx4 off, v[20:23], off offset:336 ; 16-byte Folded Spill
	scratch_store_dwordx4 off, v[24:27], off offset:352 ; 16-byte Folded Spill
	scratch_store_dwordx4 off, v[28:31], off offset:368 ; 16-byte Folded Spill
	v_mov_b32_e32 v20, v79
	scratch_store_dwordx4 off, v[0:3], off offset:128 ; 16-byte Folded Spill
	s_nop 0
	scratch_store_dwordx4 off, v[4:7], off offset:144 ; 16-byte Folded Spill
	scratch_store_dwordx4 off, v[8:11], off offset:160 ; 16-byte Folded Spill
	scratch_store_dwordx4 off, v[12:15], off offset:176 ; 16-byte Folded Spill
	scratch_store_dwordx4 off, v[16:19], off offset:192 ; 16-byte Folded Spill
	scratch_store_dwordx4 off, v[20:23], off offset:208 ; 16-byte Folded Spill
	scratch_store_dwordx4 off, v[24:27], off offset:224 ; 16-byte Folded Spill
	scratch_store_dwordx4 off, v[28:31], off offset:240 ; 16-byte Folded Spill
	;; [unrolled: 10-line block ×3, first 2 shown]
	ds_read_b32 v0, v250 offset:92
	v_mov_b32_e32 v22, v253
	v_mov_b32_e32 v26, v49
	v_mov_b32_e32 v24, v51
	v_mov_b32_e32 v27, v52
	s_waitcnt lgkmcnt(0)
	v_fma_f32 v23, -v92, v0, v255
	v_mov_b32_e32 v0, v86
	v_mov_b32_e32 v255, v23
	;; [unrolled: 1-line block ×5, first 2 shown]
	scratch_store_dwordx4 off, v[86:89], off offset:2052 ; 16-byte Folded Spill
	s_nop 0
	scratch_store_dwordx4 off, v[90:93], off offset:2068 ; 16-byte Folded Spill
	s_waitcnt vmcnt(62)
	scratch_store_dwordx4 off, v[94:97], off offset:2084 ; 16-byte Folded Spill
	scratch_store_dwordx4 off, v[98:101], off offset:2100 ; 16-byte Folded Spill
	;; [unrolled: 1-line block ×6, first 2 shown]
	scratch_store_dwordx4 off, v[22:25], off ; 16-byte Folded Spill
	s_nop 0
	scratch_store_dwordx4 off, v[26:29], off offset:16 ; 16-byte Folded Spill
	scratch_store_dwordx4 off, v[30:33], off offset:32 ; 16-byte Folded Spill
	;; [unrolled: 1-line block ×7, first 2 shown]
.LBB46_117:
	s_or_b64 exec, exec, s[0:1]
	v_lshl_add_u32 v43, v251, 2, v250
	s_waitcnt vmcnt(63) expcnt(7) lgkmcnt(15)
	s_barrier
	ds_write_b32 v43, v39
	s_waitcnt lgkmcnt(0)
	s_barrier
	ds_read_b32 v43, v250 offset:28
	s_cmp_lt_i32 s22, 9
	v_mov_b32_e32 v44, 7
	s_cbranch_scc1 .LBB46_120
; %bb.118:
	v_add3_u32 v45, v84, 0, 32
	v_mov_b32_e32 v44, 7
	s_mov_b32 s0, 8
.LBB46_119:                             ; =>This Inner Loop Header: Depth=1
	ds_read_b32 v46, v45
	v_add_u32_e32 v45, 4, v45
	s_waitcnt lgkmcnt(0)
	v_cmp_lt_f32_e64 vcc, |v43|, |v46|
	s_nop 1
	v_cndmask_b32_e32 v43, v43, v46, vcc
	v_mov_b32_e32 v46, s0
	s_add_i32 s0, s0, 1
	v_cndmask_b32_e32 v44, v44, v46, vcc
	s_cmp_lg_u32 s22, s0
	s_cbranch_scc1 .LBB46_119
.LBB46_120:
	s_waitcnt lgkmcnt(0)
	v_cmp_eq_f32_e32 vcc, 0, v43
	s_and_saveexec_b64 s[0:1], vcc
	s_xor_b64 s[0:1], exec, s[0:1]
; %bb.121:
	v_cmp_ne_u32_e32 vcc, 0, v254
	s_nop 1
	v_cndmask_b32_e32 v254, 8, v254, vcc
; %bb.122:
	s_andn2_saveexec_b64 s[0:1], s[0:1]
	s_cbranch_execz .LBB46_124
; %bb.123:
	v_div_scale_f32 v45, s[2:3], v43, v43, 1.0
	v_rcp_f32_e32 v46, v45
	v_div_scale_f32 v47, vcc, 1.0, v43, 1.0
	v_fma_f32 v48, -v45, v46, 1.0
	v_fmac_f32_e32 v46, v48, v46
	v_mul_f32_e32 v48, v47, v46
	v_fma_f32 v49, -v45, v48, v47
	v_fmac_f32_e32 v48, v49, v46
	v_fma_f32 v45, -v45, v48, v47
	v_div_fmas_f32 v45, v45, v46, v48
	v_div_fixup_f32 v43, v45, v43, 1.0
.LBB46_124:
	s_or_b64 exec, exec, s[0:1]
	v_cmp_ne_u32_e32 vcc, v251, v44
	s_and_saveexec_b64 s[0:1], vcc
	s_xor_b64 s[0:1], exec, s[0:1]
	s_cbranch_execz .LBB46_130
; %bb.125:
	v_cmp_eq_u32_e32 vcc, 7, v251
	s_and_saveexec_b64 s[2:3], vcc
	s_cbranch_execz .LBB46_129
; %bb.126:
	v_cmp_ne_u32_e32 vcc, 7, v44
	s_xor_b64 s[18:19], s[16:17], -1
	s_and_b64 s[20:21], s[18:19], vcc
	s_and_saveexec_b64 s[18:19], s[20:21]
	s_cbranch_execz .LBB46_128
; %bb.127:
	scratch_load_dwordx2 v[50:51], off, off offset:2692 ; 8-byte Folded Reload
	v_ashrrev_i32_e32 v45, 31, v44
	s_waitcnt vmcnt(0)
	v_lshl_add_u64 v[46:47], v[44:45], 2, v[50:51]
	global_load_dword v45, v[46:47], off
	global_load_dword v48, v[50:51], off offset:28
	s_waitcnt vmcnt(1)
	global_store_dword v[50:51], v45, off offset:28
	s_waitcnt vmcnt(1)
	global_store_dword v[46:47], v48, off
.LBB46_128:
	s_or_b64 exec, exec, s[18:19]
	v_mov_b32_e32 v45, v44
	v_mov_b32_e32 v251, v44
	scratch_store_dword off, v45, off offset:1024 ; 4-byte Folded Spill
.LBB46_129:
	s_or_b64 exec, exec, s[2:3]
.LBB46_130:
	s_andn2_saveexec_b64 s[0:1], s[0:1]
	s_cbranch_execz .LBB46_132
; %bb.131:
	v_mov_b32_e32 v251, 7
	ds_write2_b32 v250, v8, v9 offset0:8 offset1:9
	ds_write2_b32 v250, v10, v11 offset0:10 offset1:11
	;; [unrolled: 1-line block ×8, first 2 shown]
.LBB46_132:
	s_or_b64 exec, exec, s[0:1]
	v_cmp_lt_i32_e32 vcc, 7, v251
	s_waitcnt lgkmcnt(0)
	s_barrier
	s_and_saveexec_b64 s[0:1], vcc
	s_cbranch_execz .LBB46_134
; %bb.133:
	ds_read2_b32 v[2:3], v250 offset0:8 offset1:9
	ds_read2_b32 v[4:5], v250 offset0:10 offset1:11
	;; [unrolled: 1-line block ×5, first 2 shown]
	v_mul_f32_e32 v0, v39, v43
	s_waitcnt vmcnt(25) lgkmcnt(4)
	v_pk_fma_f32 v[150:151], v[0:1], v[2:3], v[8:9] op_sel_hi:[0,1,1] neg_lo:[1,0,0] neg_hi:[1,0,0]
	s_waitcnt lgkmcnt(3)
	v_pk_fma_f32 v[54:55], v[0:1], v[4:5], v[10:11] op_sel_hi:[0,1,1] neg_lo:[1,0,0] neg_hi:[1,0,0]
	s_waitcnt lgkmcnt(2)
	;; [unrolled: 2-line block ×3, first 2 shown]
	v_pk_fma_f32 v[22:23], v[0:1], v[24:25], v[22:23] op_sel_hi:[0,1,1] neg_lo:[1,0,0] neg_hi:[1,0,0]
	v_mov_b32_e32 v4, v86
	v_mov_b32_e32 v5, v87
	;; [unrolled: 1-line block ×10, first 2 shown]
	ds_read2_b32 v[2:3], v250 offset0:20 offset1:21
	scratch_store_dwordx4 off, v[4:7], off offset:1668 ; 16-byte Folded Spill
	s_nop 0
	scratch_store_dwordx4 off, v[8:11], off offset:1684 ; 16-byte Folded Spill
	scratch_store_dwordx4 off, v[12:15], off offset:1700 ; 16-byte Folded Spill
	;; [unrolled: 1-line block ×4, first 2 shown]
	s_waitcnt lgkmcnt(1)
	scratch_store_dwordx4 off, v[24:27], off offset:1748 ; 16-byte Folded Spill
	scratch_store_dwordx4 off, v[28:31], off offset:1764 ; 16-byte Folded Spill
	;; [unrolled: 1-line block ×3, first 2 shown]
	v_mov_b32_e32 v44, v86
	v_mov_b32_e32 v45, v87
	;; [unrolled: 1-line block ×22, first 2 shown]
	scratch_store_dwordx4 off, v[28:31], off offset:1156 ; 16-byte Folded Spill
	s_nop 0
	scratch_store_dwordx4 off, v[32:35], off offset:1172 ; 16-byte Folded Spill
	scratch_store_dwordx4 off, v[36:39], off offset:1188 ; 16-byte Folded Spill
	;; [unrolled: 1-line block ×7, first 2 shown]
	v_mov_b32_e32 v40, v118
	v_mov_b32_e32 v41, v119
	;; [unrolled: 1-line block ×16, first 2 shown]
	s_waitcnt vmcnt(23)
	v_mov_b32_e32 v216, v86
	v_mov_b32_e32 v217, v87
	v_mov_b32_e32 v152, v86
	v_mov_b32_e32 v153, v87
	v_mov_b32_e32 v170, v86
	v_mov_b32_e32 v171, v87
	v_mov_b32_e32 v120, v86
	v_mov_b32_e32 v121, v87
	v_mov_b32_e32 v93, v0
	v_mov_b32_e32 v108, v88
	v_mov_b32_e32 v109, v89
	v_mov_b32_e32 v110, v90
	v_mov_b32_e32 v111, v91
	v_mov_b32_e32 v112, v92
	v_mov_b32_e32 v113, v0
	v_mov_b32_e32 v114, v150
	v_mov_b32_e32 v115, v151
	v_mov_b32_e32 v144, v88
	v_mov_b32_e32 v145, v89
	v_mov_b32_e32 v146, v90
	v_mov_b32_e32 v147, v91
	v_mov_b32_e32 v148, v92
	v_mov_b32_e32 v149, v0
	v_mov_b32_e32 v218, v88
	v_mov_b32_e32 v219, v89
	s_waitcnt vmcnt(22)
	v_mov_b32_e32 v220, v90
	v_mov_b32_e32 v221, v91
	;; [unrolled: 1-line block ×8, first 2 shown]
	s_waitcnt vmcnt(20)
	v_pk_fma_f32 v[230:231], v[0:1], v[26:27], v[14:15] op_sel_hi:[0,1,1] neg_lo:[1,0,0] neg_hi:[1,0,0]
	v_mov_b32_e32 v26, v88
	v_mov_b32_e32 v27, v89
	s_waitcnt lgkmcnt(0)
	v_pk_fma_f32 v[140:141], v[0:1], v[2:3], v[20:21] op_sel_hi:[0,1,1] neg_lo:[1,0,0] neg_hi:[1,0,0]
	v_mov_b32_e32 v70, v230
	v_mov_b32_e32 v71, v231
	;; [unrolled: 1-line block ×21, first 2 shown]
	scratch_store_dwordx4 off, v[28:31], off offset:896 ; 16-byte Folded Spill
	s_nop 0
	scratch_store_dwordx4 off, v[32:35], off offset:912 ; 16-byte Folded Spill
	scratch_store_dwordx4 off, v[36:39], off offset:928 ; 16-byte Folded Spill
	;; [unrolled: 1-line block ×7, first 2 shown]
	v_mov_b32_e32 v28, v90
	v_mov_b32_e32 v29, v91
	;; [unrolled: 1-line block ×51, first 2 shown]
	scratch_store_dwordx4 off, v[24:27], off offset:768 ; 16-byte Folded Spill
	s_nop 0
	scratch_store_dwordx4 off, v[28:31], off offset:784 ; 16-byte Folded Spill
	scratch_store_dwordx4 off, v[32:35], off offset:800 ; 16-byte Folded Spill
	scratch_store_dwordx4 off, v[36:39], off offset:816 ; 16-byte Folded Spill
	scratch_store_dwordx4 off, v[40:43], off offset:832 ; 16-byte Folded Spill
	scratch_store_dwordx4 off, v[44:47], off offset:848 ; 16-byte Folded Spill
	scratch_store_dwordx4 off, v[48:51], off offset:864 ; 16-byte Folded Spill
	scratch_store_dwordx4 off, v[52:55], off offset:880 ; 16-byte Folded Spill
	ds_read2_b32 v[4:5], v250 offset0:16 offset1:17
	ds_read2_b32 v[6:7], v250 offset0:18 offset1:19
	s_waitcnt lgkmcnt(1)
	v_pk_fma_f32 v[168:169], v[0:1], v[4:5], v[16:17] op_sel_hi:[0,1,1] neg_lo:[1,0,0] neg_hi:[1,0,0]
	v_mov_b32_e32 v40, v168
	v_mov_b32_e32 v41, v169
	s_waitcnt lgkmcnt(0)
	v_pk_fma_f32 v[188:189], v[0:1], v[6:7], v[18:19] op_sel_hi:[0,1,1] neg_lo:[1,0,0] neg_hi:[1,0,0]
	v_mov_b32_e32 v72, v168
	v_mov_b32_e32 v73, v169
	;; [unrolled: 1-line block ×20, first 2 shown]
	scratch_store_dwordx4 off, v[24:27], off offset:384 ; 16-byte Folded Spill
	s_nop 0
	scratch_store_dwordx4 off, v[28:31], off offset:400 ; 16-byte Folded Spill
	scratch_store_dwordx4 off, v[32:35], off offset:416 ; 16-byte Folded Spill
	;; [unrolled: 1-line block ×7, first 2 shown]
	v_mov_b32_e32 v42, v188
	v_mov_b32_e32 v43, v189
	;; [unrolled: 1-line block ×4, first 2 shown]
	scratch_store_dwordx4 off, v[24:27], off offset:256 ; 16-byte Folded Spill
	s_nop 0
	scratch_store_dwordx4 off, v[28:31], off offset:272 ; 16-byte Folded Spill
	scratch_store_dwordx4 off, v[32:35], off offset:288 ; 16-byte Folded Spill
	;; [unrolled: 1-line block ×7, first 2 shown]
	v_mov_b32_e32 v26, v118
	v_mov_b32_e32 v32, v140
	;; [unrolled: 1-line block ×7, first 2 shown]
	scratch_store_dwordx4 off, v[56:59], off offset:512 ; 16-byte Folded Spill
	s_nop 0
	scratch_store_dwordx4 off, v[60:63], off offset:528 ; 16-byte Folded Spill
	scratch_store_dwordx4 off, v[64:67], off offset:544 ; 16-byte Folded Spill
	scratch_store_dwordx4 off, v[68:71], off offset:560 ; 16-byte Folded Spill
	scratch_store_dwordx4 off, v[72:75], off offset:576 ; 16-byte Folded Spill
	scratch_store_dwordx4 off, v[76:79], off offset:592 ; 16-byte Folded Spill
	scratch_store_dwordx4 off, v[80:83], off offset:608 ; 16-byte Folded Spill
	scratch_store_dwordx4 off, v[84:87], off offset:624 ; 16-byte Folded Spill
	v_mov_b32_e32 v130, v54
	v_mov_b32_e32 v131, v55
	;; [unrolled: 1-line block ×6, first 2 shown]
	scratch_store_dwordx4 off, v[86:89], off offset:2052 ; 16-byte Folded Spill
	s_nop 0
	scratch_store_dwordx4 off, v[90:93], off offset:2068 ; 16-byte Folded Spill
	scratch_store_dwordx4 off, v[94:97], off offset:2084 ; 16-byte Folded Spill
	scratch_store_dwordx4 off, v[98:101], off offset:2100 ; 16-byte Folded Spill
	scratch_store_dwordx4 off, v[102:105], off offset:2116 ; 16-byte Folded Spill
	scratch_store_dwordx4 off, v[106:109], off offset:2132 ; 16-byte Folded Spill
	scratch_store_dwordx4 off, v[110:113], off offset:2148 ; 16-byte Folded Spill
	scratch_store_dwordx4 off, v[114:117], off offset:2164 ; 16-byte Folded Spill
	scratch_store_dwordx4 off, v[142:145], off offset:1924 ; 16-byte Folded Spill
	s_nop 0
	scratch_store_dwordx4 off, v[146:149], off offset:1940 ; 16-byte Folded Spill
	scratch_store_dwordx4 off, v[150:153], off offset:1956 ; 16-byte Folded Spill
	scratch_store_dwordx4 off, v[154:157], off offset:1972 ; 16-byte Folded Spill
	scratch_store_dwordx4 off, v[158:161], off offset:1988 ; 16-byte Folded Spill
	scratch_store_dwordx4 off, v[162:165], off offset:2004 ; 16-byte Folded Spill
	scratch_store_dwordx4 off, v[166:169], off offset:2020 ; 16-byte Folded Spill
	scratch_store_dwordx4 off, v[170:173], off offset:2036 ; 16-byte Folded Spill
	;; [unrolled: 9-line block ×4, first 2 shown]
	v_mov_b32_e32 v37, v151
	v_mov_b32_e32 v28, v168
	scratch_store_dwordx4 off, v[152:155], off offset:640 ; 16-byte Folded Spill
	s_nop 0
	scratch_store_dwordx4 off, v[156:159], off offset:656 ; 16-byte Folded Spill
	scratch_store_dwordx4 off, v[160:163], off offset:672 ; 16-byte Folded Spill
	;; [unrolled: 1-line block ×8, first 2 shown]
	s_nop 0
	scratch_store_dwordx4 off, v[124:127], off offset:144 ; 16-byte Folded Spill
	scratch_store_dwordx4 off, v[128:131], off offset:160 ; 16-byte Folded Spill
	;; [unrolled: 1-line block ×7, first 2 shown]
	scratch_store_dwordx4 off, v[120:123], off ; 16-byte Folded Spill
	s_nop 0
	scratch_store_dwordx4 off, v[124:127], off offset:16 ; 16-byte Folded Spill
	scratch_store_dwordx4 off, v[128:131], off offset:32 ; 16-byte Folded Spill
	;; [unrolled: 1-line block ×7, first 2 shown]
	v_mov_b32_e32 v63, v119
	v_mov_b32_e32 v25, v169
	;; [unrolled: 1-line block ×3, first 2 shown]
.LBB46_134:
	s_or_b64 exec, exec, s[0:1]
	v_lshl_add_u32 v43, v251, 2, v250
	s_waitcnt vmcnt(63) expcnt(7) lgkmcnt(15)
	s_barrier
	ds_write_b32 v43, v38
	s_waitcnt lgkmcnt(0)
	s_barrier
	ds_read_b32 v43, v250 offset:32
	s_cmp_lt_i32 s22, 10
	v_mov_b32_e32 v44, 8
	s_cbranch_scc1 .LBB46_137
; %bb.135:
	v_add3_u32 v45, v84, 0, 36
	v_mov_b32_e32 v44, 8
	s_mov_b32 s0, 9
.LBB46_136:                             ; =>This Inner Loop Header: Depth=1
	ds_read_b32 v46, v45
	v_add_u32_e32 v45, 4, v45
	s_waitcnt lgkmcnt(0)
	v_cmp_lt_f32_e64 vcc, |v43|, |v46|
	s_nop 1
	v_cndmask_b32_e32 v43, v43, v46, vcc
	v_mov_b32_e32 v46, s0
	s_add_i32 s0, s0, 1
	v_cndmask_b32_e32 v44, v44, v46, vcc
	s_cmp_lg_u32 s22, s0
	s_cbranch_scc1 .LBB46_136
.LBB46_137:
	s_waitcnt lgkmcnt(0)
	v_cmp_eq_f32_e32 vcc, 0, v43
	s_and_saveexec_b64 s[0:1], vcc
	s_xor_b64 s[0:1], exec, s[0:1]
; %bb.138:
	v_cmp_ne_u32_e32 vcc, 0, v254
	s_nop 1
	v_cndmask_b32_e32 v254, 9, v254, vcc
; %bb.139:
	s_andn2_saveexec_b64 s[0:1], s[0:1]
	s_cbranch_execz .LBB46_141
; %bb.140:
	v_div_scale_f32 v45, s[2:3], v43, v43, 1.0
	v_rcp_f32_e32 v46, v45
	v_div_scale_f32 v47, vcc, 1.0, v43, 1.0
	v_fma_f32 v48, -v45, v46, 1.0
	v_fmac_f32_e32 v46, v48, v46
	v_mul_f32_e32 v48, v47, v46
	v_fma_f32 v49, -v45, v48, v47
	v_fmac_f32_e32 v48, v49, v46
	v_fma_f32 v45, -v45, v48, v47
	v_div_fmas_f32 v45, v45, v46, v48
	v_div_fixup_f32 v43, v45, v43, 1.0
.LBB46_141:
	s_or_b64 exec, exec, s[0:1]
	v_cmp_ne_u32_e32 vcc, v251, v44
	s_and_saveexec_b64 s[0:1], vcc
	s_xor_b64 s[0:1], exec, s[0:1]
	s_cbranch_execz .LBB46_147
; %bb.142:
	v_cmp_eq_u32_e32 vcc, 8, v251
	s_and_saveexec_b64 s[2:3], vcc
	s_cbranch_execz .LBB46_146
; %bb.143:
	v_cmp_ne_u32_e32 vcc, 8, v44
	s_xor_b64 s[18:19], s[16:17], -1
	s_and_b64 s[20:21], s[18:19], vcc
	s_and_saveexec_b64 s[18:19], s[20:21]
	s_cbranch_execz .LBB46_145
; %bb.144:
	scratch_load_dwordx2 v[50:51], off, off offset:2692 ; 8-byte Folded Reload
	v_ashrrev_i32_e32 v45, 31, v44
	s_waitcnt vmcnt(0)
	v_lshl_add_u64 v[46:47], v[44:45], 2, v[50:51]
	global_load_dword v45, v[46:47], off
	global_load_dword v48, v[50:51], off offset:32
	s_waitcnt vmcnt(1)
	global_store_dword v[50:51], v45, off offset:32
	s_waitcnt vmcnt(1)
	global_store_dword v[46:47], v48, off
.LBB46_145:
	s_or_b64 exec, exec, s[18:19]
	v_mov_b32_e32 v45, v44
	v_mov_b32_e32 v251, v44
	scratch_store_dword off, v45, off offset:1024 ; 4-byte Folded Spill
.LBB46_146:
	s_or_b64 exec, exec, s[2:3]
.LBB46_147:
	s_andn2_saveexec_b64 s[0:1], s[0:1]
	s_cbranch_execz .LBB46_149
; %bb.148:
	v_mov_b32_e32 v251, 8
	ds_write2_b32 v250, v9, v10 offset0:9 offset1:10
	ds_write2_b32 v250, v11, v12 offset0:11 offset1:12
	;; [unrolled: 1-line block ×7, first 2 shown]
	ds_write_b32 v250, v255 offset:92
.LBB46_149:
	s_or_b64 exec, exec, s[0:1]
	v_cmp_lt_i32_e32 vcc, 8, v251
	s_waitcnt lgkmcnt(0)
	s_barrier
	s_and_saveexec_b64 s[0:1], vcc
	s_cbranch_execz .LBB46_151
; %bb.150:
	scratch_load_dwordx4 v[44:47], off, off offset:2052 ; 16-byte Folded Reload
	scratch_load_dwordx4 v[48:51], off, off offset:2068 ; 16-byte Folded Reload
	;; [unrolled: 1-line block ×8, first 2 shown]
	ds_read2_b32 v[0:1], v250 offset0:9 offset1:10
	v_mov_b32_e32 v2, v9
	ds_read2_b32 v[4:5], v250 offset0:11 offset1:12
	ds_read2_b32 v[6:7], v250 offset0:13 offset1:14
	;; [unrolled: 1-line block ×3, first 2 shown]
	v_mul_f32_e32 v38, v38, v43
	v_mov_b32_e32 v3, v10
	s_waitcnt vmcnt(6)
	v_mov_b64_e32 v[30:31], v[44:45]
	v_mov_b64_e32 v[32:33], v[46:47]
	;; [unrolled: 1-line block ×4, first 2 shown]
	s_waitcnt lgkmcnt(3)
	v_pk_fma_f32 v[44:45], v[38:39], v[0:1], v[2:3] op_sel_hi:[0,1,1] neg_lo:[1,0,0] neg_hi:[1,0,0]
	v_mov_b32_e32 v0, v11
	v_mov_b32_e32 v1, v12
	s_waitcnt lgkmcnt(2)
	v_pk_fma_f32 v[46:47], v[38:39], v[4:5], v[0:1] op_sel_hi:[0,1,1] neg_lo:[1,0,0] neg_hi:[1,0,0]
	v_mov_b32_e32 v0, v13
	v_mov_b32_e32 v1, v14
	;; [unrolled: 4-line block ×3, first 2 shown]
	s_waitcnt lgkmcnt(0)
	v_pk_fma_f32 v[50:51], v[38:39], v[8:9], v[0:1] op_sel_hi:[0,1,1] neg_lo:[1,0,0] neg_hi:[1,0,0]
	ds_read2_b32 v[0:1], v250 offset0:17 offset1:18
	ds_read2_b32 v[4:5], v250 offset0:19 offset1:20
	;; [unrolled: 1-line block ×3, first 2 shown]
	ds_read_b32 v8, v250 offset:92
	v_mov_b32_e32 v2, v17
	v_mov_b32_e32 v3, v18
	;; [unrolled: 1-line block ×3, first 2 shown]
	s_waitcnt vmcnt(5) lgkmcnt(3)
	v_pk_fma_f32 v[52:53], v[38:39], v[0:1], v[2:3] op_sel_hi:[0,1,1] neg_lo:[1,0,0] neg_hi:[1,0,0]
	v_mov_b32_e32 v0, v19
	v_mov_b32_e32 v1, v20
	s_waitcnt lgkmcnt(2)
	v_pk_fma_f32 v[54:55], v[38:39], v[4:5], v[0:1] op_sel_hi:[0,1,1] neg_lo:[1,0,0] neg_hi:[1,0,0]
	v_mov_b32_e32 v0, v21
	v_mov_b32_e32 v1, v22
	s_waitcnt lgkmcnt(1)
	v_pk_fma_f32 v[252:253], v[38:39], v[6:7], v[0:1] op_sel_hi:[0,1,1] neg_lo:[1,0,0] neg_hi:[1,0,0]
	v_mov_b32_e32 v39, v44
	v_mov_b32_e32 v11, v31
	;; [unrolled: 1-line block ×11, first 2 shown]
	scratch_store_dwordx4 off, v[10:13], off offset:1540 ; 16-byte Folded Spill
	s_nop 0
	scratch_store_dwordx4 off, v[14:17], off offset:1556 ; 16-byte Folded Spill
	scratch_store_dwordx4 off, v[18:21], off offset:1572 ; 16-byte Folded Spill
	;; [unrolled: 1-line block ×7, first 2 shown]
	v_mov_b32_e32 v21, v46
	s_waitcnt vmcnt(10)
	v_mov_b32_e32 v65, v44
	v_mov_b32_e32 v66, v45
	;; [unrolled: 1-line block ×3, first 2 shown]
	s_waitcnt vmcnt(9)
	v_mov_b32_e32 v68, v47
	v_mov_b32_e32 v69, v48
	;; [unrolled: 1-line block ×4, first 2 shown]
	s_waitcnt vmcnt(8)
	v_mov_b32_e32 v72, v51
	v_mov_b32_e32 v73, v52
	;; [unrolled: 1-line block ×22, first 2 shown]
	scratch_store_dwordx4 off, v[10:13], off offset:1156 ; 16-byte Folded Spill
	s_nop 0
	scratch_store_dwordx4 off, v[14:17], off offset:1172 ; 16-byte Folded Spill
	scratch_store_dwordx4 off, v[18:21], off offset:1188 ; 16-byte Folded Spill
	scratch_store_dwordx4 off, v[22:25], off offset:1204 ; 16-byte Folded Spill
	scratch_store_dwordx4 off, v[26:29], off offset:1220 ; 16-byte Folded Spill
	scratch_store_dwordx4 off, v[30:33], off offset:1236 ; 16-byte Folded Spill
	scratch_store_dwordx4 off, v[34:37], off offset:1252 ; 16-byte Folded Spill
	scratch_store_dwordx4 off, v[38:41], off offset:1268 ; 16-byte Folded Spill
	v_mov_b32_e32 v22, v47
	scratch_store_dwordx4 off, v[10:13], off offset:1028 ; 16-byte Folded Spill
	s_nop 0
	scratch_store_dwordx4 off, v[14:17], off offset:1044 ; 16-byte Folded Spill
	scratch_store_dwordx4 off, v[18:21], off offset:1060 ; 16-byte Folded Spill
	scratch_store_dwordx4 off, v[22:25], off offset:1076 ; 16-byte Folded Spill
	scratch_store_dwordx4 off, v[26:29], off offset:1092 ; 16-byte Folded Spill
	scratch_store_dwordx4 off, v[30:33], off offset:1108 ; 16-byte Folded Spill
	scratch_store_dwordx4 off, v[34:37], off offset:1124 ; 16-byte Folded Spill
	scratch_store_dwordx4 off, v[38:41], off offset:1140 ; 16-byte Folded Spill
	v_mov_b32_e32 v23, v48
	;; [unrolled: 10-line block ×3, first 2 shown]
	v_mov_b32_e32 v25, v50
	v_mov_b32_e32 v216, v30
	;; [unrolled: 1-line block ×10, first 2 shown]
	scratch_store_dwordx4 off, v[10:13], off offset:768 ; 16-byte Folded Spill
	s_nop 0
	scratch_store_dwordx4 off, v[14:17], off offset:784 ; 16-byte Folded Spill
	scratch_store_dwordx4 off, v[18:21], off offset:800 ; 16-byte Folded Spill
	scratch_store_dwordx4 off, v[22:25], off offset:816 ; 16-byte Folded Spill
	scratch_store_dwordx4 off, v[26:29], off offset:832 ; 16-byte Folded Spill
	scratch_store_dwordx4 off, v[30:33], off offset:848 ; 16-byte Folded Spill
	scratch_store_dwordx4 off, v[34:37], off offset:864 ; 16-byte Folded Spill
	scratch_store_dwordx4 off, v[38:41], off offset:880 ; 16-byte Folded Spill
	v_mov_b32_e32 v26, v51
	scratch_store_dwordx4 off, v[10:13], off offset:640 ; 16-byte Folded Spill
	s_nop 0
	scratch_store_dwordx4 off, v[14:17], off offset:656 ; 16-byte Folded Spill
	scratch_store_dwordx4 off, v[18:21], off offset:672 ; 16-byte Folded Spill
	scratch_store_dwordx4 off, v[22:25], off offset:688 ; 16-byte Folded Spill
	scratch_store_dwordx4 off, v[26:29], off offset:704 ; 16-byte Folded Spill
	scratch_store_dwordx4 off, v[30:33], off offset:720 ; 16-byte Folded Spill
	scratch_store_dwordx4 off, v[34:37], off offset:736 ; 16-byte Folded Spill
	scratch_store_dwordx4 off, v[38:41], off offset:752 ; 16-byte Folded Spill
	v_mov_b32_e32 v27, v52
	;; [unrolled: 10-line block ×3, first 2 shown]
	v_mov_b32_e32 v29, v54
	v_mov_b32_e32 v170, v30
	;; [unrolled: 1-line block ×10, first 2 shown]
	scratch_store_dwordx4 off, v[10:13], off offset:256 ; 16-byte Folded Spill
	s_nop 0
	scratch_store_dwordx4 off, v[14:17], off offset:272 ; 16-byte Folded Spill
	scratch_store_dwordx4 off, v[18:21], off offset:288 ; 16-byte Folded Spill
	;; [unrolled: 1-line block ×7, first 2 shown]
	v_mov_b32_e32 v10, v45
	v_mov_b32_e32 v11, v46
	;; [unrolled: 1-line block ×22, first 2 shown]
	scratch_store_dwordx4 off, v[56:59], off offset:128 ; 16-byte Folded Spill
	s_nop 0
	scratch_store_dwordx4 off, v[60:63], off offset:144 ; 16-byte Folded Spill
	scratch_store_dwordx4 off, v[64:67], off offset:160 ; 16-byte Folded Spill
	;; [unrolled: 1-line block ×7, first 2 shown]
	v_mov_b32_e32 v77, v252
	s_waitcnt lgkmcnt(0)
	v_fma_f32 v23, -v38, v8, v255
	v_mov_b32_e32 v0, v30
	v_mov_b32_e32 v1, v31
	;; [unrolled: 1-line block ×10, first 2 shown]
	scratch_store_dwordx4 off, v[56:59], off offset:512 ; 16-byte Folded Spill
	s_nop 0
	scratch_store_dwordx4 off, v[60:63], off offset:528 ; 16-byte Folded Spill
	scratch_store_dwordx4 off, v[64:67], off offset:544 ; 16-byte Folded Spill
	scratch_store_dwordx4 off, v[68:71], off offset:560 ; 16-byte Folded Spill
	scratch_store_dwordx4 off, v[72:75], off offset:576 ; 16-byte Folded Spill
	scratch_store_dwordx4 off, v[76:79], off offset:592 ; 16-byte Folded Spill
	scratch_store_dwordx4 off, v[80:83], off offset:608 ; 16-byte Folded Spill
	scratch_store_dwordx4 off, v[84:87], off offset:624 ; 16-byte Folded Spill
	scratch_store_dwordx4 off, v[30:33], off offset:1668 ; 16-byte Folded Spill
	s_nop 0
	scratch_store_dwordx4 off, v[34:37], off offset:1684 ; 16-byte Folded Spill
	scratch_store_dwordx4 off, v[38:41], off offset:1700 ; 16-byte Folded Spill
	scratch_store_dwordx4 off, v[42:45], off offset:1716 ; 16-byte Folded Spill
	scratch_store_dwordx4 off, v[46:49], off offset:1732 ; 16-byte Folded Spill
	scratch_store_dwordx4 off, v[50:53], off offset:1748 ; 16-byte Folded Spill
	scratch_store_dwordx4 off, v[54:57], off offset:1764 ; 16-byte Folded Spill
	scratch_store_dwordx4 off, v[58:61], off offset:1780 ; 16-byte Folded Spill
	;; [unrolled: 9-line block ×3, first 2 shown]
	v_mov_b32_e32 v43, v252
	v_mov_b32_e32 v37, v44
	;; [unrolled: 1-line block ×11, first 2 shown]
	scratch_store_dwordx4 off, v[22:25], off ; 16-byte Folded Spill
	s_nop 0
	scratch_store_dwordx4 off, v[26:29], off offset:16 ; 16-byte Folded Spill
	scratch_store_dwordx4 off, v[30:33], off offset:32 ; 16-byte Folded Spill
	;; [unrolled: 1-line block ×7, first 2 shown]
.LBB46_151:
	s_or_b64 exec, exec, s[0:1]
	v_lshl_add_u32 v43, v251, 2, v250
	s_waitcnt vmcnt(63) expcnt(7) lgkmcnt(15)
	s_barrier
	ds_write_b32 v43, v37
	s_waitcnt lgkmcnt(0)
	s_barrier
	ds_read_b32 v43, v250 offset:36
	s_cmp_lt_i32 s22, 11
	v_mov_b32_e32 v44, 9
	s_cbranch_scc1 .LBB46_154
; %bb.152:
	v_add3_u32 v45, v84, 0, 40
	v_mov_b32_e32 v44, 9
	s_mov_b32 s0, 10
.LBB46_153:                             ; =>This Inner Loop Header: Depth=1
	ds_read_b32 v46, v45
	v_add_u32_e32 v45, 4, v45
	s_waitcnt lgkmcnt(0)
	v_cmp_lt_f32_e64 vcc, |v43|, |v46|
	s_nop 1
	v_cndmask_b32_e32 v43, v43, v46, vcc
	v_mov_b32_e32 v46, s0
	s_add_i32 s0, s0, 1
	v_cndmask_b32_e32 v44, v44, v46, vcc
	s_cmp_lg_u32 s22, s0
	s_cbranch_scc1 .LBB46_153
.LBB46_154:
	s_waitcnt lgkmcnt(0)
	v_cmp_eq_f32_e32 vcc, 0, v43
	s_and_saveexec_b64 s[0:1], vcc
	s_xor_b64 s[0:1], exec, s[0:1]
; %bb.155:
	v_cmp_ne_u32_e32 vcc, 0, v254
	s_nop 1
	v_cndmask_b32_e32 v254, 10, v254, vcc
; %bb.156:
	s_andn2_saveexec_b64 s[0:1], s[0:1]
	s_cbranch_execz .LBB46_158
; %bb.157:
	v_div_scale_f32 v45, s[2:3], v43, v43, 1.0
	v_rcp_f32_e32 v46, v45
	v_div_scale_f32 v47, vcc, 1.0, v43, 1.0
	v_fma_f32 v48, -v45, v46, 1.0
	v_fmac_f32_e32 v46, v48, v46
	v_mul_f32_e32 v48, v47, v46
	v_fma_f32 v49, -v45, v48, v47
	v_fmac_f32_e32 v48, v49, v46
	v_fma_f32 v45, -v45, v48, v47
	v_div_fmas_f32 v45, v45, v46, v48
	v_div_fixup_f32 v43, v45, v43, 1.0
.LBB46_158:
	s_or_b64 exec, exec, s[0:1]
	v_cmp_ne_u32_e32 vcc, v251, v44
	s_and_saveexec_b64 s[0:1], vcc
	s_xor_b64 s[0:1], exec, s[0:1]
	s_cbranch_execz .LBB46_164
; %bb.159:
	v_cmp_eq_u32_e32 vcc, 9, v251
	s_and_saveexec_b64 s[2:3], vcc
	s_cbranch_execz .LBB46_163
; %bb.160:
	v_cmp_ne_u32_e32 vcc, 9, v44
	s_xor_b64 s[18:19], s[16:17], -1
	s_and_b64 s[20:21], s[18:19], vcc
	s_and_saveexec_b64 s[18:19], s[20:21]
	s_cbranch_execz .LBB46_162
; %bb.161:
	scratch_load_dwordx2 v[50:51], off, off offset:2692 ; 8-byte Folded Reload
	v_ashrrev_i32_e32 v45, 31, v44
	s_waitcnt vmcnt(0)
	v_lshl_add_u64 v[46:47], v[44:45], 2, v[50:51]
	global_load_dword v45, v[46:47], off
	global_load_dword v48, v[50:51], off offset:36
	s_waitcnt vmcnt(1)
	global_store_dword v[50:51], v45, off offset:36
	s_waitcnt vmcnt(1)
	global_store_dword v[46:47], v48, off
.LBB46_162:
	s_or_b64 exec, exec, s[18:19]
	v_mov_b32_e32 v45, v44
	v_mov_b32_e32 v251, v44
	scratch_store_dword off, v45, off offset:1024 ; 4-byte Folded Spill
.LBB46_163:
	s_or_b64 exec, exec, s[2:3]
.LBB46_164:
	s_andn2_saveexec_b64 s[0:1], s[0:1]
	s_cbranch_execz .LBB46_166
; %bb.165:
	v_mov_b32_e32 v251, 9
	ds_write2_b32 v250, v10, v11 offset0:10 offset1:11
	ds_write2_b32 v250, v12, v13 offset0:12 offset1:13
	ds_write2_b32 v250, v14, v15 offset0:14 offset1:15
	ds_write2_b32 v250, v16, v17 offset0:16 offset1:17
	ds_write2_b32 v250, v18, v19 offset0:18 offset1:19
	ds_write2_b32 v250, v20, v21 offset0:20 offset1:21
	ds_write2_b32 v250, v22, v23 offset0:22 offset1:23
.LBB46_166:
	s_or_b64 exec, exec, s[0:1]
	v_cmp_lt_i32_e32 vcc, 9, v251
	s_waitcnt lgkmcnt(0)
	s_barrier
	s_and_saveexec_b64 s[0:1], vcc
	s_cbranch_execz .LBB46_168
; %bb.167:
	v_mul_f32_e32 v0, v37, v43
	ds_read2_b32 v[2:3], v250 offset0:10 offset1:11
	ds_read2_b32 v[4:5], v250 offset0:12 offset1:13
	;; [unrolled: 1-line block ×5, first 2 shown]
	s_waitcnt lgkmcnt(4)
	v_pk_fma_f32 v[54:55], v[0:1], v[2:3], v[10:11] op_sel_hi:[0,1,1] neg_lo:[1,0,0] neg_hi:[1,0,0]
	ds_read2_b32 v[2:3], v250 offset0:20 offset1:21
	scratch_load_dwordx4 v[142:145], off, off offset:1924 ; 16-byte Folded Reload
	scratch_load_dwordx4 v[146:149], off, off offset:1940 ; 16-byte Folded Reload
	;; [unrolled: 1-line block ×8, first 2 shown]
	s_waitcnt lgkmcnt(4)
	v_pk_fma_f32 v[118:119], v[0:1], v[4:5], v[12:13] op_sel_hi:[0,1,1] neg_lo:[1,0,0] neg_hi:[1,0,0]
	s_waitcnt vmcnt(12) lgkmcnt(3)
	v_pk_fma_f32 v[230:231], v[0:1], v[6:7], v[14:15] op_sel_hi:[0,1,1] neg_lo:[1,0,0] neg_hi:[1,0,0]
	s_waitcnt lgkmcnt(2)
	v_pk_fma_f32 v[22:23], v[0:1], v[8:9], v[22:23] op_sel_hi:[0,1,1] neg_lo:[1,0,0] neg_hi:[1,0,0]
	v_mov_b32_e32 v13, v0
	v_mov_b32_e32 v14, v54
	;; [unrolled: 1-line block ×15, first 2 shown]
	s_waitcnt vmcnt(5)
	v_mov_b32_e32 v151, v0
	v_mov_b32_e32 v115, v0
	;; [unrolled: 1-line block ×29, first 2 shown]
	scratch_store_dwordx4 off, v[4:7], off offset:1156 ; 16-byte Folded Spill
	s_nop 0
	scratch_store_dwordx4 off, v[8:11], off offset:1172 ; 16-byte Folded Spill
	scratch_store_dwordx4 off, v[12:15], off offset:1188 ; 16-byte Folded Spill
	scratch_store_dwordx4 off, v[16:19], off offset:1204 ; 16-byte Folded Spill
	scratch_store_dwordx4 off, v[20:23], off offset:1220 ; 16-byte Folded Spill
	s_waitcnt lgkmcnt(1)
	scratch_store_dwordx4 off, v[24:27], off offset:1236 ; 16-byte Folded Spill
	scratch_store_dwordx4 off, v[28:31], off offset:1252 ; 16-byte Folded Spill
	;; [unrolled: 1-line block ×3, first 2 shown]
	v_mov_b32_e32 v44, v142
	v_mov_b32_e32 v45, v143
	;; [unrolled: 1-line block ×19, first 2 shown]
	scratch_store_dwordx4 off, v[26:29], off offset:896 ; 16-byte Folded Spill
	s_nop 0
	scratch_store_dwordx4 off, v[30:33], off offset:912 ; 16-byte Folded Spill
	scratch_store_dwordx4 off, v[34:37], off offset:928 ; 16-byte Folded Spill
	;; [unrolled: 1-line block ×7, first 2 shown]
	v_mov_b32_e32 v40, v230
	v_mov_b32_e32 v41, v231
	;; [unrolled: 1-line block ×20, first 2 shown]
	s_waitcnt vmcnt(16)
	v_mov_b32_e32 v170, v142
	v_mov_b32_e32 v171, v143
	;; [unrolled: 1-line block ×32, first 2 shown]
	v_pk_fma_f32 v[102:103], v[0:1], v[24:25], v[16:17] op_sel_hi:[0,1,1] neg_lo:[1,0,0] neg_hi:[1,0,0]
	v_mov_b32_e32 v24, v142
	v_mov_b32_e32 v25, v143
	s_waitcnt lgkmcnt(0)
	v_pk_fma_f32 v[140:141], v[0:1], v[2:3], v[20:21] op_sel_hi:[0,1,1] neg_lo:[1,0,0] neg_hi:[1,0,0]
	v_mov_b32_e32 v72, v102
	v_mov_b32_e32 v73, v103
	;; [unrolled: 1-line block ×18, first 2 shown]
	scratch_store_dwordx4 off, v[26:29], off offset:768 ; 16-byte Folded Spill
	s_nop 0
	scratch_store_dwordx4 off, v[30:33], off offset:784 ; 16-byte Folded Spill
	scratch_store_dwordx4 off, v[34:37], off offset:800 ; 16-byte Folded Spill
	;; [unrolled: 1-line block ×7, first 2 shown]
	v_mov_b32_e32 v26, v144
	v_mov_b32_e32 v27, v145
	;; [unrolled: 1-line block ×30, first 2 shown]
	scratch_store_dwordx4 off, v[24:27], off offset:384 ; 16-byte Folded Spill
	s_nop 0
	scratch_store_dwordx4 off, v[28:31], off offset:400 ; 16-byte Folded Spill
	scratch_store_dwordx4 off, v[32:35], off offset:416 ; 16-byte Folded Spill
	;; [unrolled: 1-line block ×7, first 2 shown]
	ds_read2_b32 v[4:5], v250 offset0:18 offset1:19
	s_waitcnt lgkmcnt(0)
	v_pk_fma_f32 v[188:189], v[0:1], v[4:5], v[18:19] op_sel_hi:[0,1,1] neg_lo:[1,0,0] neg_hi:[1,0,0]
	v_mov_b32_e32 v42, v188
	v_mov_b32_e32 v43, v189
	;; [unrolled: 1-line block ×14, first 2 shown]
	scratch_store_dwordx4 off, v[24:27], off offset:256 ; 16-byte Folded Spill
	s_nop 0
	scratch_store_dwordx4 off, v[28:31], off offset:272 ; 16-byte Folded Spill
	scratch_store_dwordx4 off, v[32:35], off offset:288 ; 16-byte Folded Spill
	;; [unrolled: 1-line block ×7, first 2 shown]
	v_mov_b32_e32 v26, v118
	v_mov_b32_e32 v28, v102
	;; [unrolled: 1-line block ×8, first 2 shown]
	scratch_store_dwordx4 off, v[56:59], off offset:512 ; 16-byte Folded Spill
	s_nop 0
	scratch_store_dwordx4 off, v[60:63], off offset:528 ; 16-byte Folded Spill
	scratch_store_dwordx4 off, v[64:67], off offset:544 ; 16-byte Folded Spill
	;; [unrolled: 1-line block ×7, first 2 shown]
	v_mov_b32_e32 v130, v54
	v_mov_b32_e32 v131, v55
	;; [unrolled: 1-line block ×4, first 2 shown]
	scratch_store_dwordx4 off, v[142:145], off offset:1668 ; 16-byte Folded Spill
	s_nop 0
	scratch_store_dwordx4 off, v[146:149], off offset:1684 ; 16-byte Folded Spill
	scratch_store_dwordx4 off, v[150:153], off offset:1700 ; 16-byte Folded Spill
	scratch_store_dwordx4 off, v[154:157], off offset:1716 ; 16-byte Folded Spill
	scratch_store_dwordx4 off, v[158:161], off offset:1732 ; 16-byte Folded Spill
	scratch_store_dwordx4 off, v[162:165], off offset:1748 ; 16-byte Folded Spill
	scratch_store_dwordx4 off, v[166:169], off offset:1764 ; 16-byte Folded Spill
	scratch_store_dwordx4 off, v[170:173], off offset:1780 ; 16-byte Folded Spill
	scratch_store_dwordx4 off, v[44:47], off offset:1540 ; 16-byte Folded Spill
	s_nop 0
	scratch_store_dwordx4 off, v[48:51], off offset:1556 ; 16-byte Folded Spill
	scratch_store_dwordx4 off, v[52:55], off offset:1572 ; 16-byte Folded Spill
	scratch_store_dwordx4 off, v[56:59], off offset:1588 ; 16-byte Folded Spill
	scratch_store_dwordx4 off, v[60:63], off offset:1604 ; 16-byte Folded Spill
	scratch_store_dwordx4 off, v[64:67], off offset:1620 ; 16-byte Folded Spill
	scratch_store_dwordx4 off, v[68:71], off offset:1636 ; 16-byte Folded Spill
	scratch_store_dwordx4 off, v[72:75], off offset:1652 ; 16-byte Folded Spill
	;; [unrolled: 9-line block ×4, first 2 shown]
	v_mov_b32_e32 v34, v54
	v_mov_b32_e32 v63, v119
	scratch_store_dwordx4 off, v[120:123], off offset:128 ; 16-byte Folded Spill
	s_nop 0
	scratch_store_dwordx4 off, v[124:127], off offset:144 ; 16-byte Folded Spill
	scratch_store_dwordx4 off, v[128:131], off offset:160 ; 16-byte Folded Spill
	;; [unrolled: 1-line block ×7, first 2 shown]
	scratch_store_dwordx4 off, v[120:123], off ; 16-byte Folded Spill
	s_nop 0
	scratch_store_dwordx4 off, v[124:127], off offset:16 ; 16-byte Folded Spill
	scratch_store_dwordx4 off, v[128:131], off offset:32 ; 16-byte Folded Spill
	;; [unrolled: 1-line block ×7, first 2 shown]
	v_mov_b32_e32 v25, v103
.LBB46_168:
	s_or_b64 exec, exec, s[0:1]
	v_lshl_add_u32 v43, v251, 2, v250
	s_waitcnt vmcnt(63) expcnt(7) lgkmcnt(15)
	s_barrier
	ds_write_b32 v43, v34
	s_waitcnt lgkmcnt(0)
	s_barrier
	ds_read_b32 v43, v250 offset:40
	s_cmp_lt_i32 s22, 12
	v_mov_b32_e32 v44, 10
	s_cbranch_scc1 .LBB46_411
; %bb.169:
	v_add3_u32 v45, v84, 0, 44
	v_mov_b32_e32 v44, 10
	s_mov_b32 s0, 11
	v_mov_b32_e32 v31, v35
.LBB46_170:                             ; =>This Inner Loop Header: Depth=1
	ds_read_b32 v46, v45
	v_add_u32_e32 v45, 4, v45
	s_waitcnt lgkmcnt(0)
	v_cmp_lt_f32_e64 vcc, |v43|, |v46|
	s_nop 1
	v_cndmask_b32_e32 v43, v43, v46, vcc
	v_mov_b32_e32 v46, s0
	s_add_i32 s0, s0, 1
	v_cndmask_b32_e32 v44, v44, v46, vcc
	s_cmp_lg_u32 s22, s0
	s_cbranch_scc1 .LBB46_170
; %bb.171:
	v_cmp_eq_f32_e32 vcc, 0, v43
	s_and_saveexec_b64 s[0:1], vcc
	s_xor_b64 s[0:1], exec, s[0:1]
.LBB46_172:
	v_cmp_ne_u32_e32 vcc, 0, v254
	s_nop 1
	v_cndmask_b32_e32 v254, 11, v254, vcc
.LBB46_173:
	s_andn2_saveexec_b64 s[0:1], s[0:1]
	s_cbranch_execz .LBB46_175
; %bb.174:
	v_div_scale_f32 v45, s[2:3], v43, v43, 1.0
	v_rcp_f32_e32 v46, v45
	v_div_scale_f32 v47, vcc, 1.0, v43, 1.0
	v_fma_f32 v48, -v45, v46, 1.0
	v_fmac_f32_e32 v46, v48, v46
	v_mul_f32_e32 v48, v47, v46
	v_fma_f32 v49, -v45, v48, v47
	v_fmac_f32_e32 v48, v49, v46
	v_fma_f32 v45, -v45, v48, v47
	v_div_fmas_f32 v45, v45, v46, v48
	v_div_fixup_f32 v43, v45, v43, 1.0
.LBB46_175:
	s_or_b64 exec, exec, s[0:1]
	v_cmp_ne_u32_e32 vcc, v251, v44
	s_and_saveexec_b64 s[0:1], vcc
	s_xor_b64 s[0:1], exec, s[0:1]
	s_cbranch_execz .LBB46_181
; %bb.176:
	v_cmp_eq_u32_e32 vcc, 10, v251
	s_and_saveexec_b64 s[2:3], vcc
	s_cbranch_execz .LBB46_180
; %bb.177:
	v_cmp_ne_u32_e32 vcc, 10, v44
	s_xor_b64 s[18:19], s[16:17], -1
	s_and_b64 s[20:21], s[18:19], vcc
	s_and_saveexec_b64 s[18:19], s[20:21]
	s_cbranch_execz .LBB46_179
; %bb.178:
	scratch_load_dwordx2 v[50:51], off, off offset:2692 ; 8-byte Folded Reload
	v_ashrrev_i32_e32 v45, 31, v44
	s_waitcnt vmcnt(0)
	v_lshl_add_u64 v[46:47], v[44:45], 2, v[50:51]
	global_load_dword v45, v[46:47], off
	global_load_dword v48, v[50:51], off offset:40
	s_waitcnt vmcnt(1)
	global_store_dword v[50:51], v45, off offset:40
	s_waitcnt vmcnt(1)
	global_store_dword v[46:47], v48, off
.LBB46_179:
	s_or_b64 exec, exec, s[18:19]
	v_mov_b32_e32 v45, v44
	v_mov_b32_e32 v251, v44
	scratch_store_dword off, v45, off offset:1024 ; 4-byte Folded Spill
.LBB46_180:
	s_or_b64 exec, exec, s[2:3]
.LBB46_181:
	s_andn2_saveexec_b64 s[0:1], s[0:1]
	s_cbranch_execz .LBB46_183
; %bb.182:
	v_mov_b32_e32 v251, 10
	ds_write2_b32 v250, v11, v12 offset0:11 offset1:12
	ds_write2_b32 v250, v13, v14 offset0:13 offset1:14
	ds_write2_b32 v250, v15, v16 offset0:15 offset1:16
	ds_write2_b32 v250, v17, v18 offset0:17 offset1:18
	ds_write2_b32 v250, v19, v20 offset0:19 offset1:20
	ds_write2_b32 v250, v21, v22 offset0:21 offset1:22
	ds_write_b32 v250, v255 offset:92
.LBB46_183:
	s_or_b64 exec, exec, s[0:1]
	v_cmp_lt_i32_e32 vcc, 10, v251
	s_waitcnt lgkmcnt(0)
	s_barrier
	s_and_saveexec_b64 s[0:1], vcc
	s_cbranch_execz .LBB46_185
; %bb.184:
	scratch_load_dwordx4 v[106:109], off, off offset:1668 ; 16-byte Folded Reload
	scratch_load_dwordx4 v[110:113], off, off offset:1684 ; 16-byte Folded Reload
	scratch_load_dwordx4 v[114:117], off, off offset:1700 ; 16-byte Folded Reload
	scratch_load_dwordx4 v[118:121], off, off offset:1716 ; 16-byte Folded Reload
	scratch_load_dwordx4 v[122:125], off, off offset:1732 ; 16-byte Folded Reload
	scratch_load_dwordx4 v[126:129], off, off offset:1748 ; 16-byte Folded Reload
	scratch_load_dwordx4 v[130:133], off, off offset:1764 ; 16-byte Folded Reload
	scratch_load_dwordx4 v[134:137], off, off offset:1780 ; 16-byte Folded Reload
	ds_read2_b32 v[0:1], v250 offset0:11 offset1:12
	v_mov_b32_e32 v10, v34
	ds_read2_b32 v[4:5], v250 offset0:13 offset1:14
	ds_read2_b32 v[6:7], v250 offset0:15 offset1:16
	;; [unrolled: 1-line block ×3, first 2 shown]
	s_waitcnt vmcnt(5)
	v_mul_f32_e32 v116, v10, v43
	v_mov_b32_e32 v2, v11
	v_mov_b32_e32 v3, v12
	;; [unrolled: 1-line block ×7, first 2 shown]
	s_waitcnt lgkmcnt(3)
	v_pk_fma_f32 v[44:45], v[116:117], v[0:1], v[2:3] op_sel_hi:[0,1,1] neg_lo:[1,0,0] neg_hi:[1,0,0]
	v_mov_b32_e32 v0, v13
	v_mov_b32_e32 v1, v14
	s_waitcnt lgkmcnt(2)
	v_pk_fma_f32 v[46:47], v[116:117], v[4:5], v[0:1] op_sel_hi:[0,1,1] neg_lo:[1,0,0] neg_hi:[1,0,0]
	v_mov_b32_e32 v0, v15
	v_mov_b32_e32 v1, v16
	;; [unrolled: 4-line block ×3, first 2 shown]
	s_waitcnt lgkmcnt(0)
	v_pk_fma_f32 v[50:51], v[116:117], v[8:9], v[0:1] op_sel_hi:[0,1,1] neg_lo:[1,0,0] neg_hi:[1,0,0]
	ds_read2_b32 v[0:1], v250 offset0:19 offset1:20
	v_mov_b32_e32 v2, v19
	v_mov_b32_e32 v3, v20
	;; [unrolled: 1-line block ×13, first 2 shown]
	ds_read2_b32 v[4:5], v250 offset0:21 offset1:22
	ds_read_b32 v6, v250 offset:92
	s_waitcnt lgkmcnt(2)
	v_pk_fma_f32 v[52:53], v[116:117], v[0:1], v[2:3] op_sel_hi:[0,1,1] neg_lo:[1,0,0] neg_hi:[1,0,0]
	v_mov_b32_e32 v0, v21
	v_mov_b32_e32 v1, v22
	scratch_store_dwordx4 off, v[8:11], off offset:1028 ; 16-byte Folded Spill
	s_nop 0
	scratch_store_dwordx4 off, v[12:15], off offset:1044 ; 16-byte Folded Spill
	scratch_store_dwordx4 off, v[16:19], off offset:1060 ; 16-byte Folded Spill
	;; [unrolled: 1-line block ×7, first 2 shown]
	v_mov_b32_e32 v21, v46
	s_waitcnt lgkmcnt(1)
	v_pk_fma_f32 v[252:253], v[116:117], v[4:5], v[0:1] op_sel_hi:[0,1,1] neg_lo:[1,0,0] neg_hi:[1,0,0]
	v_mov_b32_e32 v54, v106
	v_mov_b32_e32 v55, v107
	;; [unrolled: 1-line block ×50, first 2 shown]
	scratch_store_dwordx4 off, v[8:11], off offset:896 ; 16-byte Folded Spill
	s_nop 0
	scratch_store_dwordx4 off, v[12:15], off offset:912 ; 16-byte Folded Spill
	scratch_store_dwordx4 off, v[16:19], off offset:928 ; 16-byte Folded Spill
	scratch_store_dwordx4 off, v[20:23], off offset:944 ; 16-byte Folded Spill
	scratch_store_dwordx4 off, v[24:27], off offset:960 ; 16-byte Folded Spill
	scratch_store_dwordx4 off, v[28:31], off offset:976 ; 16-byte Folded Spill
	scratch_store_dwordx4 off, v[32:35], off offset:992 ; 16-byte Folded Spill
	scratch_store_dwordx4 off, v[36:39], off offset:1008 ; 16-byte Folded Spill
	v_mov_b32_e32 v22, v47
	v_mov_b32_e32 v23, v48
	;; [unrolled: 1-line block ×15, first 2 shown]
	scratch_store_dwordx4 off, v[8:11], off offset:768 ; 16-byte Folded Spill
	s_nop 0
	scratch_store_dwordx4 off, v[12:15], off offset:784 ; 16-byte Folded Spill
	scratch_store_dwordx4 off, v[16:19], off offset:800 ; 16-byte Folded Spill
	scratch_store_dwordx4 off, v[20:23], off offset:816 ; 16-byte Folded Spill
	scratch_store_dwordx4 off, v[24:27], off offset:832 ; 16-byte Folded Spill
	scratch_store_dwordx4 off, v[28:31], off offset:848 ; 16-byte Folded Spill
	scratch_store_dwordx4 off, v[32:35], off offset:864 ; 16-byte Folded Spill
	scratch_store_dwordx4 off, v[36:39], off offset:880 ; 16-byte Folded Spill
	v_mov_b32_e32 v24, v49
	scratch_store_dwordx4 off, v[8:11], off offset:640 ; 16-byte Folded Spill
	s_nop 0
	scratch_store_dwordx4 off, v[12:15], off offset:656 ; 16-byte Folded Spill
	scratch_store_dwordx4 off, v[16:19], off offset:672 ; 16-byte Folded Spill
	scratch_store_dwordx4 off, v[20:23], off offset:688 ; 16-byte Folded Spill
	scratch_store_dwordx4 off, v[24:27], off offset:704 ; 16-byte Folded Spill
	scratch_store_dwordx4 off, v[28:31], off offset:720 ; 16-byte Folded Spill
	scratch_store_dwordx4 off, v[32:35], off offset:736 ; 16-byte Folded Spill
	scratch_store_dwordx4 off, v[36:39], off offset:752 ; 16-byte Folded Spill
	v_mov_b32_e32 v25, v50
	;; [unrolled: 10-line block ×3, first 2 shown]
	v_mov_b32_e32 v27, v52
	scratch_store_dwordx4 off, v[8:11], off offset:256 ; 16-byte Folded Spill
	s_nop 0
	scratch_store_dwordx4 off, v[12:15], off offset:272 ; 16-byte Folded Spill
	scratch_store_dwordx4 off, v[16:19], off offset:288 ; 16-byte Folded Spill
	;; [unrolled: 1-line block ×7, first 2 shown]
	v_mov_b32_e32 v28, v53
	scratch_store_dwordx4 off, v[8:11], off offset:128 ; 16-byte Folded Spill
	s_nop 0
	scratch_store_dwordx4 off, v[12:15], off offset:144 ; 16-byte Folded Spill
	scratch_store_dwordx4 off, v[16:19], off offset:160 ; 16-byte Folded Spill
	;; [unrolled: 1-line block ×8, first 2 shown]
	s_nop 0
	scratch_store_dwordx4 off, v[58:61], off offset:528 ; 16-byte Folded Spill
	scratch_store_dwordx4 off, v[62:65], off offset:544 ; 16-byte Folded Spill
	;; [unrolled: 1-line block ×7, first 2 shown]
	s_waitcnt lgkmcnt(0)
	v_fma_f32 v23, -v116, v6, v255
	v_mov_b32_e32 v6, v112
	v_mov_b32_e32 v8, v114
	v_mov_b32_e32 v9, v115
	v_mov_b32_e32 v10, v116
	v_mov_b32_e32 v11, v44
	v_mov_b32_e32 v12, v45
	v_mov_b32_e32 v13, v46
	v_mov_b32_e32 v14, v47
	v_mov_b32_e32 v15, v48
	v_mov_b32_e32 v16, v49
	v_mov_b32_e32 v17, v50
	v_mov_b32_e32 v18, v51
	v_mov_b32_e32 v19, v52
	v_mov_b32_e32 v20, v53
	v_mov_b32_e32 v21, v252
	v_mov_b32_e32 v22, v253
	v_mov_b32_e32 v255, v23
	v_mov_b32_e32 v31, v44
	v_mov_b32_e32 v26, v45
	v_mov_b32_e32 v63, v46
	v_mov_b32_e32 v24, v47
	v_mov_b32_e32 v27, v48
	v_mov_b32_e32 v28, v49
	v_mov_b32_e32 v29, v52
	v_mov_b32_e32 v32, v53
	scratch_store_dwordx4 off, v[106:109], off offset:1156 ; 16-byte Folded Spill
	s_nop 0
	scratch_store_dwordx4 off, v[110:113], off offset:1172 ; 16-byte Folded Spill
	scratch_store_dwordx4 off, v[114:117], off offset:1188 ; 16-byte Folded Spill
	s_waitcnt vmcnt(62)
	scratch_store_dwordx4 off, v[118:121], off offset:1204 ; 16-byte Folded Spill
	scratch_store_dwordx4 off, v[122:125], off offset:1220 ; 16-byte Folded Spill
	;; [unrolled: 1-line block ×6, first 2 shown]
	s_nop 0
	scratch_store_dwordx4 off, v[110:113], off offset:1556 ; 16-byte Folded Spill
	scratch_store_dwordx4 off, v[114:117], off offset:1572 ; 16-byte Folded Spill
	;; [unrolled: 1-line block ×7, first 2 shown]
	scratch_store_dwordx4 off, v[22:25], off ; 16-byte Folded Spill
	s_nop 0
	scratch_store_dwordx4 off, v[26:29], off offset:16 ; 16-byte Folded Spill
	scratch_store_dwordx4 off, v[30:33], off offset:32 ; 16-byte Folded Spill
	;; [unrolled: 1-line block ×7, first 2 shown]
.LBB46_185:
	s_or_b64 exec, exec, s[0:1]
	v_lshl_add_u32 v43, v251, 2, v250
	s_waitcnt vmcnt(63) expcnt(7) lgkmcnt(15)
	s_barrier
	ds_write_b32 v43, v31
	s_waitcnt lgkmcnt(0)
	s_barrier
	ds_read_b32 v43, v250 offset:44
	s_cmp_lt_i32 s22, 13
	v_mov_b32_e32 v44, 11
	s_cbranch_scc1 .LBB46_188
; %bb.186:
	v_add3_u32 v45, v84, 0, 48
	v_mov_b32_e32 v44, 11
	s_mov_b32 s0, 12
.LBB46_187:                             ; =>This Inner Loop Header: Depth=1
	ds_read_b32 v46, v45
	v_mov_b32_e32 v47, s0
	s_add_i32 s0, s0, 1
	v_add_u32_e32 v45, 4, v45
	s_cmp_lg_u32 s22, s0
	s_waitcnt lgkmcnt(0)
	v_cmp_lt_f32_e64 vcc, |v43|, |v46|
	s_nop 1
	v_cndmask_b32_e32 v43, v43, v46, vcc
	v_cndmask_b32_e32 v44, v44, v47, vcc
	s_cbranch_scc1 .LBB46_187
.LBB46_188:
	s_waitcnt lgkmcnt(0)
	v_cmp_eq_f32_e32 vcc, 0, v43
	s_and_saveexec_b64 s[0:1], vcc
	s_xor_b64 s[0:1], exec, s[0:1]
; %bb.189:
	v_cmp_ne_u32_e32 vcc, 0, v254
	s_nop 1
	v_cndmask_b32_e32 v254, 12, v254, vcc
; %bb.190:
	s_andn2_saveexec_b64 s[0:1], s[0:1]
	s_cbranch_execz .LBB46_192
; %bb.191:
	v_div_scale_f32 v45, s[2:3], v43, v43, 1.0
	v_rcp_f32_e32 v46, v45
	v_div_scale_f32 v47, vcc, 1.0, v43, 1.0
	v_fma_f32 v48, -v45, v46, 1.0
	v_fmac_f32_e32 v46, v48, v46
	v_mul_f32_e32 v48, v47, v46
	v_fma_f32 v49, -v45, v48, v47
	v_fmac_f32_e32 v48, v49, v46
	v_fma_f32 v45, -v45, v48, v47
	v_div_fmas_f32 v45, v45, v46, v48
	v_div_fixup_f32 v43, v45, v43, 1.0
.LBB46_192:
	s_or_b64 exec, exec, s[0:1]
	v_cmp_ne_u32_e32 vcc, v251, v44
	s_and_saveexec_b64 s[0:1], vcc
	s_xor_b64 s[0:1], exec, s[0:1]
	s_cbranch_execz .LBB46_198
; %bb.193:
	v_cmp_eq_u32_e32 vcc, 11, v251
	s_and_saveexec_b64 s[2:3], vcc
	s_cbranch_execz .LBB46_197
; %bb.194:
	v_cmp_ne_u32_e32 vcc, 11, v44
	s_xor_b64 s[18:19], s[16:17], -1
	s_and_b64 s[20:21], s[18:19], vcc
	s_and_saveexec_b64 s[18:19], s[20:21]
	s_cbranch_execz .LBB46_196
; %bb.195:
	scratch_load_dwordx2 v[50:51], off, off offset:2692 ; 8-byte Folded Reload
	v_ashrrev_i32_e32 v45, 31, v44
	s_waitcnt vmcnt(0)
	v_lshl_add_u64 v[46:47], v[44:45], 2, v[50:51]
	global_load_dword v45, v[46:47], off
	global_load_dword v48, v[50:51], off offset:44
	s_waitcnt vmcnt(1)
	global_store_dword v[50:51], v45, off offset:44
	s_waitcnt vmcnt(1)
	global_store_dword v[46:47], v48, off
.LBB46_196:
	s_or_b64 exec, exec, s[18:19]
	v_mov_b32_e32 v45, v44
	v_mov_b32_e32 v251, v44
	scratch_store_dword off, v45, off offset:1024 ; 4-byte Folded Spill
.LBB46_197:
	s_or_b64 exec, exec, s[2:3]
.LBB46_198:
	s_andn2_saveexec_b64 s[0:1], s[0:1]
	s_cbranch_execz .LBB46_200
; %bb.199:
	v_mov_b32_e32 v251, 11
	ds_write2_b32 v250, v12, v13 offset0:12 offset1:13
	ds_write2_b32 v250, v14, v15 offset0:14 offset1:15
	;; [unrolled: 1-line block ×6, first 2 shown]
.LBB46_200:
	s_or_b64 exec, exec, s[0:1]
	v_cmp_lt_i32_e32 vcc, 11, v251
	s_waitcnt lgkmcnt(0)
	s_barrier
	s_and_saveexec_b64 s[0:1], vcc
	s_cbranch_execz .LBB46_202
; %bb.201:
	v_mul_f32_e32 v0, v31, v43
	ds_read2_b32 v[4:5], v250 offset0:12 offset1:13
	ds_read2_b32 v[6:7], v250 offset0:14 offset1:15
	;; [unrolled: 1-line block ×5, first 2 shown]
	s_waitcnt lgkmcnt(4)
	v_pk_fma_f32 v[118:119], v[0:1], v[4:5], v[12:13] op_sel_hi:[0,1,1] neg_lo:[1,0,0] neg_hi:[1,0,0]
	ds_read2_b32 v[4:5], v250 offset0:20 offset1:21
	scratch_load_dwordx4 v[44:47], off, off offset:1540 ; 16-byte Folded Reload
	scratch_load_dwordx4 v[48:51], off, off offset:1556 ; 16-byte Folded Reload
	;; [unrolled: 1-line block ×8, first 2 shown]
	s_waitcnt vmcnt(5)
	v_mov_b32_e32 v55, v0
	v_mov_b32_e32 v35, v0
	;; [unrolled: 1-line block ×4, first 2 shown]
	s_waitcnt lgkmcnt(4)
	v_pk_fma_f32 v[230:231], v[0:1], v[6:7], v[14:15] op_sel_hi:[0,1,1] neg_lo:[1,0,0] neg_hi:[1,0,0]
	s_waitcnt lgkmcnt(3)
	v_pk_fma_f32 v[102:103], v[0:1], v[8:9], v[16:17] op_sel_hi:[0,1,1] neg_lo:[1,0,0] neg_hi:[1,0,0]
	;; [unrolled: 2-line block ×4, first 2 shown]
	s_waitcnt vmcnt(2)
	v_mov_b32_e32 v67, v0
	s_waitcnt vmcnt(1)
	v_mov_b32_e32 v68, v118
	v_mov_b32_e32 v69, v119
	;; [unrolled: 1-line block ×4, first 2 shown]
	s_waitcnt vmcnt(0)
	v_mov_b32_e32 v72, v102
	v_mov_b32_e32 v73, v103
	;; [unrolled: 1-line block ×14, first 2 shown]
	v_pk_fma_f32 v[22:23], v[0:1], v[10:11], v[22:23] op_sel_hi:[0,1,1] neg_lo:[1,0,0] neg_hi:[1,0,0]
	v_mov_b32_e32 v227, v0
	v_mov_b32_e32 v228, v118
	;; [unrolled: 1-line block ×52, first 2 shown]
	scratch_store_dwordx4 off, v[24:27], off offset:896 ; 16-byte Folded Spill
	s_nop 0
	scratch_store_dwordx4 off, v[28:31], off offset:912 ; 16-byte Folded Spill
	scratch_store_dwordx4 off, v[32:35], off offset:928 ; 16-byte Folded Spill
	scratch_store_dwordx4 off, v[36:39], off offset:944 ; 16-byte Folded Spill
	scratch_store_dwordx4 off, v[40:43], off offset:960 ; 16-byte Folded Spill
	scratch_store_dwordx4 off, v[44:47], off offset:976 ; 16-byte Folded Spill
	scratch_store_dwordx4 off, v[48:51], off offset:992 ; 16-byte Folded Spill
	scratch_store_dwordx4 off, v[52:55], off offset:1008 ; 16-byte Folded Spill
	v_mov_b32_e32 v38, v230
	v_mov_b32_e32 v39, v231
	v_mov_b32_e32 v216, v44
	v_mov_b32_e32 v217, v45
	v_mov_b32_e32 v218, v46
	v_mov_b32_e32 v219, v47
	v_mov_b32_e32 v220, v48
	v_mov_b32_e32 v221, v49
	v_mov_b32_e32 v222, v50
	v_mov_b32_e32 v223, v51
	v_mov_b32_e32 v224, v52
	v_mov_b32_e32 v225, v53
	v_mov_b32_e32 v226, v54
	scratch_store_dwordx4 off, v[24:27], off offset:768 ; 16-byte Folded Spill
	s_nop 0
	scratch_store_dwordx4 off, v[28:31], off offset:784 ; 16-byte Folded Spill
	scratch_store_dwordx4 off, v[32:35], off offset:800 ; 16-byte Folded Spill
	scratch_store_dwordx4 off, v[36:39], off offset:816 ; 16-byte Folded Spill
	scratch_store_dwordx4 off, v[40:43], off offset:832 ; 16-byte Folded Spill
	scratch_store_dwordx4 off, v[44:47], off offset:848 ; 16-byte Folded Spill
	scratch_store_dwordx4 off, v[48:51], off offset:864 ; 16-byte Folded Spill
	scratch_store_dwordx4 off, v[52:55], off offset:880 ; 16-byte Folded Spill
	v_mov_b32_e32 v40, v102
	v_mov_b32_e32 v41, v103
	v_mov_b32_e32 v86, v44
	v_mov_b32_e32 v87, v45
	v_mov_b32_e32 v88, v46
	v_mov_b32_e32 v89, v47
	v_mov_b32_e32 v90, v48
	v_mov_b32_e32 v91, v49
	v_mov_b32_e32 v92, v50
	v_mov_b32_e32 v93, v51
	v_mov_b32_e32 v94, v52
	v_mov_b32_e32 v95, v53
	v_mov_b32_e32 v96, v54
	;; [unrolled: 22-line block ×4, first 2 shown]
	v_mov_b32_e32 v63, v51
	v_mov_b32_e32 v64, v52
	;; [unrolled: 1-line block ×4, first 2 shown]
	scratch_store_dwordx4 off, v[56:59], off offset:512 ; 16-byte Folded Spill
	s_nop 0
	scratch_store_dwordx4 off, v[60:63], off offset:528 ; 16-byte Folded Spill
	scratch_store_dwordx4 off, v[64:67], off offset:544 ; 16-byte Folded Spill
	;; [unrolled: 1-line block ×7, first 2 shown]
	v_mov_b32_e32 v120, v44
	v_mov_b32_e32 v121, v45
	;; [unrolled: 1-line block ×22, first 2 shown]
	scratch_store_dwordx4 off, v[44:47], off offset:1156 ; 16-byte Folded Spill
	s_nop 0
	scratch_store_dwordx4 off, v[48:51], off offset:1172 ; 16-byte Folded Spill
	scratch_store_dwordx4 off, v[52:55], off offset:1188 ; 16-byte Folded Spill
	scratch_store_dwordx4 off, v[56:59], off offset:1204 ; 16-byte Folded Spill
	scratch_store_dwordx4 off, v[60:63], off offset:1220 ; 16-byte Folded Spill
	scratch_store_dwordx4 off, v[64:67], off offset:1236 ; 16-byte Folded Spill
	scratch_store_dwordx4 off, v[68:71], off offset:1252 ; 16-byte Folded Spill
	scratch_store_dwordx4 off, v[72:75], off offset:1268 ; 16-byte Folded Spill
	scratch_store_dwordx4 off, v[106:109], off offset:1028 ; 16-byte Folded Spill
	s_nop 0
	scratch_store_dwordx4 off, v[110:113], off offset:1044 ; 16-byte Folded Spill
	scratch_store_dwordx4 off, v[114:117], off offset:1060 ; 16-byte Folded Spill
	scratch_store_dwordx4 off, v[118:121], off offset:1076 ; 16-byte Folded Spill
	scratch_store_dwordx4 off, v[122:125], off offset:1092 ; 16-byte Folded Spill
	scratch_store_dwordx4 off, v[126:129], off offset:1108 ; 16-byte Folded Spill
	scratch_store_dwordx4 off, v[130:133], off offset:1124 ; 16-byte Folded Spill
	scratch_store_dwordx4 off, v[134:137], off offset:1140 ; 16-byte Folded Spill
	;; [unrolled: 9-line block ×3, first 2 shown]
	v_mov_b32_e32 v63, v119
	scratch_store_dwordx4 off, v[120:123], off offset:128 ; 16-byte Folded Spill
	s_nop 0
	scratch_store_dwordx4 off, v[124:127], off offset:144 ; 16-byte Folded Spill
	scratch_store_dwordx4 off, v[128:131], off offset:160 ; 16-byte Folded Spill
	;; [unrolled: 1-line block ×7, first 2 shown]
	scratch_store_dwordx4 off, v[120:123], off ; 16-byte Folded Spill
	s_nop 0
	scratch_store_dwordx4 off, v[124:127], off offset:16 ; 16-byte Folded Spill
	scratch_store_dwordx4 off, v[128:131], off offset:32 ; 16-byte Folded Spill
	;; [unrolled: 1-line block ×7, first 2 shown]
	v_mov_b32_e32 v25, v103
.LBB46_202:
	s_or_b64 exec, exec, s[0:1]
	v_lshl_add_u32 v43, v251, 2, v250
	s_waitcnt vmcnt(63) expcnt(7) lgkmcnt(15)
	s_barrier
	ds_write_b32 v43, v26
	s_waitcnt lgkmcnt(0)
	s_barrier
	ds_read_b32 v43, v250 offset:48
	s_cmp_lt_i32 s22, 14
	v_mov_b32_e32 v44, 12
	s_cbranch_scc1 .LBB46_205
; %bb.203:
	v_add3_u32 v45, v84, 0, 52
	v_mov_b32_e32 v44, 12
	s_mov_b32 s0, 13
.LBB46_204:                             ; =>This Inner Loop Header: Depth=1
	ds_read_b32 v46, v45
	v_mov_b32_e32 v47, s0
	s_add_i32 s0, s0, 1
	v_add_u32_e32 v45, 4, v45
	s_cmp_lg_u32 s22, s0
	s_waitcnt lgkmcnt(0)
	v_cmp_lt_f32_e64 vcc, |v43|, |v46|
	s_nop 1
	v_cndmask_b32_e32 v43, v43, v46, vcc
	v_cndmask_b32_e32 v44, v44, v47, vcc
	s_cbranch_scc1 .LBB46_204
.LBB46_205:
	s_waitcnt lgkmcnt(0)
	v_cmp_eq_f32_e32 vcc, 0, v43
	s_and_saveexec_b64 s[0:1], vcc
	s_xor_b64 s[0:1], exec, s[0:1]
; %bb.206:
	v_cmp_ne_u32_e32 vcc, 0, v254
	s_nop 1
	v_cndmask_b32_e32 v254, 13, v254, vcc
; %bb.207:
	s_andn2_saveexec_b64 s[0:1], s[0:1]
	s_cbranch_execz .LBB46_209
; %bb.208:
	v_div_scale_f32 v45, s[2:3], v43, v43, 1.0
	v_rcp_f32_e32 v46, v45
	v_div_scale_f32 v47, vcc, 1.0, v43, 1.0
	v_fma_f32 v48, -v45, v46, 1.0
	v_fmac_f32_e32 v46, v48, v46
	v_mul_f32_e32 v48, v47, v46
	v_fma_f32 v49, -v45, v48, v47
	v_fmac_f32_e32 v48, v49, v46
	v_fma_f32 v45, -v45, v48, v47
	v_div_fmas_f32 v45, v45, v46, v48
	v_div_fixup_f32 v43, v45, v43, 1.0
.LBB46_209:
	s_or_b64 exec, exec, s[0:1]
	v_cmp_ne_u32_e32 vcc, v251, v44
	s_and_saveexec_b64 s[0:1], vcc
	s_xor_b64 s[0:1], exec, s[0:1]
	s_cbranch_execz .LBB46_215
; %bb.210:
	v_cmp_eq_u32_e32 vcc, 12, v251
	s_and_saveexec_b64 s[2:3], vcc
	s_cbranch_execz .LBB46_214
; %bb.211:
	v_cmp_ne_u32_e32 vcc, 12, v44
	s_xor_b64 s[18:19], s[16:17], -1
	s_and_b64 s[20:21], s[18:19], vcc
	s_and_saveexec_b64 s[18:19], s[20:21]
	s_cbranch_execz .LBB46_213
; %bb.212:
	scratch_load_dwordx2 v[50:51], off, off offset:2692 ; 8-byte Folded Reload
	v_ashrrev_i32_e32 v45, 31, v44
	s_waitcnt vmcnt(0)
	v_lshl_add_u64 v[46:47], v[44:45], 2, v[50:51]
	global_load_dword v45, v[46:47], off
	global_load_dword v48, v[50:51], off offset:48
	s_waitcnt vmcnt(1)
	global_store_dword v[50:51], v45, off offset:48
	s_waitcnt vmcnt(1)
	global_store_dword v[46:47], v48, off
.LBB46_213:
	s_or_b64 exec, exec, s[18:19]
	v_mov_b32_e32 v45, v44
	v_mov_b32_e32 v251, v44
	scratch_store_dword off, v45, off offset:1024 ; 4-byte Folded Spill
.LBB46_214:
	s_or_b64 exec, exec, s[2:3]
.LBB46_215:
	s_andn2_saveexec_b64 s[0:1], s[0:1]
	s_cbranch_execz .LBB46_217
; %bb.216:
	v_mov_b32_e32 v251, 12
	ds_write2_b32 v250, v13, v14 offset0:13 offset1:14
	ds_write2_b32 v250, v15, v16 offset0:15 offset1:16
	;; [unrolled: 1-line block ×5, first 2 shown]
	ds_write_b32 v250, v255 offset:92
.LBB46_217:
	s_or_b64 exec, exec, s[0:1]
	v_cmp_lt_i32_e32 vcc, 12, v251
	s_waitcnt lgkmcnt(0)
	s_barrier
	s_and_saveexec_b64 s[0:1], vcc
	s_cbranch_execz .LBB46_219
; %bb.218:
	scratch_load_dwordx4 v[106:109], off, off offset:1156 ; 16-byte Folded Reload
	scratch_load_dwordx4 v[110:113], off, off offset:1172 ; 16-byte Folded Reload
	;; [unrolled: 1-line block ×8, first 2 shown]
	ds_read2_b32 v[0:1], v250 offset0:13 offset1:14
	ds_read2_b32 v[4:5], v250 offset0:15 offset1:16
	;; [unrolled: 1-line block ×4, first 2 shown]
	s_waitcnt vmcnt(4)
	v_mul_f32_e32 v118, v26, v43
	v_mov_b32_e32 v2, v13
	v_mov_b32_e32 v3, v14
	;; [unrolled: 1-line block ×8, first 2 shown]
	s_waitcnt lgkmcnt(3)
	v_pk_fma_f32 v[44:45], v[118:119], v[0:1], v[2:3] op_sel_hi:[0,1,1] neg_lo:[1,0,0] neg_hi:[1,0,0]
	v_mov_b32_e32 v0, v15
	v_mov_b32_e32 v1, v16
	s_waitcnt lgkmcnt(2)
	v_pk_fma_f32 v[46:47], v[118:119], v[4:5], v[0:1] op_sel_hi:[0,1,1] neg_lo:[1,0,0] neg_hi:[1,0,0]
	v_mov_b32_e32 v0, v17
	v_mov_b32_e32 v1, v18
	;; [unrolled: 4-line block ×4, first 2 shown]
	v_mov_b32_e32 v7, v107
	v_mov_b32_e32 v8, v108
	;; [unrolled: 1-line block ×13, first 2 shown]
	ds_read2_b32 v[2:3], v250 offset0:21 offset1:22
	ds_read_b32 v4, v250 offset:92
	v_mov_b32_e32 v1, v22
	scratch_store_dwordx4 off, v[6:9], off offset:768 ; 16-byte Folded Spill
	s_nop 0
	scratch_store_dwordx4 off, v[10:13], off offset:784 ; 16-byte Folded Spill
	scratch_store_dwordx4 off, v[14:17], off offset:800 ; 16-byte Folded Spill
	;; [unrolled: 1-line block ×7, first 2 shown]
	v_mov_b32_e32 v22, v47
	s_waitcnt lgkmcnt(1)
	v_pk_fma_f32 v[252:253], v[118:119], v[2:3], v[0:1] op_sel_hi:[0,1,1] neg_lo:[1,0,0] neg_hi:[1,0,0]
	v_mov_b32_e32 v53, v107
	v_mov_b32_e32 v54, v108
	v_mov_b32_e32 v55, v109
	v_mov_b32_e32 v56, v110
	v_mov_b32_e32 v57, v111
	v_mov_b32_e32 v58, v112
	v_mov_b32_e32 v59, v113
	v_mov_b32_e32 v60, v114
	v_mov_b32_e32 v61, v115
	v_mov_b32_e32 v62, v116
	v_mov_b32_e32 v63, v117
	v_mov_b32_e32 v65, v44
	v_mov_b32_e32 v66, v45
	v_mov_b32_e32 v67, v46
	v_mov_b32_e32 v68, v47
	v_mov_b32_e32 v69, v48
	v_mov_b32_e32 v70, v49
	v_mov_b32_e32 v71, v50
	v_mov_b32_e32 v72, v51
	v_mov_b32_e32 v73, v252
	v_mov_b32_e32 v119, v44
	v_mov_b32_e32 v216, v106
	v_mov_b32_e32 v217, v107
	v_mov_b32_e32 v218, v108
	v_mov_b32_e32 v219, v109
	v_mov_b32_e32 v220, v110
	v_mov_b32_e32 v221, v111
	v_mov_b32_e32 v222, v112
	v_mov_b32_e32 v223, v113
	v_mov_b32_e32 v224, v114
	v_mov_b32_e32 v225, v115
	v_mov_b32_e32 v226, v116
	v_mov_b32_e32 v227, v117
	v_mov_b32_e32 v229, v44
	v_mov_b32_e32 v230, v45
	v_mov_b32_e32 v170, v106
	v_mov_b32_e32 v171, v107
	v_mov_b32_e32 v172, v108
	v_mov_b32_e32 v173, v109
	v_mov_b32_e32 v174, v110
	v_mov_b32_e32 v175, v111
	v_mov_b32_e32 v176, v112
	v_mov_b32_e32 v177, v113
	v_mov_b32_e32 v178, v114
	v_mov_b32_e32 v179, v115
	v_mov_b32_e32 v180, v116
	scratch_store_dwordx4 off, v[6:9], off offset:640 ; 16-byte Folded Spill
	s_nop 0
	scratch_store_dwordx4 off, v[10:13], off offset:656 ; 16-byte Folded Spill
	scratch_store_dwordx4 off, v[14:17], off offset:672 ; 16-byte Folded Spill
	;; [unrolled: 1-line block ×7, first 2 shown]
	v_mov_b32_e32 v23, v48
	v_mov_b32_e32 v181, v117
	;; [unrolled: 1-line block ×15, first 2 shown]
	scratch_store_dwordx4 off, v[6:9], off offset:384 ; 16-byte Folded Spill
	s_nop 0
	scratch_store_dwordx4 off, v[10:13], off offset:400 ; 16-byte Folded Spill
	scratch_store_dwordx4 off, v[14:17], off offset:416 ; 16-byte Folded Spill
	;; [unrolled: 1-line block ×7, first 2 shown]
	v_mov_b32_e32 v24, v49
	v_mov_b32_e32 v25, v50
	scratch_store_dwordx4 off, v[6:9], off offset:256 ; 16-byte Folded Spill
	s_nop 0
	scratch_store_dwordx4 off, v[10:13], off offset:272 ; 16-byte Folded Spill
	scratch_store_dwordx4 off, v[14:17], off offset:288 ; 16-byte Folded Spill
	;; [unrolled: 1-line block ×7, first 2 shown]
	v_mov_b32_e32 v26, v51
	scratch_store_dwordx4 off, v[6:9], off offset:128 ; 16-byte Folded Spill
	s_nop 0
	scratch_store_dwordx4 off, v[10:13], off offset:144 ; 16-byte Folded Spill
	scratch_store_dwordx4 off, v[14:17], off offset:160 ; 16-byte Folded Spill
	;; [unrolled: 1-line block ×8, first 2 shown]
	s_nop 0
	scratch_store_dwordx4 off, v[56:59], off offset:528 ; 16-byte Folded Spill
	scratch_store_dwordx4 off, v[60:63], off offset:544 ; 16-byte Folded Spill
	;; [unrolled: 1-line block ×7, first 2 shown]
	s_waitcnt lgkmcnt(0)
	v_fma_f32 v23, -v118, v4, v255
	v_mov_b32_e32 v4, v110
	v_mov_b32_e32 v6, v112
	;; [unrolled: 1-line block ×26, first 2 shown]
	scratch_store_dwordx4 off, v[106:109], off offset:896 ; 16-byte Folded Spill
	s_nop 0
	scratch_store_dwordx4 off, v[110:113], off offset:912 ; 16-byte Folded Spill
	scratch_store_dwordx4 off, v[114:117], off offset:928 ; 16-byte Folded Spill
	;; [unrolled: 1-line block ×3, first 2 shown]
	s_waitcnt vmcnt(55)
	scratch_store_dwordx4 off, v[122:125], off offset:960 ; 16-byte Folded Spill
	s_waitcnt vmcnt(55)
	scratch_store_dwordx4 off, v[126:129], off offset:976 ; 16-byte Folded Spill
	;; [unrolled: 2-line block ×4, first 2 shown]
	scratch_store_dwordx4 off, v[106:109], off offset:1028 ; 16-byte Folded Spill
	s_nop 0
	scratch_store_dwordx4 off, v[110:113], off offset:1044 ; 16-byte Folded Spill
	scratch_store_dwordx4 off, v[114:117], off offset:1060 ; 16-byte Folded Spill
	;; [unrolled: 1-line block ×7, first 2 shown]
	scratch_store_dwordx4 off, v[22:25], off ; 16-byte Folded Spill
	s_nop 0
	scratch_store_dwordx4 off, v[26:29], off offset:16 ; 16-byte Folded Spill
	scratch_store_dwordx4 off, v[30:33], off offset:32 ; 16-byte Folded Spill
	;; [unrolled: 1-line block ×7, first 2 shown]
.LBB46_219:
	s_or_b64 exec, exec, s[0:1]
	v_lshl_add_u32 v43, v251, 2, v250
	s_waitcnt vmcnt(63) expcnt(7) lgkmcnt(15)
	s_barrier
	ds_write_b32 v43, v63
	s_waitcnt lgkmcnt(0)
	s_barrier
	ds_read_b32 v43, v250 offset:52
	s_cmp_lt_i32 s22, 15
	v_mov_b32_e32 v44, 13
	s_cbranch_scc1 .LBB46_222
; %bb.220:
	v_add3_u32 v45, v84, 0, 56
	v_mov_b32_e32 v44, 13
	s_mov_b32 s0, 14
.LBB46_221:                             ; =>This Inner Loop Header: Depth=1
	ds_read_b32 v46, v45
	v_mov_b32_e32 v47, s0
	s_add_i32 s0, s0, 1
	v_add_u32_e32 v45, 4, v45
	s_cmp_lg_u32 s22, s0
	s_waitcnt lgkmcnt(0)
	v_cmp_lt_f32_e64 vcc, |v43|, |v46|
	s_nop 1
	v_cndmask_b32_e32 v43, v43, v46, vcc
	v_cndmask_b32_e32 v44, v44, v47, vcc
	s_cbranch_scc1 .LBB46_221
.LBB46_222:
	s_waitcnt lgkmcnt(0)
	v_cmp_eq_f32_e32 vcc, 0, v43
	s_and_saveexec_b64 s[0:1], vcc
	s_xor_b64 s[0:1], exec, s[0:1]
; %bb.223:
	v_cmp_ne_u32_e32 vcc, 0, v254
	s_nop 1
	v_cndmask_b32_e32 v254, 14, v254, vcc
; %bb.224:
	s_andn2_saveexec_b64 s[0:1], s[0:1]
	s_cbranch_execz .LBB46_226
; %bb.225:
	v_div_scale_f32 v45, s[2:3], v43, v43, 1.0
	v_rcp_f32_e32 v46, v45
	v_div_scale_f32 v47, vcc, 1.0, v43, 1.0
	v_fma_f32 v48, -v45, v46, 1.0
	v_fmac_f32_e32 v46, v48, v46
	v_mul_f32_e32 v48, v47, v46
	v_fma_f32 v49, -v45, v48, v47
	v_fmac_f32_e32 v48, v49, v46
	v_fma_f32 v45, -v45, v48, v47
	v_div_fmas_f32 v45, v45, v46, v48
	v_div_fixup_f32 v43, v45, v43, 1.0
.LBB46_226:
	s_or_b64 exec, exec, s[0:1]
	v_cmp_ne_u32_e32 vcc, v251, v44
	s_and_saveexec_b64 s[0:1], vcc
	s_xor_b64 s[0:1], exec, s[0:1]
	s_cbranch_execz .LBB46_232
; %bb.227:
	v_cmp_eq_u32_e32 vcc, 13, v251
	s_and_saveexec_b64 s[2:3], vcc
	s_cbranch_execz .LBB46_231
; %bb.228:
	v_cmp_ne_u32_e32 vcc, 13, v44
	s_xor_b64 s[18:19], s[16:17], -1
	s_and_b64 s[20:21], s[18:19], vcc
	s_and_saveexec_b64 s[18:19], s[20:21]
	s_cbranch_execz .LBB46_230
; %bb.229:
	scratch_load_dwordx2 v[50:51], off, off offset:2692 ; 8-byte Folded Reload
	v_ashrrev_i32_e32 v45, 31, v44
	s_waitcnt vmcnt(0)
	v_lshl_add_u64 v[46:47], v[44:45], 2, v[50:51]
	global_load_dword v45, v[46:47], off
	global_load_dword v48, v[50:51], off offset:52
	s_waitcnt vmcnt(1)
	global_store_dword v[50:51], v45, off offset:52
	s_waitcnt vmcnt(1)
	global_store_dword v[46:47], v48, off
.LBB46_230:
	s_or_b64 exec, exec, s[18:19]
	v_mov_b32_e32 v45, v44
	v_mov_b32_e32 v251, v44
	scratch_store_dword off, v45, off offset:1024 ; 4-byte Folded Spill
.LBB46_231:
	s_or_b64 exec, exec, s[2:3]
.LBB46_232:
	s_andn2_saveexec_b64 s[0:1], s[0:1]
	s_cbranch_execz .LBB46_234
; %bb.233:
	v_mov_b32_e32 v251, 13
	ds_write2_b32 v250, v14, v15 offset0:14 offset1:15
	ds_write2_b32 v250, v16, v17 offset0:16 offset1:17
	;; [unrolled: 1-line block ×5, first 2 shown]
.LBB46_234:
	s_or_b64 exec, exec, s[0:1]
	v_cmp_lt_i32_e32 vcc, 13, v251
	s_waitcnt lgkmcnt(0)
	s_barrier
	s_and_saveexec_b64 s[0:1], vcc
	s_cbranch_execz .LBB46_236
; %bb.235:
	ds_read2_b32 v[2:3], v250 offset0:14 offset1:15
	ds_read2_b32 v[4:5], v250 offset0:16 offset1:17
	;; [unrolled: 1-line block ×5, first 2 shown]
	scratch_load_dwordx4 v[106:109], off, off offset:1028 ; 16-byte Folded Reload
	scratch_load_dwordx4 v[110:113], off, off offset:1044 ; 16-byte Folded Reload
	;; [unrolled: 1-line block ×8, first 2 shown]
	v_mul_f32_e32 v0, v63, v43
	s_waitcnt vmcnt(12) lgkmcnt(4)
	v_pk_fma_f32 v[230:231], v[0:1], v[2:3], v[14:15] op_sel_hi:[0,1,1] neg_lo:[1,0,0] neg_hi:[1,0,0]
	v_mov_b32_e32 v37, v0
	v_mov_b32_e32 v38, v230
	;; [unrolled: 1-line block ×3, first 2 shown]
	s_waitcnt lgkmcnt(3)
	v_pk_fma_f32 v[82:83], v[0:1], v[4:5], v[16:17] op_sel_hi:[0,1,1] neg_lo:[1,0,0] neg_hi:[1,0,0]
	s_waitcnt lgkmcnt(2)
	v_pk_fma_f32 v[188:189], v[0:1], v[6:7], v[18:19] op_sel_hi:[0,1,1] neg_lo:[1,0,0] neg_hi:[1,0,0]
	s_waitcnt lgkmcnt(0)
	v_pk_fma_f32 v[140:141], v[0:1], v[10:11], v[20:21] op_sel_hi:[0,1,1] neg_lo:[1,0,0] neg_hi:[1,0,0]
	v_mov_b32_e32 v57, v0
	v_mov_b32_e32 v58, v230
	;; [unrolled: 1-line block ×9, first 2 shown]
	s_waitcnt vmcnt(4)
	v_mov_b32_e32 v119, v0
	v_mov_b32_e32 v79, v0
	;; [unrolled: 1-line block ×4, first 2 shown]
	s_waitcnt vmcnt(1)
	v_mov_b32_e32 v133, v0
	s_waitcnt vmcnt(0)
	v_mov_b32_e32 v134, v230
	v_mov_b32_e32 v135, v231
	;; [unrolled: 1-line block ×4, first 2 shown]
	v_pk_fma_f32 v[22:23], v[0:1], v[8:9], v[22:23] op_sel_hi:[0,1,1] neg_lo:[1,0,0] neg_hi:[1,0,0]
	v_mov_b32_e32 v229, v0
	v_mov_b32_e32 v183, v0
	;; [unrolled: 1-line block ×32, first 2 shown]
	scratch_store_dwordx4 off, v[24:27], off offset:768 ; 16-byte Folded Spill
	s_nop 0
	scratch_store_dwordx4 off, v[28:31], off offset:784 ; 16-byte Folded Spill
	scratch_store_dwordx4 off, v[32:35], off offset:800 ; 16-byte Folded Spill
	;; [unrolled: 1-line block ×7, first 2 shown]
	v_mov_b32_e32 v40, v82
	v_mov_b32_e32 v41, v83
	v_mov_b32_e32 v66, v106
	v_mov_b32_e32 v67, v107
	v_mov_b32_e32 v68, v108
	v_mov_b32_e32 v69, v109
	v_mov_b32_e32 v70, v110
	v_mov_b32_e32 v71, v111
	v_mov_b32_e32 v72, v112
	v_mov_b32_e32 v73, v113
	v_mov_b32_e32 v74, v114
	v_mov_b32_e32 v75, v115
	v_mov_b32_e32 v56, v118
	v_mov_b32_e32 v76, v116
	v_mov_b32_e32 v77, v117
	v_mov_b32_e32 v78, v118
	v_mov_b32_e32 v120, v106
	v_mov_b32_e32 v121, v107
	v_mov_b32_e32 v122, v108
	v_mov_b32_e32 v123, v109
	v_mov_b32_e32 v124, v110
	v_mov_b32_e32 v125, v111
	v_mov_b32_e32 v126, v112
	v_mov_b32_e32 v127, v113
	v_mov_b32_e32 v128, v114
	v_mov_b32_e32 v129, v115
	v_mov_b32_e32 v130, v116
	v_mov_b32_e32 v131, v117
	v_mov_b32_e32 v132, v118
	v_mov_b32_e32 v216, v106
	v_mov_b32_e32 v217, v107
	v_mov_b32_e32 v218, v108
	v_mov_b32_e32 v219, v109
	v_mov_b32_e32 v220, v110
	v_mov_b32_e32 v221, v111
	v_mov_b32_e32 v222, v112
	v_mov_b32_e32 v223, v113
	v_mov_b32_e32 v224, v114
	v_mov_b32_e32 v225, v115
	v_mov_b32_e32 v226, v116
	v_mov_b32_e32 v227, v117
	v_mov_b32_e32 v228, v118
	v_mov_b32_e32 v170, v106
	v_mov_b32_e32 v171, v107
	v_mov_b32_e32 v172, v108
	v_mov_b32_e32 v173, v109
	v_mov_b32_e32 v174, v110
	v_mov_b32_e32 v175, v111
	v_mov_b32_e32 v176, v112
	v_mov_b32_e32 v177, v113
	v_mov_b32_e32 v178, v114
	v_mov_b32_e32 v179, v115
	v_mov_b32_e32 v180, v116
	v_mov_b32_e32 v181, v117
	v_mov_b32_e32 v182, v118
	v_mov_b32_e32 v0, v106
	v_mov_b32_e32 v1, v107
	v_mov_b32_e32 v2, v108
	v_mov_b32_e32 v3, v109
	v_mov_b32_e32 v4, v110
	v_mov_b32_e32 v5, v111
	v_mov_b32_e32 v6, v112
	scratch_store_dwordx4 off, v[24:27], off offset:384 ; 16-byte Folded Spill
	s_nop 0
	scratch_store_dwordx4 off, v[28:31], off offset:400 ; 16-byte Folded Spill
	scratch_store_dwordx4 off, v[32:35], off offset:416 ; 16-byte Folded Spill
	;; [unrolled: 1-line block ×7, first 2 shown]
	v_mov_b32_e32 v42, v188
	v_mov_b32_e32 v43, v189
	;; [unrolled: 1-line block ×8, first 2 shown]
	scratch_store_dwordx4 off, v[24:27], off offset:256 ; 16-byte Folded Spill
	s_nop 0
	scratch_store_dwordx4 off, v[28:31], off offset:272 ; 16-byte Folded Spill
	scratch_store_dwordx4 off, v[32:35], off offset:288 ; 16-byte Folded Spill
	;; [unrolled: 1-line block ×7, first 2 shown]
	v_mov_b32_e32 v44, v106
	v_mov_b32_e32 v45, v107
	;; [unrolled: 1-line block ×12, first 2 shown]
	scratch_store_dwordx4 off, v[44:47], off offset:512 ; 16-byte Folded Spill
	s_nop 0
	scratch_store_dwordx4 off, v[48:51], off offset:528 ; 16-byte Folded Spill
	scratch_store_dwordx4 off, v[52:55], off offset:544 ; 16-byte Folded Spill
	;; [unrolled: 1-line block ×8, first 2 shown]
	s_nop 0
	scratch_store_dwordx4 off, v[110:113], off offset:912 ; 16-byte Folded Spill
	scratch_store_dwordx4 off, v[114:117], off offset:928 ; 16-byte Folded Spill
	;; [unrolled: 1-line block ×7, first 2 shown]
	v_mov_b32_e32 v28, v82
	v_mov_b32_e32 v24, v230
	;; [unrolled: 1-line block ×5, first 2 shown]
	scratch_store_dwordx4 off, v[66:69], off offset:640 ; 16-byte Folded Spill
	s_nop 0
	scratch_store_dwordx4 off, v[70:73], off offset:656 ; 16-byte Folded Spill
	scratch_store_dwordx4 off, v[74:77], off offset:672 ; 16-byte Folded Spill
	;; [unrolled: 1-line block ×8, first 2 shown]
	s_nop 0
	scratch_store_dwordx4 off, v[124:127], off offset:144 ; 16-byte Folded Spill
	scratch_store_dwordx4 off, v[128:131], off offset:160 ; 16-byte Folded Spill
	;; [unrolled: 1-line block ×7, first 2 shown]
	scratch_store_dwordx4 off, v[120:123], off ; 16-byte Folded Spill
	s_nop 0
	scratch_store_dwordx4 off, v[124:127], off offset:16 ; 16-byte Folded Spill
	scratch_store_dwordx4 off, v[128:131], off offset:32 ; 16-byte Folded Spill
	;; [unrolled: 1-line block ×7, first 2 shown]
	v_mov_b32_e32 v25, v83
.LBB46_236:
	s_or_b64 exec, exec, s[0:1]
	v_lshl_add_u32 v43, v251, 2, v250
	s_waitcnt vmcnt(63) expcnt(7) lgkmcnt(15)
	s_barrier
	ds_write_b32 v43, v24
	s_waitcnt lgkmcnt(0)
	s_barrier
	ds_read_b32 v43, v250 offset:56
	s_cmp_lt_i32 s22, 16
	v_mov_b32_e32 v44, 14
	s_cbranch_scc1 .LBB46_239
; %bb.237:
	v_add3_u32 v45, v84, 0, 60
	v_mov_b32_e32 v44, 14
	s_mov_b32 s0, 15
.LBB46_238:                             ; =>This Inner Loop Header: Depth=1
	ds_read_b32 v46, v45
	v_mov_b32_e32 v47, s0
	s_add_i32 s0, s0, 1
	v_add_u32_e32 v45, 4, v45
	s_cmp_lg_u32 s22, s0
	s_waitcnt lgkmcnt(0)
	v_cmp_lt_f32_e64 vcc, |v43|, |v46|
	s_nop 1
	v_cndmask_b32_e32 v43, v43, v46, vcc
	v_cndmask_b32_e32 v44, v44, v47, vcc
	s_cbranch_scc1 .LBB46_238
.LBB46_239:
	s_waitcnt lgkmcnt(0)
	v_cmp_eq_f32_e32 vcc, 0, v43
	s_and_saveexec_b64 s[0:1], vcc
	s_xor_b64 s[0:1], exec, s[0:1]
; %bb.240:
	v_cmp_ne_u32_e32 vcc, 0, v254
	s_nop 1
	v_cndmask_b32_e32 v254, 15, v254, vcc
; %bb.241:
	s_andn2_saveexec_b64 s[0:1], s[0:1]
	s_cbranch_execz .LBB46_243
; %bb.242:
	v_div_scale_f32 v45, s[2:3], v43, v43, 1.0
	v_rcp_f32_e32 v46, v45
	v_div_scale_f32 v47, vcc, 1.0, v43, 1.0
	v_fma_f32 v48, -v45, v46, 1.0
	v_fmac_f32_e32 v46, v48, v46
	v_mul_f32_e32 v48, v47, v46
	v_fma_f32 v49, -v45, v48, v47
	v_fmac_f32_e32 v48, v49, v46
	v_fma_f32 v45, -v45, v48, v47
	v_div_fmas_f32 v45, v45, v46, v48
	v_div_fixup_f32 v43, v45, v43, 1.0
.LBB46_243:
	s_or_b64 exec, exec, s[0:1]
	v_cmp_ne_u32_e32 vcc, v251, v44
	s_and_saveexec_b64 s[0:1], vcc
	s_xor_b64 s[0:1], exec, s[0:1]
	s_cbranch_execz .LBB46_249
; %bb.244:
	v_cmp_eq_u32_e32 vcc, 14, v251
	s_and_saveexec_b64 s[2:3], vcc
	s_cbranch_execz .LBB46_248
; %bb.245:
	v_cmp_ne_u32_e32 vcc, 14, v44
	s_xor_b64 s[18:19], s[16:17], -1
	s_and_b64 s[20:21], s[18:19], vcc
	s_and_saveexec_b64 s[18:19], s[20:21]
	s_cbranch_execz .LBB46_247
; %bb.246:
	scratch_load_dwordx2 v[50:51], off, off offset:2692 ; 8-byte Folded Reload
	v_ashrrev_i32_e32 v45, 31, v44
	s_waitcnt vmcnt(0)
	v_lshl_add_u64 v[46:47], v[44:45], 2, v[50:51]
	global_load_dword v45, v[46:47], off
	global_load_dword v48, v[50:51], off offset:56
	s_waitcnt vmcnt(1)
	global_store_dword v[50:51], v45, off offset:56
	s_waitcnt vmcnt(1)
	global_store_dword v[46:47], v48, off
.LBB46_247:
	s_or_b64 exec, exec, s[18:19]
	v_mov_b32_e32 v45, v44
	v_mov_b32_e32 v251, v44
	scratch_store_dword off, v45, off offset:1024 ; 4-byte Folded Spill
.LBB46_248:
	s_or_b64 exec, exec, s[2:3]
.LBB46_249:
	s_andn2_saveexec_b64 s[0:1], s[0:1]
	s_cbranch_execz .LBB46_251
; %bb.250:
	v_mov_b32_e32 v251, 14
	ds_write2_b32 v250, v15, v16 offset0:15 offset1:16
	ds_write2_b32 v250, v17, v18 offset0:17 offset1:18
	;; [unrolled: 1-line block ×4, first 2 shown]
	ds_write_b32 v250, v255 offset:92
.LBB46_251:
	s_or_b64 exec, exec, s[0:1]
	v_cmp_lt_i32_e32 vcc, 14, v251
	s_waitcnt lgkmcnt(0)
	s_barrier
	s_and_saveexec_b64 s[0:1], vcc
	s_cbranch_execz .LBB46_253
; %bb.252:
	scratch_load_dwordx4 v[216:219], off, off offset:896 ; 16-byte Folded Reload
	scratch_load_dwordx4 v[220:223], off, off offset:912 ; 16-byte Folded Reload
	;; [unrolled: 1-line block ×8, first 2 shown]
	ds_read2_b32 v[0:1], v250 offset0:15 offset1:16
	ds_read2_b32 v[4:5], v250 offset0:17 offset1:18
	;; [unrolled: 1-line block ×4, first 2 shown]
	s_waitcnt vmcnt(4)
	v_mul_f32_e32 v230, v24, v43
	v_mov_b32_e32 v2, v15
	v_mov_b32_e32 v3, v16
	;; [unrolled: 1-line block ×7, first 2 shown]
	s_waitcnt lgkmcnt(3)
	v_pk_fma_f32 v[44:45], v[230:231], v[0:1], v[2:3] op_sel_hi:[0,1,1] neg_lo:[1,0,0] neg_hi:[1,0,0]
	v_mov_b32_e32 v0, v17
	v_mov_b32_e32 v1, v18
	s_waitcnt lgkmcnt(2)
	v_pk_fma_f32 v[46:47], v[230:231], v[4:5], v[0:1] op_sel_hi:[0,1,1] neg_lo:[1,0,0] neg_hi:[1,0,0]
	v_mov_b32_e32 v0, v19
	v_mov_b32_e32 v1, v20
	;; [unrolled: 4-line block ×4, first 2 shown]
	v_mov_b32_e32 v4, v218
	v_mov_b32_e32 v5, v219
	;; [unrolled: 1-line block ×13, first 2 shown]
	ds_read_b32 v0, v250 offset:92
	scratch_store_dwordx4 off, v[2:5], off offset:640 ; 16-byte Folded Spill
	s_nop 0
	scratch_store_dwordx4 off, v[6:9], off offset:656 ; 16-byte Folded Spill
	scratch_store_dwordx4 off, v[10:13], off offset:672 ; 16-byte Folded Spill
	;; [unrolled: 1-line block ×7, first 2 shown]
	v_mov_b32_e32 v19, v46
	v_mov_b32_e32 v231, v44
	;; [unrolled: 1-line block ×21, first 2 shown]
	scratch_store_dwordx4 off, v[2:5], off offset:384 ; 16-byte Folded Spill
	s_nop 0
	scratch_store_dwordx4 off, v[6:9], off offset:400 ; 16-byte Folded Spill
	scratch_store_dwordx4 off, v[10:13], off offset:416 ; 16-byte Folded Spill
	;; [unrolled: 1-line block ×7, first 2 shown]
	v_mov_b32_e32 v20, v47
	v_mov_b32_e32 v21, v48
	scratch_store_dwordx4 off, v[2:5], off offset:256 ; 16-byte Folded Spill
	s_nop 0
	scratch_store_dwordx4 off, v[6:9], off offset:272 ; 16-byte Folded Spill
	scratch_store_dwordx4 off, v[10:13], off offset:288 ; 16-byte Folded Spill
	scratch_store_dwordx4 off, v[14:17], off offset:304 ; 16-byte Folded Spill
	scratch_store_dwordx4 off, v[18:21], off offset:320 ; 16-byte Folded Spill
	scratch_store_dwordx4 off, v[22:25], off offset:336 ; 16-byte Folded Spill
	scratch_store_dwordx4 off, v[26:29], off offset:352 ; 16-byte Folded Spill
	scratch_store_dwordx4 off, v[30:33], off offset:368 ; 16-byte Folded Spill
	v_mov_b32_e32 v22, v49
	scratch_store_dwordx4 off, v[2:5], off offset:128 ; 16-byte Folded Spill
	s_nop 0
	scratch_store_dwordx4 off, v[6:9], off offset:144 ; 16-byte Folded Spill
	scratch_store_dwordx4 off, v[10:13], off offset:160 ; 16-byte Folded Spill
	scratch_store_dwordx4 off, v[14:17], off offset:176 ; 16-byte Folded Spill
	scratch_store_dwordx4 off, v[18:21], off offset:192 ; 16-byte Folded Spill
	scratch_store_dwordx4 off, v[22:25], off offset:208 ; 16-byte Folded Spill
	scratch_store_dwordx4 off, v[26:29], off offset:224 ; 16-byte Folded Spill
	scratch_store_dwordx4 off, v[30:33], off offset:240 ; 16-byte Folded Spill
	;; [unrolled: 10-line block ×3, first 2 shown]
	s_waitcnt lgkmcnt(0)
	v_fma_f32 v23, -v230, v0, v255
	v_mov_b32_e32 v0, v216
	v_mov_b32_e32 v2, v218
	;; [unrolled: 1-line block ×28, first 2 shown]
	scratch_store_dwordx4 off, v[216:219], off offset:768 ; 16-byte Folded Spill
	s_nop 0
	scratch_store_dwordx4 off, v[220:223], off offset:784 ; 16-byte Folded Spill
	scratch_store_dwordx4 off, v[224:227], off offset:800 ; 16-byte Folded Spill
	;; [unrolled: 1-line block ×3, first 2 shown]
	s_waitcnt vmcnt(47)
	scratch_store_dwordx4 off, v[232:235], off offset:832 ; 16-byte Folded Spill
	s_waitcnt vmcnt(47)
	scratch_store_dwordx4 off, v[236:239], off offset:848 ; 16-byte Folded Spill
	;; [unrolled: 2-line block ×4, first 2 shown]
	scratch_store_dwordx4 off, v[22:25], off ; 16-byte Folded Spill
	s_nop 0
	scratch_store_dwordx4 off, v[26:29], off offset:16 ; 16-byte Folded Spill
	scratch_store_dwordx4 off, v[30:33], off offset:32 ; 16-byte Folded Spill
	;; [unrolled: 1-line block ×7, first 2 shown]
.LBB46_253:
	s_or_b64 exec, exec, s[0:1]
	v_lshl_add_u32 v43, v251, 2, v250
	s_barrier
	ds_write_b32 v43, v27
	s_waitcnt lgkmcnt(0)
	s_barrier
	ds_read_b32 v43, v250 offset:60
	s_cmp_lt_i32 s22, 17
	v_mov_b32_e32 v44, 15
	s_cbranch_scc1 .LBB46_256
; %bb.254:
	v_add3_u32 v45, v84, 0, 64
	v_mov_b32_e32 v44, 15
	s_mov_b32 s0, 16
.LBB46_255:                             ; =>This Inner Loop Header: Depth=1
	ds_read_b32 v46, v45
	v_mov_b32_e32 v47, s0
	s_add_i32 s0, s0, 1
	v_add_u32_e32 v45, 4, v45
	s_cmp_lg_u32 s22, s0
	s_waitcnt lgkmcnt(0)
	v_cmp_lt_f32_e64 vcc, |v43|, |v46|
	s_nop 1
	v_cndmask_b32_e32 v43, v43, v46, vcc
	v_cndmask_b32_e32 v44, v44, v47, vcc
	s_cbranch_scc1 .LBB46_255
.LBB46_256:
	s_waitcnt lgkmcnt(0)
	v_cmp_eq_f32_e32 vcc, 0, v43
	s_and_saveexec_b64 s[0:1], vcc
	s_xor_b64 s[0:1], exec, s[0:1]
; %bb.257:
	v_cmp_ne_u32_e32 vcc, 0, v254
	s_nop 1
	v_cndmask_b32_e32 v254, 16, v254, vcc
; %bb.258:
	s_andn2_saveexec_b64 s[0:1], s[0:1]
	s_cbranch_execz .LBB46_260
; %bb.259:
	v_div_scale_f32 v45, s[2:3], v43, v43, 1.0
	v_rcp_f32_e32 v46, v45
	v_div_scale_f32 v47, vcc, 1.0, v43, 1.0
	v_fma_f32 v48, -v45, v46, 1.0
	v_fmac_f32_e32 v46, v48, v46
	v_mul_f32_e32 v48, v47, v46
	v_fma_f32 v49, -v45, v48, v47
	v_fmac_f32_e32 v48, v49, v46
	v_fma_f32 v45, -v45, v48, v47
	v_div_fmas_f32 v45, v45, v46, v48
	v_div_fixup_f32 v43, v45, v43, 1.0
.LBB46_260:
	s_or_b64 exec, exec, s[0:1]
	v_cmp_ne_u32_e32 vcc, v251, v44
	s_and_saveexec_b64 s[0:1], vcc
	s_xor_b64 s[0:1], exec, s[0:1]
	s_cbranch_execz .LBB46_266
; %bb.261:
	v_cmp_eq_u32_e32 vcc, 15, v251
	s_and_saveexec_b64 s[2:3], vcc
	s_cbranch_execz .LBB46_265
; %bb.262:
	v_cmp_ne_u32_e32 vcc, 15, v44
	s_xor_b64 s[18:19], s[16:17], -1
	s_and_b64 s[20:21], s[18:19], vcc
	s_and_saveexec_b64 s[18:19], s[20:21]
	s_cbranch_execz .LBB46_264
; %bb.263:
	scratch_load_dwordx2 v[50:51], off, off offset:2692 ; 8-byte Folded Reload
	v_ashrrev_i32_e32 v45, 31, v44
	s_waitcnt vmcnt(0)
	v_lshl_add_u64 v[46:47], v[44:45], 2, v[50:51]
	global_load_dword v45, v[46:47], off
	global_load_dword v48, v[50:51], off offset:60
	s_waitcnt vmcnt(1)
	global_store_dword v[50:51], v45, off offset:60
	s_waitcnt vmcnt(1)
	global_store_dword v[46:47], v48, off
.LBB46_264:
	s_or_b64 exec, exec, s[18:19]
	v_mov_b32_e32 v45, v44
	v_mov_b32_e32 v251, v44
	scratch_store_dword off, v45, off offset:1024 ; 4-byte Folded Spill
.LBB46_265:
	s_or_b64 exec, exec, s[2:3]
.LBB46_266:
	s_andn2_saveexec_b64 s[0:1], s[0:1]
	s_cbranch_execz .LBB46_268
; %bb.267:
	v_mov_b32_e32 v251, 15
	ds_write2_b32 v250, v16, v17 offset0:16 offset1:17
	ds_write2_b32 v250, v18, v19 offset0:18 offset1:19
	;; [unrolled: 1-line block ×4, first 2 shown]
.LBB46_268:
	s_or_b64 exec, exec, s[0:1]
	v_cmp_lt_i32_e32 vcc, 15, v251
	s_waitcnt lgkmcnt(0)
	s_barrier
	s_and_saveexec_b64 s[0:1], vcc
	s_cbranch_execz .LBB46_270
; %bb.269:
	ds_read2_b32 v[0:1], v250 offset0:16 offset1:17
	ds_read2_b32 v[2:3], v250 offset0:18 offset1:19
	;; [unrolled: 1-line block ×4, first 2 shown]
	v_mul_f32_e32 v8, v27, v43
	s_waitcnt lgkmcnt(3)
	v_pk_fma_f32 v[82:83], v[8:9], v[0:1], v[16:17] op_sel_hi:[0,1,1] neg_lo:[1,0,0] neg_hi:[1,0,0]
	s_waitcnt vmcnt(7)
	v_mov_b32_e32 v24, v216
	v_mov_b32_e32 v25, v217
	v_mov_b32_e32 v26, v218
	v_mov_b32_e32 v27, v219
	s_waitcnt vmcnt(6)
	v_mov_b32_e32 v28, v220
	v_mov_b32_e32 v29, v221
	v_mov_b32_e32 v30, v222
	v_mov_b32_e32 v31, v223
	;; [unrolled: 5-line block ×4, first 2 shown]
	v_mov_b32_e32 v40, v82
	v_mov_b32_e32 v41, v83
	scratch_store_dwordx4 off, v[24:27], off offset:384 ; 16-byte Folded Spill
	s_nop 0
	scratch_store_dwordx4 off, v[28:31], off offset:400 ; 16-byte Folded Spill
	scratch_store_dwordx4 off, v[32:35], off offset:416 ; 16-byte Folded Spill
	;; [unrolled: 1-line block ×7, first 2 shown]
	s_waitcnt lgkmcnt(2)
	v_pk_fma_f32 v[188:189], v[8:9], v[2:3], v[18:19] op_sel_hi:[0,1,1] neg_lo:[1,0,0] neg_hi:[1,0,0]
	v_mov_b32_e32 v42, v188
	v_mov_b32_e32 v43, v189
	s_waitcnt lgkmcnt(1)
	v_pk_fma_f32 v[140:141], v[8:9], v[4:5], v[20:21] op_sel_hi:[0,1,1] neg_lo:[1,0,0] neg_hi:[1,0,0]
	v_mov_b32_e32 v66, v216
	v_mov_b32_e32 v67, v217
	;; [unrolled: 1-line block ×27, first 2 shown]
	s_waitcnt lgkmcnt(0)
	v_pk_fma_f32 v[22:23], v[8:9], v[6:7], v[22:23] op_sel_hi:[0,1,1] neg_lo:[1,0,0] neg_hi:[1,0,0]
	v_mov_b32_e32 v170, v216
	v_mov_b32_e32 v171, v217
	;; [unrolled: 1-line block ×23, first 2 shown]
	scratch_store_dwordx4 off, v[24:27], off offset:256 ; 16-byte Folded Spill
	s_nop 0
	scratch_store_dwordx4 off, v[28:31], off offset:272 ; 16-byte Folded Spill
	scratch_store_dwordx4 off, v[32:35], off offset:288 ; 16-byte Folded Spill
	;; [unrolled: 1-line block ×7, first 2 shown]
	v_mov_b32_e32 v44, v216
	v_mov_b32_e32 v45, v217
	;; [unrolled: 1-line block ×12, first 2 shown]
	scratch_store_dwordx4 off, v[44:47], off offset:512 ; 16-byte Folded Spill
	s_nop 0
	scratch_store_dwordx4 off, v[48:51], off offset:528 ; 16-byte Folded Spill
	scratch_store_dwordx4 off, v[52:55], off offset:544 ; 16-byte Folded Spill
	;; [unrolled: 1-line block ×7, first 2 shown]
	v_mov_b32_e32 v125, v221
	v_mov_b32_e32 v126, v222
	;; [unrolled: 1-line block ×31, first 2 shown]
	scratch_store_dwordx4 off, v[216:219], off offset:768 ; 16-byte Folded Spill
	s_nop 0
	scratch_store_dwordx4 off, v[220:223], off offset:784 ; 16-byte Folded Spill
	scratch_store_dwordx4 off, v[224:227], off offset:800 ; 16-byte Folded Spill
	;; [unrolled: 1-line block ×3, first 2 shown]
	s_waitcnt vmcnt(31)
	scratch_store_dwordx4 off, v[232:235], off offset:832 ; 16-byte Folded Spill
	s_waitcnt vmcnt(31)
	scratch_store_dwordx4 off, v[236:239], off offset:848 ; 16-byte Folded Spill
	;; [unrolled: 2-line block ×4, first 2 shown]
	v_mov_b32_e32 v28, v82
	v_mov_b32_e32 v138, v188
	v_mov_b32_e32 v139, v189
	v_mov_b32_e32 v18, v188
	v_mov_b32_e32 v19, v189
	v_mov_b32_e32 v20, v140
	v_mov_b32_e32 v21, v141
	v_mov_b32_e32 v253, v22
	v_mov_b32_e32 v255, v23
	v_mov_b32_e32 v29, v189
	v_mov_b32_e32 v32, v140
	scratch_store_dwordx4 off, v[66:69], off offset:640 ; 16-byte Folded Spill
	s_nop 0
	scratch_store_dwordx4 off, v[70:73], off offset:656 ; 16-byte Folded Spill
	scratch_store_dwordx4 off, v[74:77], off offset:672 ; 16-byte Folded Spill
	;; [unrolled: 1-line block ×8, first 2 shown]
	s_nop 0
	scratch_store_dwordx4 off, v[124:127], off offset:144 ; 16-byte Folded Spill
	scratch_store_dwordx4 off, v[128:131], off offset:160 ; 16-byte Folded Spill
	;; [unrolled: 1-line block ×7, first 2 shown]
	scratch_store_dwordx4 off, v[120:123], off ; 16-byte Folded Spill
	s_nop 0
	scratch_store_dwordx4 off, v[124:127], off offset:16 ; 16-byte Folded Spill
	scratch_store_dwordx4 off, v[128:131], off offset:32 ; 16-byte Folded Spill
	;; [unrolled: 1-line block ×7, first 2 shown]
	v_mov_b32_e32 v25, v83
.LBB46_270:
	s_or_b64 exec, exec, s[0:1]
	v_lshl_add_u32 v43, v251, 2, v250
	s_barrier
	ds_write_b32 v43, v28
	s_waitcnt lgkmcnt(0)
	s_barrier
	ds_read_b32 v43, v250 offset:64
	s_cmp_lt_i32 s22, 18
	v_mov_b32_e32 v44, 16
	s_cbranch_scc1 .LBB46_412
; %bb.271:
	scratch_load_dwordx4 v[216:219], off, off offset:512 ; 16-byte Folded Reload
	scratch_load_dwordx4 v[220:223], off, off offset:528 ; 16-byte Folded Reload
	;; [unrolled: 1-line block ×8, first 2 shown]
	v_add_u32_e32 v45, 0x44, v250
	v_mov_b32_e32 v44, 16
	s_mov_b32 s0, 17
.LBB46_272:                             ; =>This Inner Loop Header: Depth=1
	ds_read_b32 v46, v45
	v_mov_b32_e32 v47, s0
	s_add_i32 s0, s0, 1
	v_add_u32_e32 v45, 4, v45
	s_cmp_lg_u32 s22, s0
	s_waitcnt lgkmcnt(0)
	v_cmp_lt_f32_e64 vcc, |v43|, |v46|
	s_nop 1
	v_cndmask_b32_e32 v43, v43, v46, vcc
	v_cndmask_b32_e32 v44, v44, v47, vcc
	s_cbranch_scc1 .LBB46_272
; %bb.273:
	v_cmp_eq_f32_e32 vcc, 0, v43
	s_and_saveexec_b64 s[0:1], vcc
	s_xor_b64 s[0:1], exec, s[0:1]
.LBB46_274:
	v_cmp_ne_u32_e32 vcc, 0, v254
	s_nop 1
	v_cndmask_b32_e32 v254, 17, v254, vcc
.LBB46_275:
	s_andn2_saveexec_b64 s[0:1], s[0:1]
	s_cbranch_execz .LBB46_277
; %bb.276:
	v_div_scale_f32 v45, s[2:3], v43, v43, 1.0
	v_rcp_f32_e32 v46, v45
	v_div_scale_f32 v47, vcc, 1.0, v43, 1.0
	v_fma_f32 v48, -v45, v46, 1.0
	v_fmac_f32_e32 v46, v48, v46
	v_mul_f32_e32 v48, v47, v46
	v_fma_f32 v49, -v45, v48, v47
	v_fmac_f32_e32 v48, v49, v46
	v_fma_f32 v45, -v45, v48, v47
	v_div_fmas_f32 v45, v45, v46, v48
	v_div_fixup_f32 v43, v45, v43, 1.0
.LBB46_277:
	s_or_b64 exec, exec, s[0:1]
	v_cmp_ne_u32_e32 vcc, v251, v44
	s_and_saveexec_b64 s[0:1], vcc
	s_xor_b64 s[0:1], exec, s[0:1]
	s_cbranch_execz .LBB46_283
; %bb.278:
	v_cmp_eq_u32_e32 vcc, 16, v251
	s_and_saveexec_b64 s[2:3], vcc
	s_cbranch_execz .LBB46_282
; %bb.279:
	v_cmp_ne_u32_e32 vcc, 16, v44
	s_xor_b64 s[18:19], s[16:17], -1
	s_and_b64 s[20:21], s[18:19], vcc
	s_and_saveexec_b64 s[18:19], s[20:21]
	s_cbranch_execz .LBB46_281
; %bb.280:
	scratch_load_dwordx2 v[50:51], off, off offset:2692 ; 8-byte Folded Reload
	v_ashrrev_i32_e32 v45, 31, v44
	s_waitcnt vmcnt(0)
	v_lshl_add_u64 v[46:47], v[44:45], 2, v[50:51]
	global_load_dword v45, v[46:47], off
	global_load_dword v48, v[50:51], off offset:64
	s_waitcnt vmcnt(1)
	global_store_dword v[50:51], v45, off offset:64
	s_waitcnt vmcnt(1)
	global_store_dword v[46:47], v48, off
.LBB46_281:
	s_or_b64 exec, exec, s[18:19]
	v_mov_b32_e32 v45, v44
	v_mov_b32_e32 v251, v44
	scratch_store_dword off, v45, off offset:1024 ; 4-byte Folded Spill
.LBB46_282:
	s_or_b64 exec, exec, s[2:3]
.LBB46_283:
	s_or_saveexec_b64 s[0:1], s[0:1]
	s_waitcnt vmcnt(20)
	v_mov_b64_e32 v[48:49], v[170:171]
	s_waitcnt vmcnt(19)
	v_mov_b32_e32 v64, v186
	v_mov_b64_e32 v[50:51], v[172:173]
	v_mov_b64_e32 v[52:53], v[174:175]
	;; [unrolled: 1-line block ×7, first 2 shown]
	v_mov_b32_e32 v65, v187
	v_mov_b32_e32 v66, v188
	s_xor_b64 exec, exec, s[0:1]
	s_cbranch_execz .LBB46_285
; %bb.284:
	v_mov_b32_e32 v251, 16
	ds_write2_b32 v250, v17, v18 offset0:17 offset1:18
	ds_write2_b32 v250, v19, v20 offset0:19 offset1:20
	;; [unrolled: 1-line block ×3, first 2 shown]
	ds_write_b32 v250, v255 offset:92
.LBB46_285:
	s_or_b64 exec, exec, s[0:1]
	v_cmp_lt_i32_e32 vcc, 16, v251
	s_waitcnt lgkmcnt(0)
	s_barrier
	s_and_saveexec_b64 s[0:1], vcc
	s_cbranch_execz .LBB46_287
; %bb.286:
	scratch_load_dwordx4 v[88:91], off, off offset:768 ; 16-byte Folded Reload
	scratch_load_dwordx4 v[92:95], off, off offset:784 ; 16-byte Folded Reload
	;; [unrolled: 1-line block ×8, first 2 shown]
	ds_read2_b32 v[0:1], v250 offset0:17 offset1:18
	ds_read2_b32 v[4:5], v250 offset0:19 offset1:20
	;; [unrolled: 1-line block ×3, first 2 shown]
	ds_read_b32 v8, v250 offset:92
	s_waitcnt vmcnt(3)
	v_mul_f32_e32 v104, v28, v43
	v_mov_b32_e32 v2, v17
	v_mov_b32_e32 v3, v18
	;; [unrolled: 1-line block ×3, first 2 shown]
	s_waitcnt lgkmcnt(0)
	v_fma_f32 v23, -v104, v8, v255
	v_mov_b32_e32 v232, v104
	v_mov_b32_e32 v216, v88
	;; [unrolled: 1-line block ×5, first 2 shown]
	v_pk_fma_f32 v[44:45], v[104:105], v[0:1], v[2:3] op_sel_hi:[0,1,1] neg_lo:[1,0,0] neg_hi:[1,0,0]
	v_mov_b32_e32 v0, v19
	v_mov_b32_e32 v1, v20
	v_pk_fma_f32 v[46:47], v[104:105], v[4:5], v[0:1] op_sel_hi:[0,1,1] neg_lo:[1,0,0] neg_hi:[1,0,0]
	v_mov_b32_e32 v0, v21
	v_mov_b32_e32 v1, v22
	;; [unrolled: 1-line block ×4, first 2 shown]
	v_pk_fma_f32 v[252:253], v[104:105], v[6:7], v[0:1] op_sel_hi:[0,1,1] neg_lo:[1,0,0] neg_hi:[1,0,0]
	v_mov_b32_e32 v0, v88
	v_mov_b32_e32 v1, v89
	;; [unrolled: 1-line block ×14, first 2 shown]
	v_mov_b64_e32 v[62:63], v[14:15]
	v_mov_b32_e32 v66, v18
	v_mov_b32_e32 v19, v46
	v_mov_b64_e32 v[60:61], v[12:13]
	v_mov_b64_e32 v[58:59], v[10:11]
	;; [unrolled: 1-line block ×7, first 2 shown]
	v_mov_b32_e32 v65, v17
	v_mov_b32_e32 v64, v16
	scratch_store_dwordx4 off, v[0:3], off offset:256 ; 16-byte Folded Spill
	s_nop 0
	scratch_store_dwordx4 off, v[4:7], off offset:272 ; 16-byte Folded Spill
	scratch_store_dwordx4 off, v[8:11], off offset:288 ; 16-byte Folded Spill
	;; [unrolled: 1-line block ×7, first 2 shown]
	v_mov_b32_e32 v20, v47
	v_mov_b32_e32 v105, v44
	;; [unrolled: 1-line block ×24, first 2 shown]
	scratch_store_dwordx4 off, v[0:3], off offset:128 ; 16-byte Folded Spill
	s_nop 0
	scratch_store_dwordx4 off, v[4:7], off offset:144 ; 16-byte Folded Spill
	scratch_store_dwordx4 off, v[8:11], off offset:160 ; 16-byte Folded Spill
	;; [unrolled: 1-line block ×7, first 2 shown]
	v_mov_b32_e32 v21, v252
	v_mov_b32_e32 v22, v253
	;; [unrolled: 1-line block ×4, first 2 shown]
	scratch_store_dwordx4 off, v[88:91], off offset:384 ; 16-byte Folded Spill
	s_nop 0
	scratch_store_dwordx4 off, v[92:95], off offset:400 ; 16-byte Folded Spill
	scratch_store_dwordx4 off, v[96:99], off offset:416 ; 16-byte Folded Spill
	scratch_store_dwordx4 off, v[100:103], off offset:432 ; 16-byte Folded Spill
	scratch_store_dwordx4 off, v[104:107], off offset:448 ; 16-byte Folded Spill
	s_waitcnt vmcnt(23)
	scratch_store_dwordx4 off, v[108:111], off offset:464 ; 16-byte Folded Spill
	s_waitcnt vmcnt(23)
	scratch_store_dwordx4 off, v[112:115], off offset:480 ; 16-byte Folded Spill
	;; [unrolled: 2-line block ×3, first 2 shown]
	scratch_store_dwordx4 off, v[88:91], off offset:640 ; 16-byte Folded Spill
	s_nop 0
	scratch_store_dwordx4 off, v[92:95], off offset:656 ; 16-byte Folded Spill
	scratch_store_dwordx4 off, v[96:99], off offset:672 ; 16-byte Folded Spill
	scratch_store_dwordx4 off, v[100:103], off offset:688 ; 16-byte Folded Spill
	scratch_store_dwordx4 off, v[104:107], off offset:704 ; 16-byte Folded Spill
	scratch_store_dwordx4 off, v[108:111], off offset:720 ; 16-byte Folded Spill
	scratch_store_dwordx4 off, v[112:115], off offset:736 ; 16-byte Folded Spill
	scratch_store_dwordx4 off, v[116:119], off offset:752 ; 16-byte Folded Spill
	v_mov_b32_e32 v255, v23
	scratch_store_dwordx4 off, v[22:25], off ; 16-byte Folded Spill
	s_nop 0
	scratch_store_dwordx4 off, v[26:29], off offset:16 ; 16-byte Folded Spill
	scratch_store_dwordx4 off, v[30:33], off offset:32 ; 16-byte Folded Spill
	;; [unrolled: 1-line block ×7, first 2 shown]
.LBB46_287:
	s_or_b64 exec, exec, s[0:1]
	v_lshl_add_u32 v43, v251, 2, v250
	s_barrier
	ds_write_b32 v43, v25
	s_waitcnt lgkmcnt(0)
	s_barrier
	ds_read_b32 v43, v250 offset:68
	s_cmp_lt_i32 s22, 19
	v_mov_b32_e32 v44, 17
	s_cbranch_scc1 .LBB46_413
; %bb.288:
	v_mov_b64_e32 v[184:185], v[62:63]
	v_mov_b32_e32 v188, v66
	v_add_u32_e32 v45, 0x48, v250
	v_mov_b32_e32 v44, 17
	s_mov_b32 s0, 18
	v_mov_b64_e32 v[182:183], v[60:61]
	v_mov_b64_e32 v[180:181], v[58:59]
	v_mov_b64_e32 v[178:179], v[56:57]
	v_mov_b64_e32 v[176:177], v[54:55]
	v_mov_b64_e32 v[174:175], v[52:53]
	v_mov_b64_e32 v[172:173], v[50:51]
	v_mov_b64_e32 v[170:171], v[48:49]
	v_mov_b32_e32 v187, v65
	v_mov_b32_e32 v186, v64
.LBB46_289:                             ; =>This Inner Loop Header: Depth=1
	ds_read_b32 v46, v45
	v_mov_b32_e32 v47, s0
	s_add_i32 s0, s0, 1
	v_add_u32_e32 v45, 4, v45
	s_cmp_lg_u32 s22, s0
	s_waitcnt lgkmcnt(0)
	v_cmp_lt_f32_e64 vcc, |v43|, |v46|
	s_nop 1
	v_cndmask_b32_e32 v43, v43, v46, vcc
	v_cndmask_b32_e32 v44, v44, v47, vcc
	s_cbranch_scc1 .LBB46_289
; %bb.290:
	v_cmp_eq_f32_e32 vcc, 0, v43
	s_and_saveexec_b64 s[0:1], vcc
	s_xor_b64 s[0:1], exec, s[0:1]
.LBB46_291:
	v_cmp_ne_u32_e32 vcc, 0, v254
	s_nop 1
	v_cndmask_b32_e32 v254, 18, v254, vcc
.LBB46_292:
	s_andn2_saveexec_b64 s[0:1], s[0:1]
	s_cbranch_execz .LBB46_294
; %bb.293:
	v_div_scale_f32 v45, s[2:3], v43, v43, 1.0
	v_rcp_f32_e32 v46, v45
	v_div_scale_f32 v47, vcc, 1.0, v43, 1.0
	v_fma_f32 v48, -v45, v46, 1.0
	v_fmac_f32_e32 v46, v48, v46
	v_mul_f32_e32 v48, v47, v46
	v_fma_f32 v49, -v45, v48, v47
	v_fmac_f32_e32 v48, v49, v46
	v_fma_f32 v45, -v45, v48, v47
	v_div_fmas_f32 v45, v45, v46, v48
	v_div_fixup_f32 v43, v45, v43, 1.0
.LBB46_294:
	s_or_b64 exec, exec, s[0:1]
	v_cmp_ne_u32_e32 vcc, v251, v44
	s_and_saveexec_b64 s[0:1], vcc
	s_xor_b64 s[0:1], exec, s[0:1]
	s_cbranch_execz .LBB46_300
; %bb.295:
	v_cmp_eq_u32_e32 vcc, 17, v251
	s_and_saveexec_b64 s[2:3], vcc
	s_cbranch_execz .LBB46_299
; %bb.296:
	v_cmp_ne_u32_e32 vcc, 17, v44
	s_xor_b64 s[18:19], s[16:17], -1
	s_and_b64 s[20:21], s[18:19], vcc
	s_and_saveexec_b64 s[18:19], s[20:21]
	s_cbranch_execz .LBB46_298
; %bb.297:
	scratch_load_dwordx2 v[50:51], off, off offset:2692 ; 8-byte Folded Reload
	v_ashrrev_i32_e32 v45, 31, v44
	s_waitcnt vmcnt(0)
	v_lshl_add_u64 v[46:47], v[44:45], 2, v[50:51]
	global_load_dword v45, v[46:47], off
	global_load_dword v48, v[50:51], off offset:68
	s_waitcnt vmcnt(1)
	global_store_dword v[50:51], v45, off offset:68
	s_waitcnt vmcnt(1)
	global_store_dword v[46:47], v48, off
.LBB46_298:
	s_or_b64 exec, exec, s[18:19]
	v_mov_b32_e32 v45, v44
	v_mov_b32_e32 v251, v44
	scratch_store_dword off, v45, off offset:1024 ; 4-byte Folded Spill
.LBB46_299:
	s_or_b64 exec, exec, s[2:3]
.LBB46_300:
	s_andn2_saveexec_b64 s[0:1], s[0:1]
	s_cbranch_execz .LBB46_302
; %bb.301:
	v_mov_b32_e32 v251, 17
	ds_write2_b32 v250, v18, v19 offset0:18 offset1:19
	ds_write2_b32 v250, v20, v21 offset0:20 offset1:21
	;; [unrolled: 1-line block ×3, first 2 shown]
.LBB46_302:
	s_or_b64 exec, exec, s[0:1]
	v_cmp_lt_i32_e32 vcc, 17, v251
	s_waitcnt lgkmcnt(0)
	s_barrier
	s_and_saveexec_b64 s[0:1], vcc
	s_cbranch_execz .LBB46_304
; %bb.303:
	ds_read2_b32 v[0:1], v250 offset0:18 offset1:19
	ds_read2_b32 v[2:3], v250 offset0:20 offset1:21
	;; [unrolled: 1-line block ×3, first 2 shown]
	scratch_load_dwordx4 v[46:49], off, off offset:640 ; 16-byte Folded Reload
	scratch_load_dwordx4 v[50:53], off, off offset:656 ; 16-byte Folded Reload
	;; [unrolled: 1-line block ×8, first 2 shown]
	v_mul_f32_e32 v44, v25, v43
	s_waitcnt lgkmcnt(2)
	v_pk_fma_f32 v[188:189], v[44:45], v[0:1], v[18:19] op_sel_hi:[0,1,1] neg_lo:[1,0,0] neg_hi:[1,0,0]
	s_waitcnt lgkmcnt(1)
	v_pk_fma_f32 v[140:141], v[44:45], v[2:3], v[20:21] op_sel_hi:[0,1,1] neg_lo:[1,0,0] neg_hi:[1,0,0]
	s_waitcnt lgkmcnt(0)
	v_pk_fma_f32 v[22:23], v[44:45], v[4:5], v[22:23] op_sel_hi:[0,1,1] neg_lo:[1,0,0] neg_hi:[1,0,0]
	v_mov_b32_e32 v17, v44
	v_mov_b32_e32 v18, v188
	;; [unrolled: 1-line block ×6, first 2 shown]
	s_waitcnt vmcnt(11)
	v_mov_b32_e32 v233, v44
	v_mov_b32_e32 v138, v188
	v_mov_b32_e32 v139, v189
	v_mov_b32_e32 v234, v188
	v_mov_b32_e32 v235, v189
	s_waitcnt vmcnt(10)
	v_mov_b32_e32 v236, v140
	v_mov_b32_e32 v237, v141
	s_waitcnt vmcnt(4)
	v_mov_b64_e32 v[24:25], v[46:47]
	v_mov_b64_e32 v[26:27], v[48:49]
	;; [unrolled: 1-line block ×8, first 2 shown]
	v_mov_b32_e32 v0, v24
	v_mov_b32_e32 v1, v25
	v_mov_b32_e32 v2, v26
	v_mov_b32_e32 v3, v27
	v_mov_b32_e32 v4, v28
	v_mov_b32_e32 v5, v29
	v_mov_b32_e32 v6, v30
	v_mov_b32_e32 v7, v31
	v_mov_b32_e32 v8, v32
	v_mov_b32_e32 v9, v33
	v_mov_b32_e32 v10, v34
	v_mov_b32_e32 v11, v35
	v_mov_b32_e32 v12, v36
	v_mov_b32_e32 v13, v37
	v_mov_b32_e32 v14, v38
	v_mov_b32_e32 v15, v39
	s_waitcnt vmcnt(3)
	v_mov_b32_e32 v16, v62
	v_mov_b32_e32 v170, v24
	;; [unrolled: 1-line block ×9, first 2 shown]
	scratch_store_dwordx4 off, v[0:3], off offset:256 ; 16-byte Folded Spill
	s_nop 0
	scratch_store_dwordx4 off, v[4:7], off offset:272 ; 16-byte Folded Spill
	scratch_store_dwordx4 off, v[8:11], off offset:288 ; 16-byte Folded Spill
	;; [unrolled: 1-line block ×7, first 2 shown]
	v_mov_b32_e32 v40, v62
	v_mov_b32_e32 v178, v32
	;; [unrolled: 1-line block ×47, first 2 shown]
	scratch_store_dwordx4 off, v[24:27], off offset:384 ; 16-byte Folded Spill
	s_nop 0
	scratch_store_dwordx4 off, v[28:31], off offset:400 ; 16-byte Folded Spill
	scratch_store_dwordx4 off, v[32:35], off offset:416 ; 16-byte Folded Spill
	;; [unrolled: 1-line block ×7, first 2 shown]
	v_mov_b32_e32 v42, v188
	v_mov_b32_e32 v253, v22
	v_mov_b32_e32 v255, v23
	v_mov_b32_e32 v29, v189
	v_mov_b32_e32 v32, v140
	scratch_store_dwordx4 off, v[120:123], off offset:128 ; 16-byte Folded Spill
	s_nop 0
	scratch_store_dwordx4 off, v[124:127], off offset:144 ; 16-byte Folded Spill
	scratch_store_dwordx4 off, v[128:131], off offset:160 ; 16-byte Folded Spill
	;; [unrolled: 1-line block ×7, first 2 shown]
	scratch_store_dwordx4 off, v[120:123], off ; 16-byte Folded Spill
	s_nop 0
	scratch_store_dwordx4 off, v[124:127], off offset:16 ; 16-byte Folded Spill
	scratch_store_dwordx4 off, v[128:131], off offset:32 ; 16-byte Folded Spill
	;; [unrolled: 1-line block ×7, first 2 shown]
.LBB46_304:
	s_or_b64 exec, exec, s[0:1]
	v_lshl_add_u32 v43, v251, 2, v250
	s_barrier
	ds_write_b32 v43, v42
	s_waitcnt lgkmcnt(0)
	s_barrier
	ds_read_b32 v43, v250 offset:72
	s_cmp_lt_i32 s22, 20
	v_mov_b32_e32 v44, 18
	s_cbranch_scc1 .LBB46_414
; %bb.305:
	scratch_load_dwordx4 v[80:83], off, off offset:256 ; 16-byte Folded Reload
	scratch_load_dwordx4 v[84:87], off, off offset:272 ; 16-byte Folded Reload
	;; [unrolled: 1-line block ×8, first 2 shown]
	v_add_u32_e32 v45, 0x4c, v250
	v_mov_b32_e32 v44, 18
	s_mov_b32 s0, 19
.LBB46_306:                             ; =>This Inner Loop Header: Depth=1
	ds_read_b32 v46, v45
	v_mov_b32_e32 v47, s0
	s_add_i32 s0, s0, 1
	v_add_u32_e32 v45, 4, v45
	s_cmp_lg_u32 s22, s0
	s_waitcnt lgkmcnt(0)
	v_cmp_lt_f32_e64 vcc, |v43|, |v46|
	s_nop 1
	v_cndmask_b32_e32 v43, v43, v46, vcc
	v_cndmask_b32_e32 v44, v44, v47, vcc
	s_cbranch_scc1 .LBB46_306
; %bb.307:
	v_cmp_eq_f32_e32 vcc, 0, v43
	s_and_saveexec_b64 s[0:1], vcc
	s_xor_b64 s[0:1], exec, s[0:1]
.LBB46_308:
	v_cmp_ne_u32_e32 vcc, 0, v254
	s_nop 1
	v_cndmask_b32_e32 v254, 19, v254, vcc
.LBB46_309:
	s_andn2_saveexec_b64 s[0:1], s[0:1]
	s_cbranch_execz .LBB46_311
; %bb.310:
	v_div_scale_f32 v45, s[2:3], v43, v43, 1.0
	v_rcp_f32_e32 v46, v45
	v_div_scale_f32 v47, vcc, 1.0, v43, 1.0
	v_fma_f32 v48, -v45, v46, 1.0
	v_fmac_f32_e32 v46, v48, v46
	v_mul_f32_e32 v48, v47, v46
	v_fma_f32 v49, -v45, v48, v47
	v_fmac_f32_e32 v48, v49, v46
	v_fma_f32 v45, -v45, v48, v47
	v_div_fmas_f32 v45, v45, v46, v48
	v_div_fixup_f32 v43, v45, v43, 1.0
.LBB46_311:
	s_or_b64 exec, exec, s[0:1]
	v_cmp_ne_u32_e32 vcc, v251, v44
	s_and_saveexec_b64 s[0:1], vcc
	s_xor_b64 s[0:1], exec, s[0:1]
	s_cbranch_execz .LBB46_317
; %bb.312:
	v_cmp_eq_u32_e32 vcc, 18, v251
	s_and_saveexec_b64 s[2:3], vcc
	s_cbranch_execz .LBB46_316
; %bb.313:
	v_cmp_ne_u32_e32 vcc, 18, v44
	s_xor_b64 s[18:19], s[16:17], -1
	s_and_b64 s[20:21], s[18:19], vcc
	s_and_saveexec_b64 s[18:19], s[20:21]
	s_cbranch_execz .LBB46_315
; %bb.314:
	scratch_load_dwordx2 v[50:51], off, off offset:2692 ; 8-byte Folded Reload
	v_ashrrev_i32_e32 v45, 31, v44
	s_waitcnt vmcnt(0)
	v_lshl_add_u64 v[46:47], v[44:45], 2, v[50:51]
	global_load_dword v45, v[46:47], off
	global_load_dword v48, v[50:51], off offset:72
	s_waitcnt vmcnt(1)
	global_store_dword v[50:51], v45, off offset:72
	s_waitcnt vmcnt(1)
	global_store_dword v[46:47], v48, off
.LBB46_315:
	s_or_b64 exec, exec, s[18:19]
	v_mov_b32_e32 v45, v44
	v_mov_b32_e32 v251, v44
	scratch_store_dword off, v45, off offset:1024 ; 4-byte Folded Spill
.LBB46_316:
	s_or_b64 exec, exec, s[2:3]
.LBB46_317:
	s_andn2_saveexec_b64 s[0:1], s[0:1]
	s_cbranch_execz .LBB46_319
; %bb.318:
	v_mov_b32_e32 v251, 18
	ds_write2_b32 v250, v19, v20 offset0:19 offset1:20
	ds_write2_b32 v250, v21, v22 offset0:21 offset1:22
	ds_write_b32 v250, v255 offset:92
.LBB46_319:
	s_or_b64 exec, exec, s[0:1]
	v_cmp_lt_i32_e32 vcc, 18, v251
	s_waitcnt lgkmcnt(0)
	s_barrier
	s_and_saveexec_b64 s[0:1], vcc
	s_cbranch_execz .LBB46_321
; %bb.320:
	scratch_load_dwordx4 v[60:63], off, off offset:384 ; 16-byte Folded Reload
	scratch_load_dwordx4 v[64:67], off, off offset:400 ; 16-byte Folded Reload
	;; [unrolled: 1-line block ×8, first 2 shown]
	ds_read2_b32 v[0:1], v250 offset0:19 offset1:20
	ds_read2_b32 v[4:5], v250 offset0:21 offset1:22
	ds_read_b32 v6, v250 offset:92
	v_mul_f32_e32 v42, v42, v43
	v_mov_b32_e32 v2, v19
	v_mov_b32_e32 v3, v20
	s_waitcnt vmcnt(3) lgkmcnt(2)
	v_pk_fma_f32 v[78:79], v[42:43], v[0:1], v[2:3] op_sel_hi:[0,1,1] neg_lo:[1,0,0] neg_hi:[1,0,0]
	v_mov_b32_e32 v0, v21
	v_mov_b32_e32 v1, v22
	s_waitcnt lgkmcnt(1)
	v_pk_fma_f32 v[252:253], v[42:43], v[4:5], v[0:1] op_sel_hi:[0,1,1] neg_lo:[1,0,0] neg_hi:[1,0,0]
	s_waitcnt lgkmcnt(0)
	v_fma_f32 v23, -v42, v6, v255
	v_mov_b32_e32 v18, v42
	v_mov_b32_e32 v19, v78
	;; [unrolled: 1-line block ×8, first 2 shown]
	v_mov_b64_e32 v[24:25], v[60:61]
	v_mov_b64_e32 v[26:27], v[62:63]
	;; [unrolled: 1-line block ×9, first 2 shown]
	v_mov_b32_e32 v0, v24
	v_mov_b32_e32 v1, v25
	;; [unrolled: 1-line block ×18, first 2 shown]
	scratch_store_dwordx4 off, v[0:3], off offset:128 ; 16-byte Folded Spill
	s_nop 0
	scratch_store_dwordx4 off, v[4:7], off offset:144 ; 16-byte Folded Spill
	scratch_store_dwordx4 off, v[8:11], off offset:160 ; 16-byte Folded Spill
	;; [unrolled: 1-line block ×7, first 2 shown]
	v_mov_b32_e32 v224, v32
	v_mov_b32_e32 v225, v33
	;; [unrolled: 1-line block ×12, first 2 shown]
	s_waitcnt vmcnt(8)
	v_mov_b64_e32 v[110:111], v[54:55]
	v_mov_b64_e32 v[200:201], v[54:55]
	v_mov_b32_e32 v216, v24
	v_mov_b32_e32 v217, v25
	;; [unrolled: 1-line block ×8, first 2 shown]
	v_mov_b64_e32 v[108:109], v[52:53]
	v_mov_b64_e32 v[106:107], v[50:51]
	;; [unrolled: 1-line block ×30, first 2 shown]
	v_mov_b32_e32 v29, v78
	v_mov_b32_e32 v32, v79
	;; [unrolled: 1-line block ×4, first 2 shown]
	scratch_store_dwordx4 off, v[22:25], off ; 16-byte Folded Spill
	s_nop 0
	scratch_store_dwordx4 off, v[26:29], off offset:16 ; 16-byte Folded Spill
	scratch_store_dwordx4 off, v[30:33], off offset:32 ; 16-byte Folded Spill
	;; [unrolled: 1-line block ×7, first 2 shown]
.LBB46_321:
	s_or_b64 exec, exec, s[0:1]
	v_lshl_add_u32 v43, v251, 2, v250
	s_barrier
	ds_write_b32 v43, v29
	s_waitcnt lgkmcnt(0)
	s_barrier
	ds_read_b32 v43, v250 offset:76
	s_cmp_lt_i32 s22, 21
	v_mov_b32_e32 v44, 19
	s_cbranch_scc1 .LBB46_324
; %bb.322:
	v_add_u32_e32 v45, 0x50, v250
	v_mov_b32_e32 v44, 19
	s_mov_b32 s0, 20
.LBB46_323:                             ; =>This Inner Loop Header: Depth=1
	ds_read_b32 v46, v45
	v_mov_b32_e32 v47, s0
	s_add_i32 s0, s0, 1
	v_add_u32_e32 v45, 4, v45
	s_cmp_lg_u32 s22, s0
	s_waitcnt lgkmcnt(0)
	v_cmp_lt_f32_e64 vcc, |v43|, |v46|
	s_nop 1
	v_cndmask_b32_e32 v43, v43, v46, vcc
	v_cndmask_b32_e32 v44, v44, v47, vcc
	s_cbranch_scc1 .LBB46_323
.LBB46_324:
	s_waitcnt lgkmcnt(0)
	v_cmp_eq_f32_e32 vcc, 0, v43
	s_and_saveexec_b64 s[0:1], vcc
	s_xor_b64 s[0:1], exec, s[0:1]
; %bb.325:
	v_cmp_ne_u32_e32 vcc, 0, v254
	s_nop 1
	v_cndmask_b32_e32 v254, 20, v254, vcc
; %bb.326:
	s_andn2_saveexec_b64 s[0:1], s[0:1]
	s_cbranch_execz .LBB46_328
; %bb.327:
	v_div_scale_f32 v45, s[2:3], v43, v43, 1.0
	v_rcp_f32_e32 v46, v45
	v_div_scale_f32 v47, vcc, 1.0, v43, 1.0
	v_fma_f32 v48, -v45, v46, 1.0
	v_fmac_f32_e32 v46, v48, v46
	v_mul_f32_e32 v48, v47, v46
	v_fma_f32 v49, -v45, v48, v47
	v_fmac_f32_e32 v48, v49, v46
	v_fma_f32 v45, -v45, v48, v47
	v_div_fmas_f32 v45, v45, v46, v48
	v_div_fixup_f32 v43, v45, v43, 1.0
.LBB46_328:
	s_or_b64 exec, exec, s[0:1]
	v_cmp_ne_u32_e32 vcc, v251, v44
	s_and_saveexec_b64 s[0:1], vcc
	s_xor_b64 s[0:1], exec, s[0:1]
	s_cbranch_execz .LBB46_334
; %bb.329:
	v_cmp_eq_u32_e32 vcc, 19, v251
	s_and_saveexec_b64 s[2:3], vcc
	s_cbranch_execz .LBB46_333
; %bb.330:
	v_cmp_ne_u32_e32 vcc, 19, v44
	s_xor_b64 s[18:19], s[16:17], -1
	s_and_b64 s[20:21], s[18:19], vcc
	s_and_saveexec_b64 s[18:19], s[20:21]
	s_cbranch_execz .LBB46_332
; %bb.331:
	scratch_load_dwordx2 v[50:51], off, off offset:2692 ; 8-byte Folded Reload
	v_ashrrev_i32_e32 v45, 31, v44
	s_waitcnt vmcnt(0)
	v_lshl_add_u64 v[46:47], v[44:45], 2, v[50:51]
	global_load_dword v45, v[46:47], off
	global_load_dword v48, v[50:51], off offset:76
	s_waitcnt vmcnt(1)
	global_store_dword v[50:51], v45, off offset:76
	s_waitcnt vmcnt(1)
	global_store_dword v[46:47], v48, off
.LBB46_332:
	s_or_b64 exec, exec, s[18:19]
	v_mov_b32_e32 v45, v44
	v_mov_b32_e32 v251, v44
	scratch_store_dword off, v45, off offset:1024 ; 4-byte Folded Spill
.LBB46_333:
	s_or_b64 exec, exec, s[2:3]
.LBB46_334:
	s_andn2_saveexec_b64 s[0:1], s[0:1]
	s_cbranch_execz .LBB46_336
; %bb.335:
	v_mov_b32_e32 v251, 19
	ds_write2_b32 v250, v20, v21 offset0:20 offset1:21
	ds_write2_b32 v250, v22, v23 offset0:22 offset1:23
.LBB46_336:
	s_or_b64 exec, exec, s[0:1]
	v_cmp_lt_i32_e32 vcc, 19, v251
	s_waitcnt lgkmcnt(0)
	s_barrier
	s_and_saveexec_b64 s[0:1], vcc
	s_cbranch_execz .LBB46_338
; %bb.337:
	ds_read2_b32 v[0:1], v250 offset0:20 offset1:21
	ds_read2_b32 v[2:3], v250 offset0:22 offset1:23
	v_mul_f32_e32 v44, v29, v43
	v_mov_b32_e32 v189, v44
	s_waitcnt vmcnt(0)
	v_mov_b64_e32 v[80:81], v[170:171]
	s_waitcnt lgkmcnt(1)
	v_pk_fma_f32 v[140:141], v[44:45], v[0:1], v[20:21] op_sel_hi:[0,1,1] neg_lo:[1,0,0] neg_hi:[1,0,0]
	s_waitcnt lgkmcnt(0)
	v_pk_fma_f32 v[22:23], v[44:45], v[2:3], v[22:23] op_sel_hi:[0,1,1] neg_lo:[1,0,0] neg_hi:[1,0,0]
	v_mov_b32_e32 v120, v170
	v_mov_b32_e32 v121, v171
	;; [unrolled: 1-line block ×64, first 2 shown]
	v_mov_b64_e32 v[82:83], v[172:173]
	v_mov_b64_e32 v[84:85], v[174:175]
	;; [unrolled: 1-line block ×15, first 2 shown]
	v_mov_b32_e32 v32, v140
	v_mov_b32_e32 v253, v22
	;; [unrolled: 1-line block ×3, first 2 shown]
	scratch_store_dwordx4 off, v[120:123], off offset:128 ; 16-byte Folded Spill
	s_nop 0
	scratch_store_dwordx4 off, v[124:127], off offset:144 ; 16-byte Folded Spill
	scratch_store_dwordx4 off, v[128:131], off offset:160 ; 16-byte Folded Spill
	;; [unrolled: 1-line block ×7, first 2 shown]
	scratch_store_dwordx4 off, v[120:123], off ; 16-byte Folded Spill
	s_nop 0
	scratch_store_dwordx4 off, v[124:127], off offset:16 ; 16-byte Folded Spill
	scratch_store_dwordx4 off, v[128:131], off offset:32 ; 16-byte Folded Spill
	;; [unrolled: 1-line block ×7, first 2 shown]
.LBB46_338:
	s_or_b64 exec, exec, s[0:1]
	v_lshl_add_u32 v24, v251, 2, v250
	s_barrier
	ds_write_b32 v24, v32
	s_waitcnt lgkmcnt(0)
	s_barrier
	ds_read_b32 v26, v250 offset:80
	s_cmp_lt_i32 s22, 22
	v_mov_b32_e32 v24, 20
	s_cbranch_scc1 .LBB46_341
; %bb.339:
	v_add_u32_e32 v25, 0x54, v250
	v_mov_b32_e32 v24, 20
	s_mov_b32 s0, 21
.LBB46_340:                             ; =>This Inner Loop Header: Depth=1
	ds_read_b32 v27, v25
	v_mov_b32_e32 v28, s0
	s_add_i32 s0, s0, 1
	v_add_u32_e32 v25, 4, v25
	s_cmp_lg_u32 s22, s0
	s_waitcnt lgkmcnt(0)
	v_cmp_lt_f32_e64 vcc, |v26|, |v27|
	s_nop 1
	v_cndmask_b32_e32 v26, v26, v27, vcc
	v_cndmask_b32_e32 v24, v24, v28, vcc
	s_cbranch_scc1 .LBB46_340
.LBB46_341:
	s_waitcnt lgkmcnt(0)
	v_cmp_eq_f32_e32 vcc, 0, v26
	s_and_saveexec_b64 s[0:1], vcc
	s_xor_b64 s[0:1], exec, s[0:1]
; %bb.342:
	v_cmp_ne_u32_e32 vcc, 0, v254
	s_nop 1
	v_cndmask_b32_e32 v254, 21, v254, vcc
; %bb.343:
	s_andn2_saveexec_b64 s[0:1], s[0:1]
	s_cbranch_execz .LBB46_345
; %bb.344:
	v_div_scale_f32 v25, s[2:3], v26, v26, 1.0
	v_rcp_f32_e32 v27, v25
	v_div_scale_f32 v28, vcc, 1.0, v26, 1.0
	v_fma_f32 v29, -v25, v27, 1.0
	v_fmac_f32_e32 v27, v29, v27
	v_mul_f32_e32 v29, v28, v27
	v_fma_f32 v30, -v25, v29, v28
	v_fmac_f32_e32 v29, v30, v27
	v_fma_f32 v25, -v25, v29, v28
	v_div_fmas_f32 v25, v25, v27, v29
	v_div_fixup_f32 v26, v25, v26, 1.0
.LBB46_345:
	s_or_b64 exec, exec, s[0:1]
	v_cmp_ne_u32_e32 vcc, v251, v24
	s_and_saveexec_b64 s[0:1], vcc
	s_xor_b64 s[0:1], exec, s[0:1]
	s_cbranch_execz .LBB46_351
; %bb.346:
	v_cmp_eq_u32_e32 vcc, 20, v251
	s_and_saveexec_b64 s[2:3], vcc
	s_cbranch_execz .LBB46_350
; %bb.347:
	v_cmp_ne_u32_e32 vcc, 20, v24
	s_xor_b64 s[18:19], s[16:17], -1
	s_and_b64 s[20:21], s[18:19], vcc
	s_and_saveexec_b64 s[18:19], s[20:21]
	s_cbranch_execz .LBB46_349
; %bb.348:
	scratch_load_dwordx2 v[30:31], off, off offset:2692 ; 8-byte Folded Reload
	v_ashrrev_i32_e32 v25, 31, v24
	s_waitcnt vmcnt(0)
	v_lshl_add_u64 v[28:29], v[24:25], 2, v[30:31]
	global_load_dword v25, v[28:29], off
	global_load_dword v27, v[30:31], off offset:80
	s_waitcnt vmcnt(1)
	global_store_dword v[30:31], v25, off offset:80
	s_waitcnt vmcnt(1)
	global_store_dword v[28:29], v27, off
.LBB46_349:
	s_or_b64 exec, exec, s[18:19]
	v_mov_b32_e32 v25, v24
	v_mov_b32_e32 v251, v24
	scratch_store_dword off, v25, off offset:1024 ; 4-byte Folded Spill
.LBB46_350:
	s_or_b64 exec, exec, s[2:3]
.LBB46_351:
	s_andn2_saveexec_b64 s[0:1], s[0:1]
	s_cbranch_execz .LBB46_353
; %bb.352:
	v_mov_b32_e32 v251, 20
	ds_write2_b32 v250, v21, v22 offset0:21 offset1:22
	ds_write_b32 v250, v255 offset:92
.LBB46_353:
	s_or_b64 exec, exec, s[0:1]
	v_cmp_lt_i32_e32 vcc, 20, v251
	s_waitcnt lgkmcnt(0)
	s_barrier
	s_and_saveexec_b64 s[0:1], vcc
	s_cbranch_execz .LBB46_355
; %bb.354:
	ds_read2_b32 v[0:1], v250 offset0:21 offset1:22
	ds_read_b32 v4, v250 offset:92
	s_waitcnt vmcnt(2)
	v_mul_f32_e32 v100, v32, v26
	v_mov_b32_e32 v2, v21
	v_mov_b32_e32 v3, v22
	s_waitcnt lgkmcnt(1)
	v_pk_fma_f32 v[252:253], v[100:101], v[0:1], v[2:3] op_sel_hi:[0,1,1] neg_lo:[1,0,0] neg_hi:[1,0,0]
	s_waitcnt lgkmcnt(0)
	v_fma_f32 v23, -v100, v4, v255
	v_mov_b32_e32 v101, v252
	v_mov_b32_e32 v4, v84
	v_mov_b32_e32 v5, v85
	v_mov_b32_e32 v6, v86
	v_mov_b32_e32 v7, v87
	v_mov_b32_e32 v8, v88
	v_mov_b32_e32 v9, v89
	v_mov_b32_e32 v10, v90
	v_mov_b32_e32 v11, v91
	v_mov_b32_e32 v12, v92
	v_mov_b32_e32 v13, v93
	v_mov_b32_e32 v14, v94
	v_mov_b32_e32 v15, v95
	v_mov_b32_e32 v16, v96
	v_mov_b32_e32 v17, v97
	v_mov_b32_e32 v18, v98
	v_mov_b32_e32 v19, v99
	v_mov_b32_e32 v20, v100
	v_mov_b32_e32 v21, v252
	v_mov_b32_e32 v22, v253
	s_waitcnt vmcnt(0)
	v_mov_b64_e32 v[246:247], v[110:111]
	v_mov_b32_e32 v25, v252
	v_mov_b32_e32 v0, v80
	;; [unrolled: 1-line block ×5, first 2 shown]
	v_mov_b64_e32 v[244:245], v[108:109]
	v_mov_b64_e32 v[242:243], v[106:107]
	;; [unrolled: 1-line block ×15, first 2 shown]
	scratch_store_dwordx4 off, v[80:83], off offset:128 ; 16-byte Folded Spill
	s_nop 0
	scratch_store_dwordx4 off, v[84:87], off offset:144 ; 16-byte Folded Spill
	scratch_store_dwordx4 off, v[88:91], off offset:160 ; 16-byte Folded Spill
	;; [unrolled: 1-line block ×7, first 2 shown]
	scratch_store_dwordx4 off, v[4:7], off  ; 16-byte Folded Spill
	s_nop 0
	scratch_store_dwordx4 off, v[8:11], off offset:16 ; 16-byte Folded Spill
	scratch_store_dwordx4 off, v[12:15], off offset:32 ; 16-byte Folded Spill
	scratch_store_dwordx4 off, v[16:19], off offset:48 ; 16-byte Folded Spill
	scratch_store_dwordx4 off, v[20:23], off offset:64 ; 16-byte Folded Spill
	scratch_store_dwordx4 off, v[24:27], off offset:80 ; 16-byte Folded Spill
	scratch_store_dwordx4 off, v[28:31], off offset:96 ; 16-byte Folded Spill
	scratch_store_dwordx4 off, v[32:35], off offset:112 ; 16-byte Folded Spill
	v_mov_b32_e32 v255, v23
.LBB46_355:
	s_or_b64 exec, exec, s[0:1]
	s_barrier
	scratch_load_dwordx4 v[78:81], off, off ; 16-byte Folded Reload
	scratch_load_dwordx4 v[82:85], off, off offset:16 ; 16-byte Folded Reload
	scratch_load_dwordx4 v[86:89], off, off offset:32 ; 16-byte Folded Reload
	;; [unrolled: 1-line block ×7, first 2 shown]
	v_lshl_add_u32 v24, v251, 2, v250
	s_cmp_lt_i32 s22, 23
	s_waitcnt vmcnt(2)
	ds_write_b32 v24, v99
	s_waitcnt lgkmcnt(0)
	s_barrier
	ds_read_b32 v26, v250 offset:84
	v_mov_b32_e32 v24, 21
	s_cbranch_scc1 .LBB46_358
; %bb.356:
	v_add_u32_e32 v25, 0x58, v250
	v_mov_b32_e32 v24, 21
	s_mov_b32 s0, 22
.LBB46_357:                             ; =>This Inner Loop Header: Depth=1
	ds_read_b32 v27, v25
	v_mov_b32_e32 v28, s0
	s_add_i32 s0, s0, 1
	v_add_u32_e32 v25, 4, v25
	s_cmp_lg_u32 s22, s0
	s_waitcnt lgkmcnt(0)
	v_cmp_lt_f32_e64 vcc, |v26|, |v27|
	s_nop 1
	v_cndmask_b32_e32 v26, v26, v27, vcc
	v_cndmask_b32_e32 v24, v24, v28, vcc
	s_cbranch_scc1 .LBB46_357
.LBB46_358:
	s_waitcnt lgkmcnt(0)
	v_cmp_eq_f32_e32 vcc, 0, v26
	s_and_saveexec_b64 s[0:1], vcc
	s_xor_b64 s[0:1], exec, s[0:1]
; %bb.359:
	v_cmp_ne_u32_e32 vcc, 0, v254
	s_nop 1
	v_cndmask_b32_e32 v254, 22, v254, vcc
; %bb.360:
	s_andn2_saveexec_b64 s[0:1], s[0:1]
	s_cbranch_execz .LBB46_362
; %bb.361:
	v_div_scale_f32 v25, s[2:3], v26, v26, 1.0
	v_rcp_f32_e32 v27, v25
	v_div_scale_f32 v28, vcc, 1.0, v26, 1.0
	v_fma_f32 v29, -v25, v27, 1.0
	v_fmac_f32_e32 v27, v29, v27
	v_mul_f32_e32 v29, v28, v27
	v_fma_f32 v30, -v25, v29, v28
	v_fmac_f32_e32 v29, v30, v27
	v_fma_f32 v25, -v25, v29, v28
	v_div_fmas_f32 v25, v25, v27, v29
	v_div_fixup_f32 v26, v25, v26, 1.0
.LBB46_362:
	s_or_b64 exec, exec, s[0:1]
	v_cmp_ne_u32_e32 vcc, v251, v24
	s_and_saveexec_b64 s[0:1], vcc
	s_xor_b64 s[0:1], exec, s[0:1]
	s_cbranch_execz .LBB46_368
; %bb.363:
	v_cmp_eq_u32_e32 vcc, 21, v251
	s_and_saveexec_b64 s[2:3], vcc
	s_cbranch_execz .LBB46_367
; %bb.364:
	v_cmp_ne_u32_e32 vcc, 21, v24
	s_xor_b64 s[18:19], s[16:17], -1
	s_and_b64 s[20:21], s[18:19], vcc
	s_and_saveexec_b64 s[18:19], s[20:21]
	s_cbranch_execz .LBB46_366
; %bb.365:
	scratch_load_dwordx2 v[30:31], off, off offset:2692 ; 8-byte Folded Reload
	v_ashrrev_i32_e32 v25, 31, v24
	s_waitcnt vmcnt(0)
	v_lshl_add_u64 v[28:29], v[24:25], 2, v[30:31]
	global_load_dword v25, v[28:29], off
	global_load_dword v27, v[30:31], off offset:84
	s_waitcnt vmcnt(1)
	global_store_dword v[30:31], v25, off offset:84
	s_waitcnt vmcnt(1)
	global_store_dword v[28:29], v27, off
.LBB46_366:
	s_or_b64 exec, exec, s[18:19]
	v_mov_b32_e32 v25, v24
	v_mov_b32_e32 v251, v24
	scratch_store_dword off, v25, off offset:1024 ; 4-byte Folded Spill
.LBB46_367:
	s_or_b64 exec, exec, s[2:3]
.LBB46_368:
	s_andn2_saveexec_b64 s[0:1], s[0:1]
; %bb.369:
	v_mov_b32_e32 v251, 21
	ds_write2_b32 v250, v22, v23 offset0:22 offset1:23
; %bb.370:
	s_or_b64 exec, exec, s[0:1]
	v_cmp_lt_i32_e32 vcc, 21, v251
	s_waitcnt lgkmcnt(0)
	s_barrier
	s_and_saveexec_b64 s[0:1], vcc
	s_cbranch_execz .LBB46_372
; %bb.371:
	ds_read2_b32 v[2:3], v250 offset0:22 offset1:23
	scratch_load_dwordx4 v[28:31], off, off ; 16-byte Folded Reload
	scratch_load_dwordx4 v[32:35], off, off offset:16 ; 16-byte Folded Reload
	scratch_load_dwordx4 v[36:39], off, off offset:32 ; 16-byte Folded Reload
	;; [unrolled: 1-line block ×15, first 2 shown]
	s_waitcnt vmcnt(7)
	v_mov_b32_e32 v0, v216
	v_mov_b32_e32 v1, v217
	s_waitcnt vmcnt(6)
	v_mov_b32_e32 v4, v220
	v_mov_b32_e32 v5, v221
	v_mul_f32_e32 v24, v49, v26
	s_waitcnt lgkmcnt(0)
	v_pk_fma_f32 v[22:23], v[24:25], v[2:3], v[22:23] op_sel_hi:[0,1,1] neg_lo:[1,0,0] neg_hi:[1,0,0]
	s_waitcnt vmcnt(2)
	v_mov_b32_e32 v237, v24
	v_mov_b32_e32 v2, v218
	v_mov_b32_e32 v3, v219
	v_mov_b32_e32 v6, v222
	v_mov_b32_e32 v7, v223
	v_mov_b32_e32 v8, v224
	v_mov_b32_e32 v9, v225
	v_mov_b32_e32 v10, v226
	v_mov_b32_e32 v11, v227
	v_mov_b32_e32 v12, v228
	v_mov_b32_e32 v13, v229
	v_mov_b32_e32 v14, v230
	v_mov_b32_e32 v15, v231
	v_mov_b32_e32 v16, v232
	v_mov_b32_e32 v17, v233
	v_mov_b32_e32 v18, v234
	v_mov_b32_e32 v19, v235
	v_mov_b32_e32 v20, v236
	v_mov_b32_e32 v21, v24
	v_mov_b32_e32 v253, v22
	v_mov_b32_e32 v255, v23
.LBB46_372:
	s_or_b64 exec, exec, s[0:1]
	v_lshl_add_u32 v24, v251, 2, v250
	s_barrier
	ds_write_b32 v24, v253
	s_waitcnt lgkmcnt(0)
	s_barrier
	ds_read_b32 v26, v250 offset:88
	s_cmp_lt_i32 s22, 24
	v_mov_b32_e32 v24, 22
	s_cbranch_scc1 .LBB46_375
; %bb.373:
	v_add_u32_e32 v25, 0x5c, v250
	v_mov_b32_e32 v24, 22
	s_mov_b32 s0, 23
.LBB46_374:                             ; =>This Inner Loop Header: Depth=1
	ds_read_b32 v27, v25
	v_mov_b32_e32 v28, s0
	s_add_i32 s0, s0, 1
	v_add_u32_e32 v25, 4, v25
	s_cmp_lg_u32 s22, s0
	s_waitcnt lgkmcnt(0)
	v_cmp_lt_f32_e64 vcc, |v26|, |v27|
	s_nop 1
	v_cndmask_b32_e32 v26, v26, v27, vcc
	v_cndmask_b32_e32 v24, v24, v28, vcc
	s_cbranch_scc1 .LBB46_374
.LBB46_375:
	s_waitcnt lgkmcnt(0)
	v_cmp_eq_f32_e32 vcc, 0, v26
	s_and_saveexec_b64 s[0:1], vcc
	s_xor_b64 s[0:1], exec, s[0:1]
; %bb.376:
	v_cmp_ne_u32_e32 vcc, 0, v254
	s_nop 1
	v_cndmask_b32_e32 v254, 23, v254, vcc
; %bb.377:
	s_andn2_saveexec_b64 s[0:1], s[0:1]
	s_cbranch_execz .LBB46_379
; %bb.378:
	v_div_scale_f32 v25, s[2:3], v26, v26, 1.0
	v_rcp_f32_e32 v27, v25
	v_div_scale_f32 v28, vcc, 1.0, v26, 1.0
	v_fma_f32 v29, -v25, v27, 1.0
	v_fmac_f32_e32 v27, v29, v27
	v_mul_f32_e32 v29, v28, v27
	v_fma_f32 v30, -v25, v29, v28
	v_fmac_f32_e32 v29, v30, v27
	v_fma_f32 v25, -v25, v29, v28
	v_div_fmas_f32 v25, v25, v27, v29
	v_div_fixup_f32 v26, v25, v26, 1.0
.LBB46_379:
	s_or_b64 exec, exec, s[0:1]
	v_cmp_ne_u32_e32 vcc, v251, v24
	s_and_saveexec_b64 s[0:1], vcc
	s_xor_b64 s[0:1], exec, s[0:1]
	s_cbranch_execz .LBB46_385
; %bb.380:
	v_cmp_eq_u32_e32 vcc, 22, v251
	s_and_saveexec_b64 s[2:3], vcc
	s_cbranch_execz .LBB46_384
; %bb.381:
	v_cmp_ne_u32_e32 vcc, 22, v24
	s_xor_b64 s[18:19], s[16:17], -1
	s_and_b64 s[20:21], s[18:19], vcc
	s_and_saveexec_b64 s[18:19], s[20:21]
	s_cbranch_execz .LBB46_383
; %bb.382:
	scratch_load_dwordx2 v[30:31], off, off offset:2692 ; 8-byte Folded Reload
	v_ashrrev_i32_e32 v25, 31, v24
	s_waitcnt vmcnt(0)
	v_lshl_add_u64 v[28:29], v[24:25], 2, v[30:31]
	global_load_dword v25, v[28:29], off
	global_load_dword v27, v[30:31], off offset:88
	s_waitcnt vmcnt(1)
	global_store_dword v[30:31], v25, off offset:88
	s_waitcnt vmcnt(1)
	global_store_dword v[28:29], v27, off
.LBB46_383:
	s_or_b64 exec, exec, s[18:19]
	v_mov_b32_e32 v25, v24
	v_mov_b32_e32 v251, v24
	scratch_store_dword off, v25, off offset:1024 ; 4-byte Folded Spill
.LBB46_384:
	s_or_b64 exec, exec, s[2:3]
.LBB46_385:
	s_andn2_saveexec_b64 s[0:1], s[0:1]
; %bb.386:
	v_mov_b32_e32 v251, 22
	ds_write_b32 v250, v255 offset:92
; %bb.387:
	s_or_b64 exec, exec, s[0:1]
	v_cmp_lt_i32_e32 vcc, 22, v251
	s_waitcnt lgkmcnt(0)
	s_barrier
	s_and_saveexec_b64 s[0:1], vcc
	s_cbranch_execz .LBB46_389
; %bb.388:
	ds_read_b32 v0, v250 offset:92
	v_mul_f32_e32 v238, v253, v26
	s_waitcnt lgkmcnt(0)
	v_fma_f32 v239, -v238, v0, v255
	s_waitcnt vmcnt(0)
	v_mov_b64_e32 v[0:1], v[216:217]
	v_mov_b64_e32 v[2:3], v[218:219]
	;; [unrolled: 1-line block ×12, first 2 shown]
	v_mov_b32_e32 v255, v239
	v_mov_b64_e32 v[24:25], v[240:241]
	v_mov_b64_e32 v[26:27], v[242:243]
	v_mov_b64_e32 v[28:29], v[244:245]
	v_mov_b64_e32 v[30:31], v[246:247]
.LBB46_389:
	s_or_b64 exec, exec, s[0:1]
	v_lshl_add_u32 v24, v251, 2, v250
	s_barrier
	ds_write_b32 v24, v255
	s_waitcnt lgkmcnt(0)
	s_barrier
	ds_read_b32 v28, v250 offset:92
	s_cmp_lt_i32 s22, 25
	v_mov_b32_e32 v24, 23
	s_cbranch_scc1 .LBB46_392
; %bb.390:
	v_add_u32_e32 v25, 0x60, v250
	v_mov_b32_e32 v24, 23
	s_mov_b32 s0, 24
.LBB46_391:                             ; =>This Inner Loop Header: Depth=1
	ds_read_b32 v26, v25
	v_mov_b32_e32 v27, s0
	s_add_i32 s0, s0, 1
	v_add_u32_e32 v25, 4, v25
	s_cmp_lg_u32 s22, s0
	s_waitcnt lgkmcnt(0)
	v_cmp_lt_f32_e64 vcc, |v28|, |v26|
	s_nop 1
	v_cndmask_b32_e32 v28, v28, v26, vcc
	v_cndmask_b32_e32 v24, v24, v27, vcc
	s_cbranch_scc1 .LBB46_391
.LBB46_392:
	s_waitcnt lgkmcnt(0)
	v_cmp_eq_f32_e32 vcc, 0, v28
	s_and_saveexec_b64 s[0:1], vcc
	s_xor_b64 s[0:1], exec, s[0:1]
; %bb.393:
	v_cmp_ne_u32_e32 vcc, 0, v254
	s_nop 1
	v_cndmask_b32_e32 v254, 24, v254, vcc
; %bb.394:
	s_andn2_saveexec_b64 s[0:1], s[0:1]
	s_cbranch_execz .LBB46_396
; %bb.395:
	v_div_scale_f32 v25, s[2:3], v28, v28, 1.0
	v_rcp_f32_e32 v26, v25
	v_div_scale_f32 v27, vcc, 1.0, v28, 1.0
	v_fma_f32 v29, -v25, v26, 1.0
	v_fmac_f32_e32 v26, v29, v26
	v_mul_f32_e32 v29, v27, v26
	v_fma_f32 v30, -v25, v29, v27
	v_fmac_f32_e32 v29, v30, v26
	v_fma_f32 v25, -v25, v29, v27
	v_div_fmas_f32 v25, v25, v26, v29
	v_div_fixup_f32 v28, v25, v28, 1.0
.LBB46_396:
	s_or_b64 exec, exec, s[0:1]
	v_cmp_ne_u32_e32 vcc, v251, v24
	v_mov_b32_e32 v26, 23
	s_and_saveexec_b64 s[0:1], vcc
	s_cbranch_execz .LBB46_402
; %bb.397:
	v_cmp_eq_u32_e32 vcc, 23, v251
	s_and_saveexec_b64 s[2:3], vcc
	s_cbranch_execz .LBB46_401
; %bb.398:
	v_cmp_ne_u32_e32 vcc, 23, v24
	s_xor_b64 s[16:17], s[16:17], -1
	s_and_b64 s[18:19], s[16:17], vcc
	s_and_saveexec_b64 s[16:17], s[18:19]
	s_cbranch_execz .LBB46_400
; %bb.399:
	scratch_load_dwordx2 v[30:31], off, off offset:2692 ; 8-byte Folded Reload
	v_ashrrev_i32_e32 v25, 31, v24
	s_waitcnt vmcnt(0)
	v_lshl_add_u64 v[26:27], v[24:25], 2, v[30:31]
	global_load_dword v25, v[26:27], off
	global_load_dword v29, v[30:31], off offset:92
	s_waitcnt vmcnt(1)
	global_store_dword v[30:31], v25, off offset:92
	s_waitcnt vmcnt(1)
	global_store_dword v[26:27], v29, off
.LBB46_400:
	s_or_b64 exec, exec, s[16:17]
	v_mov_b32_e32 v25, v24
	v_mov_b32_e32 v251, v24
	scratch_store_dword off, v25, off offset:1024 ; 4-byte Folded Spill
.LBB46_401:
	s_or_b64 exec, exec, s[2:3]
	v_mov_b32_e32 v26, v251
.LBB46_402:
	s_or_b64 exec, exec, s[0:1]
	v_cmp_gt_i32_e32 vcc, 24, v26
	v_ashrrev_i32_e32 v27, 31, v26
	s_barrier
	s_barrier
	s_and_saveexec_b64 s[0:1], vcc
	s_cbranch_execz .LBB46_404
; %bb.403:
	scratch_load_dwordx2 v[30:31], off, off offset:3852 ; 8-byte Folded Reload
	v_mov_b32_e32 v24, s6
	v_mov_b32_e32 v25, s7
	s_waitcnt vmcnt(0)
	v_mul_lo_u32 v29, s11, v30
	v_mul_lo_u32 v32, s10, v31
	v_mad_u64_u32 v[30:31], s[2:3], s10, v30, 0
	v_add3_u32 v31, v31, v32, v29
	scratch_load_dword v29, off, off offset:1024 ; 4-byte Folded Reload
	v_lshl_add_u64 v[24:25], v[30:31], 2, v[24:25]
	v_lshl_add_u64 v[24:25], s[8:9], 2, v[24:25]
	;; [unrolled: 1-line block ×3, first 2 shown]
	s_waitcnt vmcnt(0)
	v_add3_u32 v29, v29, s15, 1
	global_store_dword v[24:25], v29, off
.LBB46_404:
	s_or_b64 exec, exec, s[0:1]
	v_cmp_eq_u32_e32 vcc, 0, v26
	s_and_saveexec_b64 s[2:3], vcc
	s_cbranch_execz .LBB46_407
; %bb.405:
	scratch_load_dwordx2 v[30:31], off, off offset:3852 ; 8-byte Folded Reload
	v_mov_b32_e32 v24, s4
	v_mov_b32_e32 v25, s5
	v_cmp_ne_u32_e64 s[0:1], 0, v254
	s_waitcnt vmcnt(0)
	v_lshl_add_u64 v[24:25], v[30:31], 2, v[24:25]
	global_load_dword v29, v[24:25], off
	s_waitcnt vmcnt(0)
	v_cmp_eq_u32_e32 vcc, 0, v29
	s_and_b64 s[0:1], vcc, s[0:1]
	s_and_b64 exec, exec, s[0:1]
	s_cbranch_execz .LBB46_407
; %bb.406:
	v_add_u32_e32 v29, s15, v254
	global_store_dword v[24:25], v29, off
.LBB46_407:
	s_or_b64 exec, exec, s[2:3]
	v_mul_f32_e32 v24, v255, v28
	v_cmp_lt_i32_e32 vcc, 23, v26
	s_nop 1
	v_cndmask_b32_e32 v23, v23, v24, vcc
	v_lshl_add_u64 v[24:25], v[26:27], 2, v[248:249]
	global_store_dword v[24:25], v0, off
	v_lshl_add_u64 v[24:25], s[12:13], 2, v[24:25]
	v_add_u32_e32 v0, s14, v26
	global_store_dword v[24:25], v1, off
	v_ashrrev_i32_e32 v1, 31, v0
	v_lshl_add_u64 v[24:25], v[0:1], 2, v[248:249]
	v_add_u32_e32 v0, s12, v0
	v_ashrrev_i32_e32 v1, 31, v0
	global_store_dword v[24:25], v2, off
	v_lshl_add_u64 v[24:25], v[0:1], 2, v[248:249]
	v_add_u32_e32 v0, s12, v0
	v_ashrrev_i32_e32 v1, 31, v0
	global_store_dword v[24:25], v3, off
	;; [unrolled: 4-line block ×20, first 2 shown]
	v_lshl_add_u64 v[2:3], v[0:1], 2, v[248:249]
	v_add_u32_e32 v0, s12, v0
	v_ashrrev_i32_e32 v1, 31, v0
	v_lshl_add_u64 v[0:1], v[0:1], 2, v[248:249]
	global_store_dword v[2:3], v22, off
	global_store_dword v[0:1], v23, off
.LBB46_408:
	s_endpgm
.LBB46_409:
	v_mov_b32_e32 v30, v36
	v_mov_b32_e32 v36, v38
	s_waitcnt lgkmcnt(0)
	v_cmp_eq_f32_e32 vcc, 0, v43
	s_and_saveexec_b64 s[0:1], vcc
	s_xor_b64 s[0:1], exec, s[0:1]
	s_cbranch_execnz .LBB46_70
	s_branch .LBB46_71
.LBB46_410:
	v_mov_b32_e32 v38, v30
	s_waitcnt lgkmcnt(0)
	v_cmp_eq_f32_e32 vcc, 0, v43
	s_and_saveexec_b64 s[0:1], vcc
	s_xor_b64 s[0:1], exec, s[0:1]
	s_cbranch_execnz .LBB46_104
	s_branch .LBB46_105
.LBB46_411:
	v_mov_b32_e32 v31, v35
	s_waitcnt lgkmcnt(0)
	v_cmp_eq_f32_e32 vcc, 0, v43
	s_and_saveexec_b64 s[0:1], vcc
	s_xor_b64 s[0:1], exec, s[0:1]
	s_cbranch_execnz .LBB46_172
	s_branch .LBB46_173
.LBB46_412:
	scratch_load_dwordx4 v[216:219], off, off offset:512 ; 16-byte Folded Reload
	scratch_load_dwordx4 v[220:223], off, off offset:528 ; 16-byte Folded Reload
	;; [unrolled: 1-line block ×8, first 2 shown]
	s_waitcnt lgkmcnt(0)
	v_cmp_eq_f32_e32 vcc, 0, v43
	s_and_saveexec_b64 s[0:1], vcc
	s_xor_b64 s[0:1], exec, s[0:1]
	s_cbranch_execnz .LBB46_274
	s_branch .LBB46_275
.LBB46_413:
	v_mov_b64_e32 v[184:185], v[62:63]
	v_mov_b32_e32 v188, v66
	v_mov_b64_e32 v[182:183], v[60:61]
	v_mov_b64_e32 v[180:181], v[58:59]
	v_mov_b64_e32 v[178:179], v[56:57]
	v_mov_b64_e32 v[176:177], v[54:55]
	v_mov_b64_e32 v[174:175], v[52:53]
	v_mov_b64_e32 v[172:173], v[50:51]
	v_mov_b64_e32 v[170:171], v[48:49]
	v_mov_b32_e32 v187, v65
	v_mov_b32_e32 v186, v64
	s_waitcnt lgkmcnt(0)
	v_cmp_eq_f32_e32 vcc, 0, v43
	s_and_saveexec_b64 s[0:1], vcc
	s_xor_b64 s[0:1], exec, s[0:1]
	s_cbranch_execnz .LBB46_291
	s_branch .LBB46_292
.LBB46_414:
	scratch_load_dwordx4 v[80:83], off, off offset:256 ; 16-byte Folded Reload
	scratch_load_dwordx4 v[84:87], off, off offset:272 ; 16-byte Folded Reload
	;; [unrolled: 1-line block ×8, first 2 shown]
	s_waitcnt lgkmcnt(0)
	v_cmp_eq_f32_e32 vcc, 0, v43
	s_and_saveexec_b64 s[0:1], vcc
	s_xor_b64 s[0:1], exec, s[0:1]
	s_cbranch_execnz .LBB46_308
	s_branch .LBB46_309
	.section	.rodata,"a",@progbits
	.p2align	6, 0x0
	.amdhsa_kernel _ZN9rocsolver6v33100L18getf2_small_kernelILi24EfiiPfEEvT1_T3_lS3_lPS3_llPT2_S3_S3_S5_l
		.amdhsa_group_segment_fixed_size 0
		.amdhsa_private_segment_fixed_size 3864
		.amdhsa_kernarg_size 352
		.amdhsa_user_sgpr_count 2
		.amdhsa_user_sgpr_dispatch_ptr 0
		.amdhsa_user_sgpr_queue_ptr 0
		.amdhsa_user_sgpr_kernarg_segment_ptr 1
		.amdhsa_user_sgpr_dispatch_id 0
		.amdhsa_user_sgpr_kernarg_preload_length 0
		.amdhsa_user_sgpr_kernarg_preload_offset 0
		.amdhsa_user_sgpr_private_segment_size 0
		.amdhsa_uses_dynamic_stack 0
		.amdhsa_enable_private_segment 1
		.amdhsa_system_sgpr_workgroup_id_x 1
		.amdhsa_system_sgpr_workgroup_id_y 1
		.amdhsa_system_sgpr_workgroup_id_z 0
		.amdhsa_system_sgpr_workgroup_info 0
		.amdhsa_system_vgpr_workitem_id 1
		.amdhsa_next_free_vgpr 256
		.amdhsa_next_free_sgpr 28
		.amdhsa_accum_offset 256
		.amdhsa_reserve_vcc 1
		.amdhsa_float_round_mode_32 0
		.amdhsa_float_round_mode_16_64 0
		.amdhsa_float_denorm_mode_32 3
		.amdhsa_float_denorm_mode_16_64 3
		.amdhsa_dx10_clamp 1
		.amdhsa_ieee_mode 1
		.amdhsa_fp16_overflow 0
		.amdhsa_tg_split 0
		.amdhsa_exception_fp_ieee_invalid_op 0
		.amdhsa_exception_fp_denorm_src 0
		.amdhsa_exception_fp_ieee_div_zero 0
		.amdhsa_exception_fp_ieee_overflow 0
		.amdhsa_exception_fp_ieee_underflow 0
		.amdhsa_exception_fp_ieee_inexact 0
		.amdhsa_exception_int_div_zero 0
	.end_amdhsa_kernel
	.section	.text._ZN9rocsolver6v33100L18getf2_small_kernelILi24EfiiPfEEvT1_T3_lS3_lPS3_llPT2_S3_S3_S5_l,"axG",@progbits,_ZN9rocsolver6v33100L18getf2_small_kernelILi24EfiiPfEEvT1_T3_lS3_lPS3_llPT2_S3_S3_S5_l,comdat
.Lfunc_end46:
	.size	_ZN9rocsolver6v33100L18getf2_small_kernelILi24EfiiPfEEvT1_T3_lS3_lPS3_llPT2_S3_S3_S5_l, .Lfunc_end46-_ZN9rocsolver6v33100L18getf2_small_kernelILi24EfiiPfEEvT1_T3_lS3_lPS3_llPT2_S3_S3_S5_l
                                        ; -- End function
	.set _ZN9rocsolver6v33100L18getf2_small_kernelILi24EfiiPfEEvT1_T3_lS3_lPS3_llPT2_S3_S3_S5_l.num_vgpr, 256
	.set _ZN9rocsolver6v33100L18getf2_small_kernelILi24EfiiPfEEvT1_T3_lS3_lPS3_llPT2_S3_S3_S5_l.num_agpr, 0
	.set _ZN9rocsolver6v33100L18getf2_small_kernelILi24EfiiPfEEvT1_T3_lS3_lPS3_llPT2_S3_S3_S5_l.numbered_sgpr, 28
	.set _ZN9rocsolver6v33100L18getf2_small_kernelILi24EfiiPfEEvT1_T3_lS3_lPS3_llPT2_S3_S3_S5_l.num_named_barrier, 0
	.set _ZN9rocsolver6v33100L18getf2_small_kernelILi24EfiiPfEEvT1_T3_lS3_lPS3_llPT2_S3_S3_S5_l.private_seg_size, 3864
	.set _ZN9rocsolver6v33100L18getf2_small_kernelILi24EfiiPfEEvT1_T3_lS3_lPS3_llPT2_S3_S3_S5_l.uses_vcc, 1
	.set _ZN9rocsolver6v33100L18getf2_small_kernelILi24EfiiPfEEvT1_T3_lS3_lPS3_llPT2_S3_S3_S5_l.uses_flat_scratch, 0
	.set _ZN9rocsolver6v33100L18getf2_small_kernelILi24EfiiPfEEvT1_T3_lS3_lPS3_llPT2_S3_S3_S5_l.has_dyn_sized_stack, 0
	.set _ZN9rocsolver6v33100L18getf2_small_kernelILi24EfiiPfEEvT1_T3_lS3_lPS3_llPT2_S3_S3_S5_l.has_recursion, 0
	.set _ZN9rocsolver6v33100L18getf2_small_kernelILi24EfiiPfEEvT1_T3_lS3_lPS3_llPT2_S3_S3_S5_l.has_indirect_call, 0
	.section	.AMDGPU.csdata,"",@progbits
; Kernel info:
; codeLenInByte = 50304
; TotalNumSgprs: 34
; NumVgprs: 256
; NumAgprs: 0
; TotalNumVgprs: 256
; ScratchSize: 3864
; MemoryBound: 0
; FloatMode: 240
; IeeeMode: 1
; LDSByteSize: 0 bytes/workgroup (compile time only)
; SGPRBlocks: 4
; VGPRBlocks: 31
; NumSGPRsForWavesPerEU: 34
; NumVGPRsForWavesPerEU: 256
; AccumOffset: 256
; Occupancy: 2
; WaveLimiterHint : 0
; COMPUTE_PGM_RSRC2:SCRATCH_EN: 1
; COMPUTE_PGM_RSRC2:USER_SGPR: 2
; COMPUTE_PGM_RSRC2:TRAP_HANDLER: 0
; COMPUTE_PGM_RSRC2:TGID_X_EN: 1
; COMPUTE_PGM_RSRC2:TGID_Y_EN: 1
; COMPUTE_PGM_RSRC2:TGID_Z_EN: 0
; COMPUTE_PGM_RSRC2:TIDIG_COMP_CNT: 1
; COMPUTE_PGM_RSRC3_GFX90A:ACCUM_OFFSET: 63
; COMPUTE_PGM_RSRC3_GFX90A:TG_SPLIT: 0
	.section	.text._ZN9rocsolver6v33100L23getf2_npvt_small_kernelILi24EfiiPfEEvT1_T3_lS3_lPT2_S3_S3_,"axG",@progbits,_ZN9rocsolver6v33100L23getf2_npvt_small_kernelILi24EfiiPfEEvT1_T3_lS3_lPT2_S3_S3_,comdat
	.globl	_ZN9rocsolver6v33100L23getf2_npvt_small_kernelILi24EfiiPfEEvT1_T3_lS3_lPT2_S3_S3_ ; -- Begin function _ZN9rocsolver6v33100L23getf2_npvt_small_kernelILi24EfiiPfEEvT1_T3_lS3_lPT2_S3_S3_
	.p2align	8
	.type	_ZN9rocsolver6v33100L23getf2_npvt_small_kernelILi24EfiiPfEEvT1_T3_lS3_lPT2_S3_S3_,@function
_ZN9rocsolver6v33100L23getf2_npvt_small_kernelILi24EfiiPfEEvT1_T3_lS3_lPT2_S3_S3_: ; @_ZN9rocsolver6v33100L23getf2_npvt_small_kernelILi24EfiiPfEEvT1_T3_lS3_lPT2_S3_S3_
; %bb.0:
	s_load_dword s2, s[0:1], 0x44
	s_load_dwordx2 s[8:9], s[0:1], 0x30
	v_bfe_u32 v1, v0, 10, 10
	s_waitcnt lgkmcnt(0)
	s_lshr_b32 s10, s2, 16
	s_mul_i32 s3, s3, s10
	v_add_u32_e32 v4, s3, v1
	v_cmp_gt_i32_e32 vcc, s8, v4
	s_and_saveexec_b64 s[2:3], vcc
	s_cbranch_execz .LBB47_125
; %bb.1:
	s_load_dwordx4 s[12:15], s[0:1], 0x8
	s_load_dword s2, s[0:1], 0x18
	s_load_dwordx4 s[4:7], s[0:1], 0x20
	v_ashrrev_i32_e32 v5, 31, v4
	s_movk_i32 s0, 0x11cc
	v_and_b32_e32 v205, 0x3ff, v0
	scratch_store_dwordx2 off, v[4:5], s0   ; 8-byte Folded Spill
	s_waitcnt lgkmcnt(0)
	v_mul_lo_u32 v0, s5, v4
	v_mul_lo_u32 v6, s4, v5
	v_mad_u64_u32 v[4:5], s[0:1], s4, v4, 0
	v_mov_b32_e32 v2, s12
	v_mov_b32_e32 v3, s13
	v_add3_u32 v5, v5, v6, v0
	v_lshl_add_u64 v[2:3], v[4:5], 2, v[2:3]
	v_lshl_add_u64 v[2:3], s[14:15], 2, v[2:3]
	v_lshlrev_b32_e32 v4, 2, v205
	v_mov_b32_e32 v5, 0
	s_add_i32 s0, s2, s2
	v_lshl_add_u64 v[24:25], v[2:3], 0, v[4:5]
	v_add_u32_e32 v4, s0, v205
	v_ashrrev_i32_e32 v5, 31, v4
	v_lshl_add_u64 v[20:21], v[4:5], 2, v[2:3]
	v_add_u32_e32 v4, s2, v4
	v_ashrrev_i32_e32 v5, 31, v4
	;; [unrolled: 3-line block ×21, first 2 shown]
	v_lshl_add_u64 v[54:55], v[4:5], 2, v[2:3]
	v_add_u32_e32 v4, s2, v4
	s_ashr_i32 s3, s2, 31
	v_ashrrev_i32_e32 v5, 31, v4
	v_lshl_add_u64 v[18:19], s[2:3], 2, v[24:25]
	v_lshl_add_u64 v[56:57], v[4:5], 2, v[2:3]
	scratch_store_dwordx2 off, v[6:7], off offset:3780 ; 8-byte Folded Spill
	global_load_dword v17, v[6:7], off
	global_load_dword v10, v[8:9], off
	;; [unrolled: 1-line block ×12, first 2 shown]
	s_mulk_i32 s10, 0x60
	scratch_store_dwordx2 off, v[8:9], off offset:3788 ; 8-byte Folded Spill
	scratch_store_dwordx2 off, v[12:13], off offset:3796 ; 8-byte Folded Spill
	;; [unrolled: 1-line block ×3, first 2 shown]
	global_load_dword v12, v[14:15], off
	s_movk_i32 s0, 0x60
	scratch_store_dwordx2 off, v[22:23], off offset:3812 ; 8-byte Folded Spill
	global_load_dword v13, v[22:23], off
	global_load_dword v9, v[54:55], off
	;; [unrolled: 1-line block ×3, first 2 shown]
	s_add_i32 s1, s10, 0
	scratch_store_dwordx2 off, v[18:19], off offset:3724 ; 8-byte Folded Spill
	global_load_dword v22, v[18:19], off
	global_load_dword v23, v[20:21], off
	;; [unrolled: 1-line block ×4, first 2 shown]
	v_mad_u32_u24 v252, v1, s0, 0
	scratch_store_dwordx2 off, v[20:21], off offset:3732 ; 8-byte Folded Spill
	global_load_dword v18, v[26:27], off
	global_load_dword v19, v[28:29], off
	v_lshl_add_u32 v253, v1, 2, s1
	global_load_dword v20, v[30:31], off
	global_load_dword v21, v[32:33], off
	v_cmp_ne_u32_e64 s[2:3], 0, v205
	v_cmp_eq_u32_e64 s[0:1], 0, v205
	scratch_store_dwordx2 off, v[36:37], off offset:3820 ; 8-byte Folded Spill
	scratch_store_dwordx2 off, v[38:39], off offset:3828 ; 8-byte Folded Spill
	;; [unrolled: 1-line block ×17, first 2 shown]
	s_and_saveexec_b64 s[4:5], s[0:1]
	s_cbranch_execz .LBB47_4
; %bb.2:
	s_waitcnt vmcnt(41)
	ds_write_b32 v253, v96
	s_waitcnt vmcnt(24)
	ds_write2_b32 v252, v22, v23 offset0:1 offset1:2
	s_waitcnt vmcnt(19)
	ds_write2_b32 v252, v18, v19 offset0:3 offset1:4
	;; [unrolled: 2-line block ×3, first 2 shown]
	ds_write2_b32 v252, v16, v17 offset0:7 offset1:8
	ds_write2_b32 v252, v10, v11 offset0:9 offset1:10
	;; [unrolled: 1-line block ×8, first 2 shown]
	ds_write_b32 v252, v255 offset:92
	ds_read_b32 v1, v253
	s_waitcnt lgkmcnt(0)
	v_cmp_neq_f32_e32 vcc, 0, v1
	s_and_b64 exec, exec, vcc
	s_cbranch_execz .LBB47_4
; %bb.3:
	v_div_scale_f32 v24, s[10:11], v1, v1, 1.0
	v_rcp_f32_e32 v25, v24
	v_div_scale_f32 v26, vcc, 1.0, v1, 1.0
	v_fma_f32 v27, -v24, v25, 1.0
	v_fmac_f32_e32 v25, v27, v25
	v_mul_f32_e32 v27, v26, v25
	v_fma_f32 v28, -v24, v27, v26
	v_fmac_f32_e32 v27, v28, v25
	v_fma_f32 v24, -v24, v27, v26
	v_div_fmas_f32 v24, v24, v25, v27
	v_div_fixup_f32 v1, v24, v1, 1.0
	ds_write_b32 v253, v1
.LBB47_4:
	s_or_b64 exec, exec, s[4:5]
	s_waitcnt lgkmcnt(0)
	s_barrier
	ds_read_b32 v1, v253
                                        ; implicit-def: $vgpr129
                                        ; implicit-def: $vgpr156
                                        ; implicit-def: $vgpr63
                                        ; implicit-def: $vgpr24
                                        ; implicit-def: $vgpr44
                                        ; implicit-def: $vgpr69
                                        ; implicit-def: $vgpr62
                                        ; implicit-def: $vgpr183
                                        ; implicit-def: $vgpr234
                                        ; implicit-def: $vgpr219
                                        ; implicit-def: $vgpr170
                                        ; implicit-def: $vgpr47
                                        ; implicit-def: $vgpr130
                                        ; implicit-def: $vgpr201
                                        ; implicit-def: $vgpr116
                                        ; implicit-def: $vgpr55
                                        ; implicit-def: $vgpr30
                                        ; implicit-def: $vgpr61
                                        ; implicit-def: $vgpr36
                                        ; implicit-def: $vgpr67
                                        ; implicit-def: $vgpr40
	s_waitcnt lgkmcnt(0)
	scratch_store_dword off, v1, off offset:3908 ; 4-byte Folded Spill
	s_and_saveexec_b64 s[4:5], s[2:3]
	s_xor_b64 s[2:3], exec, s[4:5]
	s_cbranch_execz .LBB47_6
; %bb.5:
	ds_read2_b32 v[24:25], v252 offset0:1 offset1:2
	ds_read2_b32 v[26:27], v252 offset0:3 offset1:4
	;; [unrolled: 1-line block ×3, first 2 shown]
	scratch_load_dword v1, off, off offset:3908 ; 4-byte Folded Reload
	ds_read2_b32 v[30:31], v252 offset0:7 offset1:8
	s_waitcnt vmcnt(0)
	v_mul_f32_e32 v96, v96, v1
	s_waitcnt lgkmcnt(3)
	v_pk_fma_f32 v[24:25], v[96:97], v[24:25], v[22:23] op_sel_hi:[0,1,1] neg_lo:[1,0,0] neg_hi:[1,0,0]
	s_waitcnt lgkmcnt(2)
	v_pk_fma_f32 v[26:27], v[96:97], v[26:27], v[18:19] op_sel_hi:[0,1,1] neg_lo:[1,0,0] neg_hi:[1,0,0]
	;; [unrolled: 2-line block ×3, first 2 shown]
	ds_read2_b32 v[18:19], v252 offset0:9 offset1:10
	ds_read2_b32 v[20:21], v252 offset0:11 offset1:12
	;; [unrolled: 1-line block ×3, first 2 shown]
	s_waitcnt lgkmcnt(3)
	v_pk_fma_f32 v[30:31], v[96:97], v[30:31], v[16:17] op_sel_hi:[0,1,1] neg_lo:[1,0,0] neg_hi:[1,0,0]
	ds_read2_b32 v[16:17], v252 offset0:15 offset1:16
	s_waitcnt lgkmcnt(3)
	v_pk_fma_f32 v[32:33], v[96:97], v[18:19], v[10:11] op_sel_hi:[0,1,1] neg_lo:[1,0,0] neg_hi:[1,0,0]
	s_waitcnt lgkmcnt(2)
	v_pk_fma_f32 v[34:35], v[96:97], v[20:21], v[12:13] op_sel_hi:[0,1,1] neg_lo:[1,0,0] neg_hi:[1,0,0]
	s_waitcnt lgkmcnt(1)
	v_pk_fma_f32 v[36:37], v[96:97], v[22:23], v[14:15] op_sel_hi:[0,1,1] neg_lo:[1,0,0] neg_hi:[1,0,0]
	ds_read2_b32 v[10:11], v252 offset0:17 offset1:18
	ds_read2_b32 v[12:13], v252 offset0:19 offset1:20
	;; [unrolled: 1-line block ×3, first 2 shown]
	ds_read_b32 v1, v252 offset:92
	s_waitcnt lgkmcnt(4)
	v_pk_fma_f32 v[38:39], v[96:97], v[16:17], v[2:3] op_sel_hi:[0,1,1] neg_lo:[1,0,0] neg_hi:[1,0,0]
	s_waitcnt lgkmcnt(3)
	v_pk_fma_f32 v[40:41], v[96:97], v[10:11], v[4:5] op_sel_hi:[0,1,1] neg_lo:[1,0,0] neg_hi:[1,0,0]
	;; [unrolled: 2-line block ×4, first 2 shown]
	s_waitcnt lgkmcnt(0)
	v_fma_f32 v255, -v96, v1, v255
	v_mov_b32_e32 v254, v3
	v_mov_b32_e32 v129, v2
                                        ; implicit-def: $vgpr22
                                        ; implicit-def: $vgpr18
                                        ; implicit-def: $vgpr20
                                        ; implicit-def: $vgpr16
                                        ; implicit-def: $vgpr10
                                        ; implicit-def: $vgpr12
                                        ; implicit-def: $vgpr14
                                        ; implicit-def: $vgpr2
                                        ; implicit-def: $vgpr4
                                        ; implicit-def: $vgpr6
                                        ; implicit-def: $vgpr8
	v_mov_b32_e32 v156, v43
	v_mov_b32_e32 v63, v42
	;; [unrolled: 1-line block ×19, first 2 shown]
.LBB47_6:
	s_or_saveexec_b64 s[2:3], s[2:3]
	v_mov_b32_e32 v97, v24
	s_xor_b64 exec, exec, s[2:3]
	s_cbranch_execz .LBB47_8
; %bb.7:
	s_waitcnt vmcnt(26)
	v_mov_b32_e32 v97, v22
	s_waitcnt vmcnt(25)
	v_mov_b32_e32 v40, v23
	;; [unrolled: 2-line block ×3, first 2 shown]
	v_mov_b32_e32 v254, v9
	s_waitcnt vmcnt(20)
	v_mov_b32_e32 v36, v19
	s_waitcnt vmcnt(19)
	;; [unrolled: 2-line block ×3, first 2 shown]
	v_mov_b32_e32 v30, v21
	v_mov_b32_e32 v55, v16
	;; [unrolled: 1-line block ×16, first 2 shown]
.LBB47_8:
	s_or_b64 exec, exec, s[2:3]
	v_mov_b32_e32 v98, v40
	v_mov_b32_e32 v99, v67
	;; [unrolled: 1-line block ×23, first 2 shown]
	s_waitcnt vmcnt(43)
	v_mov_b32_e32 v119, v255
	v_cmp_eq_u32_e32 vcc, 1, v205
	s_barrier
	s_and_saveexec_b64 s[2:3], vcc
	s_cbranch_execz .LBB47_11
; %bb.9:
	v_mov_b32_e32 v41, v67
	v_mov_b32_e32 v24, v36
	;; [unrolled: 1-line block ×3, first 2 shown]
	ds_write_b32 v253, v97
	ds_write2_b64 v252, v[40:41], v[24:25] offset0:1 offset1:2
	v_mov_b32_e32 v31, v55
	v_mov_b32_e32 v24, v128
	v_mov_b32_e32 v25, v201
	ds_write2_b64 v252, v[30:31], v[24:25] offset0:3 offset1:4
	v_mov_b32_e32 v141, v47
	v_mov_b32_e32 v24, v170
	v_mov_b32_e32 v25, v219
	;; [unrolled: 4-line block ×4, first 2 shown]
	ds_write2_b64 v252, v[44:45], v[24:25] offset0:9 offset1:10
	ds_write_b64 v252, v[254:255] offset:88
	ds_read_b32 v24, v253
	s_waitcnt lgkmcnt(0)
	v_cmp_neq_f32_e32 vcc, 0, v24
	s_and_b64 exec, exec, vcc
	s_cbranch_execz .LBB47_11
; %bb.10:
	v_div_scale_f32 v25, s[4:5], v24, v24, 1.0
	v_rcp_f32_e32 v26, v25
	v_div_scale_f32 v27, vcc, 1.0, v24, 1.0
	v_fma_f32 v28, -v25, v26, 1.0
	v_fmac_f32_e32 v26, v28, v26
	v_mul_f32_e32 v28, v27, v26
	v_fma_f32 v29, -v25, v28, v27
	v_fmac_f32_e32 v28, v29, v26
	v_fma_f32 v25, -v25, v28, v27
	v_div_fmas_f32 v25, v25, v26, v28
	v_div_fixup_f32 v24, v25, v24, 1.0
	ds_write_b32 v253, v24
.LBB47_11:
	s_or_b64 exec, exec, s[2:3]
	s_waitcnt vmcnt(42)
	v_mov_b32_e32 v38, v96
	v_mov_b32_e32 v32, v96
	;; [unrolled: 1-line block ×54, first 2 shown]
	v_mov_b64_e32 v[88:89], v[54:55]
	v_mov_b64_e32 v[24:25], v[56:57]
	v_mov_b32_e32 v127, v55
	v_mov_b32_e32 v199, v55
	;; [unrolled: 1-line block ×4, first 2 shown]
	v_mov_b64_e32 v[86:87], v[52:53]
	v_mov_b64_e32 v[84:85], v[50:51]
	;; [unrolled: 1-line block ×3, first 2 shown]
	s_waitcnt vmcnt(23)
	v_mov_b64_e32 v[14:15], v[64:65]
	v_mov_b64_e32 v[26:27], v[58:59]
	;; [unrolled: 1-line block ×3, first 2 shown]
	v_mov_b32_e32 v54, v68
	s_waitcnt vmcnt(18)
	v_mov_b32_e32 v18, v76
	v_mov_b32_e32 v123, v67
	v_mov_b32_e32 v195, v67
	v_mov_b32_e32 v133, v67
	v_mov_b32_e32 v39, v67
	v_mov_b64_e32 v[16:17], v[66:67]
	v_mov_b32_e32 v55, v69
	v_mov_b32_e32 v56, v70
	;; [unrolled: 1-line block ×6, first 2 shown]
	v_mov_b64_e32 v[64:65], v[82:83]
	v_mov_b32_e32 v19, v77
	v_mov_b32_e32 v20, v78
	;; [unrolled: 1-line block ×4, first 2 shown]
	v_mov_b64_e32 v[76:77], v[28:29]
	v_mov_b32_e32 v192, v96
	v_mov_b32_e32 v193, v97
	v_mov_b64_e32 v[66:67], v[84:85]
	v_mov_b64_e32 v[68:69], v[86:87]
	;; [unrolled: 1-line block ×3, first 2 shown]
	v_mov_b32_e32 v197, v61
	v_mov_b32_e32 v198, v30
	;; [unrolled: 1-line block ×3, first 2 shown]
	v_mov_b64_e32 v[0:1], v[192:193]
	v_mov_b32_e32 v10, v32
	v_mov_b64_e32 v[70:71], v[88:89]
	v_mov_b64_e32 v[74:75], v[26:27]
	;; [unrolled: 1-line block ×3, first 2 shown]
	v_mov_b32_e32 v130, v96
	v_mov_b32_e32 v131, v97
	;; [unrolled: 1-line block ×7, first 2 shown]
	v_mov_b64_e32 v[8:9], v[200:201]
	v_mov_b32_e32 v158, v96
	v_mov_b32_e32 v159, v97
	;; [unrolled: 1-line block ×6, first 2 shown]
	v_mov_b64_e32 v[66:67], v[74:75]
	v_mov_b64_e32 v[68:69], v[76:77]
	v_mov_b32_e32 v76, v60
	v_mov_b32_e32 v45, v201
	v_mov_b32_e32 v46, v140
	v_mov_b64_e32 v[2:3], v[194:195]
	v_mov_b64_e32 v[4:5], v[196:197]
	;; [unrolled: 1-line block ×3, first 2 shown]
	v_mov_b32_e32 v160, v12
	v_mov_b32_e32 v161, v17
	;; [unrolled: 1-line block ×27, first 2 shown]
	v_mov_b64_e32 v[130:131], v[158:159]
	v_mov_b32_e32 v142, v170
	v_mov_b32_e32 v192, v76
	v_mov_b64_e32 v[200:201], v[88:89]
	v_mov_b32_e32 v218, v170
	v_mov_b32_e32 v232, v170
	v_mov_b64_e32 v[132:133], v[160:161]
	v_mov_b64_e32 v[134:135], v[162:163]
	;; [unrolled: 1-line block ×5, first 2 shown]
	v_mov_b32_e32 v168, v96
	v_mov_b32_e32 v169, v97
	;; [unrolled: 1-line block ×14, first 2 shown]
	v_mov_b64_e32 v[198:199], v[86:87]
	v_mov_b64_e32 v[196:197], v[84:85]
	;; [unrolled: 1-line block ×3, first 2 shown]
	v_mov_b32_e32 v176, v128
	v_mov_b32_e32 v177, v9
	;; [unrolled: 1-line block ×7, first 2 shown]
	scratch_store_dwordx4 off, v[168:171], off offset:2820 ; 16-byte Folded Spill
	s_nop 0
	scratch_store_dwordx4 off, v[172:175], off offset:2836 ; 16-byte Folded Spill
	scratch_store_dwordx4 off, v[176:179], off offset:2852 ; 16-byte Folded Spill
	;; [unrolled: 1-line block ×7, first 2 shown]
	v_mov_b64_e32 v[166:167], v[8:9]
	v_mov_b64_e32 v[164:165], v[6:7]
	v_mov_b64_e32 v[162:163], v[4:5]
	v_mov_b64_e32 v[160:161], v[2:3]
	v_mov_b64_e32 v[158:159], v[0:1]
	v_mov_b32_e32 v204, v44
	v_mov_b32_e32 v36, v96
	;; [unrolled: 1-line block ×22, first 2 shown]
	v_mov_b64_e32 v[20:21], v[16:17]
	v_mov_b32_e32 v55, v25
	v_mov_b32_e32 v54, v24
	;; [unrolled: 1-line block ×5, first 2 shown]
	v_mov_b64_e32 v[74:75], v[68:69]
	v_mov_b32_e32 v222, v12
	v_mov_b32_e32 v224, v26
	;; [unrolled: 1-line block ×3, first 2 shown]
	v_mov_b64_e32 v[18:19], v[14:15]
	v_mov_b32_e32 v23, v33
	v_mov_b32_e32 v24, v34
	v_mov_b64_e32 v[28:29], v[20:21]
	v_mov_b64_e32 v[72:73], v[66:67]
	;; [unrolled: 1-line block ×3, first 2 shown]
	v_mov_b32_e32 v10, v154
	v_mov_b32_e32 v12, v142
	v_mov_b64_e32 v[174:175], v[68:69]
	v_mov_b32_e32 v225, v69
	v_mov_b32_e32 v226, v76
	;; [unrolled: 1-line block ×4, first 2 shown]
	v_mov_b64_e32 v[26:27], v[18:19]
	v_mov_b32_e32 v5, v75
	v_mov_b32_e32 v20, v24
	;; [unrolled: 1-line block ×3, first 2 shown]
	v_mov_b64_e32 v[172:173], v[66:67]
	v_mov_b64_e32 v[170:171], v[64:65]
	v_mov_b32_e32 v50, v52
	v_mov_b32_e32 v51, v53
	;; [unrolled: 1-line block ×17, first 2 shown]
	v_mov_b64_e32 v[202:203], v[200:201]
	v_mov_b32_e32 v83, v187
	v_mov_b32_e32 v84, v188
	;; [unrolled: 1-line block ×6, first 2 shown]
	v_mov_b64_e32 v[200:201], v[198:199]
	v_mov_b64_e32 v[198:199], v[196:197]
	;; [unrolled: 1-line block ×11, first 2 shown]
	v_mov_b32_e32 v7, v203
	scratch_store_dwordx4 off, v[186:189], off offset:1796 ; 16-byte Folded Spill
	s_nop 0
	scratch_store_dwordx4 off, v[190:193], off offset:1812 ; 16-byte Folded Spill
	scratch_store_dwordx4 off, v[194:197], off offset:1828 ; 16-byte Folded Spill
	;; [unrolled: 1-line block ×8, first 2 shown]
	s_nop 0
	scratch_store_dwordx4 off, v[134:137], off offset:1172 ; 16-byte Folded Spill
	scratch_store_dwordx4 off, v[138:141], off offset:1188 ; 16-byte Folded Spill
	;; [unrolled: 1-line block ×7, first 2 shown]
	v_mov_b32_e32 v182, v88
	v_mov_b32_e32 v6, v88
	;; [unrolled: 1-line block ×9, first 2 shown]
	scratch_load_dwordx4 v[64:67], off, off offset:1156 ; 16-byte Folded Reload
	scratch_load_dwordx4 v[68:71], off, off offset:1172 ; 16-byte Folded Reload
	;; [unrolled: 1-line block ×8, first 2 shown]
	v_mov_b32_e32 v194, v54
	v_mov_b64_e32 v[140:141], v[28:29]
	v_mov_b32_e32 v190, v50
	s_waitcnt vmcnt(2)
	v_mov_b64_e32 v[82:83], v[170:171]
	v_mov_b64_e32 v[166:167], v[44:45]
	;; [unrolled: 1-line block ×5, first 2 shown]
	v_mov_b32_e32 v193, v53
	v_mov_b32_e32 v192, v52
	;; [unrolled: 1-line block ×3, first 2 shown]
	v_mov_b64_e32 v[36:37], v[96:97]
	v_mov_b32_e32 v64, v190
	v_mov_b64_e32 v[84:85], v[172:173]
	v_mov_b64_e32 v[86:87], v[174:175]
	v_mov_b32_e32 v18, v96
	v_mov_b32_e32 v19, v97
	;; [unrolled: 1-line block ×3, first 2 shown]
	v_mov_b64_e32 v[38:39], v[98:99]
	v_mov_b64_e32 v[40:41], v[100:101]
	;; [unrolled: 1-line block ×8, first 2 shown]
	v_mov_b32_e32 v189, v141
	v_mov_b32_e32 v65, v191
	;; [unrolled: 1-line block ×6, first 2 shown]
	v_mov_b64_e32 v[54:55], v[114:115]
	v_mov_b64_e32 v[56:57], v[116:117]
	v_mov_b64_e32 v[58:59], v[118:119]
	v_mov_b32_e32 v229, v9
	v_mov_b32_e32 v3, v29
	;; [unrolled: 1-line block ×26, first 2 shown]
	v_mov_b64_e32 v[130:131], v[196:197]
	v_mov_b64_e32 v[132:133], v[198:199]
	v_mov_b64_e32 v[134:135], v[200:201]
	v_mov_b64_e32 v[136:137], v[202:203]
	v_mov_b32_e32 v28, v154
	v_mov_b32_e32 v9, v195
	;; [unrolled: 1-line block ×8, first 2 shown]
	s_movk_i32 s2, 0xfcc
	v_mov_b32_e32 v201, v183
	v_mov_b32_e32 v30, v76
	;; [unrolled: 1-line block ×9, first 2 shown]
	scratch_store_dwordx4 off, v[70:73], off offset:2564 ; 16-byte Folded Spill
	s_nop 0
	scratch_store_dwordx4 off, v[74:77], off offset:2580 ; 16-byte Folded Spill
	scratch_store_dwordx4 off, v[78:81], off offset:2596 ; 16-byte Folded Spill
	;; [unrolled: 1-line block ×3, first 2 shown]
	s_waitcnt vmcnt(5)
	scratch_store_dwordx4 off, v[86:89], off offset:2628 ; 16-byte Folded Spill
	s_waitcnt vmcnt(5)
	scratch_store_dwordx4 off, v[90:93], off offset:2644 ; 16-byte Folded Spill
	scratch_store_dwordx4 off, v[94:97], off offset:2660 ; 16-byte Folded Spill
	scratch_store_dwordx4 off, v[98:101], off offset:2676 ; 16-byte Folded Spill
	scratch_store_dwordx4 off, v[130:133], off offset:2692 ; 16-byte Folded Spill
	s_nop 0
	scratch_store_dwordx4 off, v[134:137], off offset:2708 ; 16-byte Folded Spill
	scratch_store_dwordx4 off, v[138:141], off offset:2724 ; 16-byte Folded Spill
	;; [unrolled: 1-line block ×7, first 2 shown]
	scratch_load_dwordx4 v[88:91], off, off offset:1796 ; 16-byte Folded Reload
	scratch_load_dwordx4 v[92:95], off, off offset:1812 ; 16-byte Folded Reload
	;; [unrolled: 1-line block ×8, first 2 shown]
	v_mov_b64_e32 v[180:181], v[174:175]
	v_mov_b64_e32 v[178:179], v[172:173]
	;; [unrolled: 1-line block ×3, first 2 shown]
	v_mov_b32_e32 v132, v62
	v_mov_b32_e32 v131, v61
	;; [unrolled: 1-line block ×6, first 2 shown]
	v_cmp_lt_u32_e32 vcc, 1, v205
	v_mov_b32_e32 v192, v76
	v_mov_b32_e32 v196, v154
	;; [unrolled: 1-line block ×3, first 2 shown]
	s_waitcnt vmcnt(5)
	v_mov_b32_e32 v195, v97
	scratch_load_dwordx4 v[88:91], off, off offset:1156 ; 16-byte Folded Reload
	scratch_load_dwordx4 v[92:95], off, off offset:1172 ; 16-byte Folded Reload
	;; [unrolled: 1-line block ×8, first 2 shown]
	s_waitcnt vmcnt(2)
	v_mov_b64_e32 v[110:111], v[58:59]
	v_mov_b64_e32 v[108:109], v[56:57]
	;; [unrolled: 1-line block ×4, first 2 shown]
	v_mov_b32_e32 v52, v128
	v_mov_b32_e32 v58, v234
	;; [unrolled: 1-line block ×5, first 2 shown]
	v_mov_b64_e32 v[102:103], v[50:51]
	v_mov_b64_e32 v[100:101], v[48:49]
	;; [unrolled: 1-line block ×8, first 2 shown]
	v_mov_b32_e32 v44, v88
	v_mov_b32_e32 v45, v89
	scratch_store_dwordx4 off, v[88:91], off offset:4 ; 16-byte Folded Spill
	s_nop 0
	scratch_store_dwordx4 off, v[92:95], off offset:20 ; 16-byte Folded Spill
	scratch_store_dwordx4 off, v[96:99], off offset:36 ; 16-byte Folded Spill
	;; [unrolled: 1-line block ×5, first 2 shown]
	s_waitcnt vmcnt(7)
	scratch_store_dwordx4 off, v[112:115], off offset:100 ; 16-byte Folded Spill
	s_waitcnt vmcnt(7)
	scratch_store_dwordx4 off, v[116:119], off offset:116 ; 16-byte Folded Spill
	v_mov_b32_e32 v49, v87
	scratch_load_dwordx4 v[82:85], off, off offset:1796 ; 16-byte Folded Reload
	scratch_load_dwordx4 v[86:89], off, off offset:1812 ; 16-byte Folded Reload
	scratch_load_dwordx4 v[90:93], off, off offset:1828 ; 16-byte Folded Reload
	scratch_load_dwordx4 v[94:97], off, off offset:1844 ; 16-byte Folded Reload
	scratch_load_dwordx4 v[98:101], off, off offset:1860 ; 16-byte Folded Reload
	scratch_load_dwordx4 v[102:105], off, off offset:1876 ; 16-byte Folded Reload
	scratch_load_dwordx4 v[106:109], off, off offset:1892 ; 16-byte Folded Reload
	scratch_load_dwordx4 v[110:113], off, off offset:1908 ; 16-byte Folded Reload
	s_nop 0
	scratch_store_dwordx4 off, v[144:147], off offset:3204 ; 16-byte Folded Spill
	s_nop 0
	scratch_store_dwordx4 off, v[148:151], off offset:3220 ; 16-byte Folded Spill
	scratch_store_dwordx4 off, v[152:155], off offset:3236 ; 16-byte Folded Spill
	;; [unrolled: 1-line block ×7, first 2 shown]
	v_mov_b32_e32 v118, v68
	v_mov_b32_e32 v117, v67
	;; [unrolled: 1-line block ×12, first 2 shown]
	v_mov_b64_e32 v[142:143], v[140:141]
	v_mov_b64_e32 v[140:141], v[138:139]
	v_mov_b32_e32 v149, v219
	v_mov_b32_e32 v152, v174
	s_waitcnt vmcnt(8)
	v_mov_b64_e32 v[100:101], v[158:159]
	v_mov_b64_e32 v[102:103], v[160:161]
	;; [unrolled: 1-line block ×6, first 2 shown]
	scratch_store_dwordx4 off, v[100:103], off offset:3332 ; 16-byte Folded Spill
	s_nop 0
	scratch_store_dwordx4 off, v[104:107], off offset:3348 ; 16-byte Folded Spill
	scratch_store_dwordx4 off, v[108:111], off offset:3364 ; 16-byte Folded Spill
	;; [unrolled: 1-line block ×7, first 2 shown]
	v_mov_b32_e32 v53, v91
	scratch_load_dwordx4 v[64:67], off, off offset:1156 ; 16-byte Folded Reload
	scratch_load_dwordx4 v[68:71], off, off offset:1172 ; 16-byte Folded Reload
	;; [unrolled: 1-line block ×8, first 2 shown]
	s_nop 0
	scratch_store_dwordx4 off, v[18:21], off offset:2180 ; 16-byte Folded Spill
	s_nop 0
	scratch_store_dwordx4 off, v[22:25], off offset:2196 ; 16-byte Folded Spill
	scratch_store_dwordx4 off, v[26:29], off offset:2212 ; 16-byte Folded Spill
	;; [unrolled: 1-line block ×7, first 2 shown]
	v_mov_b32_e32 v54, v154
	v_mov_b64_e32 v[172:173], v[14:15]
	v_mov_b64_e32 v[106:107], v[62:63]
	scratch_store_dwordx4 off, v[220:223], off offset:900 ; 16-byte Folded Spill
	s_nop 0
	scratch_store_dwordx4 off, v[224:227], off offset:916 ; 16-byte Folded Spill
	scratch_store_dwordx4 off, v[228:231], off offset:932 ; 16-byte Folded Spill
	;; [unrolled: 1-line block ×7, first 2 shown]
	v_mov_b64_e32 v[170:171], v[12:13]
	v_mov_b64_e32 v[168:169], v[10:11]
	;; [unrolled: 1-line block ×8, first 2 shown]
	v_mov_b32_e32 v146, v154
	v_mov_b32_e32 v154, v204
	;; [unrolled: 1-line block ×7, first 2 shown]
	s_waitcnt vmcnt(20)
	v_mov_b32_e32 v56, v76
	s_waitcnt vmcnt(16)
	v_mov_b64_e32 v[102:103], v[58:59]
	v_mov_b64_e32 v[100:101], v[56:57]
	;; [unrolled: 1-line block ×8, first 2 shown]
	scratch_load_dwordx4 v[42:45], off, off offset:1156 ; 16-byte Folded Reload
	scratch_load_dwordx4 v[46:49], off, off offset:1172 ; 16-byte Folded Reload
	scratch_load_dwordx4 v[50:53], off, off offset:1188 ; 16-byte Folded Reload
	scratch_load_dwordx4 v[54:57], off, off offset:1204 ; 16-byte Folded Reload
	scratch_load_dwordx4 v[58:61], off, off offset:1220 ; 16-byte Folded Reload
	scratch_load_dwordx4 v[62:65], off, off offset:1236 ; 16-byte Folded Reload
	scratch_load_dwordx4 v[66:69], off, off offset:1252 ; 16-byte Folded Reload
	scratch_load_dwordx4 v[70:73], off, off offset:1268 ; 16-byte Folded Reload
	scratch_load_dwordx4 v[0:3], off, off offset:4 ; 16-byte Folded Reload
	scratch_load_dwordx4 v[4:7], off, off offset:20 ; 16-byte Folded Reload
	scratch_load_dwordx4 v[8:11], off, off offset:36 ; 16-byte Folded Reload
	scratch_load_dwordx4 v[12:15], off, off offset:52 ; 16-byte Folded Reload
	scratch_load_dwordx4 v[16:19], off, off offset:68 ; 16-byte Folded Reload
	scratch_load_dwordx4 v[20:23], off, off offset:84 ; 16-byte Folded Reload
	scratch_load_dwordx4 v[24:27], off, off offset:100 ; 16-byte Folded Reload
	scratch_load_dwordx4 v[28:31], off, off offset:116 ; 16-byte Folded Reload
	s_waitcnt vmcnt(4)
	v_mov_b64_e32 v[234:235], v[14:15]
	v_mov_b64_e32 v[232:233], v[12:13]
	s_waitcnt vmcnt(2)
	v_mov_b64_e32 v[40:41], v[22:23]
	v_mov_b64_e32 v[38:39], v[20:21]
	;; [unrolled: 1-line block ×4, first 2 shown]
	s_waitcnt vmcnt(0)
	v_mov_b64_e32 v[32:33], v[14:15]
	v_mov_b64_e32 v[18:19], v[0:1]
	v_mov_b32_e32 v136, v18
	v_mov_b32_e32 v137, v19
	v_mov_b64_e32 v[30:31], v[12:13]
	v_mov_b64_e32 v[28:29], v[10:11]
	;; [unrolled: 1-line block ×12, first 2 shown]
	scratch_store_dwordx4 off, v[108:111], s2 ; 16-byte Folded Spill
	s_nop 0
	scratch_store_dwordx4 off, v[112:115], s2 offset:16 ; 16-byte Folded Spill
	scratch_store_dwordx4 off, v[116:119], s2 offset:32 ; 16-byte Folded Spill
	;; [unrolled: 1-line block ×7, first 2 shown]
	v_mov_b64_e32 v[0:1], v[140:141]
	v_mov_b64_e32 v[2:3], v[142:143]
	s_movk_i32 s2, 0x104c
	scratch_store_dwordx4 off, v[0:3], s2   ; 16-byte Folded Spill
	s_nop 0
	scratch_store_dwordx4 off, v[4:7], s2 offset:16 ; 16-byte Folded Spill
	scratch_store_dwordx4 off, v[8:11], s2 offset:32 ; 16-byte Folded Spill
	;; [unrolled: 1-line block ×7, first 2 shown]
	s_movk_i32 s2, 0x10cc
	v_mov_b32_e32 v108, v220
	v_mov_b32_e32 v109, v221
	;; [unrolled: 1-line block ×7, first 2 shown]
	scratch_store_dwordx4 off, v[4:7], s2   ; 16-byte Folded Spill
	s_nop 0
	scratch_store_dwordx4 off, v[8:11], s2 offset:16 ; 16-byte Folded Spill
	scratch_store_dwordx4 off, v[12:15], s2 offset:32 ; 16-byte Folded Spill
	;; [unrolled: 1-line block ×7, first 2 shown]
	v_mov_b64_e32 v[10:11], v[176:177]
	v_mov_b64_e32 v[12:13], v[178:179]
	;; [unrolled: 1-line block ×3, first 2 shown]
	s_movk_i32 s2, 0x114c
	scratch_store_dwordx4 off, v[10:13], s2 ; 16-byte Folded Spill
	s_nop 0
	scratch_store_dwordx4 off, v[14:17], s2 offset:16 ; 16-byte Folded Spill
	scratch_store_dwordx4 off, v[18:21], s2 offset:32 ; 16-byte Folded Spill
	;; [unrolled: 1-line block ×7, first 2 shown]
	scratch_load_dwordx4 v[16:19], off, off offset:2564 ; 16-byte Folded Reload
	s_nop 0
	scratch_load_dwordx4 v[20:23], off, off offset:2580 ; 16-byte Folded Reload
	scratch_load_dwordx4 v[24:27], off, off offset:2596 ; 16-byte Folded Reload
	;; [unrolled: 1-line block ×7, first 2 shown]
	v_mov_b32_e32 v139, v3
	v_mov_b32_e32 v140, v8
	;; [unrolled: 1-line block ×24, first 2 shown]
	s_waitcnt vmcnt(6)
	v_mov_b32_e32 v142, v22
	scratch_load_dwordx4 v[16:19], off, off offset:2692 ; 16-byte Folded Reload
	scratch_load_dwordx4 v[20:23], off, off offset:2708 ; 16-byte Folded Reload
	;; [unrolled: 1-line block ×16, first 2 shown]
	s_waitcnt vmcnt(14)
	v_mov_b32_e32 v143, v23
	scratch_load_dwordx4 v[16:19], off, off offset:1156 ; 16-byte Folded Reload
	scratch_load_dwordx4 v[20:23], off, off offset:1172 ; 16-byte Folded Reload
	;; [unrolled: 1-line block ×8, first 2 shown]
	s_waitcnt vmcnt(13)
	v_mov_b32_e32 v145, v53
	s_waitcnt vmcnt(4)
	v_mov_b32_e32 v148, v28
	scratch_load_dwordx4 v[16:19], off, off offset:900 ; 16-byte Folded Reload
	scratch_load_dwordx4 v[20:23], off, off offset:916 ; 16-byte Folded Reload
	;; [unrolled: 1-line block ×8, first 2 shown]
	s_waitcnt vmcnt(4)
	v_mov_b32_e32 v150, v30
	scratch_load_dwordx4 v[16:19], off, off offset:2820 ; 16-byte Folded Reload
	scratch_load_dwordx4 v[20:23], off, off offset:2836 ; 16-byte Folded Reload
	;; [unrolled: 1-line block ×16, first 2 shown]
	s_waitcnt vmcnt(12)
	v_mov_b32_e32 v151, v31
	scratch_load_dwordx4 v[0:3], off, off offset:2564 ; 16-byte Folded Reload
	scratch_load_dwordx4 v[4:7], off, off offset:2580 ; 16-byte Folded Reload
	;; [unrolled: 1-line block ×8, first 2 shown]
	s_waitcnt vmcnt(11)
	v_mov_b32_e32 v153, v65
	s_waitcnt vmcnt(6)
	v_mov_b32_e32 v114, v6
	scratch_load_dwordx4 v[0:3], off, off offset:2692 ; 16-byte Folded Reload
	scratch_load_dwordx4 v[4:7], off, off offset:2708 ; 16-byte Folded Reload
	;; [unrolled: 1-line block ×16, first 2 shown]
	s_waitcnt vmcnt(14)
	v_mov_b32_e32 v115, v7
	s_waitcnt vmcnt(5)
	v_mov_b32_e32 v117, v29
	scratch_load_dwordx4 v[0:3], off, off offset:3204 ; 16-byte Folded Reload
	scratch_load_dwordx4 v[4:7], off, off offset:3220 ; 16-byte Folded Reload
	scratch_load_dwordx4 v[8:11], off, off offset:3236 ; 16-byte Folded Reload
	scratch_load_dwordx4 v[12:15], off, off offset:3252 ; 16-byte Folded Reload
	scratch_load_dwordx4 v[16:19], off, off offset:3268 ; 16-byte Folded Reload
	scratch_load_dwordx4 v[20:23], off, off offset:3284 ; 16-byte Folded Reload
	scratch_load_dwordx4 v[24:27], off, off offset:3300 ; 16-byte Folded Reload
	scratch_load_dwordx4 v[28:31], off, off offset:3316 ; 16-byte Folded Reload
	s_waitcnt vmcnt(5)
	v_mov_b32_e32 v118, v10
	scratch_load_dwordx4 v[0:3], off, off offset:3332 ; 16-byte Folded Reload
	scratch_load_dwordx4 v[4:7], off, off offset:3348 ; 16-byte Folded Reload
	scratch_load_dwordx4 v[8:11], off, off offset:3364 ; 16-byte Folded Reload
	scratch_load_dwordx4 v[12:15], off, off offset:3380 ; 16-byte Folded Reload
	scratch_load_dwordx4 v[16:19], off, off offset:3396 ; 16-byte Folded Reload
	scratch_load_dwordx4 v[20:23], off, off offset:3412 ; 16-byte Folded Reload
	scratch_load_dwordx4 v[24:27], off, off offset:3428 ; 16-byte Folded Reload
	scratch_load_dwordx4 v[28:31], off, off offset:3444 ; 16-byte Folded Reload
	;; [unrolled: 10-line block ×5, first 2 shown]
	scratch_load_dwordx4 v[48:51], off, off offset:2180 ; 16-byte Folded Reload
	scratch_load_dwordx4 v[52:55], off, off offset:2196 ; 16-byte Folded Reload
	;; [unrolled: 1-line block ×8, first 2 shown]
	s_waitcnt lgkmcnt(0)
	s_barrier
	s_waitcnt vmcnt(9)
	ds_read_b32 v24, v253
	v_mov_b32_e32 v25, v129
	s_waitcnt lgkmcnt(0)
	scratch_store_dword off, v24, off offset:3912 ; 4-byte Folded Spill
	v_mov_b32_e32 v123, v15
	scratch_store_dwordx4 off, v[4:7], off offset:132 ; 16-byte Folded Spill
	s_nop 0
	scratch_store_dwordx4 off, v[8:11], off offset:148 ; 16-byte Folded Spill
	scratch_store_dwordx4 off, v[12:15], off offset:164 ; 16-byte Folded Spill
	;; [unrolled: 1-line block ×5, first 2 shown]
	s_waitcnt vmcnt(15)
	scratch_store_dwordx4 off, v[28:31], off offset:228 ; 16-byte Folded Spill
	scratch_store_dwordx4 off, v[32:35], off offset:244 ; 16-byte Folded Spill
	s_waitcnt vmcnt(12)
	v_mov_b32_e32 v125, v65
	s_waitcnt vmcnt(9)
	v_mov_b64_e32 v[56:57], v[108:109]
	v_mov_b64_e32 v[84:85], v[136:137]
	;; [unrolled: 1-line block ×16, first 2 shown]
	v_mov_b32_e32 v86, v156
	scratch_store_dwordx4 off, v[136:139], off offset:260 ; 16-byte Folded Spill
	s_nop 0
	scratch_store_dwordx4 off, v[140:143], off offset:276 ; 16-byte Folded Spill
	scratch_store_dwordx4 off, v[144:147], off offset:292 ; 16-byte Folded Spill
	scratch_store_dwordx4 off, v[148:151], off offset:308 ; 16-byte Folded Spill
	scratch_store_dwordx4 off, v[152:155], off offset:324 ; 16-byte Folded Spill
	scratch_store_dwordx4 off, v[156:159], off offset:340 ; 16-byte Folded Spill
	scratch_store_dwordx4 off, v[160:163], off offset:356 ; 16-byte Folded Spill
	scratch_store_dwordx4 off, v[164:167], off offset:372 ; 16-byte Folded Spill
	v_mov_b32_e32 v85, v107
	scratch_store_dwordx4 off, v[88:91], off offset:516 ; 16-byte Folded Spill
	s_nop 0
	scratch_store_dwordx4 off, v[92:95], off offset:532 ; 16-byte Folded Spill
	scratch_store_dwordx4 off, v[96:99], off offset:548 ; 16-byte Folded Spill
	scratch_store_dwordx4 off, v[100:103], off offset:564 ; 16-byte Folded Spill
	scratch_store_dwordx4 off, v[104:107], off offset:580 ; 16-byte Folded Spill
	scratch_store_dwordx4 off, v[108:111], off offset:596 ; 16-byte Folded Spill
	scratch_store_dwordx4 off, v[112:115], off offset:612 ; 16-byte Folded Spill
	scratch_store_dwordx4 off, v[116:119], off offset:628 ; 16-byte Folded Spill
	;; [unrolled: 10-line block ×3, first 2 shown]
	scratch_load_dwordx4 v[220:223], off, off offset:2180 ; 16-byte Folded Reload
	scratch_load_dwordx4 v[224:227], off, off offset:2196 ; 16-byte Folded Reload
	;; [unrolled: 1-line block ×8, first 2 shown]
	s_waitcnt vmcnt(7)
	scratch_store_dwordx4 off, v[220:223], off offset:644 ; 16-byte Folded Spill
	s_waitcnt vmcnt(7)
	scratch_store_dwordx4 off, v[224:227], off offset:660 ; 16-byte Folded Spill
	;; [unrolled: 2-line block ×8, first 2 shown]
	v_mov_b64_e32 v[152:153], v[158:159]
	v_mov_b64_e32 v[154:155], v[160:161]
	;; [unrolled: 1-line block ×8, first 2 shown]
	v_mov_b32_e32 v168, v174
	v_mov_b32_e32 v148, v174
	scratch_store_dwordx4 off, v[152:155], off offset:3460 ; 16-byte Folded Spill
	s_nop 0
	scratch_store_dwordx4 off, v[156:159], off offset:3476 ; 16-byte Folded Spill
	scratch_store_dwordx4 off, v[160:163], off offset:3492 ; 16-byte Folded Spill
	;; [unrolled: 1-line block ×7, first 2 shown]
	scratch_load_dwordx4 v[0:3], off, off offset:2820 ; 16-byte Folded Reload
	scratch_load_dwordx4 v[4:7], off, off offset:2836 ; 16-byte Folded Reload
	;; [unrolled: 1-line block ×8, first 2 shown]
	v_mov_b32_e32 v33, v219
	s_waitcnt vmcnt(4)
	v_mov_b32_e32 v133, v15
	scratch_store_dwordx4 off, v[0:3], off offset:772 ; 16-byte Folded Spill
	s_nop 0
	scratch_store_dwordx4 off, v[4:7], off offset:788 ; 16-byte Folded Spill
	scratch_store_dwordx4 off, v[8:11], off offset:804 ; 16-byte Folded Spill
	;; [unrolled: 1-line block ×3, first 2 shown]
	s_waitcnt vmcnt(7)
	scratch_store_dwordx4 off, v[16:19], off offset:836 ; 16-byte Folded Spill
	s_waitcnt vmcnt(7)
	scratch_store_dwordx4 off, v[20:23], off offset:852 ; 16-byte Folded Spill
	;; [unrolled: 2-line block ×4, first 2 shown]
	scratch_load_dwordx4 v[0:3], off, off offset:900 ; 16-byte Folded Reload
	s_nop 0
	scratch_load_dwordx4 v[4:7], off, off offset:916 ; 16-byte Folded Reload
	scratch_load_dwordx4 v[8:11], off, off offset:932 ; 16-byte Folded Reload
	;; [unrolled: 1-line block ×7, first 2 shown]
	s_waitcnt vmcnt(4)
	v_mov_b32_e32 v132, v14
	scratch_store_dwordx4 off, v[0:3], off offset:900 ; 16-byte Folded Spill
	s_nop 0
	scratch_store_dwordx4 off, v[4:7], off offset:916 ; 16-byte Folded Spill
	scratch_store_dwordx4 off, v[8:11], off offset:932 ; 16-byte Folded Spill
	;; [unrolled: 1-line block ×3, first 2 shown]
	s_waitcnt vmcnt(7)
	scratch_store_dwordx4 off, v[16:19], off offset:964 ; 16-byte Folded Spill
	s_waitcnt vmcnt(7)
	scratch_store_dwordx4 off, v[20:23], off offset:980 ; 16-byte Folded Spill
	;; [unrolled: 2-line block ×4, first 2 shown]
	scratch_load_dwordx4 v[220:223], off, off offset:2180 ; 16-byte Folded Reload
	scratch_load_dwordx4 v[224:227], off, off offset:2196 ; 16-byte Folded Reload
	scratch_load_dwordx4 v[228:231], off, off offset:2212 ; 16-byte Folded Reload
	scratch_load_dwordx4 v[232:235], off, off offset:2228 ; 16-byte Folded Reload
	scratch_load_dwordx4 v[236:239], off, off offset:2244 ; 16-byte Folded Reload
	scratch_load_dwordx4 v[240:243], off, off offset:2260 ; 16-byte Folded Reload
	scratch_load_dwordx4 v[244:247], off, off offset:2276 ; 16-byte Folded Reload
	scratch_load_dwordx4 v[248:251], off, off offset:2292 ; 16-byte Folded Reload
	s_waitcnt vmcnt(3)
	v_mov_b32_e32 v87, v237
	scratch_store_dwordx4 off, v[206:209], off offset:1028 ; 16-byte Folded Spill
	s_nop 0
	scratch_store_dwordx4 off, v[210:213], off offset:1044 ; 16-byte Folded Spill
	scratch_store_dwordx4 off, v[214:217], off offset:1060 ; 16-byte Folded Spill
	;; [unrolled: 1-line block ×7, first 2 shown]
	scratch_load_dwordx4 v[0:3], off, off offset:1156 ; 16-byte Folded Reload
	scratch_load_dwordx4 v[4:7], off, off offset:1172 ; 16-byte Folded Reload
	;; [unrolled: 1-line block ×8, first 2 shown]
	s_waitcnt vmcnt(4)
	v_mov_b32_e32 v150, v12
	scratch_store_dwordx4 off, v[0:3], off offset:1284 ; 16-byte Folded Spill
	s_nop 0
	scratch_store_dwordx4 off, v[4:7], off offset:1300 ; 16-byte Folded Spill
	scratch_store_dwordx4 off, v[8:11], off offset:1316 ; 16-byte Folded Spill
	;; [unrolled: 1-line block ×3, first 2 shown]
	s_waitcnt vmcnt(7)
	scratch_store_dwordx4 off, v[16:19], off offset:1348 ; 16-byte Folded Spill
	s_waitcnt vmcnt(7)
	scratch_store_dwordx4 off, v[20:23], off offset:1364 ; 16-byte Folded Spill
	s_waitcnt vmcnt(7)
	scratch_store_dwordx4 off, v[24:27], off offset:1380 ; 16-byte Folded Spill
	s_waitcnt vmcnt(7)
	scratch_store_dwordx4 off, v[28:31], off offset:1396 ; 16-byte Folded Spill
	scratch_load_dwordx4 v[0:3], off, off offset:3332 ; 16-byte Folded Reload
	s_nop 0
	scratch_load_dwordx4 v[4:7], off, off offset:3348 ; 16-byte Folded Reload
	scratch_load_dwordx4 v[8:11], off, off offset:3364 ; 16-byte Folded Reload
	scratch_load_dwordx4 v[12:15], off, off offset:3380 ; 16-byte Folded Reload
	scratch_load_dwordx4 v[16:19], off, off offset:3396 ; 16-byte Folded Reload
	scratch_load_dwordx4 v[20:23], off, off offset:3412 ; 16-byte Folded Reload
	scratch_load_dwordx4 v[24:27], off, off offset:3428 ; 16-byte Folded Reload
	scratch_load_dwordx4 v[28:31], off, off offset:3444 ; 16-byte Folded Reload
	s_waitcnt vmcnt(5)
	v_mov_b32_e32 v213, v11
	scratch_store_dwordx4 off, v[0:3], off offset:1412 ; 16-byte Folded Spill
	s_nop 0
	scratch_store_dwordx4 off, v[4:7], off offset:1428 ; 16-byte Folded Spill
	scratch_store_dwordx4 off, v[8:11], off offset:1444 ; 16-byte Folded Spill
	s_waitcnt vmcnt(7)
	scratch_store_dwordx4 off, v[12:15], off offset:1460 ; 16-byte Folded Spill
	s_waitcnt vmcnt(7)
	scratch_store_dwordx4 off, v[16:19], off offset:1476 ; 16-byte Folded Spill
	s_waitcnt vmcnt(7)
	scratch_store_dwordx4 off, v[20:23], off offset:1492 ; 16-byte Folded Spill
	s_waitcnt vmcnt(7)
	scratch_store_dwordx4 off, v[24:27], off offset:1508 ; 16-byte Folded Spill
	s_waitcnt vmcnt(7)
	scratch_store_dwordx4 off, v[28:31], off offset:1524 ; 16-byte Folded Spill
	scratch_load_dwordx4 v[0:3], off, off offset:3204 ; 16-byte Folded Reload
	s_nop 0
	scratch_load_dwordx4 v[4:7], off, off offset:3220 ; 16-byte Folded Reload
	scratch_load_dwordx4 v[8:11], off, off offset:3236 ; 16-byte Folded Reload
	scratch_load_dwordx4 v[12:15], off, off offset:3252 ; 16-byte Folded Reload
	scratch_load_dwordx4 v[16:19], off, off offset:3268 ; 16-byte Folded Reload
	scratch_load_dwordx4 v[20:23], off, off offset:3284 ; 16-byte Folded Reload
	scratch_load_dwordx4 v[24:27], off, off offset:3300 ; 16-byte Folded Reload
	scratch_load_dwordx4 v[28:31], off, off offset:3316 ; 16-byte Folded Reload
	s_waitcnt vmcnt(5)
	v_mov_b32_e32 v32, v10
	scratch_store_dwordx4 off, v[0:3], off offset:1540 ; 16-byte Folded Spill
	s_nop 0
	scratch_store_dwordx4 off, v[4:7], off offset:1556 ; 16-byte Folded Spill
	scratch_store_dwordx4 off, v[8:11], off offset:1572 ; 16-byte Folded Spill
	s_waitcnt vmcnt(7)
	scratch_store_dwordx4 off, v[12:15], off offset:1588 ; 16-byte Folded Spill
	;; [unrolled: 25-line block ×3, first 2 shown]
	s_waitcnt vmcnt(7)
	scratch_store_dwordx4 off, v[16:19], off offset:1732 ; 16-byte Folded Spill
	s_waitcnt vmcnt(7)
	scratch_store_dwordx4 off, v[20:23], off offset:1748 ; 16-byte Folded Spill
	;; [unrolled: 2-line block ×4, first 2 shown]
	v_mov_b32_e32 v0, v176
	v_mov_b32_e32 v1, v177
	;; [unrolled: 1-line block ×10, first 2 shown]
	scratch_store_dwordx4 off, v[0:3], off offset:1924 ; 16-byte Folded Spill
	s_nop 0
	scratch_store_dwordx4 off, v[4:7], off offset:1940 ; 16-byte Folded Spill
	scratch_store_dwordx4 off, v[8:11], off offset:1956 ; 16-byte Folded Spill
	;; [unrolled: 1-line block ×7, first 2 shown]
	scratch_load_dwordx4 v[0:3], off, off offset:2692 ; 16-byte Folded Reload
	s_nop 0
	scratch_load_dwordx4 v[4:7], off, off offset:2708 ; 16-byte Folded Reload
	scratch_load_dwordx4 v[8:11], off, off offset:2724 ; 16-byte Folded Reload
	;; [unrolled: 1-line block ×7, first 2 shown]
	s_waitcnt vmcnt(6)
	v_mov_b64_e32 v[50:51], v[6:7]
	v_mov_b64_e32 v[48:49], v[4:5]
	;; [unrolled: 1-line block ×4, first 2 shown]
	v_mov_b32_e32 v149, v51
	scratch_store_dwordx4 off, v[44:47], off offset:2052 ; 16-byte Folded Spill
	s_nop 0
	scratch_store_dwordx4 off, v[48:51], off offset:2068 ; 16-byte Folded Spill
	scratch_store_dwordx4 off, v[52:55], off offset:2084 ; 16-byte Folded Spill
	scratch_store_dwordx4 off, v[56:59], off offset:2100 ; 16-byte Folded Spill
	scratch_store_dwordx4 off, v[60:63], off offset:2116 ; 16-byte Folded Spill
	scratch_store_dwordx4 off, v[64:67], off offset:2132 ; 16-byte Folded Spill
	scratch_store_dwordx4 off, v[68:71], off offset:2148 ; 16-byte Folded Spill
	scratch_store_dwordx4 off, v[72:75], off offset:2164 ; 16-byte Folded Spill
	scratch_load_dwordx4 v[0:3], off, off offset:2564 ; 16-byte Folded Reload
	scratch_load_dwordx4 v[4:7], off, off offset:2580 ; 16-byte Folded Reload
	;; [unrolled: 1-line block ×8, first 2 shown]
	s_waitcnt vmcnt(6)
	v_mov_b32_e32 v50, v6
	v_mov_b32_e32 v49, v5
	;; [unrolled: 1-line block ×8, first 2 shown]
	scratch_store_dwordx4 off, v[44:47], off offset:2308 ; 16-byte Folded Spill
	s_nop 0
	scratch_store_dwordx4 off, v[48:51], off offset:2324 ; 16-byte Folded Spill
	scratch_store_dwordx4 off, v[52:55], off offset:2340 ; 16-byte Folded Spill
	;; [unrolled: 1-line block ×7, first 2 shown]
	scratch_load_dwordx4 v[0:3], off, s2    ; 16-byte Folded Reload
	scratch_load_dwordx4 v[4:7], off, s2 offset:16 ; 16-byte Folded Reload
	scratch_load_dwordx4 v[8:11], off, s2 offset:32 ; 16-byte Folded Reload
	;; [unrolled: 1-line block ×7, first 2 shown]
	s_movk_i32 s2, 0x10cc
	s_waitcnt vmcnt(6)
	v_mov_b64_e32 v[48:49], v[4:5]
	v_mov_b64_e32 v[46:47], v[2:3]
	;; [unrolled: 1-line block ×3, first 2 shown]
	v_mov_b32_e32 v37, v49
	scratch_store_dwordx4 off, v[44:47], off offset:2436 ; 16-byte Folded Spill
	s_nop 0
	scratch_store_dwordx4 off, v[48:51], off offset:2452 ; 16-byte Folded Spill
	scratch_store_dwordx4 off, v[52:55], off offset:2468 ; 16-byte Folded Spill
	scratch_store_dwordx4 off, v[56:59], off offset:2484 ; 16-byte Folded Spill
	scratch_store_dwordx4 off, v[60:63], off offset:2500 ; 16-byte Folded Spill
	scratch_store_dwordx4 off, v[64:67], off offset:2516 ; 16-byte Folded Spill
	scratch_store_dwordx4 off, v[68:71], off offset:2532 ; 16-byte Folded Spill
	scratch_store_dwordx4 off, v[72:75], off offset:2548 ; 16-byte Folded Spill
	scratch_load_dwordx4 v[0:3], off, s2    ; 16-byte Folded Reload
	scratch_load_dwordx4 v[4:7], off, s2 offset:16 ; 16-byte Folded Reload
	scratch_load_dwordx4 v[8:11], off, s2 offset:32 ; 16-byte Folded Reload
	;; [unrolled: 1-line block ×7, first 2 shown]
	s_movk_i32 s2, 0x104c
	s_waitcnt vmcnt(6)
	v_mov_b32_e32 v48, v4
	v_mov_b32_e32 v47, v3
	;; [unrolled: 1-line block ×6, first 2 shown]
	scratch_store_dwordx4 off, v[44:47], off offset:2948 ; 16-byte Folded Spill
	s_nop 0
	scratch_store_dwordx4 off, v[48:51], off offset:2964 ; 16-byte Folded Spill
	scratch_store_dwordx4 off, v[52:55], off offset:2980 ; 16-byte Folded Spill
	scratch_store_dwordx4 off, v[56:59], off offset:2996 ; 16-byte Folded Spill
	scratch_store_dwordx4 off, v[60:63], off offset:3012 ; 16-byte Folded Spill
	scratch_store_dwordx4 off, v[64:67], off offset:3028 ; 16-byte Folded Spill
	scratch_store_dwordx4 off, v[68:71], off offset:3044 ; 16-byte Folded Spill
	scratch_store_dwordx4 off, v[72:75], off offset:3060 ; 16-byte Folded Spill
	scratch_load_dwordx4 v[0:3], off, s2    ; 16-byte Folded Reload
	scratch_load_dwordx4 v[4:7], off, s2 offset:16 ; 16-byte Folded Reload
	scratch_load_dwordx4 v[8:11], off, s2 offset:32 ; 16-byte Folded Reload
	;; [unrolled: 1-line block ×7, first 2 shown]
	s_movk_i32 s2, 0xfcc
	s_waitcnt vmcnt(7)
	v_mov_b64_e32 v[46:47], v[2:3]
	v_mov_b64_e32 v[44:45], v[0:1]
	v_mov_b32_e32 v95, v47
	scratch_store_dwordx4 off, v[44:47], off offset:3076 ; 16-byte Folded Spill
	s_nop 0
	scratch_store_dwordx4 off, v[48:51], off offset:3092 ; 16-byte Folded Spill
	scratch_store_dwordx4 off, v[52:55], off offset:3108 ; 16-byte Folded Spill
	scratch_store_dwordx4 off, v[56:59], off offset:3124 ; 16-byte Folded Spill
	scratch_store_dwordx4 off, v[60:63], off offset:3140 ; 16-byte Folded Spill
	scratch_store_dwordx4 off, v[64:67], off offset:3156 ; 16-byte Folded Spill
	scratch_store_dwordx4 off, v[68:71], off offset:3172 ; 16-byte Folded Spill
	scratch_store_dwordx4 off, v[72:75], off offset:3188 ; 16-byte Folded Spill
	scratch_load_dwordx4 v[152:155], off, s2 ; 16-byte Folded Reload
	scratch_load_dwordx4 v[156:159], off, s2 offset:16 ; 16-byte Folded Reload
	scratch_load_dwordx4 v[160:163], off, s2 offset:32 ; 16-byte Folded Reload
	;; [unrolled: 1-line block ×7, first 2 shown]
	s_waitcnt vmcnt(7)
	v_mov_b32_e32 v94, v154
	scratch_store_dwordx4 off, v[152:155], off offset:3588 ; 16-byte Folded Spill
	s_waitcnt vmcnt(7)
	scratch_store_dwordx4 off, v[156:159], off offset:3604 ; 16-byte Folded Spill
	s_waitcnt vmcnt(7)
	;; [unrolled: 2-line block ×7, first 2 shown]
	scratch_store_dwordx4 off, v[180:183], off offset:3700 ; 16-byte Folded Spill
	scratch_load_dwordx4 v[96:99], off, off offset:4 ; 16-byte Folded Reload
	scratch_load_dwordx4 v[100:103], off, off offset:20 ; 16-byte Folded Reload
	scratch_load_dwordx4 v[104:107], off, off offset:36 ; 16-byte Folded Reload
	scratch_load_dwordx4 v[108:111], off, off offset:52 ; 16-byte Folded Reload
	scratch_load_dwordx4 v[112:115], off, off offset:68 ; 16-byte Folded Reload
	scratch_load_dwordx4 v[116:119], off, off offset:84 ; 16-byte Folded Reload
	scratch_load_dwordx4 v[120:123], off, off offset:100 ; 16-byte Folded Reload
	scratch_load_dwordx4 v[124:127], off, off offset:116 ; 16-byte Folded Reload
	s_waitcnt vmcnt(7)
	scratch_store_dwordx4 off, v[96:99], off offset:3916 ; 16-byte Folded Spill
	s_waitcnt vmcnt(7)
	scratch_store_dwordx4 off, v[100:103], off offset:3932 ; 16-byte Folded Spill
	;; [unrolled: 2-line block ×8, first 2 shown]
	s_and_saveexec_b64 s[2:3], vcc
	s_cbranch_execz .LBB47_13
; %bb.12:
	v_mov_b32_e32 v186, v32
	v_mov_b32_e32 v185, v33
	scratch_load_dwordx4 v[2:5], off, off offset:132 ; 16-byte Folded Reload
	scratch_load_dwordx4 v[6:9], off, off offset:148 ; 16-byte Folded Reload
	;; [unrolled: 1-line block ×8, first 2 shown]
	v_mov_b32_e32 v88, v34
	v_mov_b32_e32 v89, v35
	;; [unrolled: 1-line block ×13, first 2 shown]
	s_waitcnt vmcnt(2)
	v_mov_b32_e32 v101, v23
	scratch_load_dword v2, off, off offset:3912 ; 4-byte Folded Reload
	scratch_load_dwordx4 v[4:7], off, off offset:4 ; 16-byte Folded Reload
	scratch_load_dwordx4 v[8:11], off, off offset:20 ; 16-byte Folded Reload
	;; [unrolled: 1-line block ×8, first 2 shown]
	s_waitcnt vmcnt(7)
	v_mov_b64_e32 v[0:1], v[4:5]
	s_waitcnt vmcnt(3)
	v_mul_f32_e32 v22, v1, v2
	ds_read2_b64 v[2:5], v252 offset0:1 offset1:2
	ds_read2_b64 v[6:9], v252 offset0:3 offset1:4
	v_mov_b32_e32 v1, v22
	s_waitcnt lgkmcnt(1)
	v_pk_fma_f32 v[94:95], v[22:23], v[2:3], v[94:95] op_sel_hi:[0,1,1] neg_lo:[1,0,0] neg_hi:[1,0,0]
	v_pk_fma_f32 v[92:93], v[22:23], v[4:5], v[92:93] op_sel_hi:[0,1,1] neg_lo:[1,0,0] neg_hi:[1,0,0]
	s_waitcnt lgkmcnt(0)
	v_pk_fma_f32 v[90:91], v[22:23], v[6:7], v[90:91] op_sel_hi:[0,1,1] neg_lo:[1,0,0] neg_hi:[1,0,0]
	v_pk_fma_f32 v[88:89], v[22:23], v[8:9], v[88:89] op_sel_hi:[0,1,1] neg_lo:[1,0,0] neg_hi:[1,0,0]
	ds_read2_b64 v[2:5], v252 offset0:5 offset1:6
	ds_read2_b64 v[6:9], v252 offset0:7 offset1:8
	v_mov_b32_e32 v138, v92
	v_mov_b32_e32 v37, v93
	;; [unrolled: 1-line block ×3, first 2 shown]
	s_waitcnt lgkmcnt(1)
	v_pk_fma_f32 v[186:187], v[22:23], v[2:3], v[186:187] op_sel_hi:[0,1,1] neg_lo:[1,0,0] neg_hi:[1,0,0]
	v_pk_fma_f32 v[184:185], v[22:23], v[4:5], v[184:185] op_sel_hi:[0,1,1] neg_lo:[1,0,0] neg_hi:[1,0,0]
	ds_read2_b64 v[2:5], v252 offset0:9 offset1:10
	s_waitcnt lgkmcnt(1)
	v_pk_fma_f32 v[132:133], v[22:23], v[6:7], v[132:133] op_sel_hi:[0,1,1] neg_lo:[1,0,0] neg_hi:[1,0,0]
	v_pk_fma_f32 v[96:97], v[22:23], v[8:9], v[96:97] op_sel_hi:[0,1,1] neg_lo:[1,0,0] neg_hi:[1,0,0]
	v_mov_b32_e32 v149, v91
	s_waitcnt vmcnt(0)
	v_mov_b32_e32 v34, v88
	s_waitcnt lgkmcnt(0)
	v_pk_fma_f32 v[98:99], v[22:23], v[2:3], v[98:99] op_sel_hi:[0,1,1] neg_lo:[1,0,0] neg_hi:[1,0,0]
	ds_read_b64 v[2:3], v252 offset:88
	v_pk_fma_f32 v[100:101], v[22:23], v[4:5], v[100:101] op_sel_hi:[0,1,1] neg_lo:[1,0,0] neg_hi:[1,0,0]
	v_mov_b32_e32 v35, v89
	v_mov_b32_e32 v32, v186
	v_mov_b32_e32 v213, v187
	s_waitcnt lgkmcnt(0)
	v_pk_fma_f32 v[254:255], v[22:23], v[2:3], v[254:255] op_sel_hi:[0,1,1] neg_lo:[1,0,0] neg_hi:[1,0,0]
	scratch_store_dwordx4 off, v[0:3], off offset:3916 ; 16-byte Folded Spill
	s_nop 0
	scratch_store_dwordx4 off, v[4:7], off offset:3932 ; 16-byte Folded Spill
	scratch_store_dwordx4 off, v[8:11], off offset:3948 ; 16-byte Folded Spill
	;; [unrolled: 1-line block ×7, first 2 shown]
	v_mov_b32_e32 v2, v94
	v_mov_b32_e32 v150, v184
	v_mov_b32_e32 v33, v185
	v_mov_b32_e32 v148, v96
	v_mov_b32_e32 v134, v98
	v_mov_b32_e32 v45, v101
	scratch_store_dwordx4 off, v[0:3], off offset:3588 ; 16-byte Folded Spill
	s_nop 0
	scratch_store_dwordx4 off, v[4:7], off offset:3604 ; 16-byte Folded Spill
	scratch_store_dwordx4 off, v[8:11], off offset:3620 ; 16-byte Folded Spill
	scratch_store_dwordx4 off, v[12:15], off offset:3636 ; 16-byte Folded Spill
	scratch_store_dwordx4 off, v[16:19], off offset:3652 ; 16-byte Folded Spill
	scratch_store_dwordx4 off, v[20:23], off offset:3668 ; 16-byte Folded Spill
	scratch_store_dwordx4 off, v[24:27], off offset:3684 ; 16-byte Folded Spill
	scratch_store_dwordx4 off, v[28:31], off offset:3700 ; 16-byte Folded Spill
	v_mov_b32_e32 v3, v95
	scratch_store_dwordx4 off, v[0:3], off offset:3076 ; 16-byte Folded Spill
	s_nop 0
	scratch_store_dwordx4 off, v[4:7], off offset:3092 ; 16-byte Folded Spill
	scratch_store_dwordx4 off, v[8:11], off offset:3108 ; 16-byte Folded Spill
	scratch_store_dwordx4 off, v[12:15], off offset:3124 ; 16-byte Folded Spill
	scratch_store_dwordx4 off, v[16:19], off offset:3140 ; 16-byte Folded Spill
	scratch_store_dwordx4 off, v[20:23], off offset:3156 ; 16-byte Folded Spill
	scratch_store_dwordx4 off, v[24:27], off offset:3172 ; 16-byte Folded Spill
	scratch_store_dwordx4 off, v[28:31], off offset:3188 ; 16-byte Folded Spill
	v_mov_b32_e32 v4, v92
	;; [unrolled: 10-line block ×19, first 2 shown]
	v_mov_b64_e32 v[86:87], v[30:31]
	v_mov_b64_e32 v[84:85], v[28:29]
	;; [unrolled: 1-line block ×16, first 2 shown]
	v_mov_b32_e32 v22, v254
	v_mov_b32_e32 v23, v255
	scratch_store_dwordx4 off, v[0:3], off offset:4 ; 16-byte Folded Spill
	s_nop 0
	scratch_store_dwordx4 off, v[4:7], off offset:20 ; 16-byte Folded Spill
	scratch_store_dwordx4 off, v[8:11], off offset:36 ; 16-byte Folded Spill
	;; [unrolled: 1-line block ×7, first 2 shown]
	v_mov_b32_e32 v87, v97
	v_mov_b32_e32 v85, v99
	;; [unrolled: 1-line block ×3, first 2 shown]
	scratch_store_dwordx4 off, v[24:27], off offset:132 ; 16-byte Folded Spill
	s_nop 0
	scratch_store_dwordx4 off, v[28:31], off offset:148 ; 16-byte Folded Spill
	scratch_store_dwordx4 off, v[32:35], off offset:164 ; 16-byte Folded Spill
	;; [unrolled: 1-line block ×7, first 2 shown]
.LBB47_13:
	s_or_b64 exec, exec, s[2:3]
	v_cmp_eq_u32_e32 vcc, 2, v205
	s_waitcnt vmcnt(63) expcnt(7) lgkmcnt(15)
	s_barrier
	s_and_saveexec_b64 s[2:3], vcc
	s_cbranch_execz .LBB47_16
; %bb.14:
	ds_write_b32 v253, v94
	scratch_load_dwordx4 v[0:3], off, off offset:4 ; 16-byte Folded Reload
	scratch_load_dwordx4 v[4:7], off, off offset:20 ; 16-byte Folded Reload
	;; [unrolled: 1-line block ×8, first 2 shown]
	s_waitcnt vmcnt(6)
	ds_write2_b32 v252, v3, v4 offset0:3 offset1:4
	ds_write2_b32 v252, v5, v6 offset0:5 offset1:6
	s_waitcnt vmcnt(5)
	ds_write2_b32 v252, v7, v8 offset0:7 offset1:8
	ds_write2_b32 v252, v9, v10 offset0:9 offset1:10
	s_waitcnt vmcnt(4)
	ds_write2_b32 v252, v11, v12 offset0:11 offset1:12
	ds_write2_b32 v252, v13, v14 offset0:13 offset1:14
	s_waitcnt vmcnt(3)
	ds_write2_b32 v252, v15, v16 offset0:15 offset1:16
	ds_write2_b32 v252, v17, v18 offset0:17 offset1:18
	s_waitcnt vmcnt(2)
	ds_write2_b32 v252, v19, v20 offset0:19 offset1:20
	ds_write2_b32 v252, v21, v22 offset0:21 offset1:22
	ds_write_b32 v252, v255 offset:92
	ds_read_b32 v44, v253
	s_waitcnt lgkmcnt(0)
	v_cmp_neq_f32_e32 vcc, 0, v44
	s_and_b64 exec, exec, vcc
	s_cbranch_execz .LBB47_16
; %bb.15:
	v_div_scale_f32 v45, s[4:5], v44, v44, 1.0
	v_rcp_f32_e32 v46, v45
	v_div_scale_f32 v47, vcc, 1.0, v44, 1.0
	v_fma_f32 v48, -v45, v46, 1.0
	v_fmac_f32_e32 v46, v48, v46
	v_mul_f32_e32 v48, v47, v46
	v_fma_f32 v49, -v45, v48, v47
	v_fmac_f32_e32 v48, v49, v46
	v_fma_f32 v45, -v45, v48, v47
	v_div_fmas_f32 v45, v45, v46, v48
	v_div_fixup_f32 v44, v45, v44, 1.0
	ds_write_b32 v253, v44
.LBB47_16:
	s_or_b64 exec, exec, s[2:3]
	s_waitcnt lgkmcnt(0)
	s_barrier
	ds_read_b32 v110, v253
	v_cmp_lt_u32_e32 vcc, 2, v205
	s_mov_b64 s[2:3], exec
	scratch_load_dwordx4 v[168:171], off, off offset:3460 ; 16-byte Folded Reload
	scratch_load_dwordx4 v[172:175], off, off offset:3476 ; 16-byte Folded Reload
	;; [unrolled: 1-line block ×8, first 2 shown]
	s_and_b64 s[4:5], s[2:3], vcc
	s_waitcnt vmcnt(4)
	v_mov_b64_e32 v[228:229], v[182:183]
	v_mov_b64_e32 v[226:227], v[180:181]
	;; [unrolled: 1-line block ×8, first 2 shown]
	s_waitcnt vmcnt(3)
	v_mov_b32_e32 v230, v184
	s_mov_b64 exec, s[4:5]
	s_cbranch_execz .LBB47_18
; %bb.17:
	scratch_load_dwordx4 v[152:155], off, off offset:3916 ; 16-byte Folded Reload
	scratch_load_dwordx4 v[156:159], off, off offset:3932 ; 16-byte Folded Reload
	;; [unrolled: 1-line block ×8, first 2 shown]
	ds_read2_b32 v[0:1], v252 offset0:3 offset1:4
	scratch_load_dwordx4 v[2:5], off, off offset:4 ; 16-byte Folded Reload
	scratch_load_dwordx4 v[6:9], off, off offset:20 ; 16-byte Folded Reload
	scratch_load_dwordx4 v[10:13], off, off offset:36 ; 16-byte Folded Reload
	scratch_load_dwordx4 v[14:17], off, off offset:52 ; 16-byte Folded Reload
	scratch_load_dwordx4 v[18:21], off, off offset:68 ; 16-byte Folded Reload
	scratch_load_dwordx4 v[22:25], off, off offset:84 ; 16-byte Folded Reload
	scratch_load_dwordx4 v[26:29], off, off offset:100 ; 16-byte Folded Reload
	scratch_load_dwordx4 v[30:33], off, off offset:116 ; 16-byte Folded Reload
	s_waitcnt vmcnt(15) lgkmcnt(1)
	v_mul_f32_e32 v154, v94, v110
	v_mov_b32_e32 v58, v154
	v_mov_b32_e32 v216, v154
	;; [unrolled: 1-line block ×6, first 2 shown]
	s_waitcnt vmcnt(3)
	v_mov_b32_e32 v3, v5
	v_mov_b32_e32 v4, v6
	;; [unrolled: 1-line block ×16, first 2 shown]
	s_waitcnt vmcnt(2)
	v_mov_b32_e32 v19, v21
	v_mov_b32_e32 v20, v22
	;; [unrolled: 1-line block ×4, first 2 shown]
	ds_read2_b32 v[24:25], v252 offset0:5 offset1:6
	s_waitcnt vmcnt(1)
	ds_read2_b32 v[26:27], v252 offset0:7 offset1:8
	ds_read2_b32 v[28:29], v252 offset0:9 offset1:10
	v_mov_b32_e32 v2, v3
	v_mov_b32_e32 v3, v4
	s_waitcnt lgkmcnt(3)
	v_pk_fma_f32 v[44:45], v[154:155], v[0:1], v[2:3] op_sel_hi:[0,1,1] neg_lo:[1,0,0] neg_hi:[1,0,0]
	v_mov_b32_e32 v0, v5
	v_mov_b32_e32 v1, v6
	s_waitcnt lgkmcnt(2)
	v_pk_fma_f32 v[46:47], v[154:155], v[24:25], v[0:1] op_sel_hi:[0,1,1] neg_lo:[1,0,0] neg_hi:[1,0,0]
	;; [unrolled: 4-line block ×4, first 2 shown]
	ds_read2_b32 v[0:1], v252 offset0:11 offset1:12
	ds_read2_b32 v[4:5], v252 offset0:13 offset1:14
	;; [unrolled: 1-line block ×4, first 2 shown]
	v_mov_b32_e32 v2, v11
	v_mov_b32_e32 v3, v12
	;; [unrolled: 1-line block ×3, first 2 shown]
	s_waitcnt lgkmcnt(3)
	v_pk_fma_f32 v[52:53], v[154:155], v[0:1], v[2:3] op_sel_hi:[0,1,1] neg_lo:[1,0,0] neg_hi:[1,0,0]
	v_mov_b32_e32 v0, v13
	v_mov_b32_e32 v1, v14
	s_waitcnt lgkmcnt(2)
	v_pk_fma_f32 v[54:55], v[154:155], v[4:5], v[0:1] op_sel_hi:[0,1,1] neg_lo:[1,0,0] neg_hi:[1,0,0]
	v_mov_b32_e32 v0, v15
	v_mov_b32_e32 v1, v16
	;; [unrolled: 4-line block ×3, first 2 shown]
	s_waitcnt lgkmcnt(0)
	v_pk_fma_f32 v[80:81], v[154:155], v[8:9], v[0:1] op_sel_hi:[0,1,1] neg_lo:[1,0,0] neg_hi:[1,0,0]
	ds_read2_b32 v[0:1], v252 offset0:19 offset1:20
	ds_read2_b32 v[4:5], v252 offset0:21 offset1:22
	ds_read_b32 v6, v252 offset:92
	v_mov_b32_e32 v2, v19
	v_mov_b32_e32 v3, v20
	;; [unrolled: 1-line block ×3, first 2 shown]
	s_waitcnt lgkmcnt(2)
	v_pk_fma_f32 v[82:83], v[154:155], v[0:1], v[2:3] op_sel_hi:[0,1,1] neg_lo:[1,0,0] neg_hi:[1,0,0]
	v_mov_b32_e32 v0, v21
	v_mov_b32_e32 v1, v22
	s_waitcnt lgkmcnt(1)
	v_pk_fma_f32 v[84:85], v[154:155], v[4:5], v[0:1] op_sel_hi:[0,1,1] neg_lo:[1,0,0] neg_hi:[1,0,0]
	v_mov_b32_e32 v0, v152
	v_mov_b32_e32 v1, v153
	;; [unrolled: 1-line block ×5, first 2 shown]
	scratch_store_dwordx4 off, v[0:3], off offset:2948 ; 16-byte Folded Spill
	s_waitcnt lgkmcnt(0)
	scratch_store_dwordx4 off, v[4:7], off offset:2964 ; 16-byte Folded Spill
	scratch_store_dwordx4 off, v[8:11], off offset:2980 ; 16-byte Folded Spill
	;; [unrolled: 1-line block ×6, first 2 shown]
	s_waitcnt vmcnt(7)
	scratch_store_dwordx4 off, v[28:31], off offset:3060 ; 16-byte Folded Spill
	v_mov_b32_e32 v5, v46
	v_mov_b32_e32 v61, v46
	;; [unrolled: 1-line block ×30, first 2 shown]
	scratch_store_dwordx4 off, v[0:3], off offset:2436 ; 16-byte Folded Spill
	s_nop 0
	scratch_store_dwordx4 off, v[4:7], off offset:2452 ; 16-byte Folded Spill
	scratch_store_dwordx4 off, v[8:11], off offset:2468 ; 16-byte Folded Spill
	;; [unrolled: 1-line block ×7, first 2 shown]
	v_mov_b32_e32 v8, v152
	v_mov_b32_e32 v9, v153
	;; [unrolled: 1-line block ×16, first 2 shown]
	scratch_store_dwordx4 off, v[8:11], off offset:2308 ; 16-byte Folded Spill
	s_nop 0
	scratch_store_dwordx4 off, v[12:15], off offset:2324 ; 16-byte Folded Spill
	scratch_store_dwordx4 off, v[16:19], off offset:2340 ; 16-byte Folded Spill
	scratch_store_dwordx4 off, v[20:23], off offset:2356 ; 16-byte Folded Spill
	scratch_store_dwordx4 off, v[24:27], off offset:2372 ; 16-byte Folded Spill
	scratch_store_dwordx4 off, v[28:31], off offset:2388 ; 16-byte Folded Spill
	scratch_store_dwordx4 off, v[32:35], off offset:2404 ; 16-byte Folded Spill
	scratch_store_dwordx4 off, v[36:39], off offset:2420 ; 16-byte Folded Spill
	v_mov_b32_e32 v15, v48
	scratch_store_dwordx4 off, v[8:11], off offset:2052 ; 16-byte Folded Spill
	s_nop 0
	scratch_store_dwordx4 off, v[12:15], off offset:2068 ; 16-byte Folded Spill
	scratch_store_dwordx4 off, v[16:19], off offset:2084 ; 16-byte Folded Spill
	scratch_store_dwordx4 off, v[20:23], off offset:2100 ; 16-byte Folded Spill
	scratch_store_dwordx4 off, v[24:27], off offset:2116 ; 16-byte Folded Spill
	scratch_store_dwordx4 off, v[28:31], off offset:2132 ; 16-byte Folded Spill
	scratch_store_dwordx4 off, v[32:35], off offset:2148 ; 16-byte Folded Spill
	scratch_store_dwordx4 off, v[36:39], off offset:2164 ; 16-byte Folded Spill
	v_mov_b32_e32 v16, v49
	;; [unrolled: 10-line block ×10, first 2 shown]
	v_mov_b32_e32 v25, v80
	scratch_store_dwordx4 off, v[8:11], off offset:644 ; 16-byte Folded Spill
	s_nop 0
	scratch_store_dwordx4 off, v[12:15], off offset:660 ; 16-byte Folded Spill
	scratch_store_dwordx4 off, v[16:19], off offset:676 ; 16-byte Folded Spill
	scratch_store_dwordx4 off, v[20:23], off offset:692 ; 16-byte Folded Spill
	scratch_store_dwordx4 off, v[24:27], off offset:708 ; 16-byte Folded Spill
	scratch_store_dwordx4 off, v[28:31], off offset:724 ; 16-byte Folded Spill
	scratch_store_dwordx4 off, v[32:35], off offset:740 ; 16-byte Folded Spill
	scratch_store_dwordx4 off, v[36:39], off offset:756 ; 16-byte Folded Spill
	v_mov_b32_e32 v26, v81
	scratch_store_dwordx4 off, v[8:11], off offset:388 ; 16-byte Folded Spill
	s_nop 0
	scratch_store_dwordx4 off, v[12:15], off offset:404 ; 16-byte Folded Spill
	scratch_store_dwordx4 off, v[16:19], off offset:420 ; 16-byte Folded Spill
	scratch_store_dwordx4 off, v[20:23], off offset:436 ; 16-byte Folded Spill
	scratch_store_dwordx4 off, v[24:27], off offset:452 ; 16-byte Folded Spill
	scratch_store_dwordx4 off, v[28:31], off offset:468 ; 16-byte Folded Spill
	scratch_store_dwordx4 off, v[32:35], off offset:484 ; 16-byte Folded Spill
	scratch_store_dwordx4 off, v[36:39], off offset:500 ; 16-byte Folded Spill
	;; [unrolled: 10-line block ×3, first 2 shown]
	scratch_store_dwordx4 off, v[56:59], off offset:260 ; 16-byte Folded Spill
	s_nop 0
	scratch_store_dwordx4 off, v[60:63], off offset:276 ; 16-byte Folded Spill
	scratch_store_dwordx4 off, v[64:67], off offset:292 ; 16-byte Folded Spill
	;; [unrolled: 1-line block ×7, first 2 shown]
	v_fma_f32 v23, -v154, v6, v255
	v_mov_b32_e32 v14, v55
	v_mov_b32_e32 v6, v47
	;; [unrolled: 1-line block ×8, first 2 shown]
	scratch_store_dwordx4 off, v[152:155], off offset:3076 ; 16-byte Folded Spill
	s_nop 0
	scratch_store_dwordx4 off, v[156:159], off offset:3092 ; 16-byte Folded Spill
	scratch_store_dwordx4 off, v[160:163], off offset:3108 ; 16-byte Folded Spill
	;; [unrolled: 1-line block ×8, first 2 shown]
	s_nop 0
	scratch_store_dwordx4 off, v[156:159], off offset:3604 ; 16-byte Folded Spill
	scratch_store_dwordx4 off, v[160:163], off offset:3620 ; 16-byte Folded Spill
	scratch_store_dwordx4 off, v[164:167], off offset:3636 ; 16-byte Folded Spill
	scratch_store_dwordx4 off, v[168:171], off offset:3652 ; 16-byte Folded Spill
	scratch_store_dwordx4 off, v[172:175], off offset:3668 ; 16-byte Folded Spill
	scratch_store_dwordx4 off, v[176:179], off offset:3684 ; 16-byte Folded Spill
	scratch_store_dwordx4 off, v[180:183], off offset:3700 ; 16-byte Folded Spill
	v_mov_b32_e32 v255, v23
	v_mov_b32_e32 v37, v46
	;; [unrolled: 1-line block ×14, first 2 shown]
	v_mov_b64_e32 v[100:101], v[14:15]
	v_mov_b64_e32 v[108:109], v[22:23]
	v_mov_b64_e32 v[98:99], v[12:13]
	v_mov_b64_e32 v[96:97], v[10:11]
	v_mov_b64_e32 v[94:95], v[8:9]
	v_mov_b64_e32 v[92:93], v[6:7]
	v_mov_b64_e32 v[90:91], v[4:5]
	v_mov_b64_e32 v[88:89], v[2:3]
	v_mov_b64_e32 v[86:87], v[0:1]
	v_mov_b64_e32 v[106:107], v[20:21]
	v_mov_b64_e32 v[104:105], v[18:19]
	v_mov_b64_e32 v[102:103], v[16:17]
	scratch_store_dwordx4 off, v[86:89], off offset:4 ; 16-byte Folded Spill
	s_nop 0
	scratch_store_dwordx4 off, v[90:93], off offset:20 ; 16-byte Folded Spill
	scratch_store_dwordx4 off, v[94:97], off offset:36 ; 16-byte Folded Spill
	;; [unrolled: 1-line block ×7, first 2 shown]
	v_mov_b32_e32 v77, v84
	v_mov_b32_e32 v254, v85
	;; [unrolled: 1-line block ×10, first 2 shown]
	scratch_store_dwordx4 off, v[24:27], off offset:132 ; 16-byte Folded Spill
	s_nop 0
	scratch_store_dwordx4 off, v[28:31], off offset:148 ; 16-byte Folded Spill
	scratch_store_dwordx4 off, v[32:35], off offset:164 ; 16-byte Folded Spill
	;; [unrolled: 1-line block ×7, first 2 shown]
.LBB47_18:
	s_or_b64 exec, exec, s[2:3]
	v_cmp_eq_u32_e32 vcc, 3, v205
	s_waitcnt lgkmcnt(0)
	s_barrier
	s_and_saveexec_b64 s[2:3], vcc
	s_cbranch_execz .LBB47_21
; %bb.19:
	ds_write_b32 v253, v95
	scratch_load_dwordx4 v[156:159], off, off offset:4 ; 16-byte Folded Reload
	scratch_load_dwordx4 v[160:163], off, off offset:20 ; 16-byte Folded Reload
	;; [unrolled: 1-line block ×8, first 2 shown]
	s_waitcnt vmcnt(4)
	v_mov_b64_e32 v[0:1], v[156:157]
	v_mov_b64_e32 v[4:5], v[160:161]
	;; [unrolled: 1-line block ×3, first 2 shown]
	s_waitcnt vmcnt(2)
	v_mov_b64_e32 v[16:17], v[172:173]
	v_mov_b64_e32 v[8:9], v[164:165]
	;; [unrolled: 1-line block ×8, first 2 shown]
	ds_write2_b64 v252, v[4:5], v[6:7] offset0:2 offset1:3
	ds_write2_b64 v252, v[8:9], v[10:11] offset0:4 offset1:5
	;; [unrolled: 1-line block ×5, first 2 shown]
	ds_read_b32 v44, v253
	v_mov_b64_e32 v[2:3], v[158:159]
	s_waitcnt lgkmcnt(0)
	v_cmp_neq_f32_e32 vcc, 0, v44
	s_and_b64 exec, exec, vcc
	s_cbranch_execz .LBB47_21
; %bb.20:
	v_div_scale_f32 v45, s[4:5], v44, v44, 1.0
	v_rcp_f32_e32 v46, v45
	v_div_scale_f32 v47, vcc, 1.0, v44, 1.0
	v_fma_f32 v48, -v45, v46, 1.0
	v_fmac_f32_e32 v46, v48, v46
	v_mul_f32_e32 v48, v47, v46
	v_fma_f32 v49, -v45, v48, v47
	v_fmac_f32_e32 v48, v49, v46
	v_fma_f32 v45, -v45, v48, v47
	v_div_fmas_f32 v45, v45, v46, v48
	v_div_fixup_f32 v44, v45, v44, 1.0
	ds_write_b32 v253, v44
.LBB47_21:
	s_or_b64 exec, exec, s[2:3]
	s_waitcnt lgkmcnt(0)
	s_barrier
	ds_read_b32 v111, v253
	v_cmp_lt_u32_e32 vcc, 3, v205
	s_and_saveexec_b64 s[2:3], vcc
	s_cbranch_execz .LBB47_23
; %bb.22:
	ds_read2_b64 v[24:27], v252 offset0:2 offset1:3
	ds_read2_b64 v[28:31], v252 offset0:4 offset1:5
	;; [unrolled: 1-line block ×3, first 2 shown]
	scratch_load_dwordx4 v[46:49], off, off offset:4 ; 16-byte Folded Reload
	scratch_load_dwordx4 v[50:53], off, off offset:20 ; 16-byte Folded Reload
	scratch_load_dwordx4 v[54:57], off, off offset:36 ; 16-byte Folded Reload
	scratch_load_dwordx4 v[58:61], off, off offset:52 ; 16-byte Folded Reload
	scratch_load_dwordx4 v[62:65], off, off offset:68 ; 16-byte Folded Reload
	scratch_load_dwordx4 v[66:69], off, off offset:84 ; 16-byte Folded Reload
	scratch_load_dwordx4 v[70:73], off, off offset:100 ; 16-byte Folded Reload
	scratch_load_dwordx4 v[74:77], off, off offset:116 ; 16-byte Folded Reload
	scratch_load_dwordx4 v[118:121], off, off offset:3588 ; 16-byte Folded Reload
	scratch_load_dwordx4 v[122:125], off, off offset:3604 ; 16-byte Folded Reload
	scratch_load_dwordx4 v[126:129], off, off offset:3620 ; 16-byte Folded Reload
	scratch_load_dwordx4 v[130:133], off, off offset:3636 ; 16-byte Folded Reload
	scratch_load_dwordx4 v[134:137], off, off offset:3652 ; 16-byte Folded Reload
	scratch_load_dwordx4 v[138:141], off, off offset:3668 ; 16-byte Folded Reload
	scratch_load_dwordx4 v[142:145], off, off offset:3684 ; 16-byte Folded Reload
	scratch_load_dwordx4 v[146:149], off, off offset:3700 ; 16-byte Folded Reload
	s_waitcnt lgkmcnt(3)
	v_mul_f32_e32 v44, v95, v111
	s_waitcnt vmcnt(15)
	v_mov_b32_e32 v49, v44
	v_mov_b32_e32 v35, v44
	s_waitcnt vmcnt(7)
	v_mov_b32_e32 v121, v44
	v_mov_b32_e32 v115, v44
	;; [unrolled: 1-line block ×6, first 2 shown]
	v_mov_b64_e32 v[4:5], v[50:51]
	v_mov_b64_e32 v[20:21], v[66:67]
	v_mov_b64_e32 v[6:7], v[52:53]
	v_mov_b64_e32 v[22:23], v[68:69]
	s_waitcnt lgkmcnt(2)
	v_pk_fma_f32 v[116:117], v[44:45], v[24:25], v[4:5] op_sel_hi:[0,1,1] neg_lo:[1,0,0] neg_hi:[1,0,0]
	v_mov_b64_e32 v[8:9], v[54:55]
	v_mov_b64_e32 v[10:11], v[56:57]
	;; [unrolled: 1-line block ×6, first 2 shown]
	v_pk_fma_f32 v[84:85], v[44:45], v[26:27], v[6:7] op_sel_hi:[0,1,1] neg_lo:[1,0,0] neg_hi:[1,0,0]
	s_waitcnt lgkmcnt(0)
	v_pk_fma_f32 v[22:23], v[44:45], v[2:3], v[22:23] op_sel_hi:[0,1,1] neg_lo:[1,0,0] neg_hi:[1,0,0]
	v_mov_b32_e32 v2, v118
	v_mov_b32_e32 v3, v119
	v_mov_b32_e32 v4, v120
	v_mov_b32_e32 v5, v44
	v_mov_b32_e32 v6, v116
	v_mov_b32_e32 v7, v117
	v_pk_fma_f32 v[54:55], v[44:45], v[28:29], v[8:9] op_sel_hi:[0,1,1] neg_lo:[1,0,0] neg_hi:[1,0,0]
	scratch_store_dwordx4 off, v[2:5], off offset:2436 ; 16-byte Folded Spill
	s_nop 0
	scratch_store_dwordx4 off, v[6:9], off offset:2452 ; 16-byte Folded Spill
	scratch_store_dwordx4 off, v[10:13], off offset:2468 ; 16-byte Folded Spill
	;; [unrolled: 1-line block ×7, first 2 shown]
	v_mov_b32_e32 v4, v120
	v_mov_b32_e32 v5, v44
	v_mov_b32_e32 v6, v116
	v_mov_b32_e32 v8, v84
	v_mov_b32_e32 v9, v85
	v_mov_b32_e32 v50, v116
	v_mov_b32_e32 v51, v117
	v_mov_b32_e32 v52, v84
	v_mov_b32_e32 v53, v85
	v_mov_b32_e32 v34, v120
	v_mov_b32_e32 v36, v116
	v_mov_b32_e32 v37, v117
	v_mov_b32_e32 v38, v84
	v_mov_b32_e32 v39, v85
	v_mov_b32_e32 v40, v54
	v_mov_b32_e32 v41, v55
	v_mov_b32_e32 v112, v118
	v_mov_b32_e32 v113, v119
	v_mov_b32_e32 v114, v120
	v_mov_b32_e32 v78, v118
	v_mov_b32_e32 v79, v119
	v_mov_b32_e32 v80, v120
	v_mov_b32_e32 v202, v118
	v_mov_b32_e32 v203, v119
	v_mov_b32_e32 v204, v120
	v_mov_b32_e32 v168, v118
	v_mov_b32_e32 v169, v119
	v_mov_b32_e32 v170, v120
	v_mov_b32_e32 v152, v118
	v_mov_b32_e32 v153, v119
	v_mov_b32_e32 v154, v120
	v_mov_b32_e32 v214, v118
	v_mov_b32_e32 v215, v119
	v_mov_b32_e32 v216, v120
	v_mov_b32_e32 v182, v118
	v_mov_b32_e32 v183, v119
	v_mov_b32_e32 v184, v120
	v_mov_b32_e32 v88, v118
	v_mov_b32_e32 v89, v119
	v_mov_b32_e32 v90, v120
	v_mov_b32_e32 v82, v116
	v_mov_b32_e32 v83, v117
	v_mov_b32_e32 v206, v116
	v_mov_b32_e32 v207, v117
	v_mov_b32_e32 v208, v84
	v_mov_b32_e32 v209, v85
	v_mov_b32_e32 v172, v116
	v_mov_b32_e32 v173, v117
	v_mov_b32_e32 v174, v84
	v_mov_b32_e32 v175, v85
	v_mov_b32_e32 v156, v116
	v_mov_b32_e32 v157, v117
	v_mov_b32_e32 v218, v116
	v_mov_b32_e32 v219, v117
	v_mov_b32_e32 v220, v84
	scratch_store_dwordx4 off, v[2:5], off offset:2052 ; 16-byte Folded Spill
	s_nop 0
	scratch_store_dwordx4 off, v[6:9], off offset:2068 ; 16-byte Folded Spill
	scratch_store_dwordx4 off, v[10:13], off offset:2084 ; 16-byte Folded Spill
	;; [unrolled: 1-line block ×7, first 2 shown]
	s_nop 1
	v_mov_b32_e32 v32, v118
	v_mov_b32_e32 v33, v119
	scratch_store_dwordx4 off, v[32:35], off offset:1668 ; 16-byte Folded Spill
	s_nop 0
	scratch_store_dwordx4 off, v[36:39], off offset:1684 ; 16-byte Folded Spill
	scratch_store_dwordx4 off, v[40:43], off offset:1700 ; 16-byte Folded Spill
	;; [unrolled: 1-line block ×7, first 2 shown]
	v_mov_b32_e32 v24, v118
	v_mov_b32_e32 v25, v119
	;; [unrolled: 1-line block ×25, first 2 shown]
	v_pk_fma_f32 v[212:213], v[44:45], v[30:31], v[10:11] op_sel_hi:[0,1,1] neg_lo:[1,0,0] neg_hi:[1,0,0]
	v_mov_b32_e32 v45, v205
	v_mov_b32_e32 v27, v44
	;; [unrolled: 1-line block ×11, first 2 shown]
	scratch_store_dwordx4 off, v[24:27], off offset:1412 ; 16-byte Folded Spill
	s_nop 0
	scratch_store_dwordx4 off, v[28:31], off offset:1428 ; 16-byte Folded Spill
	scratch_store_dwordx4 off, v[32:35], off offset:1444 ; 16-byte Folded Spill
	;; [unrolled: 1-line block ×7, first 2 shown]
	ds_read2_b64 v[2:5], v252 offset0:6 offset1:7
	ds_read2_b64 v[6:9], v252 offset0:8 offset1:9
	v_mov_b32_e32 v10, v212
	v_mov_b32_e32 v11, v213
	v_mov_b32_e32 v178, v212
	v_mov_b32_e32 v179, v213
	v_mov_b32_e32 v224, v212
	v_mov_b32_e32 v225, v213
	v_mov_b32_e32 v192, v212
	v_mov_b32_e32 v193, v213
	v_mov_b32_e32 v98, v212
	v_mov_b32_e32 v99, v213
	v_mov_b32_e32 v66, v212
	v_mov_b32_e32 v67, v213
	v_mov_b32_e32 v162, v212
	v_mov_b32_e32 v163, v213
	s_waitcnt lgkmcnt(1)
	v_pk_fma_f32 v[180:181], v[44:45], v[2:3], v[12:13] op_sel_hi:[0,1,1] neg_lo:[1,0,0] neg_hi:[1,0,0]
	v_mov_b32_e32 v36, v180
	v_mov_b32_e32 v37, v181
	v_mov_b32_e32 v171, v44
	v_mov_b32_e32 v176, v54
	v_mov_b32_e32 v177, v55
	scratch_store_dwordx4 off, v[24:27], off offset:1028 ; 16-byte Folded Spill
	s_nop 0
	scratch_store_dwordx4 off, v[28:31], off offset:1044 ; 16-byte Folded Spill
	scratch_store_dwordx4 off, v[32:35], off offset:1060 ; 16-byte Folded Spill
	;; [unrolled: 1-line block ×7, first 2 shown]
	v_mov_b32_e32 v2, v120
	v_mov_b32_e32 v12, v180
	;; [unrolled: 1-line block ×14, first 2 shown]
	v_pk_fma_f32 v[166:167], v[44:45], v[4:5], v[14:15] op_sel_hi:[0,1,1] neg_lo:[1,0,0] neg_hi:[1,0,0]
	v_mov_b32_e32 v38, v166
	v_mov_b32_e32 v39, v167
	;; [unrolled: 1-line block ×5, first 2 shown]
	scratch_store_dwordx4 off, v[24:27], off offset:772 ; 16-byte Folded Spill
	s_nop 0
	scratch_store_dwordx4 off, v[28:31], off offset:788 ; 16-byte Folded Spill
	scratch_store_dwordx4 off, v[32:35], off offset:804 ; 16-byte Folded Spill
	;; [unrolled: 1-line block ×7, first 2 shown]
	v_mov_b32_e32 v14, v166
	v_mov_b32_e32 v15, v167
	v_mov_b32_e32 v4, v116
	v_mov_b32_e32 v5, v117
	v_mov_b32_e32 v228, v166
	v_mov_b32_e32 v229, v167
	v_mov_b32_e32 v196, v166
	v_mov_b32_e32 v197, v167
	v_mov_b32_e32 v102, v166
	v_mov_b32_e32 v103, v167
	v_mov_b32_e32 v70, v166
	v_mov_b32_e32 v71, v167
	s_waitcnt lgkmcnt(0)
	v_pk_fma_f32 v[230:231], v[44:45], v[6:7], v[16:17] op_sel_hi:[0,1,1] neg_lo:[1,0,0] neg_hi:[1,0,0]
	v_mov_b32_e32 v40, v230
	v_mov_b32_e32 v41, v231
	;; [unrolled: 1-line block ×5, first 2 shown]
	scratch_store_dwordx4 off, v[24:27], off offset:644 ; 16-byte Folded Spill
	s_nop 0
	scratch_store_dwordx4 off, v[28:31], off offset:660 ; 16-byte Folded Spill
	scratch_store_dwordx4 off, v[32:35], off offset:676 ; 16-byte Folded Spill
	;; [unrolled: 1-line block ×7, first 2 shown]
	v_mov_b32_e32 v6, v84
	v_mov_b32_e32 v7, v85
	;; [unrolled: 1-line block ×10, first 2 shown]
	v_pk_fma_f32 v[200:201], v[44:45], v[8:9], v[18:19] op_sel_hi:[0,1,1] neg_lo:[1,0,0] neg_hi:[1,0,0]
	v_mov_b32_e32 v42, v200
	v_mov_b32_e32 v43, v201
	;; [unrolled: 1-line block ×5, first 2 shown]
	scratch_store_dwordx4 off, v[24:27], off offset:516 ; 16-byte Folded Spill
	s_nop 0
	scratch_store_dwordx4 off, v[28:31], off offset:532 ; 16-byte Folded Spill
	scratch_store_dwordx4 off, v[32:35], off offset:548 ; 16-byte Folded Spill
	;; [unrolled: 1-line block ×7, first 2 shown]
	v_mov_b32_e32 v18, v200
	v_mov_b32_e32 v19, v201
	;; [unrolled: 1-line block ×7, first 2 shown]
	v_pk_fma_f32 v[108:109], v[44:45], v[0:1], v[20:21] op_sel_hi:[0,1,1] neg_lo:[1,0,0] neg_hi:[1,0,0]
	v_mov_b32_e32 v0, v118
	v_mov_b32_e32 v1, v119
	scratch_store_dwordx4 off, v[118:121], off offset:3076 ; 16-byte Folded Spill
	s_waitcnt vmcnt(62)
	scratch_store_dwordx4 off, v[122:125], off offset:3092 ; 16-byte Folded Spill
	scratch_store_dwordx4 off, v[126:129], off offset:3108 ; 16-byte Folded Spill
	;; [unrolled: 1-line block ×7, first 2 shown]
	v_mov_b32_e32 v3, v44
	v_mov_b32_e32 v8, v54
	;; [unrolled: 1-line block ×5, first 2 shown]
	v_mov_b64_e32 v[132:133], v[14:15]
	v_mov_b64_e32 v[140:141], v[22:23]
	;; [unrolled: 1-line block ×12, first 2 shown]
	v_mov_b32_e32 v91, v44
	v_mov_b32_e32 v96, v54
	;; [unrolled: 1-line block ×8, first 2 shown]
	scratch_store_dwordx4 off, v[118:121], off offset:4 ; 16-byte Folded Spill
	s_nop 0
	scratch_store_dwordx4 off, v[122:125], off offset:20 ; 16-byte Folded Spill
	scratch_store_dwordx4 off, v[126:129], off offset:36 ; 16-byte Folded Spill
	;; [unrolled: 1-line block ×7, first 2 shown]
	v_mov_b32_e32 v138, v116
	v_mov_b32_e32 v34, v54
	scratch_store_dwordx4 off, v[112:115], off offset:2948 ; 16-byte Folded Spill
	s_nop 0
	scratch_store_dwordx4 off, v[116:119], off offset:2964 ; 16-byte Folded Spill
	scratch_store_dwordx4 off, v[120:123], off offset:2980 ; 16-byte Folded Spill
	scratch_store_dwordx4 off, v[124:127], off offset:2996 ; 16-byte Folded Spill
	scratch_store_dwordx4 off, v[128:131], off offset:3012 ; 16-byte Folded Spill
	scratch_store_dwordx4 off, v[132:135], off offset:3028 ; 16-byte Folded Spill
	scratch_store_dwordx4 off, v[136:139], off offset:3044 ; 16-byte Folded Spill
	scratch_store_dwordx4 off, v[140:143], off offset:3060 ; 16-byte Folded Spill
	s_nop 0
	v_mov_b32_e32 v136, v84
	scratch_store_dwordx4 off, v[78:81], off offset:2308 ; 16-byte Folded Spill
	s_nop 0
	scratch_store_dwordx4 off, v[82:85], off offset:2324 ; 16-byte Folded Spill
	scratch_store_dwordx4 off, v[86:89], off offset:2340 ; 16-byte Folded Spill
	scratch_store_dwordx4 off, v[90:93], off offset:2356 ; 16-byte Folded Spill
	scratch_store_dwordx4 off, v[94:97], off offset:2372 ; 16-byte Folded Spill
	scratch_store_dwordx4 off, v[98:101], off offset:2388 ; 16-byte Folded Spill
	scratch_store_dwordx4 off, v[102:105], off offset:2404 ; 16-byte Folded Spill
	scratch_store_dwordx4 off, v[106:109], off offset:2420 ; 16-byte Folded Spill
	scratch_store_dwordx4 off, v[46:49], off offset:1924 ; 16-byte Folded Spill
	s_nop 0
	scratch_store_dwordx4 off, v[50:53], off offset:1940 ; 16-byte Folded Spill
	scratch_store_dwordx4 off, v[54:57], off offset:1956 ; 16-byte Folded Spill
	scratch_store_dwordx4 off, v[58:61], off offset:1972 ; 16-byte Folded Spill
	scratch_store_dwordx4 off, v[62:65], off offset:1988 ; 16-byte Folded Spill
	scratch_store_dwordx4 off, v[66:69], off offset:2004 ; 16-byte Folded Spill
	scratch_store_dwordx4 off, v[70:73], off offset:2020 ; 16-byte Folded Spill
	scratch_store_dwordx4 off, v[74:77], off offset:2036 ; 16-byte Folded Spill
	;; [unrolled: 9-line block ×4, first 2 shown]
	v_mov_b32_e32 v132, v166
	v_mov_b32_e32 v205, v45
	;; [unrolled: 1-line block ×8, first 2 shown]
	scratch_store_dwordx4 off, v[152:155], off offset:900 ; 16-byte Folded Spill
	s_nop 0
	scratch_store_dwordx4 off, v[156:159], off offset:916 ; 16-byte Folded Spill
	scratch_store_dwordx4 off, v[160:163], off offset:932 ; 16-byte Folded Spill
	;; [unrolled: 1-line block ×7, first 2 shown]
	v_mov_b32_e32 v148, v230
	v_mov_b32_e32 v87, v231
	scratch_store_dwordx4 off, v[182:185], off offset:388 ; 16-byte Folded Spill
	s_nop 0
	scratch_store_dwordx4 off, v[186:189], off offset:404 ; 16-byte Folded Spill
	scratch_store_dwordx4 off, v[190:193], off offset:420 ; 16-byte Folded Spill
	;; [unrolled: 1-line block ×8, first 2 shown]
	s_nop 0
	scratch_store_dwordx4 off, v[92:95], off offset:276 ; 16-byte Folded Spill
	scratch_store_dwordx4 off, v[96:99], off offset:292 ; 16-byte Folded Spill
	;; [unrolled: 1-line block ×7, first 2 shown]
	v_mov_b32_e32 v133, v167
	v_mov_b32_e32 v85, v201
	v_mov_b32_e32 v141, v109
	scratch_store_dwordx4 off, v[120:123], off offset:132 ; 16-byte Folded Spill
	s_nop 0
	scratch_store_dwordx4 off, v[124:127], off offset:148 ; 16-byte Folded Spill
	scratch_store_dwordx4 off, v[128:131], off offset:164 ; 16-byte Folded Spill
	;; [unrolled: 1-line block ×7, first 2 shown]
.LBB47_23:
	s_or_b64 exec, exec, s[2:3]
	v_cmp_eq_u32_e32 vcc, 4, v205
	s_waitcnt lgkmcnt(0)
	s_barrier
	s_and_saveexec_b64 s[2:3], vcc
	s_cbranch_execz .LBB47_26
; %bb.24:
	ds_write_b32 v253, v138
	scratch_load_dwordx4 v[0:3], off, off offset:4 ; 16-byte Folded Reload
	scratch_load_dwordx4 v[4:7], off, off offset:20 ; 16-byte Folded Reload
	scratch_load_dwordx4 v[8:11], off, off offset:36 ; 16-byte Folded Reload
	scratch_load_dwordx4 v[12:15], off, off offset:52 ; 16-byte Folded Reload
	scratch_load_dwordx4 v[16:19], off, off offset:68 ; 16-byte Folded Reload
	scratch_load_dwordx4 v[20:23], off, off offset:84 ; 16-byte Folded Reload
	scratch_load_dwordx4 v[24:27], off, off offset:100 ; 16-byte Folded Reload
	scratch_load_dwordx4 v[28:31], off, off offset:116 ; 16-byte Folded Reload
	s_waitcnt vmcnt(6)
	ds_write2_b32 v252, v5, v6 offset0:5 offset1:6
	s_waitcnt vmcnt(5)
	ds_write2_b32 v252, v7, v8 offset0:7 offset1:8
	ds_write2_b32 v252, v9, v10 offset0:9 offset1:10
	s_waitcnt vmcnt(4)
	ds_write2_b32 v252, v11, v12 offset0:11 offset1:12
	;; [unrolled: 3-line block ×4, first 2 shown]
	ds_write2_b32 v252, v21, v22 offset0:21 offset1:22
	ds_write_b32 v252, v255 offset:92
	ds_read_b32 v44, v253
	s_waitcnt lgkmcnt(0)
	v_cmp_neq_f32_e32 vcc, 0, v44
	s_and_b64 exec, exec, vcc
	s_cbranch_execz .LBB47_26
; %bb.25:
	v_div_scale_f32 v45, s[4:5], v44, v44, 1.0
	v_rcp_f32_e32 v46, v45
	v_div_scale_f32 v47, vcc, 1.0, v44, 1.0
	v_fma_f32 v48, -v45, v46, 1.0
	v_fmac_f32_e32 v46, v48, v46
	v_mul_f32_e32 v48, v47, v46
	v_fma_f32 v49, -v45, v48, v47
	v_fmac_f32_e32 v48, v49, v46
	v_fma_f32 v45, -v45, v48, v47
	v_div_fmas_f32 v45, v45, v46, v48
	v_div_fixup_f32 v44, v45, v44, 1.0
	ds_write_b32 v253, v44
.LBB47_26:
	s_or_b64 exec, exec, s[2:3]
	s_waitcnt lgkmcnt(0)
	s_barrier
	ds_read_b32 v112, v253
	v_cmp_lt_u32_e32 vcc, 4, v205
	s_and_saveexec_b64 s[2:3], vcc
	s_cbranch_execz .LBB47_28
; %bb.27:
	scratch_load_dwordx4 v[24:27], off, off offset:3076 ; 16-byte Folded Reload
	scratch_load_dwordx4 v[28:31], off, off offset:3092 ; 16-byte Folded Reload
	;; [unrolled: 1-line block ×8, first 2 shown]
	ds_read2_b32 v[0:1], v252 offset0:5 offset1:6
	s_waitcnt lgkmcnt(1)
	v_mul_f32_e32 v88, v138, v112
	v_mov_b32_e32 v60, v88
	v_mov_b32_e32 v218, v88
	s_waitcnt vmcnt(7)
	v_mov_b64_e32 v[86:87], v[26:27]
	v_mov_b64_e32 v[84:85], v[24:25]
	scratch_load_dwordx4 v[2:5], off, off offset:4 ; 16-byte Folded Reload
	scratch_load_dwordx4 v[6:9], off, off offset:20 ; 16-byte Folded Reload
	;; [unrolled: 1-line block ×8, first 2 shown]
	v_mov_b32_e32 v56, v84
	v_mov_b32_e32 v57, v85
	;; [unrolled: 1-line block ×8, first 2 shown]
	s_waitcnt vmcnt(2)
	v_mov_b32_e32 v5, v7
	v_mov_b32_e32 v6, v8
	v_mov_b32_e32 v7, v9
	v_mov_b32_e32 v8, v10
	v_mov_b32_e32 v9, v11
	v_mov_b32_e32 v10, v12
	v_mov_b32_e32 v11, v13
	v_mov_b32_e32 v12, v14
	v_mov_b32_e32 v13, v15
	v_mov_b32_e32 v14, v16
	v_mov_b32_e32 v15, v17
	v_mov_b32_e32 v16, v18
	v_mov_b32_e32 v17, v19
	v_mov_b32_e32 v18, v20
	v_mov_b32_e32 v19, v21
	v_mov_b32_e32 v20, v22
	v_mov_b32_e32 v21, v23
	v_mov_b32_e32 v22, v24
	v_mov_b32_e32 v2, v5
	ds_read2_b32 v[4:5], v252 offset0:7 offset1:8
	ds_read2_b32 v[24:25], v252 offset0:9 offset1:10
	s_waitcnt vmcnt(1)
	ds_read2_b32 v[26:27], v252 offset0:11 offset1:12
	v_mov_b32_e32 v3, v6
	s_waitcnt lgkmcnt(3)
	v_pk_fma_f32 v[44:45], v[88:89], v[0:1], v[2:3] op_sel_hi:[0,1,1] neg_lo:[1,0,0] neg_hi:[1,0,0]
	v_mov_b32_e32 v0, v7
	v_mov_b32_e32 v1, v8
	s_waitcnt lgkmcnt(2)
	v_pk_fma_f32 v[46:47], v[88:89], v[4:5], v[0:1] op_sel_hi:[0,1,1] neg_lo:[1,0,0] neg_hi:[1,0,0]
	v_mov_b32_e32 v0, v9
	;; [unrolled: 4-line block ×3, first 2 shown]
	v_mov_b32_e32 v1, v12
	s_waitcnt lgkmcnt(0)
	v_pk_fma_f32 v[50:51], v[88:89], v[26:27], v[0:1] op_sel_hi:[0,1,1] neg_lo:[1,0,0] neg_hi:[1,0,0]
	ds_read2_b32 v[0:1], v252 offset0:13 offset1:14
	ds_read2_b32 v[4:5], v252 offset0:15 offset1:16
	;; [unrolled: 1-line block ×4, first 2 shown]
	v_mov_b32_e32 v2, v13
	v_mov_b32_e32 v3, v14
	;; [unrolled: 1-line block ×3, first 2 shown]
	s_waitcnt lgkmcnt(3)
	v_pk_fma_f32 v[52:53], v[88:89], v[0:1], v[2:3] op_sel_hi:[0,1,1] neg_lo:[1,0,0] neg_hi:[1,0,0]
	v_mov_b32_e32 v0, v15
	v_mov_b32_e32 v1, v16
	s_waitcnt lgkmcnt(2)
	v_pk_fma_f32 v[54:55], v[88:89], v[4:5], v[0:1] op_sel_hi:[0,1,1] neg_lo:[1,0,0] neg_hi:[1,0,0]
	v_mov_b32_e32 v0, v17
	v_mov_b32_e32 v1, v18
	;; [unrolled: 4-line block ×4, first 2 shown]
	v_mov_b32_e32 v8, v86
	v_mov_b32_e32 v9, v87
	;; [unrolled: 1-line block ×4, first 2 shown]
	ds_read2_b32 v[2:3], v252 offset0:21 offset1:22
	ds_read_b32 v4, v252 offset:92
	v_mov_b32_e32 v0, v21
	v_mov_b32_e32 v1, v22
	scratch_store_dwordx4 off, v[6:9], off offset:2308 ; 16-byte Folded Spill
	s_nop 0
	scratch_store_dwordx4 off, v[10:13], off offset:2324 ; 16-byte Folded Spill
	scratch_store_dwordx4 off, v[14:17], off offset:2340 ; 16-byte Folded Spill
	;; [unrolled: 1-line block ×5, first 2 shown]
	s_waitcnt vmcnt(6)
	scratch_store_dwordx4 off, v[30:33], off offset:2404 ; 16-byte Folded Spill
	scratch_store_dwordx4 off, v[34:37], off offset:2420 ; 16-byte Folded Spill
	v_mov_b32_e32 v13, v46
	s_waitcnt lgkmcnt(1)
	v_pk_fma_f32 v[82:83], v[88:89], v[2:3], v[0:1] op_sel_hi:[0,1,1] neg_lo:[1,0,0] neg_hi:[1,0,0]
	v_mov_b32_e32 v61, v44
	v_mov_b32_e32 v62, v45
	;; [unrolled: 1-line block ×29, first 2 shown]
	scratch_store_dwordx4 off, v[6:9], off offset:2052 ; 16-byte Folded Spill
	s_nop 0
	scratch_store_dwordx4 off, v[10:13], off offset:2068 ; 16-byte Folded Spill
	scratch_store_dwordx4 off, v[14:17], off offset:2084 ; 16-byte Folded Spill
	;; [unrolled: 1-line block ×7, first 2 shown]
	v_mov_b32_e32 v14, v47
	v_mov_b32_e32 v230, v55
	;; [unrolled: 1-line block ×9, first 2 shown]
	scratch_store_dwordx4 off, v[6:9], off offset:1924 ; 16-byte Folded Spill
	s_nop 0
	scratch_store_dwordx4 off, v[10:13], off offset:1940 ; 16-byte Folded Spill
	scratch_store_dwordx4 off, v[14:17], off offset:1956 ; 16-byte Folded Spill
	scratch_store_dwordx4 off, v[18:21], off offset:1972 ; 16-byte Folded Spill
	scratch_store_dwordx4 off, v[22:25], off offset:1988 ; 16-byte Folded Spill
	scratch_store_dwordx4 off, v[26:29], off offset:2004 ; 16-byte Folded Spill
	scratch_store_dwordx4 off, v[30:33], off offset:2020 ; 16-byte Folded Spill
	scratch_store_dwordx4 off, v[34:37], off offset:2036 ; 16-byte Folded Spill
	v_mov_b32_e32 v15, v48
	scratch_store_dwordx4 off, v[6:9], off offset:1668 ; 16-byte Folded Spill
	s_nop 0
	scratch_store_dwordx4 off, v[10:13], off offset:1684 ; 16-byte Folded Spill
	scratch_store_dwordx4 off, v[14:17], off offset:1700 ; 16-byte Folded Spill
	scratch_store_dwordx4 off, v[18:21], off offset:1716 ; 16-byte Folded Spill
	scratch_store_dwordx4 off, v[22:25], off offset:1732 ; 16-byte Folded Spill
	scratch_store_dwordx4 off, v[26:29], off offset:1748 ; 16-byte Folded Spill
	scratch_store_dwordx4 off, v[30:33], off offset:1764 ; 16-byte Folded Spill
	scratch_store_dwordx4 off, v[34:37], off offset:1780 ; 16-byte Folded Spill
	v_mov_b32_e32 v16, v49
	;; [unrolled: 10-line block ×8, first 2 shown]
	v_mov_b32_e32 v23, v78
	scratch_store_dwordx4 off, v[6:9], off offset:644 ; 16-byte Folded Spill
	s_nop 0
	scratch_store_dwordx4 off, v[10:13], off offset:660 ; 16-byte Folded Spill
	scratch_store_dwordx4 off, v[14:17], off offset:676 ; 16-byte Folded Spill
	;; [unrolled: 1-line block ×7, first 2 shown]
	v_mov_b32_e32 v21, v54
	v_mov_b32_e32 v24, v79
	scratch_store_dwordx4 off, v[6:9], off offset:388 ; 16-byte Folded Spill
	s_nop 0
	scratch_store_dwordx4 off, v[10:13], off offset:404 ; 16-byte Folded Spill
	scratch_store_dwordx4 off, v[14:17], off offset:420 ; 16-byte Folded Spill
	;; [unrolled: 1-line block ×7, first 2 shown]
	v_mov_b32_e32 v25, v80
	scratch_store_dwordx4 off, v[6:9], off offset:516 ; 16-byte Folded Spill
	s_nop 0
	scratch_store_dwordx4 off, v[10:13], off offset:532 ; 16-byte Folded Spill
	scratch_store_dwordx4 off, v[14:17], off offset:548 ; 16-byte Folded Spill
	;; [unrolled: 1-line block ×8, first 2 shown]
	s_nop 0
	scratch_store_dwordx4 off, v[60:63], off offset:276 ; 16-byte Folded Spill
	scratch_store_dwordx4 off, v[64:67], off offset:292 ; 16-byte Folded Spill
	;; [unrolled: 1-line block ×7, first 2 shown]
	s_waitcnt lgkmcnt(0)
	v_fma_f32 v23, -v88, v4, v255
	v_mov_b32_e32 v4, v88
	v_mov_b32_e32 v14, v53
	;; [unrolled: 1-line block ×22, first 2 shown]
	scratch_store_dwordx4 off, v[84:87], off offset:2436 ; 16-byte Folded Spill
	s_nop 0
	scratch_store_dwordx4 off, v[88:91], off offset:2452 ; 16-byte Folded Spill
	scratch_store_dwordx4 off, v[92:95], off offset:2468 ; 16-byte Folded Spill
	;; [unrolled: 1-line block ×8, first 2 shown]
	s_nop 0
	scratch_store_dwordx4 off, v[88:91], off offset:2964 ; 16-byte Folded Spill
	scratch_store_dwordx4 off, v[92:95], off offset:2980 ; 16-byte Folded Spill
	;; [unrolled: 1-line block ×7, first 2 shown]
	v_mov_b32_e32 v22, v83
	v_mov_b32_e32 v17, v78
	v_mov_b32_e32 v18, v79
	v_mov_b32_e32 v19, v80
	v_mov_b32_e32 v20, v81
	v_mov_b32_e32 v21, v82
	v_mov_b64_e32 v[98:99], v[14:15]
	v_mov_b64_e32 v[106:107], v[22:23]
	;; [unrolled: 1-line block ×12, first 2 shown]
	v_mov_b32_e32 v77, v82
	v_mov_b32_e32 v254, v83
	;; [unrolled: 1-line block ×4, first 2 shown]
	scratch_store_dwordx4 off, v[84:87], off offset:4 ; 16-byte Folded Spill
	s_nop 0
	scratch_store_dwordx4 off, v[88:91], off offset:20 ; 16-byte Folded Spill
	scratch_store_dwordx4 off, v[92:95], off offset:36 ; 16-byte Folded Spill
	;; [unrolled: 1-line block ×7, first 2 shown]
	v_mov_b32_e32 v87, v78
	v_mov_b32_e32 v85, v80
	;; [unrolled: 1-line block ×3, first 2 shown]
	scratch_store_dwordx4 off, v[24:27], off offset:132 ; 16-byte Folded Spill
	s_nop 0
	scratch_store_dwordx4 off, v[28:31], off offset:148 ; 16-byte Folded Spill
	scratch_store_dwordx4 off, v[32:35], off offset:164 ; 16-byte Folded Spill
	;; [unrolled: 1-line block ×7, first 2 shown]
.LBB47_28:
	s_or_b64 exec, exec, s[2:3]
	v_cmp_eq_u32_e32 vcc, 5, v205
	s_waitcnt lgkmcnt(0)
	s_barrier
	s_and_saveexec_b64 s[2:3], vcc
	s_cbranch_execz .LBB47_31
; %bb.29:
	ds_write_b32 v253, v37
	scratch_load_dwordx4 v[152:155], off, off offset:4 ; 16-byte Folded Reload
	scratch_load_dwordx4 v[156:159], off, off offset:20 ; 16-byte Folded Reload
	;; [unrolled: 1-line block ×8, first 2 shown]
	s_waitcnt vmcnt(4)
	v_mov_b64_e32 v[0:1], v[152:153]
	v_mov_b64_e32 v[6:7], v[158:159]
	;; [unrolled: 1-line block ×3, first 2 shown]
	s_waitcnt vmcnt(2)
	v_mov_b64_e32 v[16:17], v[168:169]
	v_mov_b64_e32 v[10:11], v[162:163]
	;; [unrolled: 1-line block ×7, first 2 shown]
	ds_write2_b64 v252, v[6:7], v[8:9] offset0:3 offset1:4
	ds_write2_b64 v252, v[10:11], v[12:13] offset0:5 offset1:6
	;; [unrolled: 1-line block ×4, first 2 shown]
	ds_write_b64 v252, v[22:23] offset:88
	ds_read_b32 v44, v253
	v_mov_b64_e32 v[2:3], v[154:155]
	v_mov_b64_e32 v[4:5], v[156:157]
	s_waitcnt lgkmcnt(0)
	v_cmp_neq_f32_e32 vcc, 0, v44
	s_and_b64 exec, exec, vcc
	s_cbranch_execz .LBB47_31
; %bb.30:
	v_div_scale_f32 v45, s[4:5], v44, v44, 1.0
	v_rcp_f32_e32 v46, v45
	v_div_scale_f32 v47, vcc, 1.0, v44, 1.0
	v_fma_f32 v48, -v45, v46, 1.0
	v_fmac_f32_e32 v46, v48, v46
	v_mul_f32_e32 v48, v47, v46
	v_fma_f32 v49, -v45, v48, v47
	v_fmac_f32_e32 v48, v49, v46
	v_fma_f32 v45, -v45, v48, v47
	v_div_fmas_f32 v45, v45, v46, v48
	v_div_fixup_f32 v44, v45, v44, 1.0
	ds_write_b32 v253, v44
.LBB47_31:
	s_or_b64 exec, exec, s[2:3]
	s_waitcnt lgkmcnt(0)
	s_barrier
	ds_read_b32 v113, v253
	v_cmp_lt_u32_e32 vcc, 5, v205
	s_and_saveexec_b64 s[2:3], vcc
	s_cbranch_execz .LBB47_33
; %bb.32:
	ds_read2_b64 v[2:5], v252 offset0:3 offset1:4
	s_waitcnt vmcnt(1)
	ds_read2_b64 v[24:27], v252 offset0:5 offset1:6
	s_waitcnt vmcnt(0)
	ds_read_b64 v[28:29], v252 offset:88
	s_waitcnt lgkmcnt(3)
	v_mul_f32_e32 v0, v37, v113
	scratch_load_dwordx4 v[30:33], off, off offset:4 ; 16-byte Folded Reload
	scratch_load_dwordx4 v[34:37], off, off offset:20 ; 16-byte Folded Reload
	;; [unrolled: 1-line block ×16, first 2 shown]
	s_waitcnt vmcnt(6)
	v_mov_b32_e32 v119, v0
	v_mov_b32_e32 v147, v0
	;; [unrolled: 1-line block ×9, first 2 shown]
	s_waitcnt vmcnt(0)
	v_mov_b32_e32 v142, v114
	v_mov_b32_e32 v143, v115
	;; [unrolled: 1-line block ×4, first 2 shown]
	v_mov_b64_e32 v[6:7], v[36:37]
	v_mov_b64_e32 v[8:9], v[38:39]
	;; [unrolled: 1-line block ×3, first 2 shown]
	s_waitcnt lgkmcnt(2)
	v_pk_fma_f32 v[148:149], v[0:1], v[2:3], v[6:7] op_sel_hi:[0,1,1] neg_lo:[1,0,0] neg_hi:[1,0,0]
	v_mov_b64_e32 v[10:11], v[40:41]
	v_mov_b64_e32 v[12:13], v[42:43]
	;; [unrolled: 1-line block ×6, first 2 shown]
	v_pk_fma_f32 v[86:87], v[0:1], v[4:5], v[8:9] op_sel_hi:[0,1,1] neg_lo:[1,0,0] neg_hi:[1,0,0]
	s_waitcnt lgkmcnt(0)
	v_pk_fma_f32 v[22:23], v[0:1], v[28:29], v[22:23] op_sel_hi:[0,1,1] neg_lo:[1,0,0] neg_hi:[1,0,0]
	v_mov_b32_e32 v2, v114
	v_mov_b32_e32 v3, v115
	;; [unrolled: 1-line block ×8, first 2 shown]
	v_pk_fma_f32 v[54:55], v[0:1], v[24:25], v[10:11] op_sel_hi:[0,1,1] neg_lo:[1,0,0] neg_hi:[1,0,0]
	scratch_store_dwordx4 off, v[2:5], off offset:2052 ; 16-byte Folded Spill
	s_nop 0
	scratch_store_dwordx4 off, v[6:9], off offset:2068 ; 16-byte Folded Spill
	scratch_store_dwordx4 off, v[10:13], off offset:2084 ; 16-byte Folded Spill
	;; [unrolled: 1-line block ×7, first 2 shown]
	v_mov_b32_e32 v6, v118
	v_mov_b32_e32 v7, v0
	;; [unrolled: 1-line block ×52, first 2 shown]
	scratch_store_dwordx4 off, v[2:5], off offset:1668 ; 16-byte Folded Spill
	s_nop 0
	scratch_store_dwordx4 off, v[6:9], off offset:1684 ; 16-byte Folded Spill
	scratch_store_dwordx4 off, v[10:13], off offset:1700 ; 16-byte Folded Spill
	;; [unrolled: 1-line block ×7, first 2 shown]
	s_nop 0
	v_mov_b32_e32 v28, v114
	v_mov_b32_e32 v29, v115
	;; [unrolled: 1-line block ×6, first 2 shown]
	scratch_store_dwordx4 off, v[28:31], off offset:1412 ; 16-byte Folded Spill
	s_nop 0
	scratch_store_dwordx4 off, v[32:35], off offset:1428 ; 16-byte Folded Spill
	scratch_store_dwordx4 off, v[36:39], off offset:1444 ; 16-byte Folded Spill
	;; [unrolled: 1-line block ×7, first 2 shown]
	v_mov_b32_e32 v24, v114
	v_mov_b32_e32 v25, v115
	;; [unrolled: 1-line block ×39, first 2 shown]
	v_pk_fma_f32 v[180:181], v[0:1], v[26:27], v[12:13] op_sel_hi:[0,1,1] neg_lo:[1,0,0] neg_hi:[1,0,0]
	v_mov_b32_e32 v26, v116
	v_mov_b32_e32 v27, v117
	;; [unrolled: 1-line block ×10, first 2 shown]
	scratch_store_dwordx4 off, v[24:27], off offset:1028 ; 16-byte Folded Spill
	s_nop 0
	scratch_store_dwordx4 off, v[28:31], off offset:1044 ; 16-byte Folded Spill
	scratch_store_dwordx4 off, v[32:35], off offset:1060 ; 16-byte Folded Spill
	;; [unrolled: 1-line block ×7, first 2 shown]
	ds_read2_b64 v[2:5], v252 offset0:7 offset1:8
	ds_read2_b64 v[6:9], v252 offset0:9 offset1:10
	v_mov_b32_e32 v164, v180
	v_mov_b32_e32 v165, v181
	;; [unrolled: 1-line block ×3, first 2 shown]
	s_waitcnt lgkmcnt(1)
	v_pk_fma_f32 v[166:167], v[0:1], v[2:3], v[14:15] op_sel_hi:[0,1,1] neg_lo:[1,0,0] neg_hi:[1,0,0]
	v_mov_b32_e32 v38, v166
	v_mov_b32_e32 v39, v167
	v_pk_fma_f32 v[230:231], v[0:1], v[4:5], v[16:17] op_sel_hi:[0,1,1] neg_lo:[1,0,0] neg_hi:[1,0,0]
	s_waitcnt lgkmcnt(0)
	v_pk_fma_f32 v[200:201], v[0:1], v[6:7], v[18:19] op_sel_hi:[0,1,1] neg_lo:[1,0,0] neg_hi:[1,0,0]
	v_pk_fma_f32 v[108:109], v[0:1], v[8:9], v[20:21] op_sel_hi:[0,1,1] neg_lo:[1,0,0] neg_hi:[1,0,0]
	v_mov_b32_e32 v5, v0
	v_mov_b32_e32 v0, v114
	;; [unrolled: 1-line block ×49, first 2 shown]
	scratch_store_dwordx4 off, v[24:27], off offset:772 ; 16-byte Folded Spill
	s_nop 0
	scratch_store_dwordx4 off, v[28:31], off offset:788 ; 16-byte Folded Spill
	scratch_store_dwordx4 off, v[32:35], off offset:804 ; 16-byte Folded Spill
	;; [unrolled: 1-line block ×7, first 2 shown]
	v_mov_b32_e32 v40, v230
	v_mov_b32_e32 v41, v231
	;; [unrolled: 1-line block ×4, first 2 shown]
	scratch_store_dwordx4 off, v[24:27], off offset:644 ; 16-byte Folded Spill
	s_nop 0
	scratch_store_dwordx4 off, v[28:31], off offset:660 ; 16-byte Folded Spill
	scratch_store_dwordx4 off, v[32:35], off offset:676 ; 16-byte Folded Spill
	;; [unrolled: 1-line block ×7, first 2 shown]
	v_mov_b32_e32 v42, v200
	v_mov_b32_e32 v43, v201
	;; [unrolled: 1-line block ×4, first 2 shown]
	scratch_store_dwordx4 off, v[24:27], off offset:516 ; 16-byte Folded Spill
	s_nop 0
	scratch_store_dwordx4 off, v[28:31], off offset:532 ; 16-byte Folded Spill
	scratch_store_dwordx4 off, v[32:35], off offset:548 ; 16-byte Folded Spill
	;; [unrolled: 1-line block ×8, first 2 shown]
	s_nop 0
	scratch_store_dwordx4 off, v[118:121], off offset:2452 ; 16-byte Folded Spill
	scratch_store_dwordx4 off, v[122:125], off offset:2468 ; 16-byte Folded Spill
	;; [unrolled: 1-line block ×7, first 2 shown]
	v_mov_b64_e32 v[136:137], v[22:23]
	v_mov_b64_e32 v[134:135], v[20:21]
	;; [unrolled: 1-line block ×4, first 2 shown]
	v_mov_b32_e32 v34, v86
	v_mov_b32_e32 v10, v54
	;; [unrolled: 1-line block ×3, first 2 shown]
	v_mov_b64_e32 v[128:129], v[14:15]
	v_mov_b64_e32 v[126:127], v[12:13]
	;; [unrolled: 1-line block ×8, first 2 shown]
	scratch_store_dwordx4 off, v[114:117], off offset:4 ; 16-byte Folded Spill
	s_nop 0
	scratch_store_dwordx4 off, v[118:121], off offset:20 ; 16-byte Folded Spill
	scratch_store_dwordx4 off, v[122:125], off offset:36 ; 16-byte Folded Spill
	scratch_store_dwordx4 off, v[126:129], off offset:52 ; 16-byte Folded Spill
	scratch_store_dwordx4 off, v[130:133], off offset:68 ; 16-byte Folded Spill
	scratch_store_dwordx4 off, v[134:137], off offset:84 ; 16-byte Folded Spill
	scratch_store_dwordx4 off, v[138:141], off offset:100 ; 16-byte Folded Spill
	scratch_store_dwordx4 off, v[142:145], off offset:116 ; 16-byte Folded Spill
	v_mov_b32_e32 v136, v148
	v_mov_b32_e32 v98, v54
	;; [unrolled: 1-line block ×7, first 2 shown]
	scratch_store_dwordx4 off, v[142:145], off offset:2308 ; 16-byte Folded Spill
	s_nop 0
	scratch_store_dwordx4 off, v[146:149], off offset:2324 ; 16-byte Folded Spill
	scratch_store_dwordx4 off, v[150:153], off offset:2340 ; 16-byte Folded Spill
	scratch_store_dwordx4 off, v[154:157], off offset:2356 ; 16-byte Folded Spill
	scratch_store_dwordx4 off, v[158:161], off offset:2372 ; 16-byte Folded Spill
	scratch_store_dwordx4 off, v[162:165], off offset:2388 ; 16-byte Folded Spill
	scratch_store_dwordx4 off, v[166:169], off offset:2404 ; 16-byte Folded Spill
	scratch_store_dwordx4 off, v[170:173], off offset:2420 ; 16-byte Folded Spill
	scratch_store_dwordx4 off, v[78:81], off offset:1924 ; 16-byte Folded Spill
	s_nop 0
	scratch_store_dwordx4 off, v[82:85], off offset:1940 ; 16-byte Folded Spill
	scratch_store_dwordx4 off, v[86:89], off offset:1956 ; 16-byte Folded Spill
	scratch_store_dwordx4 off, v[90:93], off offset:1972 ; 16-byte Folded Spill
	scratch_store_dwordx4 off, v[94:97], off offset:1988 ; 16-byte Folded Spill
	scratch_store_dwordx4 off, v[98:101], off offset:2004 ; 16-byte Folded Spill
	scratch_store_dwordx4 off, v[102:105], off offset:2020 ; 16-byte Folded Spill
	scratch_store_dwordx4 off, v[106:109], off offset:2036 ; 16-byte Folded Spill
	;; [unrolled: 9-line block ×3, first 2 shown]
	v_mov_b32_e32 v150, v180
	v_mov_b32_e32 v148, v230
	scratch_store_dwordx4 off, v[168:171], off offset:1284 ; 16-byte Folded Spill
	s_nop 0
	scratch_store_dwordx4 off, v[172:175], off offset:1300 ; 16-byte Folded Spill
	scratch_store_dwordx4 off, v[176:179], off offset:1316 ; 16-byte Folded Spill
	;; [unrolled: 1-line block ×7, first 2 shown]
	v_mov_b32_e32 v132, v166
	v_mov_b32_e32 v213, v55
	;; [unrolled: 1-line block ×6, first 2 shown]
	scratch_store_dwordx4 off, v[152:155], off offset:900 ; 16-byte Folded Spill
	s_nop 0
	scratch_store_dwordx4 off, v[156:159], off offset:916 ; 16-byte Folded Spill
	scratch_store_dwordx4 off, v[160:163], off offset:932 ; 16-byte Folded Spill
	scratch_store_dwordx4 off, v[164:167], off offset:948 ; 16-byte Folded Spill
	scratch_store_dwordx4 off, v[168:171], off offset:964 ; 16-byte Folded Spill
	scratch_store_dwordx4 off, v[172:175], off offset:980 ; 16-byte Folded Spill
	scratch_store_dwordx4 off, v[176:179], off offset:996 ; 16-byte Folded Spill
	scratch_store_dwordx4 off, v[180:183], off offset:1012 ; 16-byte Folded Spill
	scratch_store_dwordx4 off, v[182:185], off offset:388 ; 16-byte Folded Spill
	s_nop 0
	scratch_store_dwordx4 off, v[186:189], off offset:404 ; 16-byte Folded Spill
	scratch_store_dwordx4 off, v[190:193], off offset:420 ; 16-byte Folded Spill
	scratch_store_dwordx4 off, v[194:197], off offset:436 ; 16-byte Folded Spill
	scratch_store_dwordx4 off, v[198:201], off offset:452 ; 16-byte Folded Spill
	scratch_store_dwordx4 off, v[202:205], off offset:468 ; 16-byte Folded Spill
	scratch_store_dwordx4 off, v[206:209], off offset:484 ; 16-byte Folded Spill
	scratch_store_dwordx4 off, v[210:213], off offset:500 ; 16-byte Folded Spill
	scratch_store_dwordx4 off, v[88:91], off offset:260 ; 16-byte Folded Spill
	s_nop 0
	scratch_store_dwordx4 off, v[92:95], off offset:276 ; 16-byte Folded Spill
	scratch_store_dwordx4 off, v[96:99], off offset:292 ; 16-byte Folded Spill
	scratch_store_dwordx4 off, v[100:103], off offset:308 ; 16-byte Folded Spill
	scratch_store_dwordx4 off, v[104:107], off offset:324 ; 16-byte Folded Spill
	scratch_store_dwordx4 off, v[108:111], off offset:340 ; 16-byte Folded Spill
	scratch_store_dwordx4 off, v[112:115], off offset:356 ; 16-byte Folded Spill
	scratch_store_dwordx4 off, v[116:119], off offset:372 ; 16-byte Folded Spill
	v_mov_b32_e32 v133, v167
	v_mov_b32_e32 v85, v201
	;; [unrolled: 1-line block ×3, first 2 shown]
	scratch_store_dwordx4 off, v[120:123], off offset:132 ; 16-byte Folded Spill
	s_nop 0
	scratch_store_dwordx4 off, v[124:127], off offset:148 ; 16-byte Folded Spill
	scratch_store_dwordx4 off, v[128:131], off offset:164 ; 16-byte Folded Spill
	;; [unrolled: 1-line block ×7, first 2 shown]
.LBB47_33:
	s_or_b64 exec, exec, s[2:3]
	v_cmp_eq_u32_e32 vcc, 6, v205
	s_waitcnt lgkmcnt(0)
	s_barrier
	s_and_saveexec_b64 s[2:3], vcc
	s_cbranch_execz .LBB47_36
; %bb.34:
	ds_write_b32 v253, v136
	scratch_load_dwordx4 v[0:3], off, off offset:4 ; 16-byte Folded Reload
	scratch_load_dwordx4 v[4:7], off, off offset:20 ; 16-byte Folded Reload
	;; [unrolled: 1-line block ×8, first 2 shown]
	s_waitcnt vmcnt(5)
	ds_write2_b32 v252, v7, v8 offset0:7 offset1:8
	ds_write2_b32 v252, v9, v10 offset0:9 offset1:10
	s_waitcnt vmcnt(4)
	ds_write2_b32 v252, v11, v12 offset0:11 offset1:12
	ds_write2_b32 v252, v13, v14 offset0:13 offset1:14
	s_waitcnt vmcnt(3)
	ds_write2_b32 v252, v15, v16 offset0:15 offset1:16
	ds_write2_b32 v252, v17, v18 offset0:17 offset1:18
	s_waitcnt vmcnt(2)
	ds_write2_b32 v252, v19, v20 offset0:19 offset1:20
	ds_write2_b32 v252, v21, v22 offset0:21 offset1:22
	ds_write_b32 v252, v255 offset:92
	ds_read_b32 v44, v253
	s_waitcnt lgkmcnt(0)
	v_cmp_neq_f32_e32 vcc, 0, v44
	s_and_b64 exec, exec, vcc
	s_cbranch_execz .LBB47_36
; %bb.35:
	v_div_scale_f32 v45, s[4:5], v44, v44, 1.0
	v_rcp_f32_e32 v46, v45
	v_div_scale_f32 v47, vcc, 1.0, v44, 1.0
	v_fma_f32 v48, -v45, v46, 1.0
	v_fmac_f32_e32 v46, v48, v46
	v_mul_f32_e32 v48, v47, v46
	v_fma_f32 v49, -v45, v48, v47
	v_fmac_f32_e32 v48, v49, v46
	v_fma_f32 v45, -v45, v48, v47
	v_div_fmas_f32 v45, v45, v46, v48
	v_div_fixup_f32 v44, v45, v44, 1.0
	ds_write_b32 v253, v44
.LBB47_36:
	s_or_b64 exec, exec, s[2:3]
	s_waitcnt lgkmcnt(0)
	s_barrier
	ds_read_b32 v114, v253
	v_cmp_lt_u32_e32 vcc, 6, v205
	s_and_saveexec_b64 s[2:3], vcc
	s_cbranch_execz .LBB47_38
; %bb.37:
	scratch_load_dwordx4 v[24:27], off, off offset:2436 ; 16-byte Folded Reload
	scratch_load_dwordx4 v[28:31], off, off offset:2452 ; 16-byte Folded Reload
	;; [unrolled: 1-line block ×8, first 2 shown]
	ds_read2_b32 v[0:1], v252 offset0:7 offset1:8
	s_waitcnt lgkmcnt(1)
	v_mul_f32_e32 v88, v136, v114
	v_mov_b32_e32 v220, v88
	v_mov_b32_e32 v62, v88
	s_waitcnt vmcnt(6)
	v_mov_b64_e32 v[86:87], v[28:29]
	v_mov_b64_e32 v[84:85], v[26:27]
	;; [unrolled: 1-line block ×3, first 2 shown]
	scratch_load_dwordx4 v[2:5], off, off offset:4 ; 16-byte Folded Reload
	scratch_load_dwordx4 v[6:9], off, off offset:20 ; 16-byte Folded Reload
	;; [unrolled: 1-line block ×8, first 2 shown]
	v_mov_b32_e32 v214, v82
	v_mov_b32_e32 v215, v83
	;; [unrolled: 1-line block ×12, first 2 shown]
	s_waitcnt vmcnt(2)
	v_mov_b32_e32 v7, v9
	v_mov_b32_e32 v8, v10
	;; [unrolled: 1-line block ×17, first 2 shown]
	ds_read2_b32 v[4:5], v252 offset0:9 offset1:10
	ds_read2_b32 v[6:7], v252 offset0:11 offset1:12
	;; [unrolled: 1-line block ×3, first 2 shown]
	v_mov_b32_e32 v3, v8
	s_waitcnt lgkmcnt(3)
	v_pk_fma_f32 v[44:45], v[88:89], v[0:1], v[2:3] op_sel_hi:[0,1,1] neg_lo:[1,0,0] neg_hi:[1,0,0]
	v_mov_b32_e32 v0, v9
	v_mov_b32_e32 v1, v10
	s_waitcnt lgkmcnt(2)
	v_pk_fma_f32 v[46:47], v[88:89], v[4:5], v[0:1] op_sel_hi:[0,1,1] neg_lo:[1,0,0] neg_hi:[1,0,0]
	v_mov_b32_e32 v0, v11
	;; [unrolled: 4-line block ×3, first 2 shown]
	v_mov_b32_e32 v1, v14
	s_waitcnt lgkmcnt(0)
	v_pk_fma_f32 v[50:51], v[88:89], v[24:25], v[0:1] op_sel_hi:[0,1,1] neg_lo:[1,0,0] neg_hi:[1,0,0]
	ds_read2_b32 v[0:1], v252 offset0:15 offset1:16
	ds_read2_b32 v[4:5], v252 offset0:17 offset1:18
	;; [unrolled: 1-line block ×4, first 2 shown]
	v_mov_b32_e32 v2, v15
	v_mov_b32_e32 v3, v16
	v_mov_b32_e32 v221, v44
	s_waitcnt lgkmcnt(3)
	v_pk_fma_f32 v[52:53], v[88:89], v[0:1], v[2:3] op_sel_hi:[0,1,1] neg_lo:[1,0,0] neg_hi:[1,0,0]
	v_mov_b32_e32 v0, v17
	v_mov_b32_e32 v1, v18
	s_waitcnt lgkmcnt(2)
	v_pk_fma_f32 v[54:55], v[88:89], v[4:5], v[0:1] op_sel_hi:[0,1,1] neg_lo:[1,0,0] neg_hi:[1,0,0]
	v_mov_b32_e32 v0, v19
	v_mov_b32_e32 v1, v20
	;; [unrolled: 4-line block ×4, first 2 shown]
	v_mov_b32_e32 v2, v84
	v_mov_b32_e32 v3, v85
	;; [unrolled: 1-line block ×7, first 2 shown]
	scratch_store_dwordx4 off, v[0:3], off offset:1924 ; 16-byte Folded Spill
	s_nop 0
	scratch_store_dwordx4 off, v[4:7], off offset:1940 ; 16-byte Folded Spill
	scratch_store_dwordx4 off, v[8:11], off offset:1956 ; 16-byte Folded Spill
	;; [unrolled: 1-line block ×5, first 2 shown]
	s_waitcnt vmcnt(7)
	scratch_store_dwordx4 off, v[24:27], off offset:2020 ; 16-byte Folded Spill
	s_waitcnt vmcnt(7)
	scratch_store_dwordx4 off, v[28:31], off offset:2036 ; 16-byte Folded Spill
	v_mov_b32_e32 v9, v46
	v_mov_b32_e32 v89, v44
	;; [unrolled: 1-line block ×32, first 2 shown]
	scratch_store_dwordx4 off, v[0:3], off offset:1668 ; 16-byte Folded Spill
	s_nop 0
	scratch_store_dwordx4 off, v[4:7], off offset:1684 ; 16-byte Folded Spill
	scratch_store_dwordx4 off, v[8:11], off offset:1700 ; 16-byte Folded Spill
	;; [unrolled: 1-line block ×7, first 2 shown]
	v_mov_b32_e32 v10, v47
	v_mov_b32_e32 v150, v49
	;; [unrolled: 1-line block ×8, first 2 shown]
	scratch_store_dwordx4 off, v[0:3], off offset:1540 ; 16-byte Folded Spill
	s_nop 0
	scratch_store_dwordx4 off, v[4:7], off offset:1556 ; 16-byte Folded Spill
	scratch_store_dwordx4 off, v[8:11], off offset:1572 ; 16-byte Folded Spill
	scratch_store_dwordx4 off, v[12:15], off offset:1588 ; 16-byte Folded Spill
	scratch_store_dwordx4 off, v[16:19], off offset:1604 ; 16-byte Folded Spill
	scratch_store_dwordx4 off, v[20:23], off offset:1620 ; 16-byte Folded Spill
	scratch_store_dwordx4 off, v[24:27], off offset:1636 ; 16-byte Folded Spill
	scratch_store_dwordx4 off, v[28:31], off offset:1652 ; 16-byte Folded Spill
	v_mov_b32_e32 v11, v48
	scratch_store_dwordx4 off, v[0:3], off offset:1412 ; 16-byte Folded Spill
	s_nop 0
	scratch_store_dwordx4 off, v[4:7], off offset:1428 ; 16-byte Folded Spill
	scratch_store_dwordx4 off, v[8:11], off offset:1444 ; 16-byte Folded Spill
	scratch_store_dwordx4 off, v[12:15], off offset:1460 ; 16-byte Folded Spill
	scratch_store_dwordx4 off, v[16:19], off offset:1476 ; 16-byte Folded Spill
	scratch_store_dwordx4 off, v[20:23], off offset:1492 ; 16-byte Folded Spill
	scratch_store_dwordx4 off, v[24:27], off offset:1508 ; 16-byte Folded Spill
	scratch_store_dwordx4 off, v[28:31], off offset:1524 ; 16-byte Folded Spill
	v_mov_b32_e32 v12, v49
	;; [unrolled: 10-line block ×6, first 2 shown]
	v_mov_b32_e32 v17, v54
	scratch_store_dwordx4 off, v[0:3], off offset:644 ; 16-byte Folded Spill
	s_nop 0
	scratch_store_dwordx4 off, v[4:7], off offset:660 ; 16-byte Folded Spill
	scratch_store_dwordx4 off, v[8:11], off offset:676 ; 16-byte Folded Spill
	scratch_store_dwordx4 off, v[12:15], off offset:692 ; 16-byte Folded Spill
	scratch_store_dwordx4 off, v[16:19], off offset:708 ; 16-byte Folded Spill
	scratch_store_dwordx4 off, v[20:23], off offset:724 ; 16-byte Folded Spill
	scratch_store_dwordx4 off, v[24:27], off offset:740 ; 16-byte Folded Spill
	scratch_store_dwordx4 off, v[28:31], off offset:756 ; 16-byte Folded Spill
	v_mov_b32_e32 v18, v55
	scratch_store_dwordx4 off, v[0:3], off offset:388 ; 16-byte Folded Spill
	s_nop 0
	scratch_store_dwordx4 off, v[4:7], off offset:404 ; 16-byte Folded Spill
	scratch_store_dwordx4 off, v[8:11], off offset:420 ; 16-byte Folded Spill
	scratch_store_dwordx4 off, v[12:15], off offset:436 ; 16-byte Folded Spill
	scratch_store_dwordx4 off, v[16:19], off offset:452 ; 16-byte Folded Spill
	scratch_store_dwordx4 off, v[20:23], off offset:468 ; 16-byte Folded Spill
	scratch_store_dwordx4 off, v[24:27], off offset:484 ; 16-byte Folded Spill
	scratch_store_dwordx4 off, v[28:31], off offset:500 ; 16-byte Folded Spill
	;; [unrolled: 10-line block ×4, first 2 shown]
	ds_read_b32 v0, v252 offset:92
	v_mov_b32_e32 v22, v81
	v_mov_b32_e32 v21, v80
	s_waitcnt lgkmcnt(0)
	v_fma_f32 v23, -v88, v0, v255
	v_mov_b32_e32 v0, v82
	scratch_store_dwordx4 off, v[82:85], off offset:2052 ; 16-byte Folded Spill
	s_nop 0
	scratch_store_dwordx4 off, v[86:89], off offset:2068 ; 16-byte Folded Spill
	scratch_store_dwordx4 off, v[90:93], off offset:2084 ; 16-byte Folded Spill
	;; [unrolled: 1-line block ×8, first 2 shown]
	s_nop 0
	scratch_store_dwordx4 off, v[86:89], off offset:2324 ; 16-byte Folded Spill
	scratch_store_dwordx4 off, v[90:93], off offset:2340 ; 16-byte Folded Spill
	;; [unrolled: 1-line block ×7, first 2 shown]
	v_mov_b32_e32 v255, v23
	v_mov_b64_e32 v[96:97], v[14:15]
	v_mov_b64_e32 v[104:105], v[22:23]
	v_mov_b64_e32 v[94:95], v[12:13]
	v_mov_b64_e32 v[92:93], v[10:11]
	v_mov_b64_e32 v[90:91], v[8:9]
	v_mov_b64_e32 v[88:89], v[6:7]
	v_mov_b64_e32 v[86:87], v[4:5]
	v_mov_b64_e32 v[84:85], v[2:3]
	v_mov_b64_e32 v[82:83], v[0:1]
	v_mov_b64_e32 v[102:103], v[20:21]
	v_mov_b64_e32 v[100:101], v[18:19]
	v_mov_b64_e32 v[98:99], v[16:17]
	scratch_store_dwordx4 off, v[82:85], off offset:4 ; 16-byte Folded Spill
	s_nop 0
	scratch_store_dwordx4 off, v[86:89], off offset:20 ; 16-byte Folded Spill
	scratch_store_dwordx4 off, v[90:93], off offset:36 ; 16-byte Folded Spill
	;; [unrolled: 1-line block ×7, first 2 shown]
	v_mov_b32_e32 v87, v54
	v_mov_b32_e32 v85, v78
	;; [unrolled: 1-line block ×3, first 2 shown]
	scratch_store_dwordx4 off, v[24:27], off offset:132 ; 16-byte Folded Spill
	s_nop 0
	scratch_store_dwordx4 off, v[28:31], off offset:148 ; 16-byte Folded Spill
	scratch_store_dwordx4 off, v[32:35], off offset:164 ; 16-byte Folded Spill
	scratch_store_dwordx4 off, v[36:39], off offset:180 ; 16-byte Folded Spill
	scratch_store_dwordx4 off, v[40:43], off offset:196 ; 16-byte Folded Spill
	scratch_store_dwordx4 off, v[44:47], off offset:212 ; 16-byte Folded Spill
	scratch_store_dwordx4 off, v[48:51], off offset:228 ; 16-byte Folded Spill
	scratch_store_dwordx4 off, v[52:55], off offset:244 ; 16-byte Folded Spill
.LBB47_38:
	s_or_b64 exec, exec, s[2:3]
	v_cmp_eq_u32_e32 vcc, 7, v205
	s_waitcnt lgkmcnt(0)
	s_barrier
	s_and_saveexec_b64 s[2:3], vcc
	s_cbranch_execz .LBB47_41
; %bb.39:
	ds_write_b32 v253, v149
	scratch_load_dwordx4 v[152:155], off, off offset:4 ; 16-byte Folded Reload
	scratch_load_dwordx4 v[156:159], off, off offset:20 ; 16-byte Folded Reload
	;; [unrolled: 1-line block ×8, first 2 shown]
	s_waitcnt vmcnt(4)
	v_mov_b64_e32 v[0:1], v[152:153]
	v_mov_b64_e32 v[8:9], v[160:161]
	v_mov_b64_e32 v[10:11], v[162:163]
	s_waitcnt vmcnt(2)
	v_mov_b64_e32 v[16:17], v[168:169]
	v_mov_b64_e32 v[12:13], v[164:165]
	;; [unrolled: 1-line block ×6, first 2 shown]
	ds_write2_b64 v252, v[8:9], v[10:11] offset0:4 offset1:5
	ds_write2_b64 v252, v[12:13], v[14:15] offset0:6 offset1:7
	;; [unrolled: 1-line block ×4, first 2 shown]
	ds_read_b32 v44, v253
	v_mov_b64_e32 v[2:3], v[154:155]
	v_mov_b64_e32 v[4:5], v[156:157]
	;; [unrolled: 1-line block ×3, first 2 shown]
	s_waitcnt lgkmcnt(0)
	v_cmp_neq_f32_e32 vcc, 0, v44
	s_and_b64 exec, exec, vcc
	s_cbranch_execz .LBB47_41
; %bb.40:
	v_div_scale_f32 v45, s[4:5], v44, v44, 1.0
	v_rcp_f32_e32 v46, v45
	v_div_scale_f32 v47, vcc, 1.0, v44, 1.0
	v_fma_f32 v48, -v45, v46, 1.0
	v_fmac_f32_e32 v46, v48, v46
	v_mul_f32_e32 v48, v47, v46
	v_fma_f32 v49, -v45, v48, v47
	v_fmac_f32_e32 v48, v49, v46
	v_fma_f32 v45, -v45, v48, v47
	v_div_fmas_f32 v45, v45, v46, v48
	v_div_fixup_f32 v44, v45, v44, 1.0
	ds_write_b32 v253, v44
.LBB47_41:
	s_or_b64 exec, exec, s[2:3]
	s_waitcnt lgkmcnt(0)
	s_barrier
	ds_read_b32 v115, v253
	v_cmp_lt_u32_e32 vcc, 7, v205
	s_and_saveexec_b64 s[2:3], vcc
	s_cbranch_execz .LBB47_43
; %bb.42:
	s_waitcnt vmcnt(1)
	ds_read2_b64 v[24:27], v252 offset0:4 offset1:5
	s_waitcnt vmcnt(0)
	ds_read2_b64 v[28:31], v252 offset0:6 offset1:7
	ds_read2_b64 v[0:3], v252 offset0:10 offset1:11
	scratch_load_dwordx4 v[32:35], off, off offset:4 ; 16-byte Folded Reload
	scratch_load_dwordx4 v[36:39], off, off offset:20 ; 16-byte Folded Reload
	;; [unrolled: 1-line block ×8, first 2 shown]
	s_waitcnt lgkmcnt(3)
	v_mul_f32_e32 v4, v149, v115
	s_waitcnt vmcnt(6)
	v_mov_b32_e32 v39, v4
	v_mov_b32_e32 v85, v4
	;; [unrolled: 1-line block ×6, first 2 shown]
	s_waitcnt vmcnt(2)
	v_mov_b64_e32 v[8:9], v[40:41]
	s_waitcnt lgkmcnt(2)
	v_pk_fma_f32 v[86:87], v[4:5], v[24:25], v[8:9] op_sel_hi:[0,1,1] neg_lo:[1,0,0] neg_hi:[1,0,0]
	ds_read2_b64 v[6:9], v252 offset0:8 offset1:9
	scratch_load_dwordx4 v[142:145], off, off offset:2308 ; 16-byte Folded Reload
	scratch_load_dwordx4 v[146:149], off, off offset:2324 ; 16-byte Folded Reload
	;; [unrolled: 1-line block ×8, first 2 shown]
	v_mov_b64_e32 v[10:11], v[42:43]
	v_mov_b64_e32 v[12:13], v[44:45]
	;; [unrolled: 1-line block ×7, first 2 shown]
	v_pk_fma_f32 v[54:55], v[4:5], v[26:27], v[10:11] op_sel_hi:[0,1,1] neg_lo:[1,0,0] neg_hi:[1,0,0]
	v_mov_b32_e32 v40, v86
	v_mov_b32_e32 v41, v87
	s_waitcnt lgkmcnt(2)
	v_pk_fma_f32 v[180:181], v[4:5], v[28:29], v[12:13] op_sel_hi:[0,1,1] neg_lo:[1,0,0] neg_hi:[1,0,0]
	v_mov_b32_e32 v64, v86
	v_mov_b32_e32 v65, v87
	;; [unrolled: 1-line block ×6, first 2 shown]
	s_waitcnt vmcnt(1)
	v_pk_fma_f32 v[166:167], v[4:5], v[30:31], v[14:15] op_sel_hi:[0,1,1] neg_lo:[1,0,0] neg_hi:[1,0,0]
	v_mov_b32_e32 v31, v4
	s_waitcnt lgkmcnt(0)
	v_pk_fma_f32 v[230:231], v[4:5], v[6:7], v[16:17] op_sel_hi:[0,1,1] neg_lo:[1,0,0] neg_hi:[1,0,0]
	v_pk_fma_f32 v[106:107], v[4:5], v[8:9], v[18:19] op_sel_hi:[0,1,1] neg_lo:[1,0,0] neg_hi:[1,0,0]
	v_mov_b32_e32 v149, v4
	v_mov_b32_e32 v159, v4
	v_mov_b32_e32 v164, v180
	v_mov_b32_e32 v165, v181
	v_pk_fma_f32 v[22:23], v[4:5], v[2:3], v[22:23] op_sel_hi:[0,1,1] neg_lo:[1,0,0] neg_hi:[1,0,0]
	v_mov_b32_e32 v228, v166
	v_mov_b32_e32 v229, v167
	v_mov_b32_e32 v102, v166
	v_mov_b32_e32 v103, v167
	;; [unrolled: 5-line block ×3, first 2 shown]
	v_mov_b32_e32 v15, v167
	v_mov_b32_e32 v12, v180
	;; [unrolled: 1-line block ×9, first 2 shown]
	v_mov_b64_e32 v[138:139], v[22:23]
	v_mov_b32_e32 v100, v180
	v_mov_b32_e32 v101, v181
	;; [unrolled: 1-line block ×8, first 2 shown]
	v_mov_b64_e32 v[136:137], v[20:21]
	v_mov_b64_e32 v[134:135], v[18:19]
	;; [unrolled: 1-line block ×3, first 2 shown]
	v_mov_b32_e32 v226, v180
	v_mov_b32_e32 v227, v181
	;; [unrolled: 1-line block ×13, first 2 shown]
	scratch_store_dwordx4 off, v[32:35], off offset:1668 ; 16-byte Folded Spill
	s_nop 0
	scratch_store_dwordx4 off, v[36:39], off offset:1684 ; 16-byte Folded Spill
	scratch_store_dwordx4 off, v[40:43], off offset:1700 ; 16-byte Folded Spill
	;; [unrolled: 1-line block ×7, first 2 shown]
	v_mov_b32_e32 v44, v142
	v_mov_b32_e32 v45, v143
	v_mov_b32_e32 v46, v144
	v_mov_b32_e32 v47, v145
	v_mov_b32_e32 v48, v146
	v_mov_b32_e32 v49, v147
	v_mov_b32_e32 v50, v148
	v_mov_b32_e32 v51, v4
	v_mov_b32_e32 v52, v86
	v_mov_b32_e32 v53, v87
	v_mov_b32_e32 v78, v142
	v_mov_b32_e32 v79, v143
	v_mov_b32_e32 v80, v144
	v_mov_b32_e32 v81, v145
	v_mov_b32_e32 v82, v146
	v_mov_b32_e32 v83, v147
	v_mov_b32_e32 v84, v148
	v_mov_b32_e32 v24, v142
	v_mov_b32_e32 v25, v143
	v_mov_b32_e32 v26, v144
	v_mov_b32_e32 v27, v145
	v_mov_b32_e32 v28, v146
	v_mov_b32_e32 v29, v147
	v_mov_b32_e32 v30, v148
	v_mov_b32_e32 v168, v142
	v_mov_b32_e32 v169, v143
	s_waitcnt vmcnt(8)
	v_mov_b32_e32 v170, v144
	v_mov_b32_e32 v171, v145
	;; [unrolled: 1-line block ×41, first 2 shown]
	scratch_store_dwordx4 off, v[32:35], off offset:1412 ; 16-byte Folded Spill
	s_nop 0
	scratch_store_dwordx4 off, v[36:39], off offset:1428 ; 16-byte Folded Spill
	scratch_store_dwordx4 off, v[40:43], off offset:1444 ; 16-byte Folded Spill
	;; [unrolled: 1-line block ×7, first 2 shown]
	v_mov_b32_e32 v36, v180
	v_mov_b32_e32 v56, v142
	v_mov_b32_e32 v57, v143
	v_mov_b32_e32 v58, v144
	v_mov_b32_e32 v59, v145
	v_mov_b32_e32 v60, v146
	v_mov_b32_e32 v61, v147
	v_mov_b32_e32 v62, v148
	v_mov_b32_e32 v63, v4
	v_mov_b32_e32 v37, v181
	v_mov_b32_e32 v38, v166
	v_mov_b32_e32 v39, v167
	v_mov_b32_e32 v4, v146
	v_mov_b32_e32 v66, v54
	v_mov_b32_e32 v67, v55
	scratch_store_dwordx4 off, v[56:59], off offset:1028 ; 16-byte Folded Spill
	s_nop 0
	scratch_store_dwordx4 off, v[60:63], off offset:1044 ; 16-byte Folded Spill
	scratch_store_dwordx4 off, v[64:67], off offset:1060 ; 16-byte Folded Spill
	;; [unrolled: 1-line block ×7, first 2 shown]
	v_mov_b32_e32 v34, v54
	v_mov_b32_e32 v35, v55
	;; [unrolled: 1-line block ×16, first 2 shown]
	scratch_store_dwordx4 off, v[24:27], off offset:772 ; 16-byte Folded Spill
	s_nop 0
	scratch_store_dwordx4 off, v[28:31], off offset:788 ; 16-byte Folded Spill
	scratch_store_dwordx4 off, v[32:35], off offset:804 ; 16-byte Folded Spill
	;; [unrolled: 1-line block ×7, first 2 shown]
	v_mov_b32_e32 v40, v230
	v_mov_b32_e32 v41, v231
	;; [unrolled: 1-line block ×14, first 2 shown]
	scratch_store_dwordx4 off, v[24:27], off offset:644 ; 16-byte Folded Spill
	s_nop 0
	scratch_store_dwordx4 off, v[28:31], off offset:660 ; 16-byte Folded Spill
	scratch_store_dwordx4 off, v[32:35], off offset:676 ; 16-byte Folded Spill
	;; [unrolled: 1-line block ×7, first 2 shown]
	v_mov_b32_e32 v42, v106
	v_mov_b32_e32 v43, v107
	;; [unrolled: 1-line block ×4, first 2 shown]
	scratch_store_dwordx4 off, v[24:27], off offset:516 ; 16-byte Folded Spill
	s_nop 0
	scratch_store_dwordx4 off, v[28:31], off offset:532 ; 16-byte Folded Spill
	scratch_store_dwordx4 off, v[32:35], off offset:548 ; 16-byte Folded Spill
	;; [unrolled: 1-line block ×8, first 2 shown]
	s_nop 0
	scratch_store_dwordx4 off, v[146:149], off offset:2068 ; 16-byte Folded Spill
	scratch_store_dwordx4 off, v[150:153], off offset:2084 ; 16-byte Folded Spill
	;; [unrolled: 1-line block ×7, first 2 shown]
	v_mov_b32_e32 v34, v86
	v_mov_b32_e32 v150, v180
	;; [unrolled: 1-line block ×5, first 2 shown]
	v_mov_b64_e32 v[130:131], v[14:15]
	v_mov_b32_e32 v192, v54
	v_mov_b32_e32 v193, v55
	v_mov_b64_e32 v[128:129], v[12:13]
	v_mov_b64_e32 v[126:127], v[10:11]
	;; [unrolled: 1-line block ×7, first 2 shown]
	scratch_store_dwordx4 off, v[116:119], off offset:4 ; 16-byte Folded Spill
	s_nop 0
	scratch_store_dwordx4 off, v[120:123], off offset:20 ; 16-byte Folded Spill
	scratch_store_dwordx4 off, v[124:127], off offset:36 ; 16-byte Folded Spill
	;; [unrolled: 1-line block ×8, first 2 shown]
	s_nop 0
	scratch_store_dwordx4 off, v[82:85], off offset:1940 ; 16-byte Folded Spill
	scratch_store_dwordx4 off, v[86:89], off offset:1956 ; 16-byte Folded Spill
	;; [unrolled: 1-line block ×7, first 2 shown]
	v_mov_b32_e32 v32, v54
	scratch_store_dwordx4 off, v[44:47], off offset:1540 ; 16-byte Folded Spill
	s_nop 0
	scratch_store_dwordx4 off, v[48:51], off offset:1556 ; 16-byte Folded Spill
	scratch_store_dwordx4 off, v[52:55], off offset:1572 ; 16-byte Folded Spill
	;; [unrolled: 1-line block ×8, first 2 shown]
	s_nop 0
	scratch_store_dwordx4 off, v[172:175], off offset:1300 ; 16-byte Folded Spill
	scratch_store_dwordx4 off, v[176:179], off offset:1316 ; 16-byte Folded Spill
	;; [unrolled: 1-line block ×7, first 2 shown]
	v_mov_b32_e32 v132, v166
	v_mov_b32_e32 v86, v202
	;; [unrolled: 1-line block ×6, first 2 shown]
	scratch_store_dwordx4 off, v[152:155], off offset:900 ; 16-byte Folded Spill
	s_nop 0
	scratch_store_dwordx4 off, v[156:159], off offset:916 ; 16-byte Folded Spill
	scratch_store_dwordx4 off, v[160:163], off offset:932 ; 16-byte Folded Spill
	scratch_store_dwordx4 off, v[164:167], off offset:948 ; 16-byte Folded Spill
	scratch_store_dwordx4 off, v[168:171], off offset:964 ; 16-byte Folded Spill
	scratch_store_dwordx4 off, v[172:175], off offset:980 ; 16-byte Folded Spill
	scratch_store_dwordx4 off, v[176:179], off offset:996 ; 16-byte Folded Spill
	scratch_store_dwordx4 off, v[180:183], off offset:1012 ; 16-byte Folded Spill
	scratch_store_dwordx4 off, v[88:91], off offset:388 ; 16-byte Folded Spill
	s_nop 0
	scratch_store_dwordx4 off, v[92:95], off offset:404 ; 16-byte Folded Spill
	scratch_store_dwordx4 off, v[96:99], off offset:420 ; 16-byte Folded Spill
	;; [unrolled: 1-line block ×7, first 2 shown]
	v_mov_b32_e32 v87, v231
	scratch_store_dwordx4 off, v[182:185], off offset:260 ; 16-byte Folded Spill
	s_nop 0
	scratch_store_dwordx4 off, v[186:189], off offset:276 ; 16-byte Folded Spill
	scratch_store_dwordx4 off, v[190:193], off offset:292 ; 16-byte Folded Spill
	;; [unrolled: 1-line block ×7, first 2 shown]
	v_mov_b32_e32 v133, v167
	v_mov_b32_e32 v85, v107
	;; [unrolled: 1-line block ×3, first 2 shown]
	scratch_store_dwordx4 off, v[120:123], off offset:132 ; 16-byte Folded Spill
	s_nop 0
	scratch_store_dwordx4 off, v[124:127], off offset:148 ; 16-byte Folded Spill
	scratch_store_dwordx4 off, v[128:131], off offset:164 ; 16-byte Folded Spill
	;; [unrolled: 1-line block ×7, first 2 shown]
.LBB47_43:
	s_or_b64 exec, exec, s[2:3]
	v_cmp_eq_u32_e32 vcc, 8, v205
	s_waitcnt lgkmcnt(0)
	s_barrier
	s_and_saveexec_b64 s[2:3], vcc
	s_cbranch_execz .LBB47_46
; %bb.44:
	ds_write_b32 v253, v34
	scratch_load_dwordx4 v[0:3], off, off offset:4 ; 16-byte Folded Reload
	scratch_load_dwordx4 v[4:7], off, off offset:20 ; 16-byte Folded Reload
	;; [unrolled: 1-line block ×8, first 2 shown]
	s_waitcnt vmcnt(5)
	ds_write2_b32 v252, v9, v10 offset0:9 offset1:10
	s_waitcnt vmcnt(4)
	ds_write2_b32 v252, v11, v12 offset0:11 offset1:12
	ds_write2_b32 v252, v13, v14 offset0:13 offset1:14
	s_waitcnt vmcnt(3)
	ds_write2_b32 v252, v15, v16 offset0:15 offset1:16
	;; [unrolled: 3-line block ×3, first 2 shown]
	ds_write2_b32 v252, v21, v22 offset0:21 offset1:22
	ds_write_b32 v252, v255 offset:92
	ds_read_b32 v44, v253
	s_waitcnt lgkmcnt(0)
	v_cmp_neq_f32_e32 vcc, 0, v44
	s_and_b64 exec, exec, vcc
	s_cbranch_execz .LBB47_46
; %bb.45:
	v_div_scale_f32 v45, s[4:5], v44, v44, 1.0
	v_rcp_f32_e32 v46, v45
	v_div_scale_f32 v47, vcc, 1.0, v44, 1.0
	v_fma_f32 v48, -v45, v46, 1.0
	v_fmac_f32_e32 v46, v48, v46
	v_mul_f32_e32 v48, v47, v46
	v_fma_f32 v49, -v45, v48, v47
	v_fmac_f32_e32 v48, v49, v46
	v_fma_f32 v45, -v45, v48, v47
	v_div_fmas_f32 v45, v45, v46, v48
	v_div_fixup_f32 v44, v45, v44, 1.0
	ds_write_b32 v253, v44
.LBB47_46:
	s_or_b64 exec, exec, s[2:3]
	s_waitcnt lgkmcnt(0)
	s_barrier
	ds_read_b32 v116, v253
	v_cmp_lt_u32_e32 vcc, 8, v205
	s_and_saveexec_b64 s[2:3], vcc
	s_cbranch_execz .LBB47_48
; %bb.47:
	scratch_load_dwordx4 v[142:145], off, off offset:2052 ; 16-byte Folded Reload
	scratch_load_dwordx4 v[146:149], off, off offset:2068 ; 16-byte Folded Reload
	;; [unrolled: 1-line block ×8, first 2 shown]
	ds_read2_b32 v[0:1], v252 offset0:9 offset1:10
	scratch_load_dwordx4 v[2:5], off, off offset:4 ; 16-byte Folded Reload
	scratch_load_dwordx4 v[6:9], off, off offset:20 ; 16-byte Folded Reload
	;; [unrolled: 1-line block ×8, first 2 shown]
	s_waitcnt vmcnt(13) lgkmcnt(1)
	v_mul_f32_e32 v150, v34, v116
	v_mov_b32_e32 v64, v150
	v_mov_b32_e32 v222, v150
	;; [unrolled: 1-line block ×9, first 2 shown]
	s_waitcnt vmcnt(2)
	v_mov_b32_e32 v9, v11
	v_mov_b32_e32 v10, v12
	;; [unrolled: 1-line block ×3, first 2 shown]
	ds_read2_b32 v[4:5], v252 offset0:11 offset1:12
	ds_read2_b32 v[6:7], v252 offset0:13 offset1:14
	;; [unrolled: 1-line block ×3, first 2 shown]
	v_mov_b32_e32 v11, v13
	v_mov_b32_e32 v12, v14
	;; [unrolled: 1-line block ×5, first 2 shown]
	s_waitcnt lgkmcnt(3)
	v_pk_fma_f32 v[44:45], v[150:151], v[0:1], v[2:3] op_sel_hi:[0,1,1] neg_lo:[1,0,0] neg_hi:[1,0,0]
	v_mov_b32_e32 v0, v11
	v_mov_b32_e32 v1, v12
	;; [unrolled: 1-line block ×4, first 2 shown]
	s_waitcnt lgkmcnt(2)
	v_pk_fma_f32 v[46:47], v[150:151], v[4:5], v[0:1] op_sel_hi:[0,1,1] neg_lo:[1,0,0] neg_hi:[1,0,0]
	v_mov_b32_e32 v0, v13
	v_mov_b32_e32 v1, v14
	s_waitcnt lgkmcnt(1)
	v_pk_fma_f32 v[48:49], v[150:151], v[6:7], v[0:1] op_sel_hi:[0,1,1] neg_lo:[1,0,0] neg_hi:[1,0,0]
	v_mov_b32_e32 v0, v15
	v_mov_b32_e32 v1, v16
	s_waitcnt lgkmcnt(0)
	v_pk_fma_f32 v[50:51], v[150:151], v[8:9], v[0:1] op_sel_hi:[0,1,1] neg_lo:[1,0,0] neg_hi:[1,0,0]
	ds_read2_b32 v[0:1], v252 offset0:17 offset1:18
	v_mov_b32_e32 v17, v19
	v_mov_b32_e32 v18, v20
	ds_read2_b32 v[4:5], v252 offset0:19 offset1:20
	ds_read2_b32 v[6:7], v252 offset0:21 offset1:22
	ds_read_b32 v8, v252 offset:92
	v_mov_b32_e32 v19, v21
	v_mov_b32_e32 v20, v22
	;; [unrolled: 1-line block ×6, first 2 shown]
	s_waitcnt lgkmcnt(3)
	v_pk_fma_f32 v[52:53], v[150:151], v[0:1], v[2:3] op_sel_hi:[0,1,1] neg_lo:[1,0,0] neg_hi:[1,0,0]
	v_mov_b32_e32 v0, v19
	v_mov_b32_e32 v1, v20
	;; [unrolled: 1-line block ×13, first 2 shown]
	s_waitcnt lgkmcnt(2)
	v_pk_fma_f32 v[54:55], v[150:151], v[4:5], v[0:1] op_sel_hi:[0,1,1] neg_lo:[1,0,0] neg_hi:[1,0,0]
	v_mov_b32_e32 v0, v21
	v_mov_b32_e32 v1, v22
	scratch_store_dwordx4 off, v[10:13], off offset:1540 ; 16-byte Folded Spill
	s_nop 0
	scratch_store_dwordx4 off, v[14:17], off offset:1556 ; 16-byte Folded Spill
	scratch_store_dwordx4 off, v[18:21], off offset:1572 ; 16-byte Folded Spill
	;; [unrolled: 1-line block ×3, first 2 shown]
	s_waitcnt vmcnt(5)
	scratch_store_dwordx4 off, v[26:29], off offset:1604 ; 16-byte Folded Spill
	s_waitcnt vmcnt(5)
	scratch_store_dwordx4 off, v[30:33], off offset:1620 ; 16-byte Folded Spill
	scratch_store_dwordx4 off, v[34:37], off offset:1636 ; 16-byte Folded Spill
	;; [unrolled: 1-line block ×3, first 2 shown]
	v_mov_b32_e32 v21, v46
	s_waitcnt lgkmcnt(1)
	v_pk_fma_f32 v[78:79], v[150:151], v[6:7], v[0:1] op_sel_hi:[0,1,1] neg_lo:[1,0,0] neg_hi:[1,0,0]
	v_mov_b32_e32 v63, v149
	v_mov_b32_e32 v65, v44
	;; [unrolled: 1-line block ×32, first 2 shown]
	scratch_store_dwordx4 off, v[10:13], off offset:1412 ; 16-byte Folded Spill
	s_nop 0
	scratch_store_dwordx4 off, v[14:17], off offset:1428 ; 16-byte Folded Spill
	scratch_store_dwordx4 off, v[18:21], off offset:1444 ; 16-byte Folded Spill
	;; [unrolled: 1-line block ×7, first 2 shown]
	v_mov_b32_e32 v22, v47
	v_mov_b32_e32 v224, v45
	;; [unrolled: 1-line block ×12, first 2 shown]
	scratch_store_dwordx4 off, v[10:13], off offset:1284 ; 16-byte Folded Spill
	s_nop 0
	scratch_store_dwordx4 off, v[14:17], off offset:1300 ; 16-byte Folded Spill
	scratch_store_dwordx4 off, v[18:21], off offset:1316 ; 16-byte Folded Spill
	;; [unrolled: 1-line block ×7, first 2 shown]
	v_mov_b32_e32 v21, v46
	v_mov_b32_e32 v23, v48
	scratch_store_dwordx4 off, v[10:13], off offset:1028 ; 16-byte Folded Spill
	s_nop 0
	scratch_store_dwordx4 off, v[14:17], off offset:1044 ; 16-byte Folded Spill
	scratch_store_dwordx4 off, v[18:21], off offset:1060 ; 16-byte Folded Spill
	scratch_store_dwordx4 off, v[22:25], off offset:1076 ; 16-byte Folded Spill
	scratch_store_dwordx4 off, v[26:29], off offset:1092 ; 16-byte Folded Spill
	scratch_store_dwordx4 off, v[30:33], off offset:1108 ; 16-byte Folded Spill
	scratch_store_dwordx4 off, v[34:37], off offset:1124 ; 16-byte Folded Spill
	scratch_store_dwordx4 off, v[38:41], off offset:1140 ; 16-byte Folded Spill
	v_mov_b32_e32 v24, v49
	scratch_store_dwordx4 off, v[10:13], off offset:900 ; 16-byte Folded Spill
	s_nop 0
	scratch_store_dwordx4 off, v[14:17], off offset:916 ; 16-byte Folded Spill
	scratch_store_dwordx4 off, v[18:21], off offset:932 ; 16-byte Folded Spill
	scratch_store_dwordx4 off, v[22:25], off offset:948 ; 16-byte Folded Spill
	scratch_store_dwordx4 off, v[26:29], off offset:964 ; 16-byte Folded Spill
	scratch_store_dwordx4 off, v[30:33], off offset:980 ; 16-byte Folded Spill
	scratch_store_dwordx4 off, v[34:37], off offset:996 ; 16-byte Folded Spill
	scratch_store_dwordx4 off, v[38:41], off offset:1012 ; 16-byte Folded Spill
	;; [unrolled: 10-line block ×3, first 2 shown]
	v_mov_b32_e32 v26, v51
	v_mov_b32_e32 v27, v52
	scratch_store_dwordx4 off, v[10:13], off offset:644 ; 16-byte Folded Spill
	s_nop 0
	scratch_store_dwordx4 off, v[14:17], off offset:660 ; 16-byte Folded Spill
	scratch_store_dwordx4 off, v[18:21], off offset:676 ; 16-byte Folded Spill
	scratch_store_dwordx4 off, v[22:25], off offset:692 ; 16-byte Folded Spill
	scratch_store_dwordx4 off, v[26:29], off offset:708 ; 16-byte Folded Spill
	scratch_store_dwordx4 off, v[30:33], off offset:724 ; 16-byte Folded Spill
	scratch_store_dwordx4 off, v[34:37], off offset:740 ; 16-byte Folded Spill
	scratch_store_dwordx4 off, v[38:41], off offset:756 ; 16-byte Folded Spill
	v_mov_b32_e32 v28, v53
	scratch_store_dwordx4 off, v[10:13], off offset:388 ; 16-byte Folded Spill
	s_nop 0
	scratch_store_dwordx4 off, v[14:17], off offset:404 ; 16-byte Folded Spill
	scratch_store_dwordx4 off, v[18:21], off offset:420 ; 16-byte Folded Spill
	scratch_store_dwordx4 off, v[22:25], off offset:436 ; 16-byte Folded Spill
	scratch_store_dwordx4 off, v[26:29], off offset:452 ; 16-byte Folded Spill
	scratch_store_dwordx4 off, v[30:33], off offset:468 ; 16-byte Folded Spill
	scratch_store_dwordx4 off, v[34:37], off offset:484 ; 16-byte Folded Spill
	scratch_store_dwordx4 off, v[38:41], off offset:500 ; 16-byte Folded Spill
	;; [unrolled: 10-line block ×3, first 2 shown]
	scratch_store_dwordx4 off, v[56:59], off offset:260 ; 16-byte Folded Spill
	s_nop 0
	scratch_store_dwordx4 off, v[60:63], off offset:276 ; 16-byte Folded Spill
	scratch_store_dwordx4 off, v[64:67], off offset:292 ; 16-byte Folded Spill
	;; [unrolled: 1-line block ×7, first 2 shown]
	s_waitcnt lgkmcnt(0)
	v_fma_f32 v23, -v150, v8, v255
	v_mov_b32_e32 v14, v49
	v_mov_b32_e32 v15, v50
	;; [unrolled: 1-line block ×12, first 2 shown]
	v_mov_b64_e32 v[94:95], v[14:15]
	v_mov_b64_e32 v[92:93], v[12:13]
	;; [unrolled: 1-line block ×8, first 2 shown]
	scratch_store_dwordx4 off, v[142:145], off offset:1668 ; 16-byte Folded Spill
	s_nop 0
	scratch_store_dwordx4 off, v[146:149], off offset:1684 ; 16-byte Folded Spill
	scratch_store_dwordx4 off, v[150:153], off offset:1700 ; 16-byte Folded Spill
	;; [unrolled: 1-line block ×8, first 2 shown]
	s_nop 0
	scratch_store_dwordx4 off, v[146:149], off offset:1940 ; 16-byte Folded Spill
	scratch_store_dwordx4 off, v[150:153], off offset:1956 ; 16-byte Folded Spill
	;; [unrolled: 1-line block ×7, first 2 shown]
	v_mov_b32_e32 v255, v23
	v_mov_b32_e32 v35, v44
	;; [unrolled: 1-line block ×8, first 2 shown]
	v_mov_b64_e32 v[102:103], v[22:23]
	v_mov_b64_e32 v[100:101], v[20:21]
	;; [unrolled: 1-line block ×4, first 2 shown]
	scratch_store_dwordx4 off, v[80:83], off offset:4 ; 16-byte Folded Spill
	s_nop 0
	scratch_store_dwordx4 off, v[84:87], off offset:20 ; 16-byte Folded Spill
	scratch_store_dwordx4 off, v[88:91], off offset:36 ; 16-byte Folded Spill
	;; [unrolled: 1-line block ×7, first 2 shown]
	v_mov_b32_e32 v77, v78
	v_mov_b32_e32 v254, v79
	;; [unrolled: 1-line block ×6, first 2 shown]
	scratch_store_dwordx4 off, v[24:27], off offset:132 ; 16-byte Folded Spill
	s_nop 0
	scratch_store_dwordx4 off, v[28:31], off offset:148 ; 16-byte Folded Spill
	scratch_store_dwordx4 off, v[32:35], off offset:164 ; 16-byte Folded Spill
	;; [unrolled: 1-line block ×7, first 2 shown]
.LBB47_48:
	s_or_b64 exec, exec, s[2:3]
	v_cmp_eq_u32_e32 vcc, 9, v205
	s_waitcnt lgkmcnt(0)
	s_barrier
	s_and_saveexec_b64 s[2:3], vcc
	s_cbranch_execz .LBB47_51
; %bb.49:
	ds_write_b32 v253, v35
	scratch_load_dwordx4 v[152:155], off, off offset:4 ; 16-byte Folded Reload
	scratch_load_dwordx4 v[156:159], off, off offset:20 ; 16-byte Folded Reload
	;; [unrolled: 1-line block ×8, first 2 shown]
	s_waitcnt vmcnt(4)
	v_mov_b64_e32 v[0:1], v[152:153]
	v_mov_b64_e32 v[10:11], v[162:163]
	;; [unrolled: 1-line block ×3, first 2 shown]
	s_waitcnt vmcnt(2)
	v_mov_b64_e32 v[16:17], v[168:169]
	v_mov_b64_e32 v[14:15], v[166:167]
	;; [unrolled: 1-line block ×5, first 2 shown]
	ds_write2_b64 v252, v[10:11], v[12:13] offset0:5 offset1:6
	ds_write2_b64 v252, v[14:15], v[16:17] offset0:7 offset1:8
	;; [unrolled: 1-line block ×3, first 2 shown]
	ds_write_b64 v252, v[22:23] offset:88
	ds_read_b32 v44, v253
	v_mov_b64_e32 v[2:3], v[154:155]
	v_mov_b64_e32 v[4:5], v[156:157]
	;; [unrolled: 1-line block ×4, first 2 shown]
	s_waitcnt lgkmcnt(0)
	v_cmp_neq_f32_e32 vcc, 0, v44
	s_and_b64 exec, exec, vcc
	s_cbranch_execz .LBB47_51
; %bb.50:
	v_div_scale_f32 v45, s[4:5], v44, v44, 1.0
	v_rcp_f32_e32 v46, v45
	v_div_scale_f32 v47, vcc, 1.0, v44, 1.0
	v_fma_f32 v48, -v45, v46, 1.0
	v_fmac_f32_e32 v46, v48, v46
	v_mul_f32_e32 v48, v47, v46
	v_fma_f32 v49, -v45, v48, v47
	v_fmac_f32_e32 v48, v49, v46
	v_fma_f32 v45, -v45, v48, v47
	v_div_fmas_f32 v45, v45, v46, v48
	v_div_fixup_f32 v44, v45, v44, 1.0
	ds_write_b32 v253, v44
.LBB47_51:
	s_or_b64 exec, exec, s[2:3]
	s_waitcnt lgkmcnt(0)
	s_barrier
	ds_read_b32 v117, v253
	v_cmp_lt_u32_e32 vcc, 9, v205
	s_and_saveexec_b64 s[2:3], vcc
	s_cbranch_execz .LBB47_53
; %bb.52:
	ds_read2_b64 v[6:9], v252 offset0:5 offset1:6
	ds_read2_b64 v[0:3], v252 offset0:7 offset1:8
	s_waitcnt vmcnt(1)
	ds_read_b64 v[24:25], v252 offset:88
	s_waitcnt lgkmcnt(3)
	v_mul_f32_e32 v4, v35, v117
	scratch_load_dwordx4 v[26:29], off, off offset:4 ; 16-byte Folded Reload
	scratch_load_dwordx4 v[30:33], off, off offset:20 ; 16-byte Folded Reload
	scratch_load_dwordx4 v[34:37], off, off offset:36 ; 16-byte Folded Reload
	scratch_load_dwordx4 v[38:41], off, off offset:52 ; 16-byte Folded Reload
	scratch_load_dwordx4 v[42:45], off, off offset:68 ; 16-byte Folded Reload
	scratch_load_dwordx4 v[46:49], off, off offset:84 ; 16-byte Folded Reload
	scratch_load_dwordx4 v[50:53], off, off offset:100 ; 16-byte Folded Reload
	scratch_load_dwordx4 v[54:57], off, off offset:116 ; 16-byte Folded Reload
	s_waitcnt vmcnt(1)
	v_mov_b32_e32 v53, v4
	v_mov_b32_e32 v33, v4
	;; [unrolled: 1-line block ×7, first 2 shown]
	v_mov_b64_e32 v[10:11], v[36:37]
	v_mov_b64_e32 v[12:13], v[38:39]
	s_waitcnt vmcnt(0) lgkmcnt(2)
	v_pk_fma_f32 v[54:55], v[4:5], v[6:7], v[10:11] op_sel_hi:[0,1,1] neg_lo:[1,0,0] neg_hi:[1,0,0]
	v_pk_fma_f32 v[180:181], v[4:5], v[8:9], v[12:13] op_sel_hi:[0,1,1] neg_lo:[1,0,0] neg_hi:[1,0,0]
	ds_read2_b64 v[6:9], v252 offset0:9 offset1:10
	scratch_load_dwordx4 v[56:59], off, off offset:1924 ; 16-byte Folded Reload
	scratch_load_dwordx4 v[60:63], off, off offset:1940 ; 16-byte Folded Reload
	;; [unrolled: 1-line block ×8, first 2 shown]
	v_mov_b64_e32 v[22:23], v[48:49]
	v_mov_b64_e32 v[14:15], v[40:41]
	;; [unrolled: 1-line block ×5, first 2 shown]
	s_waitcnt lgkmcnt(1)
	v_pk_fma_f32 v[22:23], v[4:5], v[24:25], v[22:23] op_sel_hi:[0,1,1] neg_lo:[1,0,0] neg_hi:[1,0,0]
	v_mov_b32_e32 v34, v54
	v_mov_b32_e32 v35, v55
	v_pk_fma_f32 v[166:167], v[4:5], v[0:1], v[14:15] op_sel_hi:[0,1,1] neg_lo:[1,0,0] neg_hi:[1,0,0]
	v_pk_fma_f32 v[230:231], v[4:5], v[2:3], v[16:17] op_sel_hi:[0,1,1] neg_lo:[1,0,0] neg_hi:[1,0,0]
	s_waitcnt lgkmcnt(0)
	v_pk_fma_f32 v[106:107], v[4:5], v[6:7], v[18:19] op_sel_hi:[0,1,1] neg_lo:[1,0,0] neg_hi:[1,0,0]
	v_pk_fma_f32 v[202:203], v[4:5], v[8:9], v[20:21] op_sel_hi:[0,1,1] neg_lo:[1,0,0] neg_hi:[1,0,0]
	v_mov_b32_e32 v14, v166
	v_mov_b32_e32 v15, v167
	s_waitcnt vmcnt(0)
	v_mov_b32_e32 v87, v4
	v_mov_b32_e32 v9, v4
	;; [unrolled: 1-line block ×11, first 2 shown]
	v_mov_b64_e32 v[140:141], v[22:23]
	v_mov_b32_e32 v100, v180
	v_mov_b32_e32 v101, v181
	;; [unrolled: 1-line block ×20, first 2 shown]
	v_mov_b64_e32 v[138:139], v[20:21]
	v_mov_b64_e32 v[136:137], v[18:19]
	;; [unrolled: 1-line block ×3, first 2 shown]
	v_mov_b32_e32 v164, v180
	v_mov_b32_e32 v165, v181
	;; [unrolled: 1-line block ×40, first 2 shown]
	scratch_store_dwordx4 off, v[24:27], off offset:1412 ; 16-byte Folded Spill
	s_nop 0
	scratch_store_dwordx4 off, v[28:31], off offset:1428 ; 16-byte Folded Spill
	scratch_store_dwordx4 off, v[32:35], off offset:1444 ; 16-byte Folded Spill
	;; [unrolled: 1-line block ×7, first 2 shown]
	v_mov_b32_e32 v36, v180
	v_mov_b32_e32 v37, v181
	;; [unrolled: 1-line block ×58, first 2 shown]
	scratch_store_dwordx4 off, v[24:27], off offset:1028 ; 16-byte Folded Spill
	s_nop 0
	scratch_store_dwordx4 off, v[28:31], off offset:1044 ; 16-byte Folded Spill
	scratch_store_dwordx4 off, v[32:35], off offset:1060 ; 16-byte Folded Spill
	scratch_store_dwordx4 off, v[36:39], off offset:1076 ; 16-byte Folded Spill
	scratch_store_dwordx4 off, v[40:43], off offset:1092 ; 16-byte Folded Spill
	scratch_store_dwordx4 off, v[44:47], off offset:1108 ; 16-byte Folded Spill
	scratch_store_dwordx4 off, v[48:51], off offset:1124 ; 16-byte Folded Spill
	scratch_store_dwordx4 off, v[52:55], off offset:1140 ; 16-byte Folded Spill
	v_mov_b32_e32 v38, v166
	v_mov_b32_e32 v39, v167
	v_mov_b32_e32 v162, v54
	v_mov_b32_e32 v163, v55
	scratch_store_dwordx4 off, v[24:27], off offset:772 ; 16-byte Folded Spill
	s_nop 0
	scratch_store_dwordx4 off, v[28:31], off offset:788 ; 16-byte Folded Spill
	scratch_store_dwordx4 off, v[32:35], off offset:804 ; 16-byte Folded Spill
	scratch_store_dwordx4 off, v[36:39], off offset:820 ; 16-byte Folded Spill
	scratch_store_dwordx4 off, v[40:43], off offset:836 ; 16-byte Folded Spill
	scratch_store_dwordx4 off, v[44:47], off offset:852 ; 16-byte Folded Spill
	scratch_store_dwordx4 off, v[48:51], off offset:868 ; 16-byte Folded Spill
	scratch_store_dwordx4 off, v[52:55], off offset:884 ; 16-byte Folded Spill
	v_mov_b32_e32 v40, v230
	v_mov_b32_e32 v41, v231
	v_mov_b32_e32 v224, v54
	v_mov_b32_e32 v225, v55
	;; [unrolled: 13-line block ×3, first 2 shown]
	scratch_store_dwordx4 off, v[24:27], off offset:516 ; 16-byte Folded Spill
	s_nop 0
	scratch_store_dwordx4 off, v[28:31], off offset:532 ; 16-byte Folded Spill
	scratch_store_dwordx4 off, v[32:35], off offset:548 ; 16-byte Folded Spill
	;; [unrolled: 1-line block ×8, first 2 shown]
	s_nop 0
	scratch_store_dwordx4 off, v[82:85], off offset:1684 ; 16-byte Folded Spill
	scratch_store_dwordx4 off, v[86:89], off offset:1700 ; 16-byte Folded Spill
	;; [unrolled: 1-line block ×7, first 2 shown]
	v_mov_b32_e32 v86, v202
	v_mov_b32_e32 v87, v231
	v_mov_b32_e32 v10, v54
	v_mov_b32_e32 v11, v55
	v_mov_b64_e32 v[132:133], v[14:15]
	v_mov_b32_e32 v192, v54
	v_mov_b32_e32 v193, v55
	;; [unrolled: 1-line block ×4, first 2 shown]
	v_mov_b64_e32 v[130:131], v[12:13]
	v_mov_b64_e32 v[128:129], v[10:11]
	;; [unrolled: 1-line block ×7, first 2 shown]
	scratch_store_dwordx4 off, v[118:121], off offset:4 ; 16-byte Folded Spill
	s_nop 0
	scratch_store_dwordx4 off, v[122:125], off offset:20 ; 16-byte Folded Spill
	scratch_store_dwordx4 off, v[126:129], off offset:36 ; 16-byte Folded Spill
	;; [unrolled: 1-line block ×7, first 2 shown]
	v_mov_b32_e32 v32, v54
	scratch_store_dwordx4 off, v[44:47], off offset:1540 ; 16-byte Folded Spill
	s_nop 0
	scratch_store_dwordx4 off, v[48:51], off offset:1556 ; 16-byte Folded Spill
	scratch_store_dwordx4 off, v[52:55], off offset:1572 ; 16-byte Folded Spill
	;; [unrolled: 1-line block ×8, first 2 shown]
	s_nop 0
	scratch_store_dwordx4 off, v[172:175], off offset:1300 ; 16-byte Folded Spill
	scratch_store_dwordx4 off, v[176:179], off offset:1316 ; 16-byte Folded Spill
	;; [unrolled: 1-line block ×7, first 2 shown]
	v_mov_b32_e32 v132, v166
	v_mov_b32_e32 v134, v106
	;; [unrolled: 1-line block ×5, first 2 shown]
	scratch_store_dwordx4 off, v[152:155], off offset:900 ; 16-byte Folded Spill
	s_nop 0
	scratch_store_dwordx4 off, v[156:159], off offset:916 ; 16-byte Folded Spill
	scratch_store_dwordx4 off, v[160:163], off offset:932 ; 16-byte Folded Spill
	scratch_store_dwordx4 off, v[164:167], off offset:948 ; 16-byte Folded Spill
	scratch_store_dwordx4 off, v[168:171], off offset:964 ; 16-byte Folded Spill
	scratch_store_dwordx4 off, v[172:175], off offset:980 ; 16-byte Folded Spill
	scratch_store_dwordx4 off, v[176:179], off offset:996 ; 16-byte Folded Spill
	scratch_store_dwordx4 off, v[180:183], off offset:1012 ; 16-byte Folded Spill
	scratch_store_dwordx4 off, v[88:91], off offset:388 ; 16-byte Folded Spill
	s_nop 0
	scratch_store_dwordx4 off, v[92:95], off offset:404 ; 16-byte Folded Spill
	scratch_store_dwordx4 off, v[96:99], off offset:420 ; 16-byte Folded Spill
	scratch_store_dwordx4 off, v[100:103], off offset:436 ; 16-byte Folded Spill
	scratch_store_dwordx4 off, v[104:107], off offset:452 ; 16-byte Folded Spill
	scratch_store_dwordx4 off, v[108:111], off offset:468 ; 16-byte Folded Spill
	scratch_store_dwordx4 off, v[112:115], off offset:484 ; 16-byte Folded Spill
	scratch_store_dwordx4 off, v[116:119], off offset:500 ; 16-byte Folded Spill
	;; [unrolled: 9-line block ×3, first 2 shown]
	v_mov_b32_e32 v133, v167
	v_mov_b32_e32 v85, v107
	;; [unrolled: 1-line block ×3, first 2 shown]
	scratch_store_dwordx4 off, v[120:123], off offset:132 ; 16-byte Folded Spill
	s_nop 0
	scratch_store_dwordx4 off, v[124:127], off offset:148 ; 16-byte Folded Spill
	scratch_store_dwordx4 off, v[128:131], off offset:164 ; 16-byte Folded Spill
	;; [unrolled: 1-line block ×7, first 2 shown]
.LBB47_53:
	s_or_b64 exec, exec, s[2:3]
	v_cmp_eq_u32_e32 vcc, 10, v205
	s_waitcnt lgkmcnt(0)
	s_barrier
	s_and_saveexec_b64 s[2:3], vcc
	s_cbranch_execz .LBB47_56
; %bb.54:
	ds_write_b32 v253, v32
	scratch_load_dwordx4 v[0:3], off, off offset:4 ; 16-byte Folded Reload
	scratch_load_dwordx4 v[4:7], off, off offset:20 ; 16-byte Folded Reload
	;; [unrolled: 1-line block ×8, first 2 shown]
	s_waitcnt vmcnt(4)
	ds_write2_b32 v252, v11, v12 offset0:11 offset1:12
	ds_write2_b32 v252, v13, v14 offset0:13 offset1:14
	s_waitcnt vmcnt(3)
	ds_write2_b32 v252, v15, v16 offset0:15 offset1:16
	ds_write2_b32 v252, v17, v18 offset0:17 offset1:18
	;; [unrolled: 3-line block ×3, first 2 shown]
	ds_write_b32 v252, v255 offset:92
	ds_read_b32 v44, v253
	s_waitcnt lgkmcnt(0)
	v_cmp_neq_f32_e32 vcc, 0, v44
	s_and_b64 exec, exec, vcc
	s_cbranch_execz .LBB47_56
; %bb.55:
	v_div_scale_f32 v45, s[4:5], v44, v44, 1.0
	v_rcp_f32_e32 v46, v45
	v_div_scale_f32 v47, vcc, 1.0, v44, 1.0
	v_fma_f32 v48, -v45, v46, 1.0
	v_fmac_f32_e32 v46, v48, v46
	v_mul_f32_e32 v48, v47, v46
	v_fma_f32 v49, -v45, v48, v47
	v_fmac_f32_e32 v48, v49, v46
	v_fma_f32 v45, -v45, v48, v47
	v_div_fmas_f32 v45, v45, v46, v48
	v_div_fixup_f32 v44, v45, v44, 1.0
	ds_write_b32 v253, v44
.LBB47_56:
	s_or_b64 exec, exec, s[2:3]
	s_waitcnt lgkmcnt(0)
	s_barrier
	ds_read_b32 v142, v253
	v_cmp_lt_u32_e32 vcc, 10, v205
	s_and_saveexec_b64 s[2:3], vcc
	s_cbranch_execz .LBB47_58
; %bb.57:
	scratch_load_dwordx4 v[168:171], off, off offset:1668 ; 16-byte Folded Reload
	scratch_load_dwordx4 v[172:175], off, off offset:1684 ; 16-byte Folded Reload
	;; [unrolled: 1-line block ×8, first 2 shown]
	s_waitcnt vmcnt(5) lgkmcnt(0)
	v_mul_f32_e32 v178, v32, v142
	ds_read2_b32 v[0:1], v252 offset0:11 offset1:12
	scratch_load_dwordx4 v[2:5], off, off offset:4 ; 16-byte Folded Reload
	scratch_load_dwordx4 v[6:9], off, off offset:20 ; 16-byte Folded Reload
	;; [unrolled: 1-line block ×8, first 2 shown]
	s_waitcnt vmcnt(7)
	ds_read2_b32 v[4:5], v252 offset0:13 offset1:14
	s_waitcnt vmcnt(6)
	ds_read2_b32 v[6:7], v252 offset0:15 offset1:16
	ds_read2_b32 v[8:9], v252 offset0:17 offset1:18
	v_mov_b32_e32 v66, v178
	v_mov_b32_e32 v224, v178
	s_waitcnt vmcnt(5)
	v_mov_b32_e32 v10, v170
	v_mov_b32_e32 v56, v168
	;; [unrolled: 1-line block ×8, first 2 shown]
	s_waitcnt vmcnt(2)
	v_mov_b32_e32 v11, v13
	v_mov_b32_e32 v12, v14
	;; [unrolled: 1-line block ×8, first 2 shown]
	s_waitcnt lgkmcnt(3)
	v_pk_fma_f32 v[44:45], v[178:179], v[0:1], v[2:3] op_sel_hi:[0,1,1] neg_lo:[1,0,0] neg_hi:[1,0,0]
	v_mov_b32_e32 v0, v13
	v_mov_b32_e32 v1, v14
	;; [unrolled: 1-line block ×4, first 2 shown]
	s_waitcnt lgkmcnt(2)
	v_pk_fma_f32 v[46:47], v[178:179], v[4:5], v[0:1] op_sel_hi:[0,1,1] neg_lo:[1,0,0] neg_hi:[1,0,0]
	v_mov_b32_e32 v0, v15
	v_mov_b32_e32 v1, v16
	s_waitcnt lgkmcnt(1)
	v_pk_fma_f32 v[48:49], v[178:179], v[6:7], v[0:1] op_sel_hi:[0,1,1] neg_lo:[1,0,0] neg_hi:[1,0,0]
	v_mov_b32_e32 v0, v17
	v_mov_b32_e32 v1, v18
	s_waitcnt lgkmcnt(0)
	v_pk_fma_f32 v[50:51], v[178:179], v[8:9], v[0:1] op_sel_hi:[0,1,1] neg_lo:[1,0,0] neg_hi:[1,0,0]
	ds_read2_b32 v[0:1], v252 offset0:19 offset1:20
	v_mov_b32_e32 v19, v21
	v_mov_b32_e32 v20, v22
	v_mov_b32_e32 v21, v23
	v_mov_b32_e32 v22, v24
	v_mov_b32_e32 v2, v19
	v_mov_b32_e32 v3, v20
	v_mov_b32_e32 v8, v168
	v_mov_b32_e32 v9, v169
	v_mov_b32_e32 v11, v171
	v_mov_b32_e32 v12, v172
	v_mov_b32_e32 v13, v173
	v_mov_b32_e32 v14, v174
	v_mov_b32_e32 v15, v175
	v_mov_b32_e32 v16, v176
	v_mov_b32_e32 v17, v177
	v_mov_b32_e32 v18, v178
	v_mov_b32_e32 v19, v44
	v_mov_b32_e32 v20, v45
	ds_read2_b32 v[4:5], v252 offset0:21 offset1:22
	ds_read_b32 v6, v252 offset:92
	s_waitcnt lgkmcnt(2)
	v_pk_fma_f32 v[52:53], v[178:179], v[0:1], v[2:3] op_sel_hi:[0,1,1] neg_lo:[1,0,0] neg_hi:[1,0,0]
	v_mov_b32_e32 v0, v21
	v_mov_b32_e32 v1, v22
	scratch_store_dwordx4 off, v[8:11], off offset:1284 ; 16-byte Folded Spill
	s_nop 0
	scratch_store_dwordx4 off, v[12:15], off offset:1300 ; 16-byte Folded Spill
	scratch_store_dwordx4 off, v[16:19], off offset:1316 ; 16-byte Folded Spill
	;; [unrolled: 1-line block ×3, first 2 shown]
	s_waitcnt vmcnt(5)
	scratch_store_dwordx4 off, v[24:27], off offset:1348 ; 16-byte Folded Spill
	s_waitcnt vmcnt(5)
	scratch_store_dwordx4 off, v[28:31], off offset:1364 ; 16-byte Folded Spill
	scratch_store_dwordx4 off, v[32:35], off offset:1380 ; 16-byte Folded Spill
	;; [unrolled: 1-line block ×3, first 2 shown]
	v_mov_b32_e32 v21, v46
	s_waitcnt lgkmcnt(1)
	v_pk_fma_f32 v[54:55], v[178:179], v[4:5], v[0:1] op_sel_hi:[0,1,1] neg_lo:[1,0,0] neg_hi:[1,0,0]
	v_mov_b32_e32 v63, v175
	v_mov_b32_e32 v64, v176
	;; [unrolled: 1-line block ×36, first 2 shown]
	scratch_store_dwordx4 off, v[8:11], off offset:1028 ; 16-byte Folded Spill
	s_nop 0
	scratch_store_dwordx4 off, v[12:15], off offset:1044 ; 16-byte Folded Spill
	scratch_store_dwordx4 off, v[16:19], off offset:1060 ; 16-byte Folded Spill
	;; [unrolled: 1-line block ×7, first 2 shown]
	v_mov_b32_e32 v22, v47
	v_mov_b32_e32 v230, v49
	;; [unrolled: 1-line block ×9, first 2 shown]
	scratch_store_dwordx4 off, v[8:11], off offset:900 ; 16-byte Folded Spill
	s_nop 0
	scratch_store_dwordx4 off, v[12:15], off offset:916 ; 16-byte Folded Spill
	scratch_store_dwordx4 off, v[16:19], off offset:932 ; 16-byte Folded Spill
	scratch_store_dwordx4 off, v[20:23], off offset:948 ; 16-byte Folded Spill
	scratch_store_dwordx4 off, v[24:27], off offset:964 ; 16-byte Folded Spill
	scratch_store_dwordx4 off, v[28:31], off offset:980 ; 16-byte Folded Spill
	scratch_store_dwordx4 off, v[32:35], off offset:996 ; 16-byte Folded Spill
	scratch_store_dwordx4 off, v[36:39], off offset:1012 ; 16-byte Folded Spill
	v_mov_b32_e32 v23, v48
	scratch_store_dwordx4 off, v[8:11], off offset:772 ; 16-byte Folded Spill
	s_nop 0
	scratch_store_dwordx4 off, v[12:15], off offset:788 ; 16-byte Folded Spill
	scratch_store_dwordx4 off, v[16:19], off offset:804 ; 16-byte Folded Spill
	;; [unrolled: 1-line block ×7, first 2 shown]
	v_mov_b32_e32 v24, v49
	v_mov_b32_e32 v25, v50
	scratch_store_dwordx4 off, v[8:11], off offset:644 ; 16-byte Folded Spill
	s_nop 0
	scratch_store_dwordx4 off, v[12:15], off offset:660 ; 16-byte Folded Spill
	scratch_store_dwordx4 off, v[16:19], off offset:676 ; 16-byte Folded Spill
	scratch_store_dwordx4 off, v[20:23], off offset:692 ; 16-byte Folded Spill
	scratch_store_dwordx4 off, v[24:27], off offset:708 ; 16-byte Folded Spill
	scratch_store_dwordx4 off, v[28:31], off offset:724 ; 16-byte Folded Spill
	scratch_store_dwordx4 off, v[32:35], off offset:740 ; 16-byte Folded Spill
	scratch_store_dwordx4 off, v[36:39], off offset:756 ; 16-byte Folded Spill
	v_mov_b32_e32 v26, v51
	scratch_store_dwordx4 off, v[8:11], off offset:388 ; 16-byte Folded Spill
	s_nop 0
	scratch_store_dwordx4 off, v[12:15], off offset:404 ; 16-byte Folded Spill
	scratch_store_dwordx4 off, v[16:19], off offset:420 ; 16-byte Folded Spill
	scratch_store_dwordx4 off, v[20:23], off offset:436 ; 16-byte Folded Spill
	scratch_store_dwordx4 off, v[24:27], off offset:452 ; 16-byte Folded Spill
	scratch_store_dwordx4 off, v[28:31], off offset:468 ; 16-byte Folded Spill
	scratch_store_dwordx4 off, v[32:35], off offset:484 ; 16-byte Folded Spill
	scratch_store_dwordx4 off, v[36:39], off offset:500 ; 16-byte Folded Spill
	v_mov_b32_e32 v27, v52
	scratch_store_dwordx4 off, v[8:11], off offset:516 ; 16-byte Folded Spill
	s_nop 0
	scratch_store_dwordx4 off, v[12:15], off offset:532 ; 16-byte Folded Spill
	scratch_store_dwordx4 off, v[16:19], off offset:548 ; 16-byte Folded Spill
	scratch_store_dwordx4 off, v[20:23], off offset:564 ; 16-byte Folded Spill
	scratch_store_dwordx4 off, v[24:27], off offset:580 ; 16-byte Folded Spill
	scratch_store_dwordx4 off, v[28:31], off offset:596 ; 16-byte Folded Spill
	scratch_store_dwordx4 off, v[32:35], off offset:612 ; 16-byte Folded Spill
	scratch_store_dwordx4 off, v[36:39], off offset:628 ; 16-byte Folded Spill
	scratch_store_dwordx4 off, v[56:59], off offset:260 ; 16-byte Folded Spill
	s_nop 0
	scratch_store_dwordx4 off, v[60:63], off offset:276 ; 16-byte Folded Spill
	scratch_store_dwordx4 off, v[64:67], off offset:292 ; 16-byte Folded Spill
	;; [unrolled: 1-line block ×7, first 2 shown]
	s_waitcnt lgkmcnt(0)
	v_fma_f32 v23, -v178, v6, v255
	v_mov_b32_e32 v14, v47
	v_mov_b32_e32 v15, v48
	;; [unrolled: 1-line block ×16, first 2 shown]
	v_mov_b64_e32 v[92:93], v[14:15]
	v_mov_b64_e32 v[100:101], v[22:23]
	;; [unrolled: 1-line block ×12, first 2 shown]
	scratch_store_dwordx4 off, v[168:171], off offset:1412 ; 16-byte Folded Spill
	s_nop 0
	scratch_store_dwordx4 off, v[172:175], off offset:1428 ; 16-byte Folded Spill
	scratch_store_dwordx4 off, v[176:179], off offset:1444 ; 16-byte Folded Spill
	scratch_store_dwordx4 off, v[180:183], off offset:1460 ; 16-byte Folded Spill
	scratch_store_dwordx4 off, v[184:187], off offset:1476 ; 16-byte Folded Spill
	scratch_store_dwordx4 off, v[188:191], off offset:1492 ; 16-byte Folded Spill
	scratch_store_dwordx4 off, v[192:195], off offset:1508 ; 16-byte Folded Spill
	scratch_store_dwordx4 off, v[196:199], off offset:1524 ; 16-byte Folded Spill
	scratch_store_dwordx4 off, v[168:171], off offset:1540 ; 16-byte Folded Spill
	s_nop 0
	scratch_store_dwordx4 off, v[172:175], off offset:1556 ; 16-byte Folded Spill
	scratch_store_dwordx4 off, v[176:179], off offset:1572 ; 16-byte Folded Spill
	scratch_store_dwordx4 off, v[180:183], off offset:1588 ; 16-byte Folded Spill
	scratch_store_dwordx4 off, v[184:187], off offset:1604 ; 16-byte Folded Spill
	scratch_store_dwordx4 off, v[188:191], off offset:1620 ; 16-byte Folded Spill
	scratch_store_dwordx4 off, v[192:195], off offset:1636 ; 16-byte Folded Spill
	scratch_store_dwordx4 off, v[196:199], off offset:1652 ; 16-byte Folded Spill
	;; [unrolled: 9-line block ×3, first 2 shown]
	v_mov_b32_e32 v77, v54
	v_mov_b32_e32 v255, v23
	;; [unrolled: 1-line block ×7, first 2 shown]
	scratch_store_dwordx4 off, v[24:27], off offset:132 ; 16-byte Folded Spill
	s_nop 0
	scratch_store_dwordx4 off, v[28:31], off offset:148 ; 16-byte Folded Spill
	scratch_store_dwordx4 off, v[32:35], off offset:164 ; 16-byte Folded Spill
	;; [unrolled: 1-line block ×7, first 2 shown]
.LBB47_58:
	s_or_b64 exec, exec, s[2:3]
	v_cmp_eq_u32_e32 vcc, 11, v205
	s_waitcnt lgkmcnt(0)
	s_barrier
	s_and_saveexec_b64 s[2:3], vcc
	s_cbranch_execz .LBB47_61
; %bb.59:
	ds_write_b32 v253, v213
	scratch_load_dwordx4 v[152:155], off, off offset:4 ; 16-byte Folded Reload
	scratch_load_dwordx4 v[156:159], off, off offset:20 ; 16-byte Folded Reload
	scratch_load_dwordx4 v[160:163], off, off offset:36 ; 16-byte Folded Reload
	scratch_load_dwordx4 v[164:167], off, off offset:52 ; 16-byte Folded Reload
	scratch_load_dwordx4 v[168:171], off, off offset:68 ; 16-byte Folded Reload
	scratch_load_dwordx4 v[172:175], off, off offset:84 ; 16-byte Folded Reload
	scratch_load_dwordx4 v[176:179], off, off offset:100 ; 16-byte Folded Reload
	scratch_load_dwordx4 v[180:183], off, off offset:116 ; 16-byte Folded Reload
	s_waitcnt vmcnt(4)
	v_mov_b64_e32 v[0:1], v[152:153]
	v_mov_b64_e32 v[12:13], v[164:165]
	;; [unrolled: 1-line block ×3, first 2 shown]
	s_waitcnt vmcnt(2)
	v_mov_b64_e32 v[16:17], v[168:169]
	v_mov_b64_e32 v[18:19], v[170:171]
	;; [unrolled: 1-line block ×4, first 2 shown]
	ds_write2_b64 v252, v[12:13], v[14:15] offset0:6 offset1:7
	ds_write2_b64 v252, v[16:17], v[18:19] offset0:8 offset1:9
	;; [unrolled: 1-line block ×3, first 2 shown]
	ds_read_b32 v44, v253
	v_mov_b64_e32 v[2:3], v[154:155]
	v_mov_b64_e32 v[4:5], v[156:157]
	;; [unrolled: 1-line block ×4, first 2 shown]
	s_waitcnt lgkmcnt(0)
	v_cmp_neq_f32_e32 vcc, 0, v44
	v_mov_b64_e32 v[10:11], v[162:163]
	s_and_b64 exec, exec, vcc
	s_cbranch_execz .LBB47_61
; %bb.60:
	v_div_scale_f32 v45, s[4:5], v44, v44, 1.0
	v_rcp_f32_e32 v46, v45
	v_div_scale_f32 v47, vcc, 1.0, v44, 1.0
	v_fma_f32 v48, -v45, v46, 1.0
	v_fmac_f32_e32 v46, v48, v46
	v_mul_f32_e32 v48, v47, v46
	v_fma_f32 v49, -v45, v48, v47
	v_fmac_f32_e32 v48, v49, v46
	v_fma_f32 v45, -v45, v48, v47
	v_div_fmas_f32 v45, v45, v46, v48
	v_div_fixup_f32 v44, v45, v44, 1.0
	ds_write_b32 v253, v44
.LBB47_61:
	s_or_b64 exec, exec, s[2:3]
	s_waitcnt lgkmcnt(0)
	s_barrier
	ds_read_b32 v118, v253
	v_cmp_lt_u32_e32 vcc, 11, v205
	s_and_saveexec_b64 s[2:3], vcc
	s_cbranch_execz .LBB47_63
; %bb.62:
	ds_read2_b64 v[0:3], v252 offset0:6 offset1:7
	ds_read2_b64 v[4:7], v252 offset0:8 offset1:9
	;; [unrolled: 1-line block ×3, first 2 shown]
	scratch_load_dwordx4 v[12:15], off, off offset:4 ; 16-byte Folded Reload
	scratch_load_dwordx4 v[16:19], off, off offset:20 ; 16-byte Folded Reload
	;; [unrolled: 1-line block ×16, first 2 shown]
	s_waitcnt lgkmcnt(3)
	v_mul_f32_e32 v44, v213, v118
	v_mov_b32_e32 v213, v44
	s_waitcnt vmcnt(17)
	v_mov_b32_e32 v179, v44
	s_waitcnt vmcnt(10)
	v_mov_b64_e32 v[12:13], v[24:25]
	v_mov_b64_e32 v[14:15], v[26:27]
	;; [unrolled: 1-line block ×4, first 2 shown]
	s_waitcnt lgkmcnt(2)
	v_pk_fma_f32 v[180:181], v[44:45], v[0:1], v[12:13] op_sel_hi:[0,1,1] neg_lo:[1,0,0] neg_hi:[1,0,0]
	v_pk_fma_f32 v[166:167], v[44:45], v[2:3], v[14:15] op_sel_hi:[0,1,1] neg_lo:[1,0,0] neg_hi:[1,0,0]
	s_waitcnt lgkmcnt(1)
	v_pk_fma_f32 v[230:231], v[44:45], v[4:5], v[16:17] op_sel_hi:[0,1,1] neg_lo:[1,0,0] neg_hi:[1,0,0]
	s_waitcnt lgkmcnt(0)
	v_pk_fma_f32 v[22:23], v[44:45], v[10:11], v[22:23] op_sel_hi:[0,1,1] neg_lo:[1,0,0] neg_hi:[1,0,0]
	v_mov_b32_e32 v45, v205
	s_waitcnt vmcnt(5)
	v_mov_b32_e32 v212, v56
	v_mov_b32_e32 v211, v55
	;; [unrolled: 1-line block ×11, first 2 shown]
	v_mov_b64_e32 v[18:19], v[30:31]
	v_mov_b64_e32 v[20:21], v[32:33]
	v_mov_b32_e32 v24, v202
	v_mov_b32_e32 v25, v203
	;; [unrolled: 1-line block ×14, first 2 shown]
	scratch_store_dwordx4 off, v[24:27], off offset:1028 ; 16-byte Folded Spill
	s_nop 0
	scratch_store_dwordx4 off, v[28:31], off offset:1044 ; 16-byte Folded Spill
	scratch_store_dwordx4 off, v[32:35], off offset:1060 ; 16-byte Folded Spill
	;; [unrolled: 1-line block ×7, first 2 shown]
	v_mov_b32_e32 v38, v166
	v_mov_b32_e32 v39, v167
	;; [unrolled: 1-line block ×67, first 2 shown]
	s_waitcnt vmcnt(12)
	v_mov_b32_e32 v58, v204
	v_mov_b32_e32 v59, v205
	;; [unrolled: 1-line block ×4, first 2 shown]
	s_waitcnt vmcnt(11)
	v_mov_b32_e32 v62, v208
	v_mov_b32_e32 v163, v44
	scratch_store_dwordx4 off, v[24:27], off offset:772 ; 16-byte Folded Spill
	s_nop 0
	scratch_store_dwordx4 off, v[28:31], off offset:788 ; 16-byte Folded Spill
	scratch_store_dwordx4 off, v[32:35], off offset:804 ; 16-byte Folded Spill
	;; [unrolled: 1-line block ×7, first 2 shown]
	v_mov_b32_e32 v40, v230
	v_mov_b32_e32 v41, v231
	;; [unrolled: 1-line block ×5, first 2 shown]
	s_waitcnt vmcnt(18)
	v_mov_b32_e32 v66, v212
	s_waitcnt vmcnt(17)
	v_mov_b32_e32 v72, v230
	v_mov_b32_e32 v73, v231
	;; [unrolled: 1-line block ×34, first 2 shown]
	scratch_store_dwordx4 off, v[24:27], off offset:644 ; 16-byte Folded Spill
	s_nop 0
	scratch_store_dwordx4 off, v[28:31], off offset:660 ; 16-byte Folded Spill
	scratch_store_dwordx4 off, v[32:35], off offset:676 ; 16-byte Folded Spill
	;; [unrolled: 1-line block ×7, first 2 shown]
	v_pk_fma_f32 v[200:201], v[44:45], v[6:7], v[18:19] op_sel_hi:[0,1,1] neg_lo:[1,0,0] neg_hi:[1,0,0]
	v_mov_b32_e32 v42, v200
	v_mov_b32_e32 v43, v201
	;; [unrolled: 1-line block ×3, first 2 shown]
	scratch_store_dwordx4 off, v[24:27], off offset:516 ; 16-byte Folded Spill
	s_nop 0
	scratch_store_dwordx4 off, v[28:31], off offset:532 ; 16-byte Folded Spill
	scratch_store_dwordx4 off, v[32:35], off offset:548 ; 16-byte Folded Spill
	;; [unrolled: 1-line block ×7, first 2 shown]
	v_mov_b32_e32 v6, v208
	v_mov_b32_e32 v7, v209
	;; [unrolled: 1-line block ×6, first 2 shown]
	s_waitcnt vmcnt(32)
	v_mov_b32_e32 v74, v200
	v_mov_b32_e32 v75, v201
	;; [unrolled: 1-line block ×3, first 2 shown]
	v_pk_fma_f32 v[108:109], v[44:45], v[8:9], v[20:21] op_sel_hi:[0,1,1] neg_lo:[1,0,0] neg_hi:[1,0,0]
	v_mov_b32_e32 v8, v210
	v_mov_b32_e32 v9, v211
	scratch_store_dwordx4 off, v[202:205], off offset:1412 ; 16-byte Folded Spill
	s_nop 0
	scratch_store_dwordx4 off, v[206:209], off offset:1428 ; 16-byte Folded Spill
	scratch_store_dwordx4 off, v[210:213], off offset:1444 ; 16-byte Folded Spill
	;; [unrolled: 1-line block ×7, first 2 shown]
	v_mov_b32_e32 v99, v44
	v_mov_b32_e32 v11, v44
	;; [unrolled: 1-line block ×6, first 2 shown]
	v_mov_b64_e32 v[38:39], v[14:15]
	v_mov_b64_e32 v[46:47], v[22:23]
	;; [unrolled: 1-line block ×12, first 2 shown]
	scratch_store_dwordx4 off, v[24:27], off offset:4 ; 16-byte Folded Spill
	s_nop 0
	scratch_store_dwordx4 off, v[28:31], off offset:20 ; 16-byte Folded Spill
	scratch_store_dwordx4 off, v[32:35], off offset:36 ; 16-byte Folded Spill
	;; [unrolled: 1-line block ×8, first 2 shown]
	s_nop 0
	scratch_store_dwordx4 off, v[172:175], off offset:1300 ; 16-byte Folded Spill
	scratch_store_dwordx4 off, v[176:179], off offset:1316 ; 16-byte Folded Spill
	;; [unrolled: 1-line block ×7, first 2 shown]
	v_mov_b32_e32 v76, v108
	v_mov_b32_e32 v77, v109
	;; [unrolled: 1-line block ×6, first 2 shown]
	scratch_store_dwordx4 off, v[152:155], off offset:900 ; 16-byte Folded Spill
	s_nop 0
	scratch_store_dwordx4 off, v[156:159], off offset:916 ; 16-byte Folded Spill
	scratch_store_dwordx4 off, v[160:163], off offset:932 ; 16-byte Folded Spill
	;; [unrolled: 1-line block ×8, first 2 shown]
	s_nop 0
	scratch_store_dwordx4 off, v[186:189], off offset:404 ; 16-byte Folded Spill
	scratch_store_dwordx4 off, v[190:193], off offset:420 ; 16-byte Folded Spill
	;; [unrolled: 1-line block ×7, first 2 shown]
	v_mov_b32_e32 v133, v167
	scratch_store_dwordx4 off, v[88:91], off offset:260 ; 16-byte Folded Spill
	s_nop 0
	scratch_store_dwordx4 off, v[92:95], off offset:276 ; 16-byte Folded Spill
	scratch_store_dwordx4 off, v[96:99], off offset:292 ; 16-byte Folded Spill
	;; [unrolled: 1-line block ×8, first 2 shown]
	s_nop 0
	scratch_store_dwordx4 off, v[92:95], off offset:148 ; 16-byte Folded Spill
	scratch_store_dwordx4 off, v[96:99], off offset:164 ; 16-byte Folded Spill
	;; [unrolled: 1-line block ×7, first 2 shown]
	v_mov_b32_e32 v85, v201
.LBB47_63:
	s_or_b64 exec, exec, s[2:3]
	v_cmp_eq_u32_e32 vcc, 12, v205
	s_waitcnt lgkmcnt(0)
	s_barrier
	s_and_saveexec_b64 s[2:3], vcc
	s_cbranch_execz .LBB47_66
; %bb.64:
	ds_write_b32 v253, v150
	scratch_load_dwordx4 v[0:3], off, off offset:4 ; 16-byte Folded Reload
	scratch_load_dwordx4 v[4:7], off, off offset:20 ; 16-byte Folded Reload
	;; [unrolled: 1-line block ×8, first 2 shown]
	s_waitcnt vmcnt(4)
	ds_write2_b32 v252, v13, v14 offset0:13 offset1:14
	s_waitcnt vmcnt(3)
	ds_write2_b32 v252, v15, v16 offset0:15 offset1:16
	ds_write2_b32 v252, v17, v18 offset0:17 offset1:18
	s_waitcnt vmcnt(2)
	ds_write2_b32 v252, v19, v20 offset0:19 offset1:20
	ds_write2_b32 v252, v21, v22 offset0:21 offset1:22
	ds_write_b32 v252, v255 offset:92
	ds_read_b32 v44, v253
	s_waitcnt lgkmcnt(0)
	v_cmp_neq_f32_e32 vcc, 0, v44
	s_and_b64 exec, exec, vcc
	s_cbranch_execz .LBB47_66
; %bb.65:
	v_div_scale_f32 v45, s[4:5], v44, v44, 1.0
	v_rcp_f32_e32 v46, v45
	v_div_scale_f32 v47, vcc, 1.0, v44, 1.0
	v_fma_f32 v48, -v45, v46, 1.0
	v_fmac_f32_e32 v46, v48, v46
	v_mul_f32_e32 v48, v47, v46
	v_fma_f32 v49, -v45, v48, v47
	v_fmac_f32_e32 v48, v49, v46
	v_fma_f32 v45, -v45, v48, v47
	v_div_fmas_f32 v45, v45, v46, v48
	v_div_fixup_f32 v44, v45, v44, 1.0
	ds_write_b32 v253, v44
.LBB47_66:
	s_or_b64 exec, exec, s[2:3]
	s_waitcnt lgkmcnt(0)
	s_barrier
	ds_read_b32 v119, v253
	v_cmp_lt_u32_e32 vcc, 12, v205
	s_and_saveexec_b64 s[2:3], vcc
	s_cbranch_execz .LBB47_68
; %bb.67:
	scratch_load_dwordx4 v[168:171], off, off offset:1412 ; 16-byte Folded Reload
	scratch_load_dwordx4 v[172:175], off, off offset:1428 ; 16-byte Folded Reload
	;; [unrolled: 1-line block ×8, first 2 shown]
	ds_read2_b32 v[0:1], v252 offset0:13 offset1:14
	scratch_load_dwordx4 v[2:5], off, off offset:4 ; 16-byte Folded Reload
	scratch_load_dwordx4 v[6:9], off, off offset:20 ; 16-byte Folded Reload
	;; [unrolled: 1-line block ×8, first 2 shown]
	s_waitcnt vmcnt(7)
	ds_read2_b32 v[4:5], v252 offset0:15 offset1:16
	s_waitcnt vmcnt(6)
	ds_read2_b32 v[6:7], v252 offset0:17 offset1:18
	ds_read2_b32 v[8:9], v252 offset0:19 offset1:20
	s_waitcnt lgkmcnt(4)
	v_mul_f32_e32 v180, v150, v119
	v_mov_b32_e32 v66, v180
	v_mov_b32_e32 v226, v180
	;; [unrolled: 1-line block ×3, first 2 shown]
	s_waitcnt vmcnt(5)
	v_mov_b32_e32 v10, v172
	v_mov_b32_e32 v11, v173
	;; [unrolled: 1-line block ×6, first 2 shown]
	s_waitcnt vmcnt(2)
	v_mov_b32_e32 v13, v15
	v_mov_b32_e32 v14, v16
	;; [unrolled: 1-line block ×8, first 2 shown]
	s_waitcnt lgkmcnt(3)
	v_pk_fma_f32 v[44:45], v[180:181], v[0:1], v[2:3] op_sel_hi:[0,1,1] neg_lo:[1,0,0] neg_hi:[1,0,0]
	v_mov_b32_e32 v0, v15
	v_mov_b32_e32 v1, v16
	;; [unrolled: 1-line block ×4, first 2 shown]
	s_waitcnt lgkmcnt(2)
	v_pk_fma_f32 v[46:47], v[180:181], v[4:5], v[0:1] op_sel_hi:[0,1,1] neg_lo:[1,0,0] neg_hi:[1,0,0]
	v_mov_b32_e32 v0, v17
	v_mov_b32_e32 v1, v18
	s_waitcnt lgkmcnt(1)
	v_pk_fma_f32 v[48:49], v[180:181], v[6:7], v[0:1] op_sel_hi:[0,1,1] neg_lo:[1,0,0] neg_hi:[1,0,0]
	v_mov_b32_e32 v0, v19
	v_mov_b32_e32 v1, v20
	;; [unrolled: 1-line block ×4, first 2 shown]
	s_waitcnt lgkmcnt(0)
	v_pk_fma_f32 v[50:51], v[180:181], v[8:9], v[0:1] op_sel_hi:[0,1,1] neg_lo:[1,0,0] neg_hi:[1,0,0]
	v_mov_b32_e32 v6, v168
	v_mov_b32_e32 v7, v169
	;; [unrolled: 1-line block ×12, first 2 shown]
	ds_read2_b32 v[2:3], v252 offset0:21 offset1:22
	ds_read_b32 v4, v252 offset:92
	v_mov_b32_e32 v0, v21
	v_mov_b32_e32 v1, v22
	scratch_store_dwordx4 off, v[6:9], off offset:900 ; 16-byte Folded Spill
	s_nop 0
	scratch_store_dwordx4 off, v[10:13], off offset:916 ; 16-byte Folded Spill
	scratch_store_dwordx4 off, v[14:17], off offset:932 ; 16-byte Folded Spill
	;; [unrolled: 1-line block ×4, first 2 shown]
	s_waitcnt vmcnt(6)
	scratch_store_dwordx4 off, v[26:29], off offset:980 ; 16-byte Folded Spill
	s_waitcnt vmcnt(6)
	scratch_store_dwordx4 off, v[30:33], off offset:996 ; 16-byte Folded Spill
	scratch_store_dwordx4 off, v[34:37], off offset:1012 ; 16-byte Folded Spill
	v_mov_b32_e32 v21, v46
	v_mov_b32_e32 v58, v172
	;; [unrolled: 1-line block ×17, first 2 shown]
	s_waitcnt lgkmcnt(1)
	v_pk_fma_f32 v[52:53], v[180:181], v[2:3], v[0:1] op_sel_hi:[0,1,1] neg_lo:[1,0,0] neg_hi:[1,0,0]
	v_mov_b32_e32 v0, v168
	v_mov_b32_e32 v1, v169
	;; [unrolled: 1-line block ×21, first 2 shown]
	scratch_store_dwordx4 off, v[6:9], off offset:772 ; 16-byte Folded Spill
	s_nop 0
	scratch_store_dwordx4 off, v[10:13], off offset:788 ; 16-byte Folded Spill
	scratch_store_dwordx4 off, v[14:17], off offset:804 ; 16-byte Folded Spill
	;; [unrolled: 1-line block ×7, first 2 shown]
	v_mov_b32_e32 v22, v47
	v_mov_b32_e32 v23, v48
	;; [unrolled: 1-line block ×8, first 2 shown]
	scratch_store_dwordx4 off, v[6:9], off offset:644 ; 16-byte Folded Spill
	s_nop 0
	scratch_store_dwordx4 off, v[10:13], off offset:660 ; 16-byte Folded Spill
	scratch_store_dwordx4 off, v[14:17], off offset:676 ; 16-byte Folded Spill
	;; [unrolled: 1-line block ×7, first 2 shown]
	v_mov_b32_e32 v24, v49
	scratch_store_dwordx4 off, v[6:9], off offset:388 ; 16-byte Folded Spill
	s_nop 0
	scratch_store_dwordx4 off, v[10:13], off offset:404 ; 16-byte Folded Spill
	scratch_store_dwordx4 off, v[14:17], off offset:420 ; 16-byte Folded Spill
	;; [unrolled: 1-line block ×7, first 2 shown]
	v_mov_b32_e32 v25, v50
	scratch_store_dwordx4 off, v[6:9], off offset:516 ; 16-byte Folded Spill
	s_nop 0
	scratch_store_dwordx4 off, v[10:13], off offset:532 ; 16-byte Folded Spill
	scratch_store_dwordx4 off, v[14:17], off offset:548 ; 16-byte Folded Spill
	;; [unrolled: 1-line block ×8, first 2 shown]
	s_nop 0
	scratch_store_dwordx4 off, v[58:61], off offset:276 ; 16-byte Folded Spill
	scratch_store_dwordx4 off, v[62:65], off offset:292 ; 16-byte Folded Spill
	scratch_store_dwordx4 off, v[66:69], off offset:308 ; 16-byte Folded Spill
	scratch_store_dwordx4 off, v[70:73], off offset:324 ; 16-byte Folded Spill
	scratch_store_dwordx4 off, v[74:77], off offset:340 ; 16-byte Folded Spill
	scratch_store_dwordx4 off, v[78:81], off offset:356 ; 16-byte Folded Spill
	scratch_store_dwordx4 off, v[82:85], off offset:372 ; 16-byte Folded Spill
	s_waitcnt lgkmcnt(0)
	v_fma_f32 v23, -v180, v4, v255
	v_mov_b32_e32 v14, v45
	v_mov_b32_e32 v15, v46
	;; [unrolled: 1-line block ×18, first 2 shown]
	v_mov_b64_e32 v[92:93], v[14:15]
	v_mov_b64_e32 v[100:101], v[22:23]
	;; [unrolled: 1-line block ×12, first 2 shown]
	v_mov_b32_e32 v56, v168
	v_mov_b32_e32 v57, v169
	;; [unrolled: 1-line block ×13, first 2 shown]
	scratch_store_dwordx4 off, v[168:171], off offset:1028 ; 16-byte Folded Spill
	s_nop 0
	scratch_store_dwordx4 off, v[172:175], off offset:1044 ; 16-byte Folded Spill
	scratch_store_dwordx4 off, v[176:179], off offset:1060 ; 16-byte Folded Spill
	scratch_store_dwordx4 off, v[180:183], off offset:1076 ; 16-byte Folded Spill
	scratch_store_dwordx4 off, v[184:187], off offset:1092 ; 16-byte Folded Spill
	scratch_store_dwordx4 off, v[188:191], off offset:1108 ; 16-byte Folded Spill
	scratch_store_dwordx4 off, v[192:195], off offset:1124 ; 16-byte Folded Spill
	scratch_store_dwordx4 off, v[196:199], off offset:1140 ; 16-byte Folded Spill
	scratch_store_dwordx4 off, v[168:171], off offset:1284 ; 16-byte Folded Spill
	s_nop 0
	scratch_store_dwordx4 off, v[172:175], off offset:1300 ; 16-byte Folded Spill
	scratch_store_dwordx4 off, v[176:179], off offset:1316 ; 16-byte Folded Spill
	scratch_store_dwordx4 off, v[180:183], off offset:1332 ; 16-byte Folded Spill
	scratch_store_dwordx4 off, v[184:187], off offset:1348 ; 16-byte Folded Spill
	scratch_store_dwordx4 off, v[188:191], off offset:1364 ; 16-byte Folded Spill
	scratch_store_dwordx4 off, v[192:195], off offset:1380 ; 16-byte Folded Spill
	scratch_store_dwordx4 off, v[196:199], off offset:1396 ; 16-byte Folded Spill
	;; [unrolled: 9-line block ×3, first 2 shown]
	v_mov_b32_e32 v69, v44
	v_mov_b32_e32 v70, v45
	;; [unrolled: 1-line block ×15, first 2 shown]
	scratch_store_dwordx4 off, v[24:27], off offset:132 ; 16-byte Folded Spill
	s_nop 0
	scratch_store_dwordx4 off, v[28:31], off offset:148 ; 16-byte Folded Spill
	scratch_store_dwordx4 off, v[32:35], off offset:164 ; 16-byte Folded Spill
	;; [unrolled: 1-line block ×7, first 2 shown]
.LBB47_68:
	s_or_b64 exec, exec, s[2:3]
	v_cmp_eq_u32_e32 vcc, 13, v205
	s_waitcnt lgkmcnt(0)
	s_barrier
	s_and_saveexec_b64 s[2:3], vcc
	s_cbranch_execz .LBB47_71
; %bb.69:
	ds_write_b32 v253, v33
	scratch_load_dwordx4 v[150:153], off, off offset:4 ; 16-byte Folded Reload
	scratch_load_dwordx4 v[154:157], off, off offset:20 ; 16-byte Folded Reload
	;; [unrolled: 1-line block ×8, first 2 shown]
	s_waitcnt vmcnt(4)
	v_mov_b64_e32 v[0:1], v[150:151]
	v_mov_b64_e32 v[14:15], v[164:165]
	s_waitcnt vmcnt(2)
	v_mov_b64_e32 v[16:17], v[166:167]
	v_mov_b64_e32 v[18:19], v[168:169]
	;; [unrolled: 1-line block ×4, first 2 shown]
	ds_write2_b64 v252, v[14:15], v[16:17] offset0:7 offset1:8
	ds_write2_b64 v252, v[18:19], v[20:21] offset0:9 offset1:10
	ds_write_b64 v252, v[22:23] offset:88
	ds_read_b32 v44, v253
	v_mov_b64_e32 v[2:3], v[152:153]
	v_mov_b64_e32 v[4:5], v[154:155]
	;; [unrolled: 1-line block ×4, first 2 shown]
	s_waitcnt lgkmcnt(0)
	v_cmp_neq_f32_e32 vcc, 0, v44
	v_mov_b64_e32 v[10:11], v[160:161]
	v_mov_b64_e32 v[12:13], v[162:163]
	s_and_b64 exec, exec, vcc
	s_cbranch_execz .LBB47_71
; %bb.70:
	v_div_scale_f32 v45, s[4:5], v44, v44, 1.0
	v_rcp_f32_e32 v46, v45
	v_div_scale_f32 v47, vcc, 1.0, v44, 1.0
	v_fma_f32 v48, -v45, v46, 1.0
	v_fmac_f32_e32 v46, v48, v46
	v_mul_f32_e32 v48, v47, v46
	v_fma_f32 v49, -v45, v48, v47
	v_fmac_f32_e32 v48, v49, v46
	v_fma_f32 v45, -v45, v48, v47
	v_div_fmas_f32 v45, v45, v46, v48
	v_div_fixup_f32 v44, v45, v44, 1.0
	ds_write_b32 v253, v44
.LBB47_71:
	s_or_b64 exec, exec, s[2:3]
	s_waitcnt lgkmcnt(0)
	s_barrier
	ds_read_b32 v202, v253
	v_cmp_lt_u32_e32 vcc, 13, v205
	s_and_saveexec_b64 s[2:3], vcc
	s_cbranch_execz .LBB47_73
; %bb.72:
	ds_read2_b64 v[0:3], v252 offset0:7 offset1:8
	ds_read2_b64 v[4:7], v252 offset0:9 offset1:10
	ds_read_b64 v[8:9], v252 offset:88
	s_waitcnt lgkmcnt(3)
	v_mul_f32_e32 v10, v33, v202
	scratch_load_dwordx4 v[22:25], off, off offset:4 ; 16-byte Folded Reload
	scratch_load_dwordx4 v[26:29], off, off offset:20 ; 16-byte Folded Reload
	;; [unrolled: 1-line block ×16, first 2 shown]
	s_waitcnt vmcnt(4)
	v_mov_b32_e32 v181, v10
	s_waitcnt vmcnt(1)
	v_mov_b32_e32 v195, v10
	v_mov_b32_e32 v157, v10
	;; [unrolled: 1-line block ×7, first 2 shown]
	s_waitcnt lgkmcnt(2)
	v_pk_fma_f32 v[158:159], v[10:11], v[0:1], v[36:37] op_sel_hi:[0,1,1] neg_lo:[1,0,0] neg_hi:[1,0,0]
	v_pk_fma_f32 v[230:231], v[10:11], v[2:3], v[38:39] op_sel_hi:[0,1,1] neg_lo:[1,0,0] neg_hi:[1,0,0]
	s_waitcnt lgkmcnt(0)
	v_pk_fma_f32 v[44:45], v[10:11], v[8:9], v[44:45] op_sel_hi:[0,1,1] neg_lo:[1,0,0] neg_hi:[1,0,0]
	v_mov_b32_e32 v26, v170
	v_mov_b32_e32 v27, v171
	;; [unrolled: 1-line block ×14, first 2 shown]
	v_pk_fma_f32 v[200:201], v[10:11], v[4:5], v[40:41] op_sel_hi:[0,1,1] neg_lo:[1,0,0] neg_hi:[1,0,0]
	scratch_store_dwordx4 off, v[24:27], off offset:772 ; 16-byte Folded Spill
	s_nop 0
	scratch_store_dwordx4 off, v[28:31], off offset:788 ; 16-byte Folded Spill
	scratch_store_dwordx4 off, v[32:35], off offset:804 ; 16-byte Folded Spill
	;; [unrolled: 1-line block ×7, first 2 shown]
	v_mov_b32_e32 v40, v230
	v_mov_b32_e32 v41, v231
	;; [unrolled: 1-line block ×27, first 2 shown]
	s_waitcnt vmcnt(8)
	v_mov_b32_e32 v196, v158
	v_mov_b32_e32 v197, v159
	;; [unrolled: 1-line block ×29, first 2 shown]
	scratch_store_dwordx4 off, v[24:27], off offset:644 ; 16-byte Folded Spill
	s_nop 0
	scratch_store_dwordx4 off, v[28:31], off offset:660 ; 16-byte Folded Spill
	scratch_store_dwordx4 off, v[32:35], off offset:676 ; 16-byte Folded Spill
	;; [unrolled: 1-line block ×7, first 2 shown]
	v_mov_b32_e32 v24, v180
	v_mov_b32_e32 v25, v10
	;; [unrolled: 1-line block ×52, first 2 shown]
	scratch_store_dwordx4 off, v[12:15], off offset:516 ; 16-byte Folded Spill
	s_nop 0
	scratch_store_dwordx4 off, v[16:19], off offset:532 ; 16-byte Folded Spill
	scratch_store_dwordx4 off, v[20:23], off offset:548 ; 16-byte Folded Spill
	;; [unrolled: 1-line block ×7, first 2 shown]
	v_mov_b32_e32 v22, v168
	v_mov_b32_e32 v23, v169
	;; [unrolled: 1-line block ×13, first 2 shown]
	scratch_store_dwordx4 off, v[168:171], off offset:1028 ; 16-byte Folded Spill
	s_nop 0
	scratch_store_dwordx4 off, v[172:175], off offset:1044 ; 16-byte Folded Spill
	scratch_store_dwordx4 off, v[176:179], off offset:1060 ; 16-byte Folded Spill
	;; [unrolled: 1-line block ×7, first 2 shown]
	v_mov_b32_e32 v35, v10
	v_mov_b32_e32 v36, v158
	;; [unrolled: 1-line block ×9, first 2 shown]
	v_pk_fma_f32 v[108:109], v[10:11], v[6:7], v[42:43] op_sel_hi:[0,1,1] neg_lo:[1,0,0] neg_hi:[1,0,0]
	v_mov_b64_e32 v[0:1], v[22:23]
	v_mov_b32_e32 v42, v108
	v_mov_b32_e32 v43, v109
	v_mov_b64_e32 v[2:3], v[24:25]
	v_mov_b64_e32 v[4:5], v[26:27]
	;; [unrolled: 1-line block ×11, first 2 shown]
	v_mov_b32_e32 v76, v108
	v_mov_b32_e32 v77, v109
	scratch_store_dwordx4 off, v[0:3], off offset:4 ; 16-byte Folded Spill
	s_nop 0
	scratch_store_dwordx4 off, v[4:7], off offset:20 ; 16-byte Folded Spill
	scratch_store_dwordx4 off, v[8:11], off offset:36 ; 16-byte Folded Spill
	scratch_store_dwordx4 off, v[12:15], off offset:52 ; 16-byte Folded Spill
	scratch_store_dwordx4 off, v[16:19], off offset:68 ; 16-byte Folded Spill
	scratch_store_dwordx4 off, v[20:23], off offset:84 ; 16-byte Folded Spill
	scratch_store_dwordx4 off, v[24:27], off offset:100 ; 16-byte Folded Spill
	scratch_store_dwordx4 off, v[28:31], off offset:116 ; 16-byte Folded Spill
	scratch_store_dwordx4 off, v[144:147], off offset:900 ; 16-byte Folded Spill
	s_nop 0
	scratch_store_dwordx4 off, v[148:151], off offset:916 ; 16-byte Folded Spill
	scratch_store_dwordx4 off, v[152:155], off offset:932 ; 16-byte Folded Spill
	scratch_store_dwordx4 off, v[156:159], off offset:948 ; 16-byte Folded Spill
	scratch_store_dwordx4 off, v[160:163], off offset:964 ; 16-byte Folded Spill
	scratch_store_dwordx4 off, v[164:167], off offset:980 ; 16-byte Folded Spill
	scratch_store_dwordx4 off, v[168:171], off offset:996 ; 16-byte Folded Spill
	scratch_store_dwordx4 off, v[172:175], off offset:1012 ; 16-byte Folded Spill
	;; [unrolled: 9-line block ×3, first 2 shown]
	v_mov_b32_e32 v86, v108
	scratch_store_dwordx4 off, v[88:91], off offset:260 ; 16-byte Folded Spill
	s_nop 0
	scratch_store_dwordx4 off, v[92:95], off offset:276 ; 16-byte Folded Spill
	scratch_store_dwordx4 off, v[96:99], off offset:292 ; 16-byte Folded Spill
	;; [unrolled: 1-line block ×7, first 2 shown]
	v_mov_b32_e32 v148, v230
	v_mov_b32_e32 v133, v159
	v_mov_b32_e32 v85, v201
	v_mov_b32_e32 v141, v109
	scratch_store_dwordx4 off, v[120:123], off offset:132 ; 16-byte Folded Spill
	s_nop 0
	scratch_store_dwordx4 off, v[124:127], off offset:148 ; 16-byte Folded Spill
	scratch_store_dwordx4 off, v[128:131], off offset:164 ; 16-byte Folded Spill
	;; [unrolled: 1-line block ×7, first 2 shown]
.LBB47_73:
	s_or_b64 exec, exec, s[2:3]
	v_cmp_eq_u32_e32 vcc, 14, v205
	s_waitcnt lgkmcnt(0)
	s_barrier
	s_and_saveexec_b64 s[2:3], vcc
	s_cbranch_execz .LBB47_76
; %bb.74:
	ds_write_b32 v253, v132
	scratch_load_dwordx4 v[0:3], off, off offset:4 ; 16-byte Folded Reload
	scratch_load_dwordx4 v[4:7], off, off offset:20 ; 16-byte Folded Reload
	;; [unrolled: 1-line block ×8, first 2 shown]
	s_waitcnt vmcnt(3)
	ds_write2_b32 v252, v15, v16 offset0:15 offset1:16
	ds_write2_b32 v252, v17, v18 offset0:17 offset1:18
	s_waitcnt vmcnt(2)
	ds_write2_b32 v252, v19, v20 offset0:19 offset1:20
	ds_write2_b32 v252, v21, v22 offset0:21 offset1:22
	ds_write_b32 v252, v255 offset:92
	ds_read_b32 v44, v253
	s_waitcnt lgkmcnt(0)
	v_cmp_neq_f32_e32 vcc, 0, v44
	s_and_b64 exec, exec, vcc
	s_cbranch_execz .LBB47_76
; %bb.75:
	v_div_scale_f32 v45, s[4:5], v44, v44, 1.0
	v_rcp_f32_e32 v46, v45
	v_div_scale_f32 v47, vcc, 1.0, v44, 1.0
	v_fma_f32 v48, -v45, v46, 1.0
	v_fmac_f32_e32 v46, v48, v46
	v_mul_f32_e32 v48, v47, v46
	v_fma_f32 v49, -v45, v48, v47
	v_fmac_f32_e32 v48, v49, v46
	v_fma_f32 v45, -v45, v48, v47
	v_div_fmas_f32 v45, v45, v46, v48
	v_div_fixup_f32 v44, v45, v44, 1.0
	ds_write_b32 v253, v44
.LBB47_76:
	s_or_b64 exec, exec, s[2:3]
	s_waitcnt lgkmcnt(0)
	s_barrier
	ds_read_b32 v249, v253
	v_cmp_lt_u32_e32 vcc, 14, v205
	s_and_saveexec_b64 s[2:3], vcc
	s_cbranch_execz .LBB47_78
; %bb.77:
	scratch_load_dwordx4 v[152:155], off, off offset:1028 ; 16-byte Folded Reload
	scratch_load_dwordx4 v[156:159], off, off offset:1044 ; 16-byte Folded Reload
	scratch_load_dwordx4 v[160:163], off, off offset:1060 ; 16-byte Folded Reload
	scratch_load_dwordx4 v[164:167], off, off offset:1076 ; 16-byte Folded Reload
	scratch_load_dwordx4 v[168:171], off, off offset:1092 ; 16-byte Folded Reload
	scratch_load_dwordx4 v[172:175], off, off offset:1108 ; 16-byte Folded Reload
	scratch_load_dwordx4 v[176:179], off, off offset:1124 ; 16-byte Folded Reload
	scratch_load_dwordx4 v[180:183], off, off offset:1140 ; 16-byte Folded Reload
	ds_read2_b32 v[0:1], v252 offset0:15 offset1:16
	scratch_load_dwordx4 v[2:5], off, off offset:4 ; 16-byte Folded Reload
	scratch_load_dwordx4 v[6:9], off, off offset:20 ; 16-byte Folded Reload
	;; [unrolled: 1-line block ×8, first 2 shown]
	s_waitcnt vmcnt(7)
	ds_read2_b32 v[4:5], v252 offset0:17 offset1:18
	s_waitcnt vmcnt(6)
	ds_read2_b32 v[6:7], v252 offset0:19 offset1:20
	ds_read2_b32 v[8:9], v252 offset0:21 offset1:22
	s_waitcnt lgkmcnt(4)
	v_mul_f32_e32 v166, v132, v249
	v_mov_b32_e32 v228, v166
	v_mov_b32_e32 v70, v166
	v_mov_b32_e32 v214, v152
	v_mov_b32_e32 v215, v153
	s_waitcnt vmcnt(5)
	v_mov_b32_e32 v10, v160
	v_mov_b32_e32 v11, v161
	;; [unrolled: 1-line block ×4, first 2 shown]
	s_waitcnt vmcnt(4)
	v_mov_b32_e32 v14, v164
	s_waitcnt vmcnt(2)
	v_mov_b32_e32 v15, v17
	v_mov_b32_e32 v16, v18
	;; [unrolled: 1-line block ×8, first 2 shown]
	s_waitcnt lgkmcnt(3)
	v_pk_fma_f32 v[44:45], v[166:167], v[0:1], v[2:3] op_sel_hi:[0,1,1] neg_lo:[1,0,0] neg_hi:[1,0,0]
	v_mov_b32_e32 v0, v17
	v_mov_b32_e32 v1, v18
	;; [unrolled: 1-line block ×4, first 2 shown]
	s_waitcnt lgkmcnt(2)
	v_pk_fma_f32 v[46:47], v[166:167], v[4:5], v[0:1] op_sel_hi:[0,1,1] neg_lo:[1,0,0] neg_hi:[1,0,0]
	v_mov_b32_e32 v0, v19
	v_mov_b32_e32 v1, v20
	s_waitcnt lgkmcnt(1)
	v_pk_fma_f32 v[48:49], v[166:167], v[6:7], v[0:1] op_sel_hi:[0,1,1] neg_lo:[1,0,0] neg_hi:[1,0,0]
	v_mov_b32_e32 v0, v21
	v_mov_b32_e32 v1, v22
	;; [unrolled: 4-line block ×3, first 2 shown]
	v_mov_b32_e32 v4, v154
	v_mov_b32_e32 v5, v155
	;; [unrolled: 1-line block ×11, first 2 shown]
	ds_read_b32 v0, v252 offset:92
	scratch_store_dwordx4 off, v[2:5], off offset:644 ; 16-byte Folded Spill
	s_nop 0
	scratch_store_dwordx4 off, v[6:9], off offset:660 ; 16-byte Folded Spill
	scratch_store_dwordx4 off, v[10:13], off offset:676 ; 16-byte Folded Spill
	;; [unrolled: 1-line block ×5, first 2 shown]
	s_waitcnt vmcnt(7)
	scratch_store_dwordx4 off, v[26:29], off offset:740 ; 16-byte Folded Spill
	s_waitcnt vmcnt(7)
	scratch_store_dwordx4 off, v[30:33], off offset:756 ; 16-byte Folded Spill
	v_mov_b32_e32 v20, v47
	v_mov_b32_e32 v1, v153
	;; [unrolled: 1-line block ×42, first 2 shown]
	scratch_store_dwordx4 off, v[2:5], off offset:388 ; 16-byte Folded Spill
	s_nop 0
	scratch_store_dwordx4 off, v[6:9], off offset:404 ; 16-byte Folded Spill
	scratch_store_dwordx4 off, v[10:13], off offset:420 ; 16-byte Folded Spill
	;; [unrolled: 1-line block ×7, first 2 shown]
	v_mov_b32_e32 v21, v48
	scratch_store_dwordx4 off, v[2:5], off offset:516 ; 16-byte Folded Spill
	s_nop 0
	scratch_store_dwordx4 off, v[6:9], off offset:532 ; 16-byte Folded Spill
	scratch_store_dwordx4 off, v[10:13], off offset:548 ; 16-byte Folded Spill
	scratch_store_dwordx4 off, v[14:17], off offset:564 ; 16-byte Folded Spill
	scratch_store_dwordx4 off, v[18:21], off offset:580 ; 16-byte Folded Spill
	scratch_store_dwordx4 off, v[22:25], off offset:596 ; 16-byte Folded Spill
	scratch_store_dwordx4 off, v[26:29], off offset:612 ; 16-byte Folded Spill
	scratch_store_dwordx4 off, v[30:33], off offset:628 ; 16-byte Folded Spill
	v_mov_b32_e32 v22, v49
	scratch_store_dwordx4 off, v[2:5], off offset:260 ; 16-byte Folded Spill
	s_nop 0
	scratch_store_dwordx4 off, v[6:9], off offset:276 ; 16-byte Folded Spill
	scratch_store_dwordx4 off, v[10:13], off offset:292 ; 16-byte Folded Spill
	;; [unrolled: 1-line block ×7, first 2 shown]
	s_waitcnt lgkmcnt(0)
	v_fma_f32 v23, -v166, v0, v255
	v_mov_b32_e32 v14, v166
	v_mov_b32_e32 v15, v44
	;; [unrolled: 1-line block ×22, first 2 shown]
	v_mov_b64_e32 v[92:93], v[14:15]
	v_mov_b64_e32 v[100:101], v[22:23]
	;; [unrolled: 1-line block ×12, first 2 shown]
	scratch_store_dwordx4 off, v[152:155], off offset:772 ; 16-byte Folded Spill
	s_nop 0
	scratch_store_dwordx4 off, v[156:159], off offset:788 ; 16-byte Folded Spill
	scratch_store_dwordx4 off, v[160:163], off offset:804 ; 16-byte Folded Spill
	scratch_store_dwordx4 off, v[164:167], off offset:820 ; 16-byte Folded Spill
	scratch_store_dwordx4 off, v[168:171], off offset:836 ; 16-byte Folded Spill
	scratch_store_dwordx4 off, v[172:175], off offset:852 ; 16-byte Folded Spill
	scratch_store_dwordx4 off, v[176:179], off offset:868 ; 16-byte Folded Spill
	scratch_store_dwordx4 off, v[180:183], off offset:884 ; 16-byte Folded Spill
	scratch_store_dwordx4 off, v[152:155], off offset:900 ; 16-byte Folded Spill
	s_nop 0
	scratch_store_dwordx4 off, v[156:159], off offset:916 ; 16-byte Folded Spill
	scratch_store_dwordx4 off, v[160:163], off offset:932 ; 16-byte Folded Spill
	scratch_store_dwordx4 off, v[164:167], off offset:948 ; 16-byte Folded Spill
	scratch_store_dwordx4 off, v[168:171], off offset:964 ; 16-byte Folded Spill
	scratch_store_dwordx4 off, v[172:175], off offset:980 ; 16-byte Folded Spill
	scratch_store_dwordx4 off, v[176:179], off offset:996 ; 16-byte Folded Spill
	scratch_store_dwordx4 off, v[180:183], off offset:1012 ; 16-byte Folded Spill
	;; [unrolled: 9-line block ×3, first 2 shown]
	v_mov_b32_e32 v255, v23
	v_mov_b32_e32 v87, v46
	;; [unrolled: 1-line block ×5, first 2 shown]
	scratch_store_dwordx4 off, v[24:27], off offset:132 ; 16-byte Folded Spill
	s_nop 0
	scratch_store_dwordx4 off, v[28:31], off offset:148 ; 16-byte Folded Spill
	scratch_store_dwordx4 off, v[32:35], off offset:164 ; 16-byte Folded Spill
	;; [unrolled: 1-line block ×7, first 2 shown]
.LBB47_78:
	s_or_b64 exec, exec, s[2:3]
	v_cmp_eq_u32_e32 vcc, 15, v205
	s_waitcnt lgkmcnt(0)
	s_barrier
	s_and_saveexec_b64 s[2:3], vcc
	s_cbranch_execz .LBB47_81
; %bb.79:
	ds_write_b32 v253, v133
	scratch_load_dwordx4 v[150:153], off, off offset:4 ; 16-byte Folded Reload
	scratch_load_dwordx4 v[154:157], off, off offset:20 ; 16-byte Folded Reload
	;; [unrolled: 1-line block ×8, first 2 shown]
	s_waitcnt vmcnt(2)
	v_mov_b64_e32 v[16:17], v[166:167]
	v_mov_b64_e32 v[18:19], v[168:169]
	;; [unrolled: 1-line block ×4, first 2 shown]
	ds_write2_b64 v252, v[16:17], v[18:19] offset0:8 offset1:9
	ds_write2_b64 v252, v[20:21], v[22:23] offset0:10 offset1:11
	ds_read_b32 v44, v253
	s_waitcnt lgkmcnt(0)
	v_cmp_neq_f32_e32 vcc, 0, v44
	s_and_b64 exec, exec, vcc
	s_cbranch_execz .LBB47_81
; %bb.80:
	v_div_scale_f32 v45, s[4:5], v44, v44, 1.0
	v_rcp_f32_e32 v46, v45
	v_div_scale_f32 v47, vcc, 1.0, v44, 1.0
	v_fma_f32 v48, -v45, v46, 1.0
	v_fmac_f32_e32 v46, v48, v46
	v_mul_f32_e32 v48, v47, v46
	v_fma_f32 v49, -v45, v48, v47
	v_fmac_f32_e32 v48, v49, v46
	v_fma_f32 v45, -v45, v48, v47
	v_div_fmas_f32 v45, v45, v46, v48
	v_div_fixup_f32 v44, v45, v44, 1.0
	ds_write_b32 v253, v44
.LBB47_81:
	s_or_b64 exec, exec, s[2:3]
	s_waitcnt lgkmcnt(0)
	s_barrier
	ds_read_b32 v168, v253
	v_cmp_lt_u32_e32 vcc, 15, v205
	s_and_saveexec_b64 s[2:3], vcc
	s_cbranch_execz .LBB47_83
; %bb.82:
	ds_read2_b64 v[0:3], v252 offset0:8 offset1:9
	ds_read2_b64 v[4:7], v252 offset0:10 offset1:11
	scratch_load_dwordx4 v[10:13], off, off offset:4 ; 16-byte Folded Reload
	scratch_load_dwordx4 v[14:17], off, off offset:20 ; 16-byte Folded Reload
	;; [unrolled: 1-line block ×8, first 2 shown]
	s_waitcnt lgkmcnt(2)
	v_mul_f32_e32 v8, v133, v168
	v_mov_b32_e32 v135, v8
	v_mov_b32_e32 v229, v8
	;; [unrolled: 1-line block ×3, first 2 shown]
	s_waitcnt vmcnt(8)
	v_mov_b32_e32 v185, v8
	s_waitcnt vmcnt(6)
	v_mov_b32_e32 v15, v8
	v_mov_b32_e32 v71, v8
	s_waitcnt vmcnt(2)
	v_mov_b64_e32 v[16:17], v[26:27]
	v_mov_b64_e32 v[18:19], v[28:29]
	v_mov_b64_e32 v[20:21], v[30:31]
	v_mov_b64_e32 v[22:23], v[32:33]
	scratch_load_dwordx4 v[24:27], off, off offset:900 ; 16-byte Folded Reload
	scratch_load_dwordx4 v[28:31], off, off offset:916 ; 16-byte Folded Reload
	;; [unrolled: 1-line block ×8, first 2 shown]
	s_waitcnt lgkmcnt(1)
	v_pk_fma_f32 v[230:231], v[8:9], v[0:1], v[16:17] op_sel_hi:[0,1,1] neg_lo:[1,0,0] neg_hi:[1,0,0]
	s_waitcnt vmcnt(4)
	v_mov_b32_e32 v39, v8
	s_waitcnt vmcnt(3)
	v_mov_b32_e32 v40, v230
	v_mov_b32_e32 v41, v231
	v_pk_fma_f32 v[106:107], v[8:9], v[2:3], v[18:19] op_sel_hi:[0,1,1] neg_lo:[1,0,0] neg_hi:[1,0,0]
	s_waitcnt lgkmcnt(0)
	v_pk_fma_f32 v[190:191], v[8:9], v[4:5], v[20:21] op_sel_hi:[0,1,1] neg_lo:[1,0,0] neg_hi:[1,0,0]
	v_pk_fma_f32 v[22:23], v[8:9], v[6:7], v[22:23] op_sel_hi:[0,1,1] neg_lo:[1,0,0] neg_hi:[1,0,0]
	v_mov_b32_e32 v16, v230
	v_mov_b32_e32 v17, v231
	;; [unrolled: 1-line block ×6, first 2 shown]
	v_mov_b64_e32 v[166:167], v[22:23]
	v_mov_b64_e32 v[164:165], v[20:21]
	;; [unrolled: 1-line block ×4, first 2 shown]
	v_mov_b32_e32 v104, v230
	v_mov_b32_e32 v105, v231
	;; [unrolled: 1-line block ×16, first 2 shown]
	v_mov_b64_e32 v[130:131], v[34:35]
	v_mov_b32_e32 v134, v38
	v_mov_b64_e32 v[128:129], v[32:33]
	v_mov_b64_e32 v[126:127], v[30:31]
	;; [unrolled: 1-line block ×5, first 2 shown]
	v_mov_b32_e32 v133, v37
	v_mov_b32_e32 v132, v36
	scratch_store_dwordx4 off, v[24:27], off offset:644 ; 16-byte Folded Spill
	s_nop 0
	scratch_store_dwordx4 off, v[28:31], off offset:660 ; 16-byte Folded Spill
	scratch_store_dwordx4 off, v[32:35], off offset:676 ; 16-byte Folded Spill
	;; [unrolled: 1-line block ×4, first 2 shown]
	s_waitcnt vmcnt(7)
	scratch_store_dwordx4 off, v[44:47], off offset:724 ; 16-byte Folded Spill
	s_waitcnt vmcnt(7)
	scratch_store_dwordx4 off, v[48:51], off offset:740 ; 16-byte Folded Spill
	;; [unrolled: 2-line block ×3, first 2 shown]
	v_mov_b32_e32 v42, v106
	v_mov_b32_e32 v43, v107
	;; [unrolled: 1-line block ×64, first 2 shown]
	scratch_store_dwordx4 off, v[24:27], off offset:516 ; 16-byte Folded Spill
	s_nop 0
	scratch_store_dwordx4 off, v[28:31], off offset:532 ; 16-byte Folded Spill
	scratch_store_dwordx4 off, v[32:35], off offset:548 ; 16-byte Folded Spill
	;; [unrolled: 1-line block ×7, first 2 shown]
	v_mov_b32_e32 v2, v122
	v_mov_b32_e32 v3, v123
	;; [unrolled: 1-line block ×13, first 2 shown]
	scratch_store_dwordx4 off, v[120:123], off offset:772 ; 16-byte Folded Spill
	s_nop 0
	scratch_store_dwordx4 off, v[124:127], off offset:788 ; 16-byte Folded Spill
	scratch_store_dwordx4 off, v[128:131], off offset:804 ; 16-byte Folded Spill
	;; [unrolled: 1-line block ×7, first 2 shown]
	v_mov_b64_e32 v[158:159], v[14:15]
	v_mov_b64_e32 v[156:157], v[12:13]
	v_mov_b64_e32 v[154:155], v[10:11]
	v_mov_b64_e32 v[152:153], v[8:9]
	v_mov_b64_e32 v[150:151], v[6:7]
	v_mov_b64_e32 v[148:149], v[4:5]
	v_mov_b64_e32 v[146:147], v[2:3]
	v_mov_b64_e32 v[144:145], v[0:1]
	scratch_store_dwordx4 off, v[144:147], off offset:4 ; 16-byte Folded Spill
	s_nop 0
	scratch_store_dwordx4 off, v[148:151], off offset:20 ; 16-byte Folded Spill
	scratch_store_dwordx4 off, v[152:155], off offset:36 ; 16-byte Folded Spill
	scratch_store_dwordx4 off, v[156:159], off offset:52 ; 16-byte Folded Spill
	scratch_store_dwordx4 off, v[160:163], off offset:68 ; 16-byte Folded Spill
	scratch_store_dwordx4 off, v[164:167], off offset:84 ; 16-byte Folded Spill
	scratch_store_dwordx4 off, v[168:171], off offset:100 ; 16-byte Folded Spill
	scratch_store_dwordx4 off, v[172:175], off offset:116 ; 16-byte Folded Spill
	v_mov_b32_e32 v134, v106
	scratch_store_dwordx4 off, v[88:91], off offset:388 ; 16-byte Folded Spill
	s_nop 0
	scratch_store_dwordx4 off, v[92:95], off offset:404 ; 16-byte Folded Spill
	scratch_store_dwordx4 off, v[96:99], off offset:420 ; 16-byte Folded Spill
	scratch_store_dwordx4 off, v[100:103], off offset:436 ; 16-byte Folded Spill
	scratch_store_dwordx4 off, v[104:107], off offset:452 ; 16-byte Folded Spill
	scratch_store_dwordx4 off, v[108:111], off offset:468 ; 16-byte Folded Spill
	scratch_store_dwordx4 off, v[112:115], off offset:484 ; 16-byte Folded Spill
	scratch_store_dwordx4 off, v[116:119], off offset:500 ; 16-byte Folded Spill
	v_mov_b32_e32 v148, v230
	;; [unrolled: 10-line block ×3, first 2 shown]
	v_mov_b32_e32 v141, v191
	scratch_store_dwordx4 off, v[120:123], off offset:132 ; 16-byte Folded Spill
	s_nop 0
	scratch_store_dwordx4 off, v[124:127], off offset:148 ; 16-byte Folded Spill
	scratch_store_dwordx4 off, v[128:131], off offset:164 ; 16-byte Folded Spill
	scratch_store_dwordx4 off, v[132:135], off offset:180 ; 16-byte Folded Spill
	scratch_store_dwordx4 off, v[136:139], off offset:196 ; 16-byte Folded Spill
	scratch_store_dwordx4 off, v[140:143], off offset:212 ; 16-byte Folded Spill
	scratch_store_dwordx4 off, v[144:147], off offset:228 ; 16-byte Folded Spill
	scratch_store_dwordx4 off, v[148:151], off offset:244 ; 16-byte Folded Spill
.LBB47_83:
	s_or_b64 exec, exec, s[2:3]
	v_cmp_eq_u32_e32 vcc, 16, v205
	s_waitcnt lgkmcnt(0)
	s_barrier
	s_and_saveexec_b64 s[2:3], vcc
	s_cbranch_execz .LBB47_86
; %bb.84:
	ds_write_b32 v253, v148
	scratch_load_dwordx4 v[0:3], off, off offset:4 ; 16-byte Folded Reload
	scratch_load_dwordx4 v[4:7], off, off offset:20 ; 16-byte Folded Reload
	;; [unrolled: 1-line block ×8, first 2 shown]
	s_waitcnt vmcnt(3)
	ds_write2_b32 v252, v17, v18 offset0:17 offset1:18
	s_waitcnt vmcnt(2)
	ds_write2_b32 v252, v19, v20 offset0:19 offset1:20
	ds_write2_b32 v252, v21, v22 offset0:21 offset1:22
	ds_write_b32 v252, v255 offset:92
	ds_read_b32 v44, v253
	s_waitcnt lgkmcnt(0)
	v_cmp_neq_f32_e32 vcc, 0, v44
	s_and_b64 exec, exec, vcc
	s_cbranch_execz .LBB47_86
; %bb.85:
	v_div_scale_f32 v45, s[4:5], v44, v44, 1.0
	v_rcp_f32_e32 v46, v45
	v_div_scale_f32 v47, vcc, 1.0, v44, 1.0
	v_fma_f32 v48, -v45, v46, 1.0
	v_fmac_f32_e32 v46, v48, v46
	v_mul_f32_e32 v48, v47, v46
	v_fma_f32 v49, -v45, v48, v47
	v_fmac_f32_e32 v48, v49, v46
	v_fma_f32 v45, -v45, v48, v47
	v_div_fmas_f32 v45, v45, v46, v48
	v_div_fixup_f32 v44, v45, v44, 1.0
	ds_write_b32 v253, v44
.LBB47_86:
	s_or_b64 exec, exec, s[2:3]
	s_waitcnt lgkmcnt(0)
	s_barrier
	ds_read_b32 v152, v253
	v_cmp_lt_u32_e32 vcc, 16, v205
	s_and_saveexec_b64 s[2:3], vcc
	s_cbranch_execz .LBB47_88
; %bb.87:
	scratch_load_dwordx4 v[216:219], off, off offset:772 ; 16-byte Folded Reload
	scratch_load_dwordx4 v[220:223], off, off offset:788 ; 16-byte Folded Reload
	;; [unrolled: 1-line block ×8, first 2 shown]
	ds_read2_b32 v[0:1], v252 offset0:17 offset1:18
	scratch_load_dwordx4 v[2:5], off, off offset:4 ; 16-byte Folded Reload
	scratch_load_dwordx4 v[6:9], off, off offset:20 ; 16-byte Folded Reload
	;; [unrolled: 1-line block ×8, first 2 shown]
	s_waitcnt vmcnt(7)
	ds_read2_b32 v[4:5], v252 offset0:19 offset1:20
	s_waitcnt vmcnt(6)
	ds_read2_b32 v[6:7], v252 offset0:21 offset1:22
	ds_read_b32 v8, v252 offset:92
	s_waitcnt lgkmcnt(4)
	v_mul_f32_e32 v232, v148, v152
	s_waitcnt vmcnt(4)
	v_mov_b32_e32 v16, v232
	v_mov_b32_e32 v72, v232
	;; [unrolled: 1-line block ×9, first 2 shown]
	s_waitcnt vmcnt(2)
	v_mov_b32_e32 v17, v19
	v_mov_b32_e32 v18, v20
	;; [unrolled: 1-line block ×8, first 2 shown]
	s_waitcnt lgkmcnt(3)
	v_pk_fma_f32 v[44:45], v[232:233], v[0:1], v[2:3] op_sel_hi:[0,1,1] neg_lo:[1,0,0] neg_hi:[1,0,0]
	v_mov_b32_e32 v0, v19
	v_mov_b32_e32 v1, v20
	s_waitcnt lgkmcnt(2)
	v_pk_fma_f32 v[46:47], v[232:233], v[4:5], v[0:1] op_sel_hi:[0,1,1] neg_lo:[1,0,0] neg_hi:[1,0,0]
	v_mov_b32_e32 v0, v21
	v_mov_b32_e32 v1, v22
	s_waitcnt lgkmcnt(1)
	v_pk_fma_f32 v[48:49], v[232:233], v[6:7], v[0:1] op_sel_hi:[0,1,1] neg_lo:[1,0,0] neg_hi:[1,0,0]
	s_waitcnt lgkmcnt(0)
	v_fma_f32 v23, -v232, v8, v255
	v_mov_b32_e32 v0, v216
	v_mov_b32_e32 v1, v217
	;; [unrolled: 1-line block ×13, first 2 shown]
	scratch_store_dwordx4 off, v[0:3], off offset:388 ; 16-byte Folded Spill
	s_nop 0
	scratch_store_dwordx4 off, v[4:7], off offset:404 ; 16-byte Folded Spill
	scratch_store_dwordx4 off, v[8:11], off offset:420 ; 16-byte Folded Spill
	;; [unrolled: 1-line block ×5, first 2 shown]
	s_waitcnt vmcnt(7)
	scratch_store_dwordx4 off, v[24:27], off offset:484 ; 16-byte Folded Spill
	s_waitcnt vmcnt(7)
	scratch_store_dwordx4 off, v[28:31], off offset:500 ; 16-byte Folded Spill
	v_mov_b32_e32 v19, v46
	v_mov_b32_e32 v233, v44
	;; [unrolled: 1-line block ×24, first 2 shown]
	scratch_store_dwordx4 off, v[0:3], off offset:516 ; 16-byte Folded Spill
	s_nop 0
	scratch_store_dwordx4 off, v[4:7], off offset:532 ; 16-byte Folded Spill
	scratch_store_dwordx4 off, v[8:11], off offset:548 ; 16-byte Folded Spill
	;; [unrolled: 1-line block ×7, first 2 shown]
	v_mov_b32_e32 v20, v47
	scratch_store_dwordx4 off, v[0:3], off offset:260 ; 16-byte Folded Spill
	s_nop 0
	scratch_store_dwordx4 off, v[4:7], off offset:276 ; 16-byte Folded Spill
	scratch_store_dwordx4 off, v[8:11], off offset:292 ; 16-byte Folded Spill
	;; [unrolled: 1-line block ×8, first 2 shown]
	s_nop 0
	scratch_store_dwordx4 off, v[220:223], off offset:660 ; 16-byte Folded Spill
	scratch_store_dwordx4 off, v[224:227], off offset:676 ; 16-byte Folded Spill
	;; [unrolled: 1-line block ×7, first 2 shown]
	v_mov_b32_e32 v22, v49
	v_mov_b32_e32 v21, v48
	v_mov_b64_e32 v[92:93], v[14:15]
	v_mov_b64_e32 v[100:101], v[22:23]
	;; [unrolled: 1-line block ×13, first 2 shown]
	scratch_store_dwordx4 off, v[78:81], off offset:4 ; 16-byte Folded Spill
	s_nop 0
	scratch_store_dwordx4 off, v[82:85], off offset:20 ; 16-byte Folded Spill
	scratch_store_dwordx4 off, v[86:89], off offset:36 ; 16-byte Folded Spill
	;; [unrolled: 1-line block ×7, first 2 shown]
	v_mov_b64_e32 v[216:217], v[218:219]
	v_mov_b64_e32 v[218:219], v[220:221]
	;; [unrolled: 1-line block ×15, first 2 shown]
	v_mov_b32_e32 v255, v23
	v_mov_b32_e32 v87, v44
	;; [unrolled: 1-line block ×4, first 2 shown]
	scratch_store_dwordx4 off, v[24:27], off offset:132 ; 16-byte Folded Spill
	s_nop 0
	scratch_store_dwordx4 off, v[28:31], off offset:148 ; 16-byte Folded Spill
	scratch_store_dwordx4 off, v[32:35], off offset:164 ; 16-byte Folded Spill
	;; [unrolled: 1-line block ×7, first 2 shown]
.LBB47_88:
	s_or_b64 exec, exec, s[2:3]
	v_cmp_eq_u32_e32 vcc, 17, v205
	s_waitcnt lgkmcnt(0)
	s_barrier
	s_and_saveexec_b64 s[2:3], vcc
	s_cbranch_execz .LBB47_91
; %bb.89:
	ds_write_b32 v253, v87
	scratch_load_dwordx4 v[170:173], off, off offset:4 ; 16-byte Folded Reload
	scratch_load_dwordx4 v[174:177], off, off offset:20 ; 16-byte Folded Reload
	;; [unrolled: 1-line block ×8, first 2 shown]
	s_waitcnt vmcnt(2)
	v_mov_b64_e32 v[16:17], v[186:187]
	v_mov_b64_e32 v[18:19], v[188:189]
	;; [unrolled: 1-line block ×4, first 2 shown]
	ds_write2_b64 v252, v[18:19], v[20:21] offset0:9 offset1:10
	ds_write_b64 v252, v[22:23] offset:88
	ds_read_b32 v44, v253
	s_waitcnt lgkmcnt(0)
	v_cmp_neq_f32_e32 vcc, 0, v44
	s_and_b64 exec, exec, vcc
	s_cbranch_execz .LBB47_91
; %bb.90:
	v_div_scale_f32 v45, s[4:5], v44, v44, 1.0
	v_rcp_f32_e32 v46, v45
	v_div_scale_f32 v47, vcc, 1.0, v44, 1.0
	v_fma_f32 v48, -v45, v46, 1.0
	v_fmac_f32_e32 v46, v48, v46
	v_mul_f32_e32 v48, v47, v46
	v_fma_f32 v49, -v45, v48, v47
	v_fmac_f32_e32 v48, v49, v46
	v_fma_f32 v45, -v45, v48, v47
	v_div_fmas_f32 v45, v45, v46, v48
	v_div_fixup_f32 v44, v45, v44, 1.0
	ds_write_b32 v253, v44
.LBB47_91:
	s_or_b64 exec, exec, s[2:3]
	s_waitcnt lgkmcnt(0)
	s_barrier
	ds_read_b32 v153, v253
	v_cmp_lt_u32_e32 vcc, 17, v205
	s_and_saveexec_b64 s[2:3], vcc
	s_cbranch_execz .LBB47_93
; %bb.92:
	ds_read2_b64 v[0:3], v252 offset0:9 offset1:10
	ds_read_b64 v[4:5], v252 offset:88
	scratch_load_dwordx4 v[6:9], off, off offset:4 ; 16-byte Folded Reload
	scratch_load_dwordx4 v[10:13], off, off offset:20 ; 16-byte Folded Reload
	;; [unrolled: 1-line block ×8, first 2 shown]
	s_waitcnt lgkmcnt(2)
	v_mul_f32_e32 v44, v87, v153
	s_waitcnt vmcnt(7)
	v_mov_b32_e32 v6, v220
	v_mov_b32_e32 v7, v221
	v_mov_b32_e32 v8, v222
	v_mov_b32_e32 v9, v223
	s_waitcnt vmcnt(6)
	v_mov_b32_e32 v10, v224
	v_mov_b32_e32 v11, v225
	v_mov_b32_e32 v12, v226
	v_mov_b32_e32 v13, v227
	;; [unrolled: 5-line block ×3, first 2 shown]
	v_mov_b32_e32 v231, v44
	v_mov_b32_e32 v78, v214
	;; [unrolled: 1-line block ×55, first 2 shown]
	s_waitcnt vmcnt(2)
	v_mov_b64_e32 v[18:19], v[24:25]
	v_mov_b64_e32 v[20:21], v[26:27]
	;; [unrolled: 1-line block ×3, first 2 shown]
	s_waitcnt lgkmcnt(1)
	v_pk_fma_f32 v[96:97], v[44:45], v[0:1], v[18:19] op_sel_hi:[0,1,1] neg_lo:[1,0,0] neg_hi:[1,0,0]
	v_pk_fma_f32 v[190:191], v[44:45], v[2:3], v[20:21] op_sel_hi:[0,1,1] neg_lo:[1,0,0] neg_hi:[1,0,0]
	s_waitcnt lgkmcnt(0)
	v_pk_fma_f32 v[22:23], v[44:45], v[4:5], v[22:23] op_sel_hi:[0,1,1] neg_lo:[1,0,0] neg_hi:[1,0,0]
	v_mov_b32_e32 v0, v214
	v_mov_b32_e32 v1, v215
	;; [unrolled: 1-line block ×8, first 2 shown]
	scratch_store_dwordx4 off, v[0:3], off offset:516 ; 16-byte Folded Spill
	s_nop 0
	scratch_store_dwordx4 off, v[4:7], off offset:532 ; 16-byte Folded Spill
	scratch_store_dwordx4 off, v[8:11], off offset:548 ; 16-byte Folded Spill
	;; [unrolled: 1-line block ×6, first 2 shown]
	s_waitcnt vmcnt(8)
	scratch_store_dwordx4 off, v[28:31], off offset:628 ; 16-byte Folded Spill
	scratch_store_dwordx4 off, v[214:217], off offset:644 ; 16-byte Folded Spill
	s_nop 0
	scratch_store_dwordx4 off, v[218:221], off offset:660 ; 16-byte Folded Spill
	scratch_store_dwordx4 off, v[222:225], off offset:676 ; 16-byte Folded Spill
	;; [unrolled: 1-line block ×7, first 2 shown]
	v_mov_b32_e32 v18, v96
	v_mov_b32_e32 v20, v190
	;; [unrolled: 1-line block ×10, first 2 shown]
	v_mov_b64_e32 v[220:221], v[14:15]
	v_mov_b64_e32 v[228:229], v[22:23]
	;; [unrolled: 1-line block ×12, first 2 shown]
	scratch_store_dwordx4 off, v[206:209], off offset:4 ; 16-byte Folded Spill
	s_nop 0
	scratch_store_dwordx4 off, v[210:213], off offset:20 ; 16-byte Folded Spill
	scratch_store_dwordx4 off, v[214:217], off offset:36 ; 16-byte Folded Spill
	;; [unrolled: 1-line block ×8, first 2 shown]
	s_nop 0
	scratch_store_dwordx4 off, v[82:85], off offset:404 ; 16-byte Folded Spill
	scratch_store_dwordx4 off, v[86:89], off offset:420 ; 16-byte Folded Spill
	;; [unrolled: 1-line block ×7, first 2 shown]
	v_mov_b32_e32 v86, v190
	scratch_store_dwordx4 off, v[170:173], off offset:260 ; 16-byte Folded Spill
	s_nop 0
	scratch_store_dwordx4 off, v[174:177], off offset:276 ; 16-byte Folded Spill
	scratch_store_dwordx4 off, v[178:181], off offset:292 ; 16-byte Folded Spill
	;; [unrolled: 1-line block ×7, first 2 shown]
	v_mov_b32_e32 v254, v22
	v_mov_b32_e32 v255, v23
	;; [unrolled: 1-line block ×4, first 2 shown]
	scratch_store_dwordx4 off, v[120:123], off offset:132 ; 16-byte Folded Spill
	s_nop 0
	scratch_store_dwordx4 off, v[124:127], off offset:148 ; 16-byte Folded Spill
	scratch_store_dwordx4 off, v[128:131], off offset:164 ; 16-byte Folded Spill
	;; [unrolled: 1-line block ×7, first 2 shown]
.LBB47_93:
	s_or_b64 exec, exec, s[2:3]
	s_waitcnt lgkmcnt(0)
	s_barrier
	v_cmp_eq_u32_e32 vcc, 18, v205
	s_mov_b64 s[2:3], exec
	scratch_load_dwordx4 v[0:3], off, off offset:4 ; 16-byte Folded Reload
	scratch_load_dwordx4 v[4:7], off, off offset:20 ; 16-byte Folded Reload
	;; [unrolled: 1-line block ×8, first 2 shown]
	s_and_b64 s[4:5], s[2:3], vcc
	s_mov_b64 exec, s[4:5]
	s_cbranch_execz .LBB47_96
; %bb.94:
	ds_write_b32 v253, v134
	s_waitcnt vmcnt(2)
	ds_write2_b32 v252, v19, v20 offset0:19 offset1:20
	ds_write2_b32 v252, v21, v22 offset0:21 offset1:22
	ds_write_b32 v252, v255 offset:92
	ds_read_b32 v44, v253
	s_waitcnt lgkmcnt(0)
	v_cmp_neq_f32_e32 vcc, 0, v44
	s_and_b64 exec, exec, vcc
	s_cbranch_execz .LBB47_96
; %bb.95:
	v_div_scale_f32 v45, s[4:5], v44, v44, 1.0
	v_rcp_f32_e32 v46, v45
	v_div_scale_f32 v47, vcc, 1.0, v44, 1.0
	v_fma_f32 v48, -v45, v46, 1.0
	v_fmac_f32_e32 v46, v48, v46
	v_mul_f32_e32 v48, v47, v46
	v_fma_f32 v49, -v45, v48, v47
	v_fmac_f32_e32 v48, v49, v46
	v_fma_f32 v45, -v45, v48, v47
	v_div_fmas_f32 v45, v45, v46, v48
	v_div_fixup_f32 v44, v45, v44, 1.0
	ds_write_b32 v253, v44
.LBB47_96:
	s_or_b64 exec, exec, s[2:3]
	s_waitcnt lgkmcnt(0)
	s_barrier
	ds_read_b32 v154, v253
	v_cmp_lt_u32_e32 vcc, 18, v205
	s_mov_b64 s[2:3], exec
	scratch_load_dwordx4 v[170:173], off, off offset:516 ; 16-byte Folded Reload
	scratch_load_dwordx4 v[174:177], off, off offset:532 ; 16-byte Folded Reload
	;; [unrolled: 1-line block ×8, first 2 shown]
	s_and_b64 s[4:5], s[2:3], vcc
                                        ; kill: def $vgpr170_vgpr171_vgpr172_vgpr173_vgpr174_vgpr175_vgpr176_vgpr177_vgpr178_vgpr179_vgpr180_vgpr181_vgpr182_vgpr183_vgpr184_vgpr185 killed $vgpr170_vgpr171_vgpr172_vgpr173_vgpr174_vgpr175_vgpr176_vgpr177_vgpr178_vgpr179_vgpr180_vgpr181_vgpr182_vgpr183_vgpr184_vgpr185 def $vgpr191_vgpr192_vgpr193_vgpr194_vgpr195_vgpr196_vgpr197_vgpr198_vgpr199_vgpr200_vgpr201
	s_mov_b64 exec, s[4:5]
	s_cbranch_execz .LBB47_98
; %bb.97:
	scratch_load_dwordx4 v[24:27], off, off offset:644 ; 16-byte Folded Reload
	scratch_load_dwordx4 v[28:31], off, off offset:660 ; 16-byte Folded Reload
	;; [unrolled: 1-line block ×8, first 2 shown]
	s_waitcnt vmcnt(23)
	ds_read2_b32 v[0:1], v252 offset0:19 offset1:20
	s_waitcnt vmcnt(22)
	ds_read2_b32 v[4:5], v252 offset0:21 offset1:22
	ds_read_b32 v6, v252 offset:92
	s_waitcnt lgkmcnt(3)
	v_mul_f32_e32 v106, v134, v154
	s_waitcnt vmcnt(19)
	v_mov_b32_e32 v2, v19
	s_waitcnt vmcnt(18)
	v_mov_b32_e32 v3, v20
	s_waitcnt lgkmcnt(2)
	v_pk_fma_f32 v[78:79], v[106:107], v[0:1], v[2:3] op_sel_hi:[0,1,1] neg_lo:[1,0,0] neg_hi:[1,0,0]
	v_mov_b32_e32 v0, v21
	v_mov_b32_e32 v1, v22
	s_waitcnt lgkmcnt(1)
	v_pk_fma_f32 v[80:81], v[106:107], v[4:5], v[0:1] op_sel_hi:[0,1,1] neg_lo:[1,0,0] neg_hi:[1,0,0]
	s_waitcnt lgkmcnt(0)
	v_fma_f32 v23, -v106, v6, v255
	v_mov_b32_e32 v18, v106
	v_mov_b32_e32 v19, v78
	;; [unrolled: 1-line block ×8, first 2 shown]
	s_waitcnt vmcnt(2)
	v_mov_b32_e32 v44, v110
	v_mov_b32_e32 v46, v112
	;; [unrolled: 1-line block ×3, first 2 shown]
	s_waitcnt vmcnt(1)
	v_mov_b32_e32 v48, v114
	v_mov_b32_e32 v49, v115
	;; [unrolled: 1-line block ×4, first 2 shown]
	s_waitcnt vmcnt(0)
	v_mov_b32_e32 v52, v142
	v_mov_b32_e32 v53, v118
	;; [unrolled: 1-line block ×7, first 2 shown]
	v_mov_b64_e32 v[102:103], v[38:39]
	v_mov_b64_e32 v[100:101], v[36:37]
	;; [unrolled: 1-line block ×9, first 2 shown]
	v_mov_b32_e32 v0, v88
	v_mov_b32_e32 v1, v89
	;; [unrolled: 1-line block ×18, first 2 shown]
	scratch_store_dwordx4 off, v[0:3], off offset:260 ; 16-byte Folded Spill
	s_nop 0
	scratch_store_dwordx4 off, v[4:7], off offset:276 ; 16-byte Folded Spill
	scratch_store_dwordx4 off, v[8:11], off offset:292 ; 16-byte Folded Spill
	;; [unrolled: 1-line block ×7, first 2 shown]
	v_mov_b64_e32 v[200:201], v[118:119]
	v_mov_b32_e32 v56, v88
	v_mov_b32_e32 v57, v89
	;; [unrolled: 1-line block ×20, first 2 shown]
	v_mov_b64_e32 v[198:199], v[116:117]
	v_mov_b64_e32 v[196:197], v[114:115]
	v_mov_b64_e32 v[194:195], v[112:113]
	v_mov_b64_e32 v[192:193], v[110:111]
	v_mov_b64_e32 v[190:191], v[108:109]
	v_mov_b64_e32 v[188:189], v[106:107]
	v_mov_b64_e32 v[186:187], v[104:105]
	v_mov_b64_e32 v[184:185], v[102:103]
	v_mov_b64_e32 v[182:183], v[100:101]
	v_mov_b64_e32 v[180:181], v[98:99]
	v_mov_b64_e32 v[178:179], v[96:97]
	v_mov_b64_e32 v[176:177], v[94:95]
	v_mov_b64_e32 v[174:175], v[92:93]
	v_mov_b64_e32 v[172:173], v[90:91]
	v_mov_b64_e32 v[170:171], v[88:89]
	scratch_store_dwordx4 off, v[88:91], off offset:388 ; 16-byte Folded Spill
	s_nop 0
	scratch_store_dwordx4 off, v[92:95], off offset:404 ; 16-byte Folded Spill
	scratch_store_dwordx4 off, v[96:99], off offset:420 ; 16-byte Folded Spill
	;; [unrolled: 1-line block ×8, first 2 shown]
	s_nop 0
	scratch_store_dwordx4 off, v[28:31], off offset:148 ; 16-byte Folded Spill
	scratch_store_dwordx4 off, v[32:35], off offset:164 ; 16-byte Folded Spill
	;; [unrolled: 1-line block ×7, first 2 shown]
	v_mov_b32_e32 v255, v23
.LBB47_98:
	s_or_b64 exec, exec, s[2:3]
	v_cmp_eq_u32_e32 vcc, 19, v205
	s_waitcnt lgkmcnt(0)
	s_barrier
	s_and_saveexec_b64 s[2:3], vcc
	s_cbranch_execz .LBB47_101
; %bb.99:
	ds_write_b32 v253, v85
	s_waitcnt vmcnt(10)
	ds_write2_b64 v252, v[20:21], v[22:23] offset0:10 offset1:11
	ds_read_b32 v44, v253
	s_waitcnt lgkmcnt(0)
	v_cmp_neq_f32_e32 vcc, 0, v44
	s_and_b64 exec, exec, vcc
	s_cbranch_execz .LBB47_101
; %bb.100:
	v_div_scale_f32 v45, s[4:5], v44, v44, 1.0
	v_rcp_f32_e32 v46, v45
	v_div_scale_f32 v47, vcc, 1.0, v44, 1.0
	v_fma_f32 v48, -v45, v46, 1.0
	v_fmac_f32_e32 v46, v48, v46
	v_mul_f32_e32 v48, v47, v46
	v_fma_f32 v49, -v45, v48, v47
	v_fmac_f32_e32 v48, v49, v46
	v_fma_f32 v45, -v45, v48, v47
	v_div_fmas_f32 v45, v45, v46, v48
	v_div_fixup_f32 v44, v45, v44, 1.0
	ds_write_b32 v253, v44
.LBB47_101:
	s_or_b64 exec, exec, s[2:3]
	s_waitcnt lgkmcnt(0)
	s_barrier
	ds_read_b32 v108, v253
	v_cmp_lt_u32_e32 vcc, 19, v205
	s_and_saveexec_b64 s[2:3], vcc
	s_cbranch_execz .LBB47_103
; %bb.102:
	s_waitcnt vmcnt(15)
	ds_read2_b64 v[0:3], v252 offset0:10 offset1:11
	scratch_load_dwordx4 v[26:29], off, off offset:388 ; 16-byte Folded Reload
	scratch_load_dwordx4 v[30:33], off, off offset:404 ; 16-byte Folded Reload
	;; [unrolled: 1-line block ×8, first 2 shown]
	s_waitcnt vmcnt(17) lgkmcnt(1)
	v_mul_f32_e32 v24, v85, v108
	s_waitcnt vmcnt(3)
	v_mov_b32_e32 v45, v24
	v_mov_b32_e32 v139, v24
	s_waitcnt lgkmcnt(0)
	v_pk_fma_f32 v[140:141], v[24:25], v[0:1], v[20:21] op_sel_hi:[0,1,1] neg_lo:[1,0,0] neg_hi:[1,0,0]
	v_pk_fma_f32 v[22:23], v[24:25], v[2:3], v[22:23] op_sel_hi:[0,1,1] neg_lo:[1,0,0] neg_hi:[1,0,0]
	v_mov_b32_e32 v75, v24
	v_mov_b32_e32 v76, v140
	;; [unrolled: 1-line block ×9, first 2 shown]
	s_waitcnt vmcnt(0)
	v_mov_b32_e32 v56, v26
	v_mov_b32_e32 v57, v27
	;; [unrolled: 1-line block ×7, first 2 shown]
	v_mov_b64_e32 v[200:201], v[56:57]
	v_mov_b32_e32 v125, v31
	v_mov_b32_e32 v126, v32
	;; [unrolled: 1-line block ×50, first 2 shown]
	v_mov_b64_e32 v[198:199], v[54:55]
	v_mov_b64_e32 v[196:197], v[52:53]
	;; [unrolled: 1-line block ×15, first 2 shown]
	scratch_store_dwordx4 off, v[120:123], off offset:260 ; 16-byte Folded Spill
	s_nop 0
	scratch_store_dwordx4 off, v[124:127], off offset:276 ; 16-byte Folded Spill
	scratch_store_dwordx4 off, v[128:131], off offset:292 ; 16-byte Folded Spill
	;; [unrolled: 1-line block ×8, first 2 shown]
	s_nop 0
	scratch_store_dwordx4 off, v[124:127], off offset:148 ; 16-byte Folded Spill
	scratch_store_dwordx4 off, v[128:131], off offset:164 ; 16-byte Folded Spill
	;; [unrolled: 1-line block ×7, first 2 shown]
.LBB47_103:
	s_or_b64 exec, exec, s[2:3]
	v_cmp_eq_u32_e32 vcc, 20, v205
	s_waitcnt lgkmcnt(0)
	s_barrier
	s_and_saveexec_b64 s[2:3], vcc
	s_cbranch_execz .LBB47_106
; %bb.104:
	ds_write_b32 v253, v86
	s_waitcnt vmcnt(10)
	ds_write2_b32 v252, v21, v22 offset0:21 offset1:22
	ds_write_b32 v252, v255 offset:92
	ds_read_b32 v44, v253
	s_waitcnt lgkmcnt(0)
	v_cmp_neq_f32_e32 vcc, 0, v44
	s_and_b64 exec, exec, vcc
	s_cbranch_execz .LBB47_106
; %bb.105:
	v_div_scale_f32 v45, s[4:5], v44, v44, 1.0
	v_rcp_f32_e32 v46, v45
	v_div_scale_f32 v47, vcc, 1.0, v44, 1.0
	v_fma_f32 v48, -v45, v46, 1.0
	v_fmac_f32_e32 v46, v48, v46
	v_mul_f32_e32 v48, v47, v46
	v_fma_f32 v49, -v45, v48, v47
	v_fmac_f32_e32 v48, v49, v46
	v_fma_f32 v45, -v45, v48, v47
	v_div_fmas_f32 v45, v45, v46, v48
	v_div_fixup_f32 v44, v45, v44, 1.0
	ds_write_b32 v253, v44
.LBB47_106:
	s_or_b64 exec, exec, s[2:3]
	s_waitcnt lgkmcnt(0)
	s_barrier
	ds_read_b32 v46, v253
	v_cmp_lt_u32_e32 vcc, 20, v205
	s_and_saveexec_b64 s[2:3], vcc
	s_cbranch_execz .LBB47_108
; %bb.107:
	s_waitcnt vmcnt(15)
	ds_read2_b32 v[0:1], v252 offset0:21 offset1:22
	s_waitcnt vmcnt(14)
	ds_read_b32 v4, v252 offset:92
	s_waitcnt vmcnt(2) lgkmcnt(2)
	v_mul_f32_e32 v190, v86, v46
	v_mov_b32_e32 v2, v21
	v_mov_b32_e32 v3, v22
	s_waitcnt lgkmcnt(1)
	v_pk_fma_f32 v[48:49], v[190:191], v[0:1], v[2:3] op_sel_hi:[0,1,1] neg_lo:[1,0,0] neg_hi:[1,0,0]
	s_waitcnt lgkmcnt(0)
	v_fma_f32 v23, -v190, v4, v255
	v_mov_b32_e32 v191, v48
	v_mov_b32_e32 v4, v174
	;; [unrolled: 1-line block ×20, first 2 shown]
	s_waitcnt vmcnt(0)
	v_mov_b64_e32 v[56:57], v[170:171]
	v_mov_b32_e32 v25, v48
	v_mov_b32_e32 v0, v170
	;; [unrolled: 1-line block ×5, first 2 shown]
	v_mov_b64_e32 v[58:59], v[172:173]
	v_mov_b64_e32 v[60:61], v[174:175]
	;; [unrolled: 1-line block ×15, first 2 shown]
	scratch_store_dwordx4 off, v[170:173], off offset:260 ; 16-byte Folded Spill
	s_nop 0
	scratch_store_dwordx4 off, v[174:177], off offset:276 ; 16-byte Folded Spill
	scratch_store_dwordx4 off, v[178:181], off offset:292 ; 16-byte Folded Spill
	;; [unrolled: 1-line block ×8, first 2 shown]
	s_nop 0
	scratch_store_dwordx4 off, v[8:11], off offset:148 ; 16-byte Folded Spill
	scratch_store_dwordx4 off, v[12:15], off offset:164 ; 16-byte Folded Spill
	;; [unrolled: 1-line block ×7, first 2 shown]
	v_mov_b32_e32 v254, v49
	v_mov_b32_e32 v255, v23
.LBB47_108:
	s_or_b64 exec, exec, s[2:3]
	v_cmp_eq_u32_e32 vcc, 21, v205
	s_waitcnt lgkmcnt(0)
	s_barrier
	s_and_saveexec_b64 s[2:3], vcc
	s_cbranch_execz .LBB47_111
; %bb.109:
	scratch_load_dwordx4 v[170:173], off, off offset:132 ; 16-byte Folded Reload
	scratch_load_dwordx4 v[174:177], off, off offset:148 ; 16-byte Folded Reload
	;; [unrolled: 1-line block ×8, first 2 shown]
	s_waitcnt vmcnt(2)
	ds_write_b32 v253, v191
	ds_write_b64 v252, v[22:23] offset:88
	ds_read_b32 v24, v253
	s_waitcnt lgkmcnt(0)
	v_cmp_neq_f32_e32 vcc, 0, v24
	s_and_b64 exec, exec, vcc
	s_cbranch_execz .LBB47_111
; %bb.110:
	v_div_scale_f32 v25, s[4:5], v24, v24, 1.0
	v_rcp_f32_e32 v26, v25
	v_div_scale_f32 v27, vcc, 1.0, v24, 1.0
	v_fma_f32 v28, -v25, v26, 1.0
	v_fmac_f32_e32 v26, v28, v26
	v_mul_f32_e32 v28, v27, v26
	v_fma_f32 v29, -v25, v28, v27
	v_fmac_f32_e32 v28, v29, v26
	v_fma_f32 v25, -v25, v28, v27
	v_div_fmas_f32 v25, v25, v26, v28
	v_div_fixup_f32 v24, v25, v24, 1.0
	ds_write_b32 v253, v24
.LBB47_111:
	s_or_b64 exec, exec, s[2:3]
	s_waitcnt lgkmcnt(0)
	s_barrier
	ds_read_b32 v32, v253
	v_cmp_lt_u32_e32 vcc, 21, v205
	s_and_saveexec_b64 s[2:3], vcc
	s_cbranch_execz .LBB47_113
; %bb.112:
	s_waitcnt vmcnt(15)
	ds_read_b64 v[2:3], v252 offset:88
	scratch_load_dwordx4 v[48:51], off, off offset:132 ; 16-byte Folded Reload
	scratch_load_dwordx4 v[52:55], off, off offset:148 ; 16-byte Folded Reload
	;; [unrolled: 1-line block ×8, first 2 shown]
	s_waitcnt vmcnt(2) lgkmcnt(1)
	v_mul_f32_e32 v24, v69, v32
	scratch_load_dwordx4 v[56:59], off, off offset:260 ; 16-byte Folded Reload
	scratch_load_dwordx4 v[60:63], off, off offset:276 ; 16-byte Folded Reload
	;; [unrolled: 1-line block ×8, first 2 shown]
	s_waitcnt lgkmcnt(0)
	v_pk_fma_f32 v[22:23], v[24:25], v[2:3], v[22:23] op_sel_hi:[0,1,1] neg_lo:[1,0,0] neg_hi:[1,0,0]
	s_waitcnt vmcnt(2)
	v_mov_b32_e32 v77, v24
	v_mov_b32_e32 v21, v24
	;; [unrolled: 1-line block ×25, first 2 shown]
.LBB47_113:
	s_or_b64 exec, exec, s[2:3]
	v_cmp_eq_u32_e32 vcc, 22, v205
	s_waitcnt lgkmcnt(0)
	s_barrier
	s_and_saveexec_b64 s[2:3], vcc
	s_cbranch_execz .LBB47_116
; %bb.114:
	ds_write_b32 v253, v254
	ds_write_b32 v252, v255 offset:92
	s_waitcnt vmcnt(9)
	ds_read_b32 v24, v253
	s_waitcnt lgkmcnt(0)
	v_cmp_neq_f32_e32 vcc, 0, v24
	s_and_b64 exec, exec, vcc
	s_cbranch_execz .LBB47_116
; %bb.115:
	v_div_scale_f32 v25, s[4:5], v24, v24, 1.0
	v_rcp_f32_e32 v26, v25
	v_div_scale_f32 v27, vcc, 1.0, v24, 1.0
	s_waitcnt vmcnt(8)
	v_fma_f32 v28, -v25, v26, 1.0
	v_fmac_f32_e32 v26, v28, v26
	v_mul_f32_e32 v28, v27, v26
	v_fma_f32 v29, -v25, v28, v27
	v_fmac_f32_e32 v28, v29, v26
	v_fma_f32 v25, -v25, v28, v27
	v_div_fmas_f32 v25, v25, v26, v28
	v_div_fixup_f32 v24, v25, v24, 1.0
	ds_write_b32 v253, v24
.LBB47_116:
	s_or_b64 exec, exec, s[2:3]
	s_waitcnt lgkmcnt(0)
	s_barrier
	ds_read_b32 v33, v253
	v_cmp_lt_u32_e32 vcc, 22, v205
	s_and_saveexec_b64 s[2:3], vcc
	s_cbranch_execz .LBB47_118
; %bb.117:
	s_waitcnt vmcnt(15)
	ds_read_b32 v0, v252 offset:92
	s_waitcnt lgkmcnt(1)
	v_mul_f32_e32 v78, v254, v33
	s_waitcnt lgkmcnt(0)
	v_fma_f32 v79, -v78, v0, v255
	s_waitcnt vmcnt(0)
	v_mov_b64_e32 v[0:1], v[56:57]
	v_mov_b64_e32 v[2:3], v[58:59]
	v_mov_b64_e32 v[4:5], v[60:61]
	v_mov_b64_e32 v[6:7], v[62:63]
	v_mov_b64_e32 v[8:9], v[64:65]
	v_mov_b64_e32 v[10:11], v[66:67]
	v_mov_b64_e32 v[12:13], v[68:69]
	v_mov_b64_e32 v[14:15], v[70:71]
	v_mov_b64_e32 v[16:17], v[72:73]
	v_mov_b64_e32 v[18:19], v[74:75]
	v_mov_b64_e32 v[20:21], v[76:77]
	v_mov_b64_e32 v[22:23], v[78:79]
	v_mov_b32_e32 v255, v79
	v_mov_b64_e32 v[24:25], v[80:81]
	v_mov_b64_e32 v[26:27], v[82:83]
	;; [unrolled: 1-line block ×4, first 2 shown]
.LBB47_118:
	s_or_b64 exec, exec, s[2:3]
	v_cmp_eq_u32_e32 vcc, 23, v205
	s_waitcnt lgkmcnt(0)
	s_barrier
	s_and_saveexec_b64 s[2:3], vcc
	s_cbranch_execz .LBB47_121
; %bb.119:
	v_cmp_neq_f32_e32 vcc, 0, v255
	ds_write_b32 v253, v255
	s_and_b64 exec, exec, vcc
	s_cbranch_execz .LBB47_121
; %bb.120:
	s_waitcnt vmcnt(9)
	v_div_scale_f32 v24, s[4:5], v255, v255, 1.0
	v_rcp_f32_e32 v25, v24
	v_div_scale_f32 v26, vcc, 1.0, v255, 1.0
	v_fma_f32 v27, -v24, v25, 1.0
	v_fmac_f32_e32 v25, v27, v25
	v_mul_f32_e32 v27, v26, v25
	s_waitcnt vmcnt(8)
	v_fma_f32 v28, -v24, v27, v26
	v_fmac_f32_e32 v27, v28, v25
	v_fma_f32 v24, -v24, v27, v26
	v_div_fmas_f32 v24, v24, v25, v27
	v_div_fixup_f32 v24, v24, v255, 1.0
	ds_write_b32 v253, v24
.LBB47_121:
	s_or_b64 exec, exec, s[2:3]
	s_waitcnt lgkmcnt(0)
	s_barrier
	s_waitcnt vmcnt(9)
	ds_read_b32 v26, v253
	s_waitcnt lgkmcnt(0)
	s_barrier
	s_and_saveexec_b64 s[2:3], s[0:1]
	s_cbranch_execz .LBB47_124
; %bb.122:
	scratch_load_dword v24, off, off offset:3908 ; 4-byte Folded Reload
	scratch_load_dword v25, off, off offset:3912 ; 4-byte Folded Reload
	s_waitcnt vmcnt(1)
	v_cmp_eq_f32_e32 vcc, 0, v24
	s_waitcnt vmcnt(0)
	v_cmp_neq_f32_e64 s[0:1], 0, v25
	v_cndmask_b32_e64 v24, 0, 1, vcc
	s_or_b64 vcc, s[0:1], vcc
	v_cndmask_b32_e32 v24, 2, v24, vcc
	v_cmp_eq_f32_e32 vcc, 0, v110
	v_cmp_eq_u32_e64 s[0:1], 0, v24
	s_and_b64 s[0:1], vcc, s[0:1]
	v_cmp_eq_f32_e32 vcc, 0, v111
	v_cndmask_b32_e64 v24, v24, 3, s[0:1]
	v_cmp_eq_u32_e64 s[0:1], 0, v24
	s_and_b64 s[0:1], vcc, s[0:1]
	v_mov_b32_e32 v25, s7
	v_cndmask_b32_e64 v27, v24, 4, s[0:1]
	s_movk_i32 s0, 0x11cc
	v_mov_b32_e32 v24, s6
	scratch_load_dwordx2 v[28:29], off, s0  ; 8-byte Folded Reload
	v_cmp_eq_f32_e32 vcc, 0, v112
	v_cmp_eq_u32_e64 s[0:1], 0, v27
	s_and_b64 s[0:1], vcc, s[0:1]
	v_cmp_eq_f32_e32 vcc, 0, v113
	v_cndmask_b32_e64 v27, v27, 5, s[0:1]
	v_cmp_eq_u32_e64 s[0:1], 0, v27
	s_and_b64 s[0:1], vcc, s[0:1]
	v_cmp_eq_f32_e32 vcc, 0, v114
	v_cndmask_b32_e64 v27, v27, 6, s[0:1]
	;; [unrolled: 4-line block ×19, first 2 shown]
	v_cmp_eq_u32_e64 s[0:1], 0, v27
	s_and_b64 s[0:1], vcc, s[0:1]
	s_waitcnt vmcnt(0)
	v_lshl_add_u64 v[24:25], v[28:29], 2, v[24:25]
	global_load_dword v28, v[24:25], off
	v_cndmask_b32_e64 v27, v27, 24, s[0:1]
	v_cmp_ne_u32_e64 s[0:1], 0, v27
	s_waitcnt vmcnt(0)
	v_cmp_eq_u32_e32 vcc, 0, v28
	s_and_b64 s[0:1], vcc, s[0:1]
	s_and_b64 exec, exec, s[0:1]
	s_cbranch_execz .LBB47_124
; %bb.123:
	v_add_u32_e32 v27, s9, v27
	global_store_dword v[24:25], v27, off
.LBB47_124:
	s_or_b64 exec, exec, s[2:3]
	v_mul_f32_e32 v24, v255, v26
	v_cmp_lt_u32_e32 vcc, 23, v205
	s_nop 1
	v_cndmask_b32_e32 v23, v23, v24, vcc
	scratch_load_dwordx2 v[24:25], off, off offset:3716 ; 8-byte Folded Reload
	s_waitcnt vmcnt(0)
	global_store_dword v[24:25], v0, off
	scratch_load_dwordx2 v[24:25], off, off offset:3724 ; 8-byte Folded Reload
	s_waitcnt vmcnt(0)
	global_store_dword v[24:25], v1, off
	scratch_load_dwordx2 v[0:1], off, off offset:3732 ; 8-byte Folded Reload
	s_waitcnt vmcnt(0)
	global_store_dword v[0:1], v2, off
	scratch_load_dwordx2 v[0:1], off, off offset:3740 ; 8-byte Folded Reload
	s_waitcnt vmcnt(0)
	global_store_dword v[0:1], v3, off
	scratch_load_dwordx2 v[0:1], off, off offset:3748 ; 8-byte Folded Reload
	s_waitcnt vmcnt(0)
	global_store_dword v[0:1], v4, off
	scratch_load_dwordx2 v[0:1], off, off offset:3756 ; 8-byte Folded Reload
	s_waitcnt vmcnt(0)
	global_store_dword v[0:1], v5, off
	scratch_load_dwordx2 v[0:1], off, off offset:3764 ; 8-byte Folded Reload
	s_waitcnt vmcnt(0)
	global_store_dword v[0:1], v6, off
	scratch_load_dwordx2 v[0:1], off, off offset:3772 ; 8-byte Folded Reload
	s_waitcnt vmcnt(0)
	global_store_dword v[0:1], v7, off
	scratch_load_dwordx2 v[0:1], off, off offset:3780 ; 8-byte Folded Reload
	s_waitcnt vmcnt(0)
	global_store_dword v[0:1], v8, off
	scratch_load_dwordx2 v[0:1], off, off offset:3788 ; 8-byte Folded Reload
	s_waitcnt vmcnt(0)
	global_store_dword v[0:1], v9, off
	scratch_load_dwordx2 v[0:1], off, off offset:3796 ; 8-byte Folded Reload
	s_waitcnt vmcnt(0)
	global_store_dword v[0:1], v10, off
	scratch_load_dwordx2 v[0:1], off, off offset:3804 ; 8-byte Folded Reload
	s_waitcnt vmcnt(0)
	global_store_dword v[0:1], v11, off
	scratch_load_dwordx2 v[0:1], off, off offset:3812 ; 8-byte Folded Reload
	s_waitcnt vmcnt(0)
	global_store_dword v[0:1], v12, off
	scratch_load_dwordx2 v[0:1], off, off offset:3820 ; 8-byte Folded Reload
	s_waitcnt vmcnt(0)
	global_store_dword v[0:1], v13, off
	scratch_load_dwordx2 v[0:1], off, off offset:3828 ; 8-byte Folded Reload
	s_waitcnt vmcnt(0)
	global_store_dword v[0:1], v14, off
	scratch_load_dwordx2 v[0:1], off, off offset:3836 ; 8-byte Folded Reload
	s_waitcnt vmcnt(0)
	global_store_dword v[0:1], v15, off
	scratch_load_dwordx2 v[0:1], off, off offset:3844 ; 8-byte Folded Reload
	s_waitcnt vmcnt(0)
	global_store_dword v[0:1], v16, off
	scratch_load_dwordx2 v[0:1], off, off offset:3852 ; 8-byte Folded Reload
	s_waitcnt vmcnt(0)
	global_store_dword v[0:1], v17, off
	scratch_load_dwordx2 v[0:1], off, off offset:3860 ; 8-byte Folded Reload
	s_waitcnt vmcnt(0)
	global_store_dword v[0:1], v18, off
	scratch_load_dwordx2 v[0:1], off, off offset:3868 ; 8-byte Folded Reload
	s_waitcnt vmcnt(0)
	global_store_dword v[0:1], v19, off
	scratch_load_dwordx2 v[0:1], off, off offset:3876 ; 8-byte Folded Reload
	s_waitcnt vmcnt(0)
	global_store_dword v[0:1], v20, off
	scratch_load_dwordx2 v[0:1], off, off offset:3884 ; 8-byte Folded Reload
	s_waitcnt vmcnt(0)
	global_store_dword v[0:1], v21, off
	scratch_load_dwordx2 v[0:1], off, off offset:3892 ; 8-byte Folded Reload
	s_waitcnt vmcnt(0)
	global_store_dword v[0:1], v22, off
	scratch_load_dwordx2 v[0:1], off, off offset:3900 ; 8-byte Folded Reload
	s_waitcnt vmcnt(0)
	global_store_dword v[0:1], v23, off
.LBB47_125:
	s_endpgm
	.section	.rodata,"a",@progbits
	.p2align	6, 0x0
	.amdhsa_kernel _ZN9rocsolver6v33100L23getf2_npvt_small_kernelILi24EfiiPfEEvT1_T3_lS3_lPT2_S3_S3_
		.amdhsa_group_segment_fixed_size 0
		.amdhsa_private_segment_fixed_size 4564
		.amdhsa_kernarg_size 312
		.amdhsa_user_sgpr_count 2
		.amdhsa_user_sgpr_dispatch_ptr 0
		.amdhsa_user_sgpr_queue_ptr 0
		.amdhsa_user_sgpr_kernarg_segment_ptr 1
		.amdhsa_user_sgpr_dispatch_id 0
		.amdhsa_user_sgpr_kernarg_preload_length 0
		.amdhsa_user_sgpr_kernarg_preload_offset 0
		.amdhsa_user_sgpr_private_segment_size 0
		.amdhsa_uses_dynamic_stack 0
		.amdhsa_enable_private_segment 1
		.amdhsa_system_sgpr_workgroup_id_x 1
		.amdhsa_system_sgpr_workgroup_id_y 1
		.amdhsa_system_sgpr_workgroup_id_z 0
		.amdhsa_system_sgpr_workgroup_info 0
		.amdhsa_system_vgpr_workitem_id 1
		.amdhsa_next_free_vgpr 256
		.amdhsa_next_free_sgpr 16
		.amdhsa_accum_offset 256
		.amdhsa_reserve_vcc 1
		.amdhsa_float_round_mode_32 0
		.amdhsa_float_round_mode_16_64 0
		.amdhsa_float_denorm_mode_32 3
		.amdhsa_float_denorm_mode_16_64 3
		.amdhsa_dx10_clamp 1
		.amdhsa_ieee_mode 1
		.amdhsa_fp16_overflow 0
		.amdhsa_tg_split 0
		.amdhsa_exception_fp_ieee_invalid_op 0
		.amdhsa_exception_fp_denorm_src 0
		.amdhsa_exception_fp_ieee_div_zero 0
		.amdhsa_exception_fp_ieee_overflow 0
		.amdhsa_exception_fp_ieee_underflow 0
		.amdhsa_exception_fp_ieee_inexact 0
		.amdhsa_exception_int_div_zero 0
	.end_amdhsa_kernel
	.section	.text._ZN9rocsolver6v33100L23getf2_npvt_small_kernelILi24EfiiPfEEvT1_T3_lS3_lPT2_S3_S3_,"axG",@progbits,_ZN9rocsolver6v33100L23getf2_npvt_small_kernelILi24EfiiPfEEvT1_T3_lS3_lPT2_S3_S3_,comdat
.Lfunc_end47:
	.size	_ZN9rocsolver6v33100L23getf2_npvt_small_kernelILi24EfiiPfEEvT1_T3_lS3_lPT2_S3_S3_, .Lfunc_end47-_ZN9rocsolver6v33100L23getf2_npvt_small_kernelILi24EfiiPfEEvT1_T3_lS3_lPT2_S3_S3_
                                        ; -- End function
	.set _ZN9rocsolver6v33100L23getf2_npvt_small_kernelILi24EfiiPfEEvT1_T3_lS3_lPT2_S3_S3_.num_vgpr, 256
	.set _ZN9rocsolver6v33100L23getf2_npvt_small_kernelILi24EfiiPfEEvT1_T3_lS3_lPT2_S3_S3_.num_agpr, 0
	.set _ZN9rocsolver6v33100L23getf2_npvt_small_kernelILi24EfiiPfEEvT1_T3_lS3_lPT2_S3_S3_.numbered_sgpr, 16
	.set _ZN9rocsolver6v33100L23getf2_npvt_small_kernelILi24EfiiPfEEvT1_T3_lS3_lPT2_S3_S3_.num_named_barrier, 0
	.set _ZN9rocsolver6v33100L23getf2_npvt_small_kernelILi24EfiiPfEEvT1_T3_lS3_lPT2_S3_S3_.private_seg_size, 4564
	.set _ZN9rocsolver6v33100L23getf2_npvt_small_kernelILi24EfiiPfEEvT1_T3_lS3_lPT2_S3_S3_.uses_vcc, 1
	.set _ZN9rocsolver6v33100L23getf2_npvt_small_kernelILi24EfiiPfEEvT1_T3_lS3_lPT2_S3_S3_.uses_flat_scratch, 0
	.set _ZN9rocsolver6v33100L23getf2_npvt_small_kernelILi24EfiiPfEEvT1_T3_lS3_lPT2_S3_S3_.has_dyn_sized_stack, 0
	.set _ZN9rocsolver6v33100L23getf2_npvt_small_kernelILi24EfiiPfEEvT1_T3_lS3_lPT2_S3_S3_.has_recursion, 0
	.set _ZN9rocsolver6v33100L23getf2_npvt_small_kernelILi24EfiiPfEEvT1_T3_lS3_lPT2_S3_S3_.has_indirect_call, 0
	.section	.AMDGPU.csdata,"",@progbits
; Kernel info:
; codeLenInByte = 49572
; TotalNumSgprs: 22
; NumVgprs: 256
; NumAgprs: 0
; TotalNumVgprs: 256
; ScratchSize: 4564
; MemoryBound: 0
; FloatMode: 240
; IeeeMode: 1
; LDSByteSize: 0 bytes/workgroup (compile time only)
; SGPRBlocks: 2
; VGPRBlocks: 31
; NumSGPRsForWavesPerEU: 22
; NumVGPRsForWavesPerEU: 256
; AccumOffset: 256
; Occupancy: 2
; WaveLimiterHint : 0
; COMPUTE_PGM_RSRC2:SCRATCH_EN: 1
; COMPUTE_PGM_RSRC2:USER_SGPR: 2
; COMPUTE_PGM_RSRC2:TRAP_HANDLER: 0
; COMPUTE_PGM_RSRC2:TGID_X_EN: 1
; COMPUTE_PGM_RSRC2:TGID_Y_EN: 1
; COMPUTE_PGM_RSRC2:TGID_Z_EN: 0
; COMPUTE_PGM_RSRC2:TIDIG_COMP_CNT: 1
; COMPUTE_PGM_RSRC3_GFX90A:ACCUM_OFFSET: 63
; COMPUTE_PGM_RSRC3_GFX90A:TG_SPLIT: 0
	.section	.text._ZN9rocsolver6v33100L18getf2_small_kernelILi25EfiiPfEEvT1_T3_lS3_lPS3_llPT2_S3_S3_S5_l,"axG",@progbits,_ZN9rocsolver6v33100L18getf2_small_kernelILi25EfiiPfEEvT1_T3_lS3_lPS3_llPT2_S3_S3_S5_l,comdat
	.globl	_ZN9rocsolver6v33100L18getf2_small_kernelILi25EfiiPfEEvT1_T3_lS3_lPS3_llPT2_S3_S3_S5_l ; -- Begin function _ZN9rocsolver6v33100L18getf2_small_kernelILi25EfiiPfEEvT1_T3_lS3_lPS3_llPT2_S3_S3_S5_l
	.p2align	8
	.type	_ZN9rocsolver6v33100L18getf2_small_kernelILi25EfiiPfEEvT1_T3_lS3_lPS3_llPT2_S3_S3_S5_l,@function
_ZN9rocsolver6v33100L18getf2_small_kernelILi25EfiiPfEEvT1_T3_lS3_lPS3_llPT2_S3_S3_S5_l: ; @_ZN9rocsolver6v33100L18getf2_small_kernelILi25EfiiPfEEvT1_T3_lS3_lPS3_llPT2_S3_S3_S5_l
; %bb.0:
	s_load_dword s2, s[0:1], 0x6c
	s_load_dwordx2 s[14:15], s[0:1], 0x48
	v_bfe_u32 v4, v0, 10, 10
	s_waitcnt lgkmcnt(0)
	s_lshr_b32 s2, s2, 16
	s_mul_i32 s3, s3, s2
	v_add_u32_e32 v6, s3, v4
	v_cmp_gt_i32_e32 vcc, s14, v6
	s_and_saveexec_b64 s[2:3], vcc
	s_cbranch_execz .LBB48_425
; %bb.1:
	s_load_dwordx4 s[4:7], s[0:1], 0x50
	v_ashrrev_i32_e32 v7, 31, v6
	v_mov_b64_e32 v[2:3], 0
	scratch_store_dwordx2 off, v[2:3], off offset:3084 ; 8-byte Folded Spill
	s_waitcnt lgkmcnt(0)
	s_cmp_eq_u64 s[4:5], 0
	s_cselect_b64 s[16:17], -1, 0
	s_and_b64 vcc, exec, s[16:17]
	s_cbranch_vccnz .LBB48_3
; %bb.2:
	v_mul_lo_u32 v1, s7, v6
	v_mul_lo_u32 v5, s6, v7
	v_mad_u64_u32 v[2:3], s[2:3], s6, v6, 0
	v_add3_u32 v3, v3, v5, v1
	v_lshl_add_u64 v[2:3], v[2:3], 2, s[4:5]
	scratch_store_dwordx2 off, v[2:3], off offset:3084 ; 8-byte Folded Spill
.LBB48_3:
	s_load_dwordx4 s[24:27], s[0:1], 0x8
	s_load_dwordx8 s[4:11], s[0:1], 0x20
	s_load_dword s12, s[0:1], 0x18
	s_load_dword s22, s[0:1], 0x0
	s_movk_i32 s2, 0x1014
	scratch_store_dwordx2 off, v[6:7], s2   ; 8-byte Folded Spill
	s_waitcnt lgkmcnt(0)
	v_mul_lo_u32 v1, s5, v6
	v_mul_lo_u32 v5, s4, v7
	v_mad_u64_u32 v[6:7], s[2:3], s4, v6, 0
	v_mov_b32_e32 v2, s24
	v_mov_b32_e32 v3, s25
	v_add3_u32 v7, v7, v5, v1
	v_lshl_add_u64 v[2:3], v[6:7], 2, v[2:3]
	v_and_b32_e32 v1, 0x3ff, v0
	v_lshl_add_u64 v[250:251], s[26:27], 2, v[2:3]
	v_lshlrev_b32_e32 v2, 2, v1
	v_mov_b32_e32 v3, 0
	v_lshl_add_u64 v[6:7], v[250:251], 0, v[2:3]
	global_load_dword v0, v[6:7], off
	s_max_i32 s2, s22, 25
	s_add_i32 s14, s12, s12
	v_mul_lo_u32 v52, s2, v4
	v_add_u32_e32 v4, s14, v1
	v_add_u32_e32 v8, s12, v4
	;; [unrolled: 1-line block ×22, first 2 shown]
	v_ashrrev_i32_e32 v49, 31, v48
	v_add_u32_e32 v50, s12, v48
	s_ashr_i32 s13, s12, 31
	v_lshl_add_u32 v252, v52, 2, 0
	v_lshl_add_u64 v[48:49], v[48:49], 2, v[250:251]
	v_ashrrev_i32_e32 v51, 31, v50
	v_ashrrev_i32_e32 v5, 31, v4
	;; [unrolled: 1-line block ×3, first 2 shown]
	v_add_u32_e32 v2, v252, v2
	v_ashrrev_i32_e32 v11, 31, v10
	v_ashrrev_i32_e32 v13, 31, v12
	;; [unrolled: 1-line block ×4, first 2 shown]
	global_load_dword v254, v[48:49], off
	v_lshl_add_u64 v[6:7], s[12:13], 2, v[6:7]
	v_lshl_add_u64 v[48:49], v[50:51], 2, v[250:251]
	v_ashrrev_i32_e32 v21, 31, v20
	v_ashrrev_i32_e32 v35, 31, v34
	v_lshl_add_u64 v[4:5], v[4:5], 2, v[250:251]
	v_lshl_add_u64 v[8:9], v[8:9], 2, v[250:251]
	;; [unrolled: 1-line block ×6, first 2 shown]
	global_load_dword v255, v[48:49], off
	global_load_dword v53, v[6:7], off
	;; [unrolled: 1-line block ×8, first 2 shown]
	v_ashrrev_i32_e32 v19, 31, v18
	v_lshl_add_u64 v[6:7], v[20:21], 2, v[250:251]
	v_ashrrev_i32_e32 v23, 31, v22
	v_ashrrev_i32_e32 v25, 31, v24
	;; [unrolled: 1-line block ×6, first 2 shown]
	v_lshl_add_u64 v[20:21], v[34:35], 2, v[250:251]
	v_ashrrev_i32_e32 v37, 31, v36
	v_ashrrev_i32_e32 v39, 31, v38
	v_ashrrev_i32_e32 v41, 31, v40
	v_ashrrev_i32_e32 v43, 31, v42
	v_ashrrev_i32_e32 v45, 31, v44
	v_ashrrev_i32_e32 v47, 31, v46
	v_lshl_add_u64 v[4:5], v[18:19], 2, v[250:251]
	v_lshl_add_u64 v[8:9], v[22:23], 2, v[250:251]
	;; [unrolled: 1-line block ×13, first 2 shown]
	s_load_dwordx2 s[4:5], s[0:1], 0x40
	s_waitcnt vmcnt(9)
	ds_write_b32 v2, v0
	global_load_dword v62, v[20:21], off
	global_load_dword v45, v[22:23], off
	;; [unrolled: 1-line block ×15, first 2 shown]
	s_waitcnt lgkmcnt(0)
	s_barrier
	ds_read_b32 v2, v252
	s_cmp_lt_i32 s22, 2
	v_lshlrev_b32_e32 v7, 2, v52
	s_cbranch_scc1 .LBB48_6
; %bb.4:
	v_add3_u32 v4, v7, 0, 4
	v_mov_b32_e32 v3, 0
	s_mov_b32 s0, 1
.LBB48_5:                               ; =>This Inner Loop Header: Depth=1
	ds_read_b32 v5, v4
	v_mov_b32_e32 v6, s0
	s_add_i32 s0, s0, 1
	v_add_u32_e32 v4, 4, v4
	s_cmp_eq_u32 s22, s0
	s_waitcnt lgkmcnt(0)
	v_cmp_lt_f32_e64 vcc, |v2|, |v5|
	s_nop 1
	v_cndmask_b32_e32 v2, v2, v5, vcc
	v_cndmask_b32_e32 v3, v3, v6, vcc
	s_cbranch_scc0 .LBB48_5
.LBB48_6:
	s_waitcnt vmcnt(11)
	v_mov_b32_e32 v137, v47
	v_cmp_ne_u32_e32 vcc, v1, v3
	scratch_store_dword off, v7, off offset:1028 ; 4-byte Folded Spill
                                        ; implicit-def: $vgpr253
	s_and_saveexec_b64 s[0:1], vcc
	s_xor_b64 s[0:1], exec, s[0:1]
	s_cbranch_execz .LBB48_12
; %bb.7:
	v_cmp_eq_u32_e32 vcc, 0, v1
	s_and_saveexec_b64 s[2:3], vcc
	s_cbranch_execz .LBB48_11
; %bb.8:
	v_cmp_ne_u32_e32 vcc, 0, v3
	s_xor_b64 s[18:19], s[16:17], -1
	s_and_b64 s[20:21], s[18:19], vcc
	s_and_saveexec_b64 s[18:19], s[20:21]
	s_cbranch_execz .LBB48_10
; %bb.9:
	scratch_load_dwordx2 v[8:9], off, off offset:3084 ; 8-byte Folded Reload
	v_ashrrev_i32_e32 v5, 31, v3
	v_mov_b32_e32 v4, v3
	s_waitcnt vmcnt(0)
	v_lshl_add_u64 v[4:5], v[4:5], 2, v[8:9]
	global_load_dword v1, v[4:5], off
	global_load_dword v6, v[8:9], off
	s_waitcnt vmcnt(1)
	global_store_dword v[8:9], v1, off
	s_waitcnt vmcnt(1)
	global_store_dword v[4:5], v6, off
.LBB48_10:
	s_or_b64 exec, exec, s[18:19]
	v_mov_b32_e32 v1, v3
.LBB48_11:
	s_or_b64 exec, exec, s[2:3]
	v_mov_b32_e32 v253, v1
                                        ; implicit-def: $vgpr1
.LBB48_12:
	s_or_saveexec_b64 s[0:1], s[0:1]
	scratch_store_dword off, v253, off offset:1160 ; 4-byte Folded Spill
	s_xor_b64 exec, exec, s[0:1]
	s_cbranch_execz .LBB48_14
; %bb.13:
	v_mov_b32_e32 v253, 0
	ds_write2_b32 v252, v53, v74 offset0:1 offset1:2
	ds_write2_b32 v252, v83, v50 offset0:3 offset1:4
	;; [unrolled: 1-line block ×3, first 2 shown]
	s_waitcnt vmcnt(9)
	ds_write2_b32 v252, v59, v36 offset0:7 offset1:8
	s_waitcnt vmcnt(7)
	ds_write2_b32 v252, v121, v110 offset0:9 offset1:10
	;; [unrolled: 2-line block ×5, first 2 shown]
	ds_write2_b32 v252, v45, v66 offset0:17 offset1:18
	ds_write2_b32 v252, v137, v206 offset0:19 offset1:20
	;; [unrolled: 1-line block ×4, first 2 shown]
	scratch_store_dword off, v1, off offset:1160 ; 4-byte Folded Spill
.LBB48_14:
	s_or_b64 exec, exec, s[0:1]
	s_waitcnt lgkmcnt(0)
	v_cmp_eq_f32_e64 s[0:1], 0, v2
	v_cmp_gt_i32_e32 vcc, 1, v253
	s_barrier
	s_and_saveexec_b64 s[2:3], vcc
	s_xor_b64 s[2:3], exec, s[2:3]
; %bb.15:
                                        ; implicit-def: $vgpr2
; %bb.16:
	s_andn2_saveexec_b64 s[2:3], s[2:3]
	s_cbranch_execz .LBB48_18
; %bb.17:
	v_div_scale_f32 v1, s[18:19], v2, v2, 1.0
	v_rcp_f32_e32 v3, v1
	v_mov_b32_e32 v4, v53
	v_mov_b32_e32 v5, v74
	;; [unrolled: 1-line block ×3, first 2 shown]
	v_fma_f32 v26, -v1, v3, 1.0
	v_fmac_f32_e32 v3, v26, v3
	v_div_scale_f32 v26, vcc, 1.0, v2, 1.0
	v_mul_f32_e32 v27, v26, v3
	v_fma_f32 v28, -v1, v27, v26
	v_fmac_f32_e32 v27, v28, v3
	v_fma_f32 v1, -v1, v27, v26
	v_div_fmas_f32 v1, v1, v3, v27
	v_div_fixup_f32 v1, v1, v2, 1.0
	v_cndmask_b32_e64 v1, v1, v2, s[0:1]
	ds_read2_b32 v[2:3], v252 offset0:1 offset1:2
	ds_read2_b32 v[26:27], v252 offset0:3 offset1:4
	;; [unrolled: 1-line block ×3, first 2 shown]
	v_mov_b32_e32 v7, v50
	v_mov_b32_e32 v8, v51
	;; [unrolled: 1-line block ×3, first 2 shown]
	v_mul_f32_e32 v0, v0, v1
	ds_read2_b32 v[30:31], v252 offset0:7 offset1:8
	s_waitcnt lgkmcnt(3)
	v_pk_fma_f32 v[2:3], v[0:1], v[2:3], v[4:5] op_sel_hi:[0,1,1] neg_lo:[1,0,0] neg_hi:[1,0,0]
	s_waitcnt lgkmcnt(2)
	v_pk_fma_f32 v[4:5], v[0:1], v[26:27], v[6:7] op_sel_hi:[0,1,1] neg_lo:[1,0,0] neg_hi:[1,0,0]
	;; [unrolled: 2-line block ×3, first 2 shown]
	ds_read2_b32 v[8:9], v252 offset0:9 offset1:10
	ds_read2_b32 v[26:27], v252 offset0:11 offset1:12
	;; [unrolled: 1-line block ×3, first 2 shown]
	v_mov_b32_e32 v10, v59
	s_waitcnt vmcnt(9)
	v_mov_b32_e32 v11, v36
	s_waitcnt vmcnt(8)
	;; [unrolled: 2-line block ×7, first 2 shown]
	v_mov_b32_e32 v17, v136
	s_waitcnt lgkmcnt(3)
	v_pk_fma_f32 v[10:11], v[0:1], v[30:31], v[10:11] op_sel_hi:[0,1,1] neg_lo:[1,0,0] neg_hi:[1,0,0]
	ds_read2_b32 v[30:31], v252 offset0:15 offset1:16
	s_waitcnt lgkmcnt(3)
	v_pk_fma_f32 v[8:9], v[0:1], v[8:9], v[12:13] op_sel_hi:[0,1,1] neg_lo:[1,0,0] neg_hi:[1,0,0]
	s_waitcnt lgkmcnt(2)
	v_pk_fma_f32 v[12:13], v[0:1], v[26:27], v[14:15] op_sel_hi:[0,1,1] neg_lo:[1,0,0] neg_hi:[1,0,0]
	s_waitcnt lgkmcnt(1)
	v_pk_fma_f32 v[14:15], v[0:1], v[28:29], v[16:17] op_sel_hi:[0,1,1] neg_lo:[1,0,0] neg_hi:[1,0,0]
	ds_read2_b32 v[16:17], v252 offset0:17 offset1:18
	ds_read2_b32 v[26:27], v252 offset0:19 offset1:20
	;; [unrolled: 1-line block ×4, first 2 shown]
	s_waitcnt vmcnt(2)
	v_mov_b32_e32 v18, v153
	v_mov_b32_e32 v19, v62
	;; [unrolled: 1-line block ×8, first 2 shown]
	s_waitcnt lgkmcnt(4)
	v_pk_fma_f32 v[18:19], v[0:1], v[30:31], v[18:19] op_sel_hi:[0,1,1] neg_lo:[1,0,0] neg_hi:[1,0,0]
	s_waitcnt lgkmcnt(3)
	v_pk_fma_f32 v[16:17], v[0:1], v[16:17], v[20:21] op_sel_hi:[0,1,1] neg_lo:[1,0,0] neg_hi:[1,0,0]
	;; [unrolled: 2-line block ×5, first 2 shown]
	v_mov_b32_e32 v53, v2
	v_mov_b32_e32 v74, v3
	;; [unrolled: 1-line block ×22, first 2 shown]
.LBB48_18:
	s_or_b64 exec, exec, s[2:3]
	v_lshl_add_u32 v1, v253, 2, v252
	s_barrier
	ds_write_b32 v1, v53
	s_waitcnt lgkmcnt(0)
	s_barrier
	ds_read_b32 v25, v252 offset:4
	s_mov_b32 s2, 2
	s_cmp_lt_i32 s22, 3
	v_mov_b32_e32 v2, 1
	s_cbranch_scc1 .LBB48_21
; %bb.19:
	scratch_load_dword v1, off, off offset:1028 ; 4-byte Folded Reload
	v_mov_b32_e32 v2, 1
	s_waitcnt vmcnt(0)
	v_add3_u32 v1, v1, 0, 8
.LBB48_20:                              ; =>This Inner Loop Header: Depth=1
	ds_read_b32 v3, v1
	v_mov_b32_e32 v4, s2
	s_add_i32 s2, s2, 1
	v_add_u32_e32 v1, 4, v1
	s_cmp_lg_u32 s22, s2
	s_waitcnt lgkmcnt(0)
	v_cmp_lt_f32_e64 vcc, |v25|, |v3|
	s_nop 1
	v_cndmask_b32_e32 v25, v25, v3, vcc
	v_cndmask_b32_e32 v2, v2, v4, vcc
	s_cbranch_scc1 .LBB48_20
.LBB48_21:
	v_cmp_ne_u32_e32 vcc, v253, v2
	s_and_saveexec_b64 s[2:3], vcc
	s_xor_b64 s[2:3], exec, s[2:3]
	s_cbranch_execz .LBB48_27
; %bb.22:
	v_cmp_eq_u32_e32 vcc, 1, v253
	s_and_saveexec_b64 s[18:19], vcc
	s_cbranch_execz .LBB48_26
; %bb.23:
	v_cmp_ne_u32_e32 vcc, 1, v2
	s_xor_b64 s[20:21], s[16:17], -1
	s_and_b64 s[24:25], s[20:21], vcc
	s_and_saveexec_b64 s[20:21], s[24:25]
	s_cbranch_execz .LBB48_25
; %bb.24:
	scratch_load_dwordx2 v[6:7], off, off offset:3084 ; 8-byte Folded Reload
	v_ashrrev_i32_e32 v3, 31, v2
	s_waitcnt vmcnt(0)
	v_lshl_add_u64 v[4:5], v[2:3], 2, v[6:7]
	global_load_dword v1, v[4:5], off
	global_load_dword v3, v[6:7], off offset:4
	s_waitcnt vmcnt(1)
	global_store_dword v[6:7], v1, off offset:4
	s_waitcnt vmcnt(1)
	global_store_dword v[4:5], v3, off
.LBB48_25:
	s_or_b64 exec, exec, s[20:21]
	v_mov_b32_e32 v1, v2
	v_mov_b32_e32 v253, v2
	scratch_store_dword off, v1, off offset:1160 ; 4-byte Folded Spill
.LBB48_26:
	s_or_b64 exec, exec, s[18:19]
.LBB48_27:
	s_or_saveexec_b64 s[2:3], s[2:3]
	v_mov_b32_e32 v1, v53
	v_mov_b32_e32 v2, v74
	v_mov_b32_e32 v3, v83
	v_mov_b32_e32 v4, v50
	v_mov_b32_e32 v26, v50
	v_mov_b32_e32 v5, v51
	v_mov_b32_e32 v29, v51
	v_mov_b32_e32 v6, v164
	v_mov_b32_e32 v7, v59
	s_waitcnt vmcnt(9)
	v_mov_b32_e32 v8, v36
	s_waitcnt vmcnt(8)
	v_mov_b32_e32 v9, v121
	;; [unrolled: 2-line block ×5, first 2 shown]
	v_mov_b32_e32 v180, v40
	s_waitcnt vmcnt(4)
	v_mov_b32_e32 v13, v99
	s_waitcnt vmcnt(3)
	;; [unrolled: 2-line block ×3, first 2 shown]
	v_mov_b32_e32 v15, v153
	v_mov_b32_e32 v16, v62
	;; [unrolled: 1-line block ×12, first 2 shown]
	s_xor_b64 exec, exec, s[2:3]
	s_cbranch_execz .LBB48_29
; %bb.28:
	v_mov_b32_e32 v253, 1
	ds_write2_b32 v252, v74, v83 offset0:2 offset1:3
	ds_write2_b32 v252, v26, v29 offset0:4 offset1:5
	;; [unrolled: 1-line block ×11, first 2 shown]
	ds_write_b32 v252, v255 offset:96
.LBB48_29:
	s_or_b64 exec, exec, s[2:3]
	v_mov_b32_e32 v34, v26
	v_mov_b32_e32 v30, v0
	;; [unrolled: 1-line block ×16, first 2 shown]
	v_mov_b64_e32 v[64:65], v[32:33]
	v_mov_b32_e32 v158, v0
	v_mov_b32_e32 v159, v53
	;; [unrolled: 1-line block ×75, first 2 shown]
	scratch_store_dwordx4 off, v[138:141], off offset:3348 ; 16-byte Folded Spill
	s_nop 0
	scratch_store_dwordx4 off, v[142:145], off offset:3364 ; 16-byte Folded Spill
	scratch_store_dwordx4 off, v[146:149], off offset:3380 ; 16-byte Folded Spill
	scratch_store_dwordx4 off, v[150:153], off offset:3396 ; 16-byte Folded Spill
	scratch_store_dwordx4 off, v[154:157], off offset:3412 ; 16-byte Folded Spill
	scratch_store_dwordx4 off, v[158:161], off offset:3428 ; 16-byte Folded Spill
	scratch_store_dwordx4 off, v[162:165], off offset:3444 ; 16-byte Folded Spill
	scratch_store_dwordx4 off, v[166:169], off offset:3460 ; 16-byte Folded Spill
	scratch_store_dwordx4 off, v[86:89], off offset:900 ; 16-byte Folded Spill
	s_nop 0
	scratch_store_dwordx4 off, v[90:93], off offset:916 ; 16-byte Folded Spill
	scratch_store_dwordx4 off, v[94:97], off offset:932 ; 16-byte Folded Spill
	scratch_store_dwordx4 off, v[98:101], off offset:948 ; 16-byte Folded Spill
	scratch_store_dwordx4 off, v[102:105], off offset:964 ; 16-byte Folded Spill
	scratch_store_dwordx4 off, v[106:109], off offset:980 ; 16-byte Folded Spill
	scratch_store_dwordx4 off, v[110:113], off offset:996 ; 16-byte Folded Spill
	scratch_store_dwordx4 off, v[114:117], off offset:1012 ; 16-byte Folded Spill
	scratch_store_dwordx4 off, v[100:103], off offset:1420 ; 16-byte Folded Spill
	s_nop 0
	scratch_store_dwordx4 off, v[104:107], off offset:1436 ; 16-byte Folded Spill
	scratch_store_dwordx4 off, v[108:111], off offset:1452 ; 16-byte Folded Spill
	scratch_store_dwordx4 off, v[112:115], off offset:1468 ; 16-byte Folded Spill
	scratch_store_dwordx4 off, v[116:119], off offset:1484 ; 16-byte Folded Spill
	scratch_store_dwordx4 off, v[120:123], off offset:1500 ; 16-byte Folded Spill
	scratch_store_dwordx4 off, v[124:127], off offset:1516 ; 16-byte Folded Spill
	scratch_store_dwordx4 off, v[128:131], off offset:1532 ; 16-byte Folded Spill
	v_mov_b32_e32 v35, v59
	v_mov_b32_e32 v92, v36
	v_mov_b64_e32 v[62:63], v[30:31]
	v_mov_b64_e32 v[60:61], v[28:29]
	v_mov_b32_e32 v91, v35
	v_mov_b32_e32 v90, v34
	;; [unrolled: 1-line block ×31, first 2 shown]
	scratch_store_dwordx4 off, v[112:115], off offset:1292 ; 16-byte Folded Spill
	s_nop 0
	scratch_store_dwordx4 off, v[116:119], off offset:1308 ; 16-byte Folded Spill
	scratch_store_dwordx4 off, v[120:123], off offset:1324 ; 16-byte Folded Spill
	;; [unrolled: 1-line block ×7, first 2 shown]
	v_mov_b32_e32 v219, v53
	v_mov_b32_e32 v222, v44
	scratch_store_dwordx4 off, v[28:31], off offset:1804 ; 16-byte Folded Spill
	s_nop 0
	scratch_store_dwordx4 off, v[32:35], off offset:1820 ; 16-byte Folded Spill
	scratch_store_dwordx4 off, v[36:39], off offset:1836 ; 16-byte Folded Spill
	;; [unrolled: 1-line block ×7, first 2 shown]
	v_mov_b32_e32 v182, v0
	v_mov_b32_e32 v184, v74
	;; [unrolled: 1-line block ×5, first 2 shown]
	v_mov_b64_e32 v[106:107], v[182:183]
	v_mov_b64_e32 v[108:109], v[184:185]
	;; [unrolled: 1-line block ×6, first 2 shown]
	v_mov_b32_e32 v72, v0
	v_mov_b32_e32 v146, v92
	;; [unrolled: 1-line block ×32, first 2 shown]
	s_waitcnt lgkmcnt(0)
	v_cmp_neq_f32_e64 s[2:3], 0, v25
	v_cmp_lt_i32_e32 vcc, 1, v253
	s_movk_i32 s18, 0xf94
	v_mov_b32_e32 v227, v121
	scratch_store_dwordx4 off, v[106:109], off offset:1932 ; 16-byte Folded Spill
	s_nop 0
	scratch_store_dwordx4 off, v[110:113], off offset:1948 ; 16-byte Folded Spill
	scratch_store_dwordx4 off, v[114:117], off offset:1964 ; 16-byte Folded Spill
	;; [unrolled: 1-line block ×7, first 2 shown]
	scratch_load_dwordx4 v[84:87], off, off offset:900 ; 16-byte Folded Reload
	s_nop 0
	scratch_load_dwordx4 v[88:91], off, off offset:916 ; 16-byte Folded Reload
	scratch_load_dwordx4 v[92:95], off, off offset:932 ; 16-byte Folded Reload
	scratch_load_dwordx4 v[96:99], off, off offset:948 ; 16-byte Folded Reload
	scratch_load_dwordx4 v[100:103], off, off offset:964 ; 16-byte Folded Reload
	scratch_load_dwordx4 v[104:107], off, off offset:980 ; 16-byte Folded Reload
	scratch_load_dwordx4 v[108:111], off, off offset:996 ; 16-byte Folded Reload
	scratch_load_dwordx4 v[112:115], off, off offset:1012 ; 16-byte Folded Reload
	v_mov_b64_e32 v[36:37], v[52:53]
	v_mov_b64_e32 v[38:39], v[54:55]
	;; [unrolled: 1-line block ×4, first 2 shown]
	v_mov_b32_e32 v29, v53
	v_mov_b64_e32 v[48:49], v[60:61]
	v_mov_b64_e32 v[50:51], v[62:63]
	;; [unrolled: 1-line block ×3, first 2 shown]
	v_mov_b32_e32 v225, v59
	scratch_store_dwordx4 off, v[48:51], off offset:2316 ; 16-byte Folded Spill
	s_nop 0
	scratch_store_dwordx4 off, v[52:55], off offset:2332 ; 16-byte Folded Spill
	scratch_store_dwordx4 off, v[56:59], off offset:2348 ; 16-byte Folded Spill
	;; [unrolled: 1-line block ×7, first 2 shown]
	v_mov_b32_e32 v56, v158
	v_mov_b32_e32 v57, v159
	;; [unrolled: 1-line block ×7, first 2 shown]
	scratch_store_dwordx4 off, v[56:59], off offset:2444 ; 16-byte Folded Spill
	s_nop 0
	scratch_store_dwordx4 off, v[60:63], off offset:2460 ; 16-byte Folded Spill
	scratch_store_dwordx4 off, v[64:67], off offset:2476 ; 16-byte Folded Spill
	;; [unrolled: 1-line block ×6, first 2 shown]
	s_waitcnt vmcnt(22)
	scratch_store_dwordx4 off, v[84:87], off offset:2556 ; 16-byte Folded Spill
	v_mov_b64_e32 v[60:61], v[42:43]
	s_waitcnt vmcnt(16)
	v_mov_b32_e32 v108, v138
	v_mov_b64_e32 v[58:59], v[40:41]
	v_mov_b64_e32 v[56:57], v[38:39]
	;; [unrolled: 1-line block ×3, first 2 shown]
	v_mov_b32_e32 v109, v139
	v_mov_b32_e32 v110, v140
	;; [unrolled: 1-line block ×17, first 2 shown]
	v_mov_b64_e32 v[26:27], v[46:47]
	v_mov_b32_e32 v203, v45
	v_mov_b32_e32 v34, v62
	scratch_store_dwordx4 off, v[54:57], off offset:2572 ; 16-byte Folded Spill
	s_nop 0
	scratch_store_dwordx4 off, v[58:61], off offset:2588 ; 16-byte Folded Spill
	scratch_store_dwordx4 off, v[62:65], off offset:2604 ; 16-byte Folded Spill
	scratch_store_dwordx4 off, v[66:69], off offset:2620 ; 16-byte Folded Spill
	scratch_store_dwordx4 off, v[70:73], off offset:2636 ; 16-byte Folded Spill
	scratch_store_dwordx4 off, v[74:77], off offset:2652 ; 16-byte Folded Spill
	scratch_store_dwordx4 off, v[78:81], off offset:2668 ; 16-byte Folded Spill
	scratch_store_dwordx4 off, v[82:85], off offset:2684 ; 16-byte Folded Spill
	scratch_store_dwordx4 off, v[108:111], off offset:2700 ; 16-byte Folded Spill
	s_nop 0
	scratch_store_dwordx4 off, v[112:115], off offset:2716 ; 16-byte Folded Spill
	scratch_store_dwordx4 off, v[116:119], off offset:2732 ; 16-byte Folded Spill
	;; [unrolled: 1-line block ×7, first 2 shown]
	scratch_load_dwordx4 v[84:87], off, off offset:1292 ; 16-byte Folded Reload
	s_nop 0
	scratch_load_dwordx4 v[88:91], off, off offset:1308 ; 16-byte Folded Reload
	scratch_load_dwordx4 v[92:95], off, off offset:1324 ; 16-byte Folded Reload
	;; [unrolled: 1-line block ×7, first 2 shown]
	v_mov_b32_e32 v64, v234
	v_mov_b32_e32 v60, v180
	;; [unrolled: 1-line block ×9, first 2 shown]
	v_mov_b64_e32 v[148:149], v[132:133]
	v_mov_b64_e32 v[146:147], v[130:131]
	s_waitcnt vmcnt(5)
	v_mov_b32_e32 v37, v93
	scratch_load_dwordx4 v[84:87], off, off offset:1420 ; 16-byte Folded Reload
	scratch_load_dwordx4 v[88:91], off, off offset:1436 ; 16-byte Folded Reload
	;; [unrolled: 1-line block ×8, first 2 shown]
	v_mov_b64_e32 v[144:145], v[128:129]
	v_mov_b64_e32 v[142:143], v[126:127]
	;; [unrolled: 1-line block ×4, first 2 shown]
	v_mov_b32_e32 v152, v136
	v_mov_b32_e32 v150, v134
	;; [unrolled: 1-line block ×25, first 2 shown]
	s_waitcnt vmcnt(5)
	v_mov_b32_e32 v38, v94
	scratch_load_dwordx4 v[84:87], off, off offset:900 ; 16-byte Folded Reload
	scratch_load_dwordx4 v[88:91], off, off offset:916 ; 16-byte Folded Reload
	scratch_load_dwordx4 v[92:95], off, off offset:932 ; 16-byte Folded Reload
	scratch_load_dwordx4 v[96:99], off, off offset:948 ; 16-byte Folded Reload
	scratch_load_dwordx4 v[100:103], off, off offset:964 ; 16-byte Folded Reload
	scratch_load_dwordx4 v[104:107], off, off offset:980 ; 16-byte Folded Reload
	scratch_load_dwordx4 v[108:111], off, off offset:996 ; 16-byte Folded Reload
	scratch_load_dwordx4 v[112:115], off, off offset:1012 ; 16-byte Folded Reload
	s_waitcnt vmcnt(4)
	v_mov_b32_e32 v41, v97
	scratch_load_dwordx4 v[84:87], off, off offset:1804 ; 16-byte Folded Reload
	scratch_load_dwordx4 v[88:91], off, off offset:1820 ; 16-byte Folded Reload
	scratch_load_dwordx4 v[92:95], off, off offset:1836 ; 16-byte Folded Reload
	scratch_load_dwordx4 v[96:99], off, off offset:1852 ; 16-byte Folded Reload
	scratch_load_dwordx4 v[100:103], off, off offset:1868 ; 16-byte Folded Reload
	scratch_load_dwordx4 v[104:107], off, off offset:1884 ; 16-byte Folded Reload
	scratch_load_dwordx4 v[108:111], off, off offset:1900 ; 16-byte Folded Reload
	scratch_load_dwordx4 v[112:115], off, off offset:1916 ; 16-byte Folded Reload
	;; [unrolled: 10-line block ×24, first 2 shown]
	s_waitcnt vmcnt(5)
	v_mov_b64_e32 v[84:85], v[138:139]
	v_mov_b64_e32 v[86:87], v[140:141]
	;; [unrolled: 1-line block ×6, first 2 shown]
	scratch_store_dwordx4 off, v[218:221], off offset:772 ; 16-byte Folded Spill
	s_nop 0
	scratch_store_dwordx4 off, v[222:225], off offset:788 ; 16-byte Folded Spill
	scratch_store_dwordx4 off, v[226:229], off offset:804 ; 16-byte Folded Spill
	;; [unrolled: 1-line block ×7, first 2 shown]
	v_mov_b64_e32 v[140:141], v[136:137]
	v_mov_b64_e32 v[138:139], v[134:135]
	;; [unrolled: 1-line block ×10, first 2 shown]
	v_mov_b32_e32 v219, v47
	v_mov_b32_e32 v235, v45
	;; [unrolled: 1-line block ×5, first 2 shown]
	s_waitcnt vmcnt(12)
	v_mov_b32_e32 v199, v97
	v_mov_b32_e32 v96, v150
	;; [unrolled: 1-line block ×5, first 2 shown]
	scratch_store_dwordx4 off, v[84:87], off offset:1032 ; 16-byte Folded Spill
	s_nop 0
	scratch_store_dwordx4 off, v[88:91], off offset:1048 ; 16-byte Folded Spill
	scratch_store_dwordx4 off, v[92:95], off offset:1064 ; 16-byte Folded Spill
	;; [unrolled: 1-line block ×3, first 2 shown]
	s_waitcnt vmcnt(15)
	scratch_store_dwordx4 off, v[100:103], off offset:1096 ; 16-byte Folded Spill
	s_waitcnt vmcnt(15)
	scratch_store_dwordx4 off, v[104:107], off offset:1112 ; 16-byte Folded Spill
	;; [unrolled: 2-line block ×4, first 2 shown]
	scratch_load_dwordx4 v[84:87], off, off offset:1804 ; 16-byte Folded Reload
	s_nop 0
	scratch_load_dwordx4 v[88:91], off, off offset:1820 ; 16-byte Folded Reload
	scratch_load_dwordx4 v[92:95], off, off offset:1836 ; 16-byte Folded Reload
	;; [unrolled: 1-line block ×7, first 2 shown]
	v_mov_b32_e32 v152, v0
	s_waitcnt vmcnt(6)
	v_mov_b32_e32 v222, v88
	scratch_load_dwordx4 v[84:87], off, off offset:2316 ; 16-byte Folded Reload
	scratch_load_dwordx4 v[88:91], off, off offset:2332 ; 16-byte Folded Reload
	scratch_load_dwordx4 v[92:95], off, off offset:2348 ; 16-byte Folded Reload
	scratch_load_dwordx4 v[96:99], off, off offset:2364 ; 16-byte Folded Reload
	scratch_load_dwordx4 v[100:103], off, off offset:2380 ; 16-byte Folded Reload
	scratch_load_dwordx4 v[104:107], off, off offset:2396 ; 16-byte Folded Reload
	scratch_load_dwordx4 v[108:111], off, off offset:2412 ; 16-byte Folded Reload
	scratch_load_dwordx4 v[112:115], off, off offset:2428 ; 16-byte Folded Reload
	s_waitcnt vmcnt(6)
	v_mov_b32_e32 v223, v89
	scratch_load_dwordx4 v[84:87], off, off offset:2444 ; 16-byte Folded Reload
	scratch_load_dwordx4 v[88:91], off, off offset:2460 ; 16-byte Folded Reload
	scratch_load_dwordx4 v[92:95], off, off offset:2476 ; 16-byte Folded Reload
	scratch_load_dwordx4 v[96:99], off, off offset:2492 ; 16-byte Folded Reload
	scratch_load_dwordx4 v[100:103], off, off offset:2508 ; 16-byte Folded Reload
	scratch_load_dwordx4 v[104:107], off, off offset:2524 ; 16-byte Folded Reload
	scratch_load_dwordx4 v[108:111], off, off offset:2540 ; 16-byte Folded Reload
	scratch_load_dwordx4 v[112:115], off, off offset:2556 ; 16-byte Folded Reload
	;; [unrolled: 10-line block ×7, first 2 shown]
	s_nop 0
	scratch_store_dwordx4 off, v[168:171], off offset:1548 ; 16-byte Folded Spill
	s_nop 0
	scratch_store_dwordx4 off, v[172:175], off offset:1564 ; 16-byte Folded Spill
	scratch_store_dwordx4 off, v[176:179], off offset:1580 ; 16-byte Folded Spill
	;; [unrolled: 1-line block ×7, first 2 shown]
	v_mov_b32_e32 v174, v68
	v_mov_b32_e32 v170, v66
	;; [unrolled: 1-line block ×5, first 2 shown]
	s_waitcnt vmcnt(13)
	v_mov_b32_e32 v229, v95
	scratch_load_dwordx4 v[90:93], off, off offset:900 ; 16-byte Folded Reload
	scratch_load_dwordx4 v[94:97], off, off offset:916 ; 16-byte Folded Reload
	scratch_load_dwordx4 v[98:101], off, off offset:932 ; 16-byte Folded Reload
	scratch_load_dwordx4 v[102:105], off, off offset:948 ; 16-byte Folded Reload
	scratch_load_dwordx4 v[106:109], off, off offset:964 ; 16-byte Folded Reload
	scratch_load_dwordx4 v[110:113], off, off offset:980 ; 16-byte Folded Reload
	scratch_load_dwordx4 v[114:117], off, off offset:996 ; 16-byte Folded Reload
	scratch_load_dwordx4 v[118:121], off, off offset:1012 ; 16-byte Folded Reload
	s_waitcnt vmcnt(4)
	v_mov_b32_e32 v231, v103
	scratch_load_dwordx4 v[84:87], off, off offset:1032 ; 16-byte Folded Reload
	scratch_load_dwordx4 v[88:91], off, off offset:1048 ; 16-byte Folded Reload
	scratch_load_dwordx4 v[92:95], off, off offset:1064 ; 16-byte Folded Reload
	scratch_load_dwordx4 v[96:99], off, off offset:1080 ; 16-byte Folded Reload
	scratch_load_dwordx4 v[100:103], off, off offset:1096 ; 16-byte Folded Reload
	scratch_load_dwordx4 v[104:107], off, off offset:1112 ; 16-byte Folded Reload
	scratch_load_dwordx4 v[108:111], off, off offset:1128 ; 16-byte Folded Reload
	scratch_load_dwordx4 v[112:115], off, off offset:1144 ; 16-byte Folded Reload
	;; [unrolled: 10-line block ×4, first 2 shown]
	s_nop 0
	scratch_store_dwordx4 off, v[26:29], off offset:3860 ; 16-byte Folded Spill
	s_nop 0
	scratch_store_dwordx4 off, v[30:33], off offset:3876 ; 16-byte Folded Spill
	scratch_store_dwordx4 off, v[34:37], off offset:3892 ; 16-byte Folded Spill
	;; [unrolled: 1-line block ×7, first 2 shown]
	v_mov_b32_e32 v26, v68
	v_mov_b32_e32 v153, v47
	;; [unrolled: 1-line block ×4, first 2 shown]
	s_waitcnt vmcnt(11)
	v_mov_b32_e32 v234, v100
	scratch_load_dwordx4 v[84:87], off, off offset:1804 ; 16-byte Folded Reload
	scratch_load_dwordx4 v[88:91], off, off offset:1820 ; 16-byte Folded Reload
	scratch_load_dwordx4 v[92:95], off, off offset:1836 ; 16-byte Folded Reload
	scratch_load_dwordx4 v[96:99], off, off offset:1852 ; 16-byte Folded Reload
	scratch_load_dwordx4 v[100:103], off, off offset:1868 ; 16-byte Folded Reload
	scratch_load_dwordx4 v[104:107], off, off offset:1884 ; 16-byte Folded Reload
	scratch_load_dwordx4 v[108:111], off, off offset:1900 ; 16-byte Folded Reload
	scratch_load_dwordx4 v[112:115], off, off offset:1916 ; 16-byte Folded Reload
	s_waitcnt vmcnt(6)
	v_mov_b32_e32 v156, v88
	scratch_load_dwordx4 v[84:87], off, off offset:2316 ; 16-byte Folded Reload
	scratch_load_dwordx4 v[88:91], off, off offset:2332 ; 16-byte Folded Reload
	scratch_load_dwordx4 v[92:95], off, off offset:2348 ; 16-byte Folded Reload
	scratch_load_dwordx4 v[96:99], off, off offset:2364 ; 16-byte Folded Reload
	scratch_load_dwordx4 v[100:103], off, off offset:2380 ; 16-byte Folded Reload
	scratch_load_dwordx4 v[104:107], off, off offset:2396 ; 16-byte Folded Reload
	scratch_load_dwordx4 v[108:111], off, off offset:2412 ; 16-byte Folded Reload
	scratch_load_dwordx4 v[112:115], off, off offset:2428 ; 16-byte Folded Reload
	s_waitcnt vmcnt(6)
	v_mov_b32_e32 v157, v89
	scratch_load_dwordx4 v[84:87], off, off offset:2444 ; 16-byte Folded Reload
	scratch_load_dwordx4 v[88:91], off, off offset:2460 ; 16-byte Folded Reload
	scratch_load_dwordx4 v[92:95], off, off offset:2476 ; 16-byte Folded Reload
	scratch_load_dwordx4 v[96:99], off, off offset:2492 ; 16-byte Folded Reload
	scratch_load_dwordx4 v[100:103], off, off offset:2508 ; 16-byte Folded Reload
	scratch_load_dwordx4 v[104:107], off, off offset:2524 ; 16-byte Folded Reload
	scratch_load_dwordx4 v[108:111], off, off offset:2540 ; 16-byte Folded Reload
	scratch_load_dwordx4 v[112:115], off, off offset:2556 ; 16-byte Folded Reload
	s_waitcnt vmcnt(6)
	v_mov_b32_e32 v158, v90
	scratch_load_dwordx4 v[84:87], off, off offset:2572 ; 16-byte Folded Reload
	scratch_load_dwordx4 v[88:91], off, off offset:2588 ; 16-byte Folded Reload
	scratch_load_dwordx4 v[92:95], off, off offset:2604 ; 16-byte Folded Reload
	scratch_load_dwordx4 v[96:99], off, off offset:2620 ; 16-byte Folded Reload
	scratch_load_dwordx4 v[100:103], off, off offset:2636 ; 16-byte Folded Reload
	scratch_load_dwordx4 v[104:107], off, off offset:2652 ; 16-byte Folded Reload
	scratch_load_dwordx4 v[108:111], off, off offset:2668 ; 16-byte Folded Reload
	scratch_load_dwordx4 v[112:115], off, off offset:2684 ; 16-byte Folded Reload
	s_waitcnt vmcnt(6)
	v_mov_b32_e32 v159, v91
	scratch_load_dwordx4 v[84:87], off, off offset:2700 ; 16-byte Folded Reload
	scratch_load_dwordx4 v[88:91], off, off offset:2716 ; 16-byte Folded Reload
	scratch_load_dwordx4 v[92:95], off, off offset:2732 ; 16-byte Folded Reload
	scratch_load_dwordx4 v[96:99], off, off offset:2748 ; 16-byte Folded Reload
	scratch_load_dwordx4 v[100:103], off, off offset:2764 ; 16-byte Folded Reload
	scratch_load_dwordx4 v[104:107], off, off offset:2780 ; 16-byte Folded Reload
	scratch_load_dwordx4 v[108:111], off, off offset:2796 ; 16-byte Folded Reload
	scratch_load_dwordx4 v[112:115], off, off offset:2812 ; 16-byte Folded Reload
	s_waitcnt vmcnt(5)
	v_mov_b32_e32 v160, v92
	scratch_load_dwordx4 v[84:87], off, off offset:1292 ; 16-byte Folded Reload
	scratch_load_dwordx4 v[88:91], off, off offset:1308 ; 16-byte Folded Reload
	scratch_load_dwordx4 v[92:95], off, off offset:1324 ; 16-byte Folded Reload
	scratch_load_dwordx4 v[96:99], off, off offset:1340 ; 16-byte Folded Reload
	scratch_load_dwordx4 v[100:103], off, off offset:1356 ; 16-byte Folded Reload
	scratch_load_dwordx4 v[104:107], off, off offset:1372 ; 16-byte Folded Reload
	scratch_load_dwordx4 v[108:111], off, off offset:1388 ; 16-byte Folded Reload
	scratch_load_dwordx4 v[112:115], off, off offset:1404 ; 16-byte Folded Reload
	s_waitcnt vmcnt(5)
	v_mov_b32_e32 v161, v93
	scratch_load_dwordx4 v[84:87], off, off offset:1420 ; 16-byte Folded Reload
	scratch_load_dwordx4 v[88:91], off, off offset:1436 ; 16-byte Folded Reload
	scratch_load_dwordx4 v[92:95], off, off offset:1452 ; 16-byte Folded Reload
	scratch_load_dwordx4 v[96:99], off, off offset:1468 ; 16-byte Folded Reload
	scratch_load_dwordx4 v[100:103], off, off offset:1484 ; 16-byte Folded Reload
	scratch_load_dwordx4 v[104:107], off, off offset:1500 ; 16-byte Folded Reload
	scratch_load_dwordx4 v[108:111], off, off offset:1516 ; 16-byte Folded Reload
	scratch_load_dwordx4 v[112:115], off, off offset:1532 ; 16-byte Folded Reload
	s_waitcnt vmcnt(5)
	v_mov_b32_e32 v162, v94
	scratch_load_dwordx4 v[84:87], off, off offset:1932 ; 16-byte Folded Reload
	scratch_load_dwordx4 v[88:91], off, off offset:1948 ; 16-byte Folded Reload
	scratch_load_dwordx4 v[92:95], off, off offset:1964 ; 16-byte Folded Reload
	scratch_load_dwordx4 v[96:99], off, off offset:1980 ; 16-byte Folded Reload
	scratch_load_dwordx4 v[100:103], off, off offset:1996 ; 16-byte Folded Reload
	scratch_load_dwordx4 v[104:107], off, off offset:2012 ; 16-byte Folded Reload
	scratch_load_dwordx4 v[108:111], off, off offset:2028 ; 16-byte Folded Reload
	scratch_load_dwordx4 v[112:115], off, off offset:2044 ; 16-byte Folded Reload
	s_waitcnt vmcnt(5)
	v_mov_b32_e32 v163, v95
	scratch_load_dwordx4 v[84:87], off, off offset:1548 ; 16-byte Folded Reload
	scratch_load_dwordx4 v[88:91], off, off offset:1564 ; 16-byte Folded Reload
	scratch_load_dwordx4 v[92:95], off, off offset:1580 ; 16-byte Folded Reload
	scratch_load_dwordx4 v[96:99], off, off offset:1596 ; 16-byte Folded Reload
	scratch_load_dwordx4 v[100:103], off, off offset:1612 ; 16-byte Folded Reload
	scratch_load_dwordx4 v[104:107], off, off offset:1628 ; 16-byte Folded Reload
	scratch_load_dwordx4 v[108:111], off, off offset:1644 ; 16-byte Folded Reload
	scratch_load_dwordx4 v[112:115], off, off offset:1660 ; 16-byte Folded Reload
	s_waitcnt vmcnt(4)
	v_mov_b32_e32 v164, v96
	scratch_load_dwordx4 v[84:87], off, off offset:900 ; 16-byte Folded Reload
	scratch_load_dwordx4 v[88:91], off, off offset:916 ; 16-byte Folded Reload
	scratch_load_dwordx4 v[92:95], off, off offset:932 ; 16-byte Folded Reload
	scratch_load_dwordx4 v[96:99], off, off offset:948 ; 16-byte Folded Reload
	scratch_load_dwordx4 v[100:103], off, off offset:964 ; 16-byte Folded Reload
	scratch_load_dwordx4 v[104:107], off, off offset:980 ; 16-byte Folded Reload
	scratch_load_dwordx4 v[108:111], off, off offset:996 ; 16-byte Folded Reload
	scratch_load_dwordx4 v[112:115], off, off offset:1012 ; 16-byte Folded Reload
	s_waitcnt vmcnt(4)
	v_mov_b32_e32 v165, v97
	scratch_load_dwordx4 v[84:87], off, off offset:1032 ; 16-byte Folded Reload
	scratch_load_dwordx4 v[88:91], off, off offset:1048 ; 16-byte Folded Reload
	scratch_load_dwordx4 v[92:95], off, off offset:1064 ; 16-byte Folded Reload
	scratch_load_dwordx4 v[96:99], off, off offset:1080 ; 16-byte Folded Reload
	scratch_load_dwordx4 v[100:103], off, off offset:1096 ; 16-byte Folded Reload
	scratch_load_dwordx4 v[104:107], off, off offset:1112 ; 16-byte Folded Reload
	scratch_load_dwordx4 v[108:111], off, off offset:1128 ; 16-byte Folded Reload
	scratch_load_dwordx4 v[112:115], off, off offset:1144 ; 16-byte Folded Reload
	s_waitcnt vmcnt(4)
	v_mov_b32_e32 v166, v98
	scratch_load_dwordx4 v[84:87], off, off offset:3348 ; 16-byte Folded Reload
	scratch_load_dwordx4 v[88:91], off, off offset:3364 ; 16-byte Folded Reload
	scratch_load_dwordx4 v[92:95], off, off offset:3380 ; 16-byte Folded Reload
	scratch_load_dwordx4 v[96:99], off, off offset:3396 ; 16-byte Folded Reload
	scratch_load_dwordx4 v[100:103], off, off offset:3412 ; 16-byte Folded Reload
	scratch_load_dwordx4 v[104:107], off, off offset:3428 ; 16-byte Folded Reload
	scratch_load_dwordx4 v[108:111], off, off offset:3444 ; 16-byte Folded Reload
	scratch_load_dwordx4 v[112:115], off, off offset:3460 ; 16-byte Folded Reload
	s_waitcnt vmcnt(4)
	v_mov_b32_e32 v167, v99
	scratch_load_dwordx4 v[84:87], off, off offset:772 ; 16-byte Folded Reload
	scratch_load_dwordx4 v[88:91], off, off offset:788 ; 16-byte Folded Reload
	scratch_load_dwordx4 v[92:95], off, off offset:804 ; 16-byte Folded Reload
	scratch_load_dwordx4 v[96:99], off, off offset:820 ; 16-byte Folded Reload
	scratch_load_dwordx4 v[100:103], off, off offset:836 ; 16-byte Folded Reload
	scratch_load_dwordx4 v[104:107], off, off offset:852 ; 16-byte Folded Reload
	scratch_load_dwordx4 v[108:111], off, off offset:868 ; 16-byte Folded Reload
	scratch_load_dwordx4 v[112:115], off, off offset:884 ; 16-byte Folded Reload
	s_barrier
	s_waitcnt vmcnt(3)
	v_mov_b32_e32 v168, v100
	scratch_store_dwordx4 off, v[4:7], off offset:4 ; 16-byte Folded Spill
	s_nop 0
	scratch_store_dwordx4 off, v[8:11], off offset:20 ; 16-byte Folded Spill
	scratch_store_dwordx4 off, v[12:15], off offset:36 ; 16-byte Folded Spill
	scratch_store_dwordx4 off, v[16:19], off offset:52 ; 16-byte Folded Spill
	scratch_store_dwordx4 off, v[20:23], off offset:68 ; 16-byte Folded Spill
	scratch_store_dwordx4 off, v[24:27], off offset:84 ; 16-byte Folded Spill
	scratch_store_dwordx4 off, v[28:31], off offset:100 ; 16-byte Folded Spill
	scratch_store_dwordx4 off, v[32:35], off offset:116 ; 16-byte Folded Spill
	scratch_store_dwordx4 off, v[152:155], off offset:3732 ; 16-byte Folded Spill
	s_nop 0
	scratch_store_dwordx4 off, v[156:159], off offset:3748 ; 16-byte Folded Spill
	scratch_store_dwordx4 off, v[160:163], off offset:3764 ; 16-byte Folded Spill
	scratch_store_dwordx4 off, v[164:167], off offset:3780 ; 16-byte Folded Spill
	scratch_store_dwordx4 off, v[168:171], off offset:3796 ; 16-byte Folded Spill
	scratch_store_dwordx4 off, v[172:175], off offset:3812 ; 16-byte Folded Spill
	scratch_store_dwordx4 off, v[176:179], off offset:3828 ; 16-byte Folded Spill
	scratch_store_dwordx4 off, v[180:183], off offset:3844 ; 16-byte Folded Spill
	;; [unrolled: 9-line block ×4, first 2 shown]
	v_mov_b32_e32 v27, v141
	scratch_store_dwordx4 off, v[122:125], off offset:516 ; 16-byte Folded Spill
	s_nop 0
	scratch_store_dwordx4 off, v[126:129], off offset:532 ; 16-byte Folded Spill
	scratch_store_dwordx4 off, v[130:133], off offset:548 ; 16-byte Folded Spill
	;; [unrolled: 1-line block ×7, first 2 shown]
	v_mov_b32_e32 v26, v66
	scratch_store_dwordx4 off, v[48:51], off offset:644 ; 16-byte Folded Spill
	s_nop 0
	scratch_store_dwordx4 off, v[52:55], off offset:660 ; 16-byte Folded Spill
	scratch_store_dwordx4 off, v[56:59], off offset:676 ; 16-byte Folded Spill
	;; [unrolled: 1-line block ×8, first 2 shown]
	s_nop 0
	scratch_store_dwordx4 off, v[32:35], off offset:148 ; 16-byte Folded Spill
	scratch_store_dwordx4 off, v[36:39], off offset:164 ; 16-byte Folded Spill
	;; [unrolled: 1-line block ×7, first 2 shown]
	scratch_load_dwordx4 v[218:221], off, off offset:772 ; 16-byte Folded Reload
	scratch_load_dwordx4 v[222:225], off, off offset:788 ; 16-byte Folded Reload
	;; [unrolled: 1-line block ×8, first 2 shown]
	s_waitcnt vmcnt(3)
	v_mov_b32_e32 v174, v234
	scratch_store_dwordx4 off, v[218:221], off offset:772 ; 16-byte Folded Spill
	s_nop 0
	scratch_store_dwordx4 off, v[222:225], off offset:788 ; 16-byte Folded Spill
	scratch_store_dwordx4 off, v[226:229], off offset:804 ; 16-byte Folded Spill
	;; [unrolled: 1-line block ×4, first 2 shown]
	s_waitcnt vmcnt(7)
	scratch_store_dwordx4 off, v[238:241], off offset:852 ; 16-byte Folded Spill
	s_waitcnt vmcnt(7)
	scratch_store_dwordx4 off, v[242:245], off offset:868 ; 16-byte Folded Spill
	s_waitcnt vmcnt(7)
	scratch_store_dwordx4 off, v[246:249], off offset:884 ; 16-byte Folded Spill
	scratch_load_dwordx4 v[206:209], off, off offset:900 ; 16-byte Folded Reload
	s_nop 0
	scratch_load_dwordx4 v[210:213], off, off offset:916 ; 16-byte Folded Reload
	scratch_load_dwordx4 v[214:217], off, off offset:932 ; 16-byte Folded Reload
	;; [unrolled: 1-line block ×15, first 2 shown]
	s_waitcnt vmcnt(4)
	v_mov_b32_e32 v29, v45
	scratch_store_dwordx4 off, v[30:33], off offset:900 ; 16-byte Folded Spill
	s_nop 0
	scratch_store_dwordx4 off, v[34:37], off offset:916 ; 16-byte Folded Spill
	scratch_store_dwordx4 off, v[38:41], off offset:932 ; 16-byte Folded Spill
	;; [unrolled: 1-line block ×3, first 2 shown]
	s_waitcnt vmcnt(7)
	scratch_store_dwordx4 off, v[46:49], off offset:964 ; 16-byte Folded Spill
	s_waitcnt vmcnt(7)
	scratch_store_dwordx4 off, v[50:53], off offset:980 ; 16-byte Folded Spill
	;; [unrolled: 2-line block ×4, first 2 shown]
	scratch_load_dwordx4 v[30:33], off, off offset:1032 ; 16-byte Folded Reload
	s_nop 0
	scratch_load_dwordx4 v[34:37], off, off offset:1048 ; 16-byte Folded Reload
	scratch_load_dwordx4 v[38:41], off, off offset:1064 ; 16-byte Folded Reload
	;; [unrolled: 1-line block ×7, first 2 shown]
	s_waitcnt vmcnt(4)
	v_mov_b32_e32 v176, v44
	scratch_store_dwordx4 off, v[30:33], off offset:1032 ; 16-byte Folded Spill
	s_nop 0
	scratch_store_dwordx4 off, v[34:37], off offset:1048 ; 16-byte Folded Spill
	scratch_store_dwordx4 off, v[38:41], off offset:1064 ; 16-byte Folded Spill
	;; [unrolled: 1-line block ×3, first 2 shown]
	s_waitcnt vmcnt(7)
	scratch_store_dwordx4 off, v[46:49], off offset:1096 ; 16-byte Folded Spill
	s_waitcnt vmcnt(7)
	scratch_store_dwordx4 off, v[50:53], off offset:1112 ; 16-byte Folded Spill
	;; [unrolled: 2-line block ×4, first 2 shown]
	scratch_store_dwordx4 off, v[206:209], off offset:1164 ; 16-byte Folded Spill
	s_nop 0
	scratch_store_dwordx4 off, v[210:213], off offset:1180 ; 16-byte Folded Spill
	scratch_store_dwordx4 off, v[214:217], off offset:1196 ; 16-byte Folded Spill
	;; [unrolled: 1-line block ×7, first 2 shown]
	scratch_load_dwordx4 v[30:33], off, off offset:1548 ; 16-byte Folded Reload
	scratch_load_dwordx4 v[34:37], off, off offset:1564 ; 16-byte Folded Reload
	;; [unrolled: 1-line block ×8, first 2 shown]
	s_waitcnt vmcnt(4)
	v_mov_b32_e32 v114, v42
	scratch_store_dwordx4 off, v[30:33], off offset:1548 ; 16-byte Folded Spill
	s_nop 0
	scratch_store_dwordx4 off, v[34:37], off offset:1564 ; 16-byte Folded Spill
	scratch_store_dwordx4 off, v[38:41], off offset:1580 ; 16-byte Folded Spill
	;; [unrolled: 1-line block ×3, first 2 shown]
	s_waitcnt vmcnt(7)
	scratch_store_dwordx4 off, v[46:49], off offset:1612 ; 16-byte Folded Spill
	s_waitcnt vmcnt(7)
	scratch_store_dwordx4 off, v[50:53], off offset:1628 ; 16-byte Folded Spill
	s_waitcnt vmcnt(7)
	scratch_store_dwordx4 off, v[54:57], off offset:1644 ; 16-byte Folded Spill
	s_waitcnt vmcnt(7)
	scratch_store_dwordx4 off, v[58:61], off offset:1660 ; 16-byte Folded Spill
	scratch_load_dwordx4 v[40:43], off, off offset:1932 ; 16-byte Folded Reload
	s_nop 0
	scratch_load_dwordx4 v[44:47], off, off offset:1948 ; 16-byte Folded Reload
	scratch_load_dwordx4 v[48:51], off, off offset:1964 ; 16-byte Folded Reload
	scratch_load_dwordx4 v[52:55], off, off offset:1980 ; 16-byte Folded Reload
	scratch_load_dwordx4 v[56:59], off, off offset:1996 ; 16-byte Folded Reload
	scratch_load_dwordx4 v[60:63], off, off offset:2012 ; 16-byte Folded Reload
	scratch_load_dwordx4 v[64:67], off, off offset:2028 ; 16-byte Folded Reload
	scratch_load_dwordx4 v[68:71], off, off offset:2044 ; 16-byte Folded Reload
	s_waitcnt vmcnt(5)
	v_mov_b32_e32 v185, v51
	scratch_store_dwordx4 off, v[40:43], off offset:1676 ; 16-byte Folded Spill
	s_nop 0
	scratch_store_dwordx4 off, v[44:47], off offset:1692 ; 16-byte Folded Spill
	scratch_store_dwordx4 off, v[48:51], off offset:1708 ; 16-byte Folded Spill
	s_waitcnt vmcnt(7)
	scratch_store_dwordx4 off, v[52:55], off offset:1724 ; 16-byte Folded Spill
	s_waitcnt vmcnt(7)
	scratch_store_dwordx4 off, v[56:59], off offset:1740 ; 16-byte Folded Spill
	s_waitcnt vmcnt(7)
	scratch_store_dwordx4 off, v[60:63], off offset:1756 ; 16-byte Folded Spill
	s_waitcnt vmcnt(7)
	scratch_store_dwordx4 off, v[64:67], off offset:1772 ; 16-byte Folded Spill
	s_waitcnt vmcnt(7)
	scratch_store_dwordx4 off, v[68:71], off offset:1788 ; 16-byte Folded Spill
	scratch_load_dwordx4 v[40:43], off, off offset:1420 ; 16-byte Folded Reload
	s_nop 0
	scratch_load_dwordx4 v[44:47], off, off offset:1436 ; 16-byte Folded Reload
	scratch_load_dwordx4 v[48:51], off, off offset:1452 ; 16-byte Folded Reload
	scratch_load_dwordx4 v[52:55], off, off offset:1468 ; 16-byte Folded Reload
	scratch_load_dwordx4 v[56:59], off, off offset:1484 ; 16-byte Folded Reload
	scratch_load_dwordx4 v[60:63], off, off offset:1500 ; 16-byte Folded Reload
	scratch_load_dwordx4 v[64:67], off, off offset:1516 ; 16-byte Folded Reload
	scratch_load_dwordx4 v[68:71], off, off offset:1532 ; 16-byte Folded Reload
	s_waitcnt vmcnt(5)
	v_mov_b32_e32 v116, v50
	scratch_store_dwordx4 off, v[40:43], off offset:2060 ; 16-byte Folded Spill
	s_nop 0
	scratch_store_dwordx4 off, v[44:47], off offset:2076 ; 16-byte Folded Spill
	scratch_store_dwordx4 off, v[48:51], off offset:2092 ; 16-byte Folded Spill
	s_waitcnt vmcnt(7)
	scratch_store_dwordx4 off, v[52:55], off offset:2108 ; 16-byte Folded Spill
	;; [unrolled: 25-line block ×3, first 2 shown]
	s_waitcnt vmcnt(7)
	scratch_store_dwordx4 off, v[56:59], off offset:2252 ; 16-byte Folded Spill
	s_waitcnt vmcnt(7)
	scratch_store_dwordx4 off, v[60:63], off offset:2268 ; 16-byte Folded Spill
	;; [unrolled: 2-line block ×4, first 2 shown]
	scratch_load_dwordx4 v[40:43], off, off offset:2700 ; 16-byte Folded Reload
	s_nop 0
	scratch_load_dwordx4 v[44:47], off, off offset:2716 ; 16-byte Folded Reload
	scratch_load_dwordx4 v[48:51], off, off offset:2732 ; 16-byte Folded Reload
	;; [unrolled: 1-line block ×7, first 2 shown]
	s_waitcnt vmcnt(5)
	v_mov_b32_e32 v30, v40
	v_mov_b32_e32 v31, v41
	;; [unrolled: 1-line block ×10, first 2 shown]
	scratch_store_dwordx4 off, v[30:33], off offset:2828 ; 16-byte Folded Spill
	s_nop 0
	scratch_store_dwordx4 off, v[34:37], off offset:2844 ; 16-byte Folded Spill
	scratch_store_dwordx4 off, v[38:41], off offset:2860 ; 16-byte Folded Spill
	;; [unrolled: 1-line block ×4, first 2 shown]
	s_waitcnt vmcnt(9)
	scratch_store_dwordx4 off, v[50:53], off offset:2908 ; 16-byte Folded Spill
	s_waitcnt vmcnt(9)
	scratch_store_dwordx4 off, v[54:57], off offset:2924 ; 16-byte Folded Spill
	;; [unrolled: 2-line block ×3, first 2 shown]
	scratch_load_dwordx4 v[40:43], off, off offset:2572 ; 16-byte Folded Reload
	s_nop 0
	scratch_load_dwordx4 v[44:47], off, off offset:2588 ; 16-byte Folded Reload
	scratch_load_dwordx4 v[48:51], off, off offset:2604 ; 16-byte Folded Reload
	;; [unrolled: 1-line block ×7, first 2 shown]
	s_waitcnt vmcnt(6)
	v_mov_b64_e32 v[30:31], v[40:41]
	v_mov_b64_e32 v[32:33], v[42:43]
	;; [unrolled: 1-line block ×4, first 2 shown]
	v_mov_b32_e32 v119, v37
	scratch_store_dwordx4 off, v[30:33], off offset:2956 ; 16-byte Folded Spill
	s_nop 0
	scratch_store_dwordx4 off, v[34:37], off offset:2972 ; 16-byte Folded Spill
	scratch_store_dwordx4 off, v[38:41], off offset:2988 ; 16-byte Folded Spill
	;; [unrolled: 1-line block ×3, first 2 shown]
	s_waitcnt vmcnt(9)
	scratch_store_dwordx4 off, v[46:49], off offset:3020 ; 16-byte Folded Spill
	s_waitcnt vmcnt(9)
	scratch_store_dwordx4 off, v[50:53], off offset:3036 ; 16-byte Folded Spill
	;; [unrolled: 2-line block ×4, first 2 shown]
	scratch_load_dwordx4 v[40:43], off, off offset:2444 ; 16-byte Folded Reload
	s_nop 0
	scratch_load_dwordx4 v[44:47], off, off offset:2460 ; 16-byte Folded Reload
	scratch_load_dwordx4 v[48:51], off, off offset:2476 ; 16-byte Folded Reload
	;; [unrolled: 1-line block ×7, first 2 shown]
	s_waitcnt vmcnt(6)
	v_mov_b32_e32 v30, v40
	v_mov_b32_e32 v31, v41
	;; [unrolled: 1-line block ×8, first 2 shown]
	scratch_store_dwordx4 off, v[30:33], off offset:3092 ; 16-byte Folded Spill
	s_nop 0
	scratch_store_dwordx4 off, v[34:37], off offset:3108 ; 16-byte Folded Spill
	scratch_store_dwordx4 off, v[38:41], off offset:3124 ; 16-byte Folded Spill
	;; [unrolled: 1-line block ×3, first 2 shown]
	s_waitcnt vmcnt(9)
	scratch_store_dwordx4 off, v[46:49], off offset:3156 ; 16-byte Folded Spill
	s_waitcnt vmcnt(9)
	scratch_store_dwordx4 off, v[50:53], off offset:3172 ; 16-byte Folded Spill
	;; [unrolled: 2-line block ×4, first 2 shown]
	scratch_load_dwordx4 v[40:43], off, off offset:2316 ; 16-byte Folded Reload
	s_nop 0
	scratch_load_dwordx4 v[44:47], off, off offset:2332 ; 16-byte Folded Reload
	scratch_load_dwordx4 v[48:51], off, off offset:2348 ; 16-byte Folded Reload
	;; [unrolled: 1-line block ×7, first 2 shown]
	s_waitcnt vmcnt(6)
	v_mov_b64_e32 v[30:31], v[40:41]
	v_mov_b64_e32 v[32:33], v[42:43]
	;; [unrolled: 1-line block ×3, first 2 shown]
	v_mov_b32_e32 v121, v35
	scratch_store_dwordx4 off, v[30:33], off offset:3220 ; 16-byte Folded Spill
	s_nop 0
	scratch_store_dwordx4 off, v[34:37], off offset:3236 ; 16-byte Folded Spill
	scratch_store_dwordx4 off, v[38:41], off offset:3252 ; 16-byte Folded Spill
	;; [unrolled: 1-line block ×3, first 2 shown]
	s_waitcnt vmcnt(9)
	scratch_store_dwordx4 off, v[46:49], off offset:3284 ; 16-byte Folded Spill
	s_waitcnt vmcnt(9)
	scratch_store_dwordx4 off, v[50:53], off offset:3300 ; 16-byte Folded Spill
	;; [unrolled: 2-line block ×4, first 2 shown]
	scratch_load_dwordx4 v[40:43], off, off offset:1804 ; 16-byte Folded Reload
	s_nop 0
	scratch_load_dwordx4 v[44:47], off, off offset:1820 ; 16-byte Folded Reload
	scratch_load_dwordx4 v[48:51], off, off offset:1836 ; 16-byte Folded Reload
	;; [unrolled: 1-line block ×7, first 2 shown]
	s_waitcnt vmcnt(6)
	v_mov_b32_e32 v30, v40
	v_mov_b32_e32 v31, v41
	;; [unrolled: 1-line block ×6, first 2 shown]
	scratch_store_dwordx4 off, v[30:33], off offset:3476 ; 16-byte Folded Spill
	s_nop 0
	scratch_store_dwordx4 off, v[34:37], off offset:3492 ; 16-byte Folded Spill
	scratch_store_dwordx4 off, v[38:41], off offset:3508 ; 16-byte Folded Spill
	;; [unrolled: 1-line block ×3, first 2 shown]
	s_waitcnt vmcnt(9)
	scratch_store_dwordx4 off, v[46:49], off offset:3540 ; 16-byte Folded Spill
	s_waitcnt vmcnt(9)
	scratch_store_dwordx4 off, v[50:53], off offset:3556 ; 16-byte Folded Spill
	;; [unrolled: 2-line block ×4, first 2 shown]
	v_mov_b32_e32 v31, v83
	scratch_store_dwordx4 off, v[80:83], off offset:3604 ; 16-byte Folded Spill
	s_nop 0
	scratch_store_dwordx4 off, v[84:87], off offset:3620 ; 16-byte Folded Spill
	scratch_store_dwordx4 off, v[88:91], off offset:3636 ; 16-byte Folded Spill
	;; [unrolled: 1-line block ×7, first 2 shown]
	scratch_store_dwordx4 off, v[72:75], s18 ; 16-byte Folded Spill
	s_nop 0
	scratch_store_dwordx4 off, v[76:79], s18 offset:16 ; 16-byte Folded Spill
	scratch_store_dwordx4 off, v[80:83], s18 offset:32 ; 16-byte Folded Spill
	;; [unrolled: 1-line block ×7, first 2 shown]
	s_and_saveexec_b64 s[18:19], vcc
	s_cbranch_execz .LBB48_31
; %bb.30:
	v_div_scale_f32 v1, s[20:21], v25, v25, 1.0
	v_rcp_f32_e32 v2, v1
	v_mov_b32_e32 v75, v31
	v_mov_b32_e32 v123, v219
	;; [unrolled: 1-line block ×3, first 2 shown]
	v_fma_f32 v3, -v1, v2, 1.0
	v_fmac_f32_e32 v2, v3, v2
	v_div_scale_f32 v3, vcc, 1.0, v25, 1.0
	v_mul_f32_e32 v4, v3, v2
	v_fma_f32 v5, -v1, v4, v3
	v_fmac_f32_e32 v4, v5, v2
	v_fma_f32 v1, -v1, v4, v3
	v_div_fmas_f32 v1, v1, v2, v4
	v_div_fixup_f32 v1, v1, v25, 1.0
	v_mov_b32_e32 v136, v26
	v_mov_b32_e32 v137, v27
	v_cndmask_b32_e64 v1, v25, v1, s[2:3]
	scratch_load_dwordx4 v[2:5], off, off offset:3860 ; 16-byte Folded Reload
	scratch_load_dwordx4 v[6:9], off, off offset:3876 ; 16-byte Folded Reload
	scratch_load_dwordx4 v[10:13], off, off offset:3892 ; 16-byte Folded Reload
	scratch_load_dwordx4 v[14:17], off, off offset:3908 ; 16-byte Folded Reload
	scratch_load_dwordx4 v[18:21], off, off offset:3924 ; 16-byte Folded Reload
	scratch_load_dwordx4 v[22:25], off, off offset:3940 ; 16-byte Folded Reload
	scratch_load_dwordx4 v[26:29], off, off offset:3956 ; 16-byte Folded Reload
	scratch_load_dwordx4 v[30:33], off, off offset:3972 ; 16-byte Folded Reload
	v_mov_b32_e32 v130, v228
	v_mov_b32_e32 v131, v121
	;; [unrolled: 1-line block ×14, first 2 shown]
	s_movk_i32 s20, 0xf94
	s_waitcnt vmcnt(2)
	v_mul_f32_e32 v24, v3, v1
	ds_read2_b32 v[2:3], v252 offset0:2 offset1:3
	ds_read2_b32 v[4:5], v252 offset0:4 offset1:5
	ds_read2_b32 v[6:7], v252 offset0:6 offset1:7
	ds_read2_b32 v[8:9], v252 offset0:8 offset1:9
	s_waitcnt lgkmcnt(3)
	v_pk_fma_f32 v[132:133], v[24:25], v[2:3], v[74:75] op_sel_hi:[0,1,1] neg_lo:[1,0,0] neg_hi:[1,0,0]
	s_waitcnt lgkmcnt(2)
	v_pk_fma_f32 v[130:131], v[24:25], v[4:5], v[130:131] op_sel_hi:[0,1,1] neg_lo:[1,0,0] neg_hi:[1,0,0]
	;; [unrolled: 2-line block ×4, first 2 shown]
	ds_read2_b32 v[2:3], v252 offset0:10 offset1:11
	ds_read2_b32 v[4:5], v252 offset0:12 offset1:13
	;; [unrolled: 1-line block ×4, first 2 shown]
	v_mov_b32_e32 v228, v130
	s_waitcnt lgkmcnt(3)
	v_pk_fma_f32 v[124:125], v[24:25], v[2:3], v[124:125] op_sel_hi:[0,1,1] neg_lo:[1,0,0] neg_hi:[1,0,0]
	s_waitcnt lgkmcnt(2)
	v_pk_fma_f32 v[122:123], v[24:25], v[4:5], v[122:123] op_sel_hi:[0,1,1] neg_lo:[1,0,0] neg_hi:[1,0,0]
	;; [unrolled: 2-line block ×3, first 2 shown]
	ds_read2_b32 v[2:3], v252 offset0:18 offset1:19
	ds_read2_b32 v[4:5], v252 offset0:20 offset1:21
	;; [unrolled: 1-line block ×3, first 2 shown]
	s_waitcnt lgkmcnt(3)
	v_pk_fma_f32 v[134:135], v[24:25], v[8:9], v[134:135] op_sel_hi:[0,1,1] neg_lo:[1,0,0] neg_hi:[1,0,0]
	v_mov_b32_e32 v121, v131
	s_waitcnt lgkmcnt(2)
	v_pk_fma_f32 v[136:137], v[24:25], v[2:3], v[136:137] op_sel_hi:[0,1,1] neg_lo:[1,0,0] neg_hi:[1,0,0]
	s_waitcnt lgkmcnt(1)
	v_pk_fma_f32 v[38:39], v[24:25], v[4:5], v[38:39] op_sel_hi:[0,1,1] neg_lo:[1,0,0] neg_hi:[1,0,0]
	scratch_store_dwordx4 off, v[18:21], off offset:1292 ; 16-byte Folded Spill
	s_nop 0
	scratch_store_dwordx4 off, v[22:25], off offset:1308 ; 16-byte Folded Spill
	s_waitcnt vmcnt(3)
	scratch_store_dwordx4 off, v[26:29], off offset:1324 ; 16-byte Folded Spill
	s_waitcnt vmcnt(3)
	scratch_store_dwordx4 off, v[30:33], off offset:1340 ; 16-byte Folded Spill
	scratch_store_dwordx4 off, v[34:37], off offset:1356 ; 16-byte Folded Spill
	scratch_store_dwordx4 off, v[38:41], off offset:1372 ; 16-byte Folded Spill
	scratch_store_dwordx4 off, v[42:45], off offset:1388 ; 16-byte Folded Spill
	scratch_store_dwordx4 off, v[46:49], off offset:1404 ; 16-byte Folded Spill
	scratch_load_dwordx4 v[58:61], off, off offset:4 ; 16-byte Folded Reload
	scratch_load_dwordx4 v[62:65], off, off offset:20 ; 16-byte Folded Reload
	scratch_load_dwordx4 v[66:69], off, off offset:36 ; 16-byte Folded Reload
	scratch_load_dwordx4 v[70:73], off, off offset:52 ; 16-byte Folded Reload
	scratch_load_dwordx4 v[74:77], off, off offset:68 ; 16-byte Folded Reload
	scratch_load_dwordx4 v[78:81], off, off offset:84 ; 16-byte Folded Reload
	scratch_load_dwordx4 v[82:85], off, off offset:100 ; 16-byte Folded Reload
	scratch_load_dwordx4 v[86:89], off, off offset:116 ; 16-byte Folded Reload
	ds_read_b32 v1, v252 offset:96
	s_waitcnt vmcnt(2)
	v_mov_b32_e32 v81, v254
	v_mov_b32_e32 v120, v128
	;; [unrolled: 1-line block ×11, first 2 shown]
	s_waitcnt lgkmcnt(0)
	v_fma_f32 v255, -v24, v1, v255
	v_mov_b32_e32 v1, v24
	v_pk_fma_f32 v[80:81], v[24:25], v[6:7], v[80:81] op_sel_hi:[0,1,1] neg_lo:[1,0,0] neg_hi:[1,0,0]
	scratch_store_dwordx4 off, v[0:3], off offset:3860 ; 16-byte Folded Spill
	s_nop 0
	scratch_store_dwordx4 off, v[4:7], off offset:3876 ; 16-byte Folded Spill
	scratch_store_dwordx4 off, v[8:11], off offset:3892 ; 16-byte Folded Spill
	scratch_store_dwordx4 off, v[12:15], off offset:3908 ; 16-byte Folded Spill
	scratch_store_dwordx4 off, v[16:19], off offset:3924 ; 16-byte Folded Spill
	scratch_store_dwordx4 off, v[20:23], off offset:3940 ; 16-byte Folded Spill
	scratch_store_dwordx4 off, v[24:27], off offset:3956 ; 16-byte Folded Spill
	scratch_store_dwordx4 off, v[28:31], off offset:3972 ; 16-byte Folded Spill
	v_mov_b32_e32 v2, v132
	scratch_store_dwordx4 off, v[0:3], s20  ; 16-byte Folded Spill
	s_nop 0
	scratch_store_dwordx4 off, v[4:7], s20 offset:16 ; 16-byte Folded Spill
	scratch_store_dwordx4 off, v[8:11], s20 offset:32 ; 16-byte Folded Spill
	;; [unrolled: 1-line block ×7, first 2 shown]
	v_mov_b32_e32 v3, v133
	scratch_store_dwordx4 off, v[0:3], off offset:3604 ; 16-byte Folded Spill
	s_nop 0
	scratch_store_dwordx4 off, v[4:7], off offset:3620 ; 16-byte Folded Spill
	scratch_store_dwordx4 off, v[8:11], off offset:3636 ; 16-byte Folded Spill
	scratch_store_dwordx4 off, v[12:15], off offset:3652 ; 16-byte Folded Spill
	scratch_store_dwordx4 off, v[16:19], off offset:3668 ; 16-byte Folded Spill
	scratch_store_dwordx4 off, v[20:23], off offset:3684 ; 16-byte Folded Spill
	scratch_store_dwordx4 off, v[24:27], off offset:3700 ; 16-byte Folded Spill
	scratch_store_dwordx4 off, v[28:31], off offset:3716 ; 16-byte Folded Spill
	v_mov_b32_e32 v4, v130
	scratch_store_dwordx4 off, v[0:3], off offset:3476 ; 16-byte Folded Spill
	s_nop 0
	scratch_store_dwordx4 off, v[4:7], off offset:3492 ; 16-byte Folded Spill
	scratch_store_dwordx4 off, v[8:11], off offset:3508 ; 16-byte Folded Spill
	scratch_store_dwordx4 off, v[12:15], off offset:3524 ; 16-byte Folded Spill
	scratch_store_dwordx4 off, v[16:19], off offset:3540 ; 16-byte Folded Spill
	scratch_store_dwordx4 off, v[20:23], off offset:3556 ; 16-byte Folded Spill
	scratch_store_dwordx4 off, v[24:27], off offset:3572 ; 16-byte Folded Spill
	scratch_store_dwordx4 off, v[28:31], off offset:3588 ; 16-byte Folded Spill
	;; [unrolled: 10-line block ×17, first 2 shown]
	scratch_load_dwordx4 v[26:29], off, off offset:1292 ; 16-byte Folded Reload
	s_nop 0
	scratch_load_dwordx4 v[30:33], off, off offset:1308 ; 16-byte Folded Reload
	scratch_load_dwordx4 v[34:37], off, off offset:1324 ; 16-byte Folded Reload
	;; [unrolled: 1-line block ×7, first 2 shown]
	s_waitcnt vmcnt(2)
	v_mov_b32_e32 v20, v46
	scratch_store_dwordx4 off, v[0:3], off offset:388 ; 16-byte Folded Spill
	s_nop 0
	scratch_store_dwordx4 off, v[4:7], off offset:404 ; 16-byte Folded Spill
	scratch_store_dwordx4 off, v[8:11], off offset:420 ; 16-byte Folded Spill
	;; [unrolled: 1-line block ×7, first 2 shown]
	scratch_load_dwordx4 v[48:51], off, off offset:1292 ; 16-byte Folded Reload
	scratch_load_dwordx4 v[52:55], off, off offset:1308 ; 16-byte Folded Reload
	scratch_load_dwordx4 v[56:59], off, off offset:1324 ; 16-byte Folded Reload
	scratch_load_dwordx4 v[60:63], off, off offset:1340 ; 16-byte Folded Reload
	scratch_load_dwordx4 v[64:67], off, off offset:1356 ; 16-byte Folded Reload
	scratch_load_dwordx4 v[68:71], off, off offset:1372 ; 16-byte Folded Reload
	scratch_load_dwordx4 v[72:75], off, off offset:1388 ; 16-byte Folded Reload
	scratch_load_dwordx4 v[76:79], off, off offset:1404 ; 16-byte Folded Reload
	s_waitcnt vmcnt(2)
	v_mov_b32_e32 v20, v68
	scratch_load_dwordx4 v[48:51], off, off offset:1292 ; 16-byte Folded Reload
	scratch_load_dwordx4 v[52:55], off, off offset:1308 ; 16-byte Folded Reload
	;; [unrolled: 1-line block ×8, first 2 shown]
	s_waitcnt vmcnt(2)
	v_mov_b32_e32 v21, v69
	scratch_store_dwordx4 off, v[0:3], off offset:260 ; 16-byte Folded Spill
	s_nop 0
	scratch_store_dwordx4 off, v[4:7], off offset:276 ; 16-byte Folded Spill
	scratch_store_dwordx4 off, v[8:11], off offset:292 ; 16-byte Folded Spill
	;; [unrolled: 1-line block ×7, first 2 shown]
	scratch_load_dwordx4 v[48:51], off, off offset:1292 ; 16-byte Folded Reload
	scratch_load_dwordx4 v[52:55], off, off offset:1308 ; 16-byte Folded Reload
	scratch_load_dwordx4 v[56:59], off, off offset:1324 ; 16-byte Folded Reload
	scratch_load_dwordx4 v[60:63], off, off offset:1340 ; 16-byte Folded Reload
	scratch_load_dwordx4 v[64:67], off, off offset:1356 ; 16-byte Folded Reload
	scratch_load_dwordx4 v[68:71], off, off offset:1372 ; 16-byte Folded Reload
	scratch_load_dwordx4 v[72:75], off, off offset:1388 ; 16-byte Folded Reload
	scratch_load_dwordx4 v[76:79], off, off offset:1404 ; 16-byte Folded Reload
	v_mov_b32_e32 v22, v80
	s_waitcnt vmcnt(2)
	v_mov_b32_e32 v20, v68
	scratch_load_dwordx4 v[48:51], off, off offset:1292 ; 16-byte Folded Reload
	scratch_load_dwordx4 v[52:55], off, off offset:1308 ; 16-byte Folded Reload
	;; [unrolled: 1-line block ×8, first 2 shown]
	s_waitcnt vmcnt(2)
	v_mov_b32_e32 v21, v69
	scratch_store_dwordx4 off, v[0:3], off offset:3732 ; 16-byte Folded Spill
	s_nop 0
	scratch_store_dwordx4 off, v[4:7], off offset:3748 ; 16-byte Folded Spill
	scratch_store_dwordx4 off, v[8:11], off offset:3764 ; 16-byte Folded Spill
	;; [unrolled: 1-line block ×7, first 2 shown]
	scratch_load_dwordx4 v[48:51], off, off offset:1292 ; 16-byte Folded Reload
	scratch_load_dwordx4 v[52:55], off, off offset:1308 ; 16-byte Folded Reload
	;; [unrolled: 1-line block ×8, first 2 shown]
	v_mov_b32_e32 v23, v81
	v_mov_b32_e32 v24, v255
	;; [unrolled: 1-line block ×6, first 2 shown]
	s_waitcnt vmcnt(2)
	v_mov_b32_e32 v20, v68
	scratch_load_dwordx4 v[48:51], off, off offset:1292 ; 16-byte Folded Reload
	scratch_load_dwordx4 v[52:55], off, off offset:1308 ; 16-byte Folded Reload
	;; [unrolled: 1-line block ×8, first 2 shown]
	s_waitcnt vmcnt(2)
	v_mov_b32_e32 v21, v69
	scratch_store_dwordx4 off, v[58:61], off offset:4 ; 16-byte Folded Spill
	s_nop 0
	scratch_store_dwordx4 off, v[62:65], off offset:20 ; 16-byte Folded Spill
	scratch_store_dwordx4 off, v[66:69], off offset:36 ; 16-byte Folded Spill
	s_waitcnt vmcnt(4)
	scratch_store_dwordx4 off, v[70:73], off offset:52 ; 16-byte Folded Spill
	s_waitcnt vmcnt(4)
	scratch_store_dwordx4 off, v[74:77], off offset:68 ; 16-byte Folded Spill
	scratch_store_dwordx4 off, v[78:81], off offset:84 ; 16-byte Folded Spill
	;; [unrolled: 1-line block ×4, first 2 shown]
	v_mov_b32_e32 v254, v81
	scratch_load_dwordx4 v[56:59], off, off offset:1292 ; 16-byte Folded Reload
	scratch_load_dwordx4 v[60:63], off, off offset:1308 ; 16-byte Folded Reload
	;; [unrolled: 1-line block ×8, first 2 shown]
	s_waitcnt vmcnt(3)
	v_mov_b64_e32 v[74:75], v[132:133]
	v_mov_b32_e32 v31, v75
	s_waitcnt vmcnt(2)
	v_mov_b64_e32 v[38:39], v[76:77]
	v_mov_b32_e32 v173, v39
.LBB48_31:
	s_or_b64 exec, exec, s[18:19]
	v_lshl_add_u32 v25, v253, 2, v252
	s_barrier
	ds_write_b32 v25, v74
	s_waitcnt lgkmcnt(0)
	s_barrier
	ds_read_b32 v25, v252 offset:8
	v_mov_b32_e32 v28, v74
	s_cmp_lt_i32 s22, 4
	v_mov_b32_e32 v48, 2
	s_cbranch_scc1 .LBB48_34
; %bb.32:
	scratch_load_dword v47, off, off offset:1028 ; 4-byte Folded Reload
	scratch_load_dwordx4 v[122:125], off, off offset:3732 ; 16-byte Folded Reload
	scratch_load_dwordx4 v[126:129], off, off offset:3748 ; 16-byte Folded Reload
	;; [unrolled: 1-line block ×8, first 2 shown]
	v_mov_b32_e32 v48, 2
	s_mov_b32 s18, 3
	s_waitcnt vmcnt(8)
	v_add3_u32 v47, v47, 0, 12
.LBB48_33:                              ; =>This Inner Loop Header: Depth=1
	ds_read_b32 v49, v47
	v_add_u32_e32 v47, 4, v47
	s_waitcnt lgkmcnt(0)
	v_cmp_lt_f32_e64 vcc, |v25|, |v49|
	s_nop 1
	v_cndmask_b32_e32 v25, v25, v49, vcc
	v_mov_b32_e32 v49, s18
	s_add_i32 s18, s18, 1
	v_cndmask_b32_e32 v48, v48, v49, vcc
	s_cmp_lg_u32 s22, s18
	s_cbranch_scc1 .LBB48_33
	s_branch .LBB48_35
.LBB48_34:
	scratch_load_dwordx4 v[122:125], off, off offset:3732 ; 16-byte Folded Reload
	scratch_load_dwordx4 v[126:129], off, off offset:3748 ; 16-byte Folded Reload
	;; [unrolled: 1-line block ×8, first 2 shown]
.LBB48_35:
	v_mov_b32_e32 v178, v76
	scratch_load_dwordx4 v[58:61], off, off offset:132 ; 16-byte Folded Reload
	scratch_load_dwordx4 v[62:65], off, off offset:148 ; 16-byte Folded Reload
	;; [unrolled: 1-line block ×8, first 2 shown]
	v_cndmask_b32_e64 v47, 2, 1, s[0:1]
	v_cndmask_b32_e64 v49, 0, 1, s[0:1]
	s_waitcnt vmcnt(3)
	v_cndmask_b32_e64 v74, v47, v49, s[2:3]
	s_waitcnt lgkmcnt(0)
	v_cmp_eq_f32_e32 vcc, 0, v25
	s_and_saveexec_b64 s[0:1], vcc
	s_xor_b64 s[0:1], exec, s[0:1]
; %bb.36:
	v_cmp_ne_u32_e32 vcc, 0, v74
	s_nop 1
	v_cndmask_b32_e32 v74, 3, v74, vcc
; %bb.37:
	s_andn2_saveexec_b64 s[0:1], s[0:1]
	s_cbranch_execz .LBB48_39
; %bb.38:
	v_div_scale_f32 v47, s[2:3], v25, v25, 1.0
	v_rcp_f32_e32 v49, v47
	v_div_scale_f32 v50, vcc, 1.0, v25, 1.0
	v_fma_f32 v51, -v47, v49, 1.0
	v_fmac_f32_e32 v49, v51, v49
	v_mul_f32_e32 v51, v50, v49
	v_fma_f32 v52, -v47, v51, v50
	v_fmac_f32_e32 v51, v52, v49
	v_fma_f32 v47, -v47, v51, v50
	v_div_fmas_f32 v47, v47, v49, v51
	v_div_fixup_f32 v25, v47, v25, 1.0
.LBB48_39:
	s_or_b64 exec, exec, s[0:1]
	v_cmp_ne_u32_e32 vcc, v253, v48
	s_and_saveexec_b64 s[0:1], vcc
	s_xor_b64 s[0:1], exec, s[0:1]
	s_cbranch_execz .LBB48_45
; %bb.40:
	v_cmp_eq_u32_e32 vcc, 2, v253
	s_and_saveexec_b64 s[2:3], vcc
	s_cbranch_execz .LBB48_44
; %bb.41:
	v_cmp_ne_u32_e32 vcc, 2, v48
	s_xor_b64 s[18:19], s[16:17], -1
	s_and_b64 s[20:21], s[18:19], vcc
	s_and_saveexec_b64 s[18:19], s[20:21]
	s_cbranch_execz .LBB48_43
; %bb.42:
	scratch_load_dwordx2 v[52:53], off, off offset:3084 ; 8-byte Folded Reload
	v_ashrrev_i32_e32 v49, 31, v48
	s_waitcnt vmcnt(0)
	v_lshl_add_u64 v[50:51], v[48:49], 2, v[52:53]
	global_load_dword v47, v[50:51], off
	global_load_dword v49, v[52:53], off offset:8
	s_waitcnt vmcnt(1)
	global_store_dword v[52:53], v47, off offset:8
	s_waitcnt vmcnt(1)
	global_store_dword v[50:51], v49, off
.LBB48_43:
	s_or_b64 exec, exec, s[18:19]
	v_mov_b32_e32 v47, v48
	v_mov_b32_e32 v253, v48
	scratch_store_dword off, v47, off offset:1160 ; 4-byte Folded Spill
.LBB48_44:
	s_or_b64 exec, exec, s[2:3]
.LBB48_45:
	s_andn2_saveexec_b64 s[0:1], s[0:1]
	s_cbranch_execz .LBB48_47
; %bb.46:
	v_mov_b32_e32 v253, 2
	ds_write2_b32 v252, v3, v4 offset0:3 offset1:4
	ds_write2_b32 v252, v5, v6 offset0:5 offset1:6
	;; [unrolled: 1-line block ×11, first 2 shown]
.LBB48_47:
	s_or_b64 exec, exec, s[0:1]
	v_cmp_lt_i32_e32 vcc, 2, v253
	s_waitcnt lgkmcnt(0)
	s_barrier
	s_and_saveexec_b64 s[0:1], vcc
	s_cbranch_execz .LBB48_49
; %bb.48:
	scratch_load_dwordx4 v[206:209], off, off offset:3860 ; 16-byte Folded Reload
	scratch_load_dwordx4 v[210:213], off, off offset:3876 ; 16-byte Folded Reload
	;; [unrolled: 1-line block ×8, first 2 shown]
	ds_read2_b32 v[0:1], v252 offset0:3 offset1:4
	s_waitcnt vmcnt(7)
	v_mul_f32_e32 v208, v28, v25
	ds_read2_b32 v[26:27], v252 offset0:5 offset1:6
	ds_read2_b32 v[28:29], v252 offset0:7 offset1:8
	;; [unrolled: 1-line block ×3, first 2 shown]
	v_mov_b32_e32 v2, v3
	v_mov_b32_e32 v3, v4
	;; [unrolled: 1-line block ×3, first 2 shown]
	s_movk_i32 s2, 0xf94
	s_waitcnt lgkmcnt(3)
	v_pk_fma_f32 v[48:49], v[208:209], v[0:1], v[2:3] op_sel_hi:[0,1,1] neg_lo:[1,0,0] neg_hi:[1,0,0]
	v_mov_b32_e32 v0, v5
	v_mov_b32_e32 v1, v6
	s_waitcnt lgkmcnt(2)
	v_pk_fma_f32 v[50:51], v[208:209], v[26:27], v[0:1] op_sel_hi:[0,1,1] neg_lo:[1,0,0] neg_hi:[1,0,0]
	v_mov_b32_e32 v0, v7
	v_mov_b32_e32 v1, v8
	s_waitcnt lgkmcnt(1)
	v_pk_fma_f32 v[52:53], v[208:209], v[28:29], v[0:1] op_sel_hi:[0,1,1] neg_lo:[1,0,0] neg_hi:[1,0,0]
	v_mov_b32_e32 v0, v9
	v_mov_b32_e32 v1, v10
	s_waitcnt lgkmcnt(0)
	v_pk_fma_f32 v[54:55], v[208:209], v[30:31], v[0:1] op_sel_hi:[0,1,1] neg_lo:[1,0,0] neg_hi:[1,0,0]
	ds_read2_b32 v[0:1], v252 offset0:11 offset1:12
	ds_read2_b32 v[4:5], v252 offset0:13 offset1:14
	;; [unrolled: 1-line block ×4, first 2 shown]
	v_mov_b32_e32 v2, v11
	v_mov_b32_e32 v3, v12
	;; [unrolled: 1-line block ×3, first 2 shown]
	s_waitcnt lgkmcnt(3)
	v_pk_fma_f32 v[56:57], v[208:209], v[0:1], v[2:3] op_sel_hi:[0,1,1] neg_lo:[1,0,0] neg_hi:[1,0,0]
	v_mov_b32_e32 v0, v13
	v_mov_b32_e32 v1, v14
	s_waitcnt lgkmcnt(2)
	v_pk_fma_f32 v[82:83], v[208:209], v[4:5], v[0:1] op_sel_hi:[0,1,1] neg_lo:[1,0,0] neg_hi:[1,0,0]
	v_mov_b32_e32 v0, v15
	v_mov_b32_e32 v1, v16
	;; [unrolled: 4-line block ×3, first 2 shown]
	s_waitcnt lgkmcnt(0)
	v_pk_fma_f32 v[86:87], v[208:209], v[8:9], v[0:1] op_sel_hi:[0,1,1] neg_lo:[1,0,0] neg_hi:[1,0,0]
	ds_read2_b32 v[0:1], v252 offset0:19 offset1:20
	ds_read2_b32 v[4:5], v252 offset0:21 offset1:22
	;; [unrolled: 1-line block ×3, first 2 shown]
	v_mov_b32_e32 v2, v19
	v_mov_b32_e32 v3, v20
	;; [unrolled: 1-line block ×3, first 2 shown]
	s_waitcnt lgkmcnt(2)
	v_pk_fma_f32 v[88:89], v[208:209], v[0:1], v[2:3] op_sel_hi:[0,1,1] neg_lo:[1,0,0] neg_hi:[1,0,0]
	v_mov_b32_e32 v0, v21
	v_mov_b32_e32 v1, v22
	s_waitcnt lgkmcnt(1)
	v_pk_fma_f32 v[112:113], v[208:209], v[4:5], v[0:1] op_sel_hi:[0,1,1] neg_lo:[1,0,0] neg_hi:[1,0,0]
	v_mov_b32_e32 v0, v23
	v_mov_b32_e32 v1, v24
	;; [unrolled: 4-line block ×3, first 2 shown]
	v_mov_b32_e32 v2, v208
	v_mov_b32_e32 v3, v48
	;; [unrolled: 1-line block ×3, first 2 shown]
	scratch_store_dwordx4 off, v[0:3], off offset:3476 ; 16-byte Folded Spill
	s_nop 0
	scratch_store_dwordx4 off, v[4:7], off offset:3492 ; 16-byte Folded Spill
	scratch_store_dwordx4 off, v[8:11], off offset:3508 ; 16-byte Folded Spill
	scratch_store_dwordx4 off, v[12:15], off offset:3524 ; 16-byte Folded Spill
	scratch_store_dwordx4 off, v[16:19], off offset:3540 ; 16-byte Folded Spill
	scratch_store_dwordx4 off, v[20:23], off offset:3556 ; 16-byte Folded Spill
	scratch_store_dwordx4 off, v[24:27], off offset:3572 ; 16-byte Folded Spill
	scratch_store_dwordx4 off, v[28:31], off offset:3588 ; 16-byte Folded Spill
	v_mov_b32_e32 v5, v50
	v_mov_b32_e32 v209, v48
	;; [unrolled: 1-line block ×35, first 2 shown]
	scratch_store_dwordx4 off, v[0:3], off offset:3220 ; 16-byte Folded Spill
	s_nop 0
	scratch_store_dwordx4 off, v[4:7], off offset:3236 ; 16-byte Folded Spill
	scratch_store_dwordx4 off, v[8:11], off offset:3252 ; 16-byte Folded Spill
	scratch_store_dwordx4 off, v[12:15], off offset:3268 ; 16-byte Folded Spill
	scratch_store_dwordx4 off, v[16:19], off offset:3284 ; 16-byte Folded Spill
	scratch_store_dwordx4 off, v[20:23], off offset:3300 ; 16-byte Folded Spill
	scratch_store_dwordx4 off, v[24:27], off offset:3316 ; 16-byte Folded Spill
	scratch_store_dwordx4 off, v[28:31], off offset:3332 ; 16-byte Folded Spill
	v_mov_b32_e32 v6, v51
	scratch_store_dwordx4 off, v[0:3], off offset:3092 ; 16-byte Folded Spill
	s_nop 0
	scratch_store_dwordx4 off, v[4:7], off offset:3108 ; 16-byte Folded Spill
	scratch_store_dwordx4 off, v[8:11], off offset:3124 ; 16-byte Folded Spill
	scratch_store_dwordx4 off, v[12:15], off offset:3140 ; 16-byte Folded Spill
	scratch_store_dwordx4 off, v[16:19], off offset:3156 ; 16-byte Folded Spill
	scratch_store_dwordx4 off, v[20:23], off offset:3172 ; 16-byte Folded Spill
	scratch_store_dwordx4 off, v[24:27], off offset:3188 ; 16-byte Folded Spill
	scratch_store_dwordx4 off, v[28:31], off offset:3204 ; 16-byte Folded Spill
	v_mov_b32_e32 v7, v52
	;; [unrolled: 10-line block ×16, first 2 shown]
	scratch_store_dwordx4 off, v[0:3], off offset:260 ; 16-byte Folded Spill
	s_nop 0
	scratch_store_dwordx4 off, v[4:7], off offset:276 ; 16-byte Folded Spill
	scratch_store_dwordx4 off, v[8:11], off offset:292 ; 16-byte Folded Spill
	;; [unrolled: 1-line block ×8, first 2 shown]
	s_waitcnt vmcnt(62)
	scratch_store_dwordx4 off, v[210:213], off offset:3620 ; 16-byte Folded Spill
	scratch_store_dwordx4 off, v[214:217], off offset:3636 ; 16-byte Folded Spill
	;; [unrolled: 1-line block ×7, first 2 shown]
	v_mov_b32_e32 v22, v113
	v_mov_b32_e32 v23, v254
	;; [unrolled: 1-line block ×8, first 2 shown]
	scratch_store_dwordx4 off, v[206:209], s2 ; 16-byte Folded Spill
	s_nop 0
	scratch_store_dwordx4 off, v[210:213], s2 offset:16 ; 16-byte Folded Spill
	scratch_store_dwordx4 off, v[214:217], s2 offset:32 ; 16-byte Folded Spill
	;; [unrolled: 1-line block ×7, first 2 shown]
	v_mov_b32_e32 v228, v49
	v_mov_b32_e32 v219, v82
	scratch_store_dwordx4 off, v[26:29], off offset:4 ; 16-byte Folded Spill
	s_nop 0
	scratch_store_dwordx4 off, v[30:33], off offset:20 ; 16-byte Folded Spill
	scratch_store_dwordx4 off, v[34:37], off offset:36 ; 16-byte Folded Spill
	;; [unrolled: 1-line block ×7, first 2 shown]
.LBB48_49:
	s_or_b64 exec, exec, s[0:1]
	v_lshl_add_u32 v25, v253, 2, v252
	s_waitcnt vmcnt(63) expcnt(7) lgkmcnt(15)
	s_barrier
	ds_write_b32 v25, v31
	s_waitcnt lgkmcnt(0)
	s_barrier
	ds_read_b32 v25, v252 offset:12
	s_cmp_lt_i32 s22, 5
	v_mov_b32_e32 v48, 3
	s_cbranch_scc1 .LBB48_52
; %bb.50:
	scratch_load_dword v47, off, off offset:1028 ; 4-byte Folded Reload
	v_mov_b32_e32 v48, 3
	s_mov_b32 s0, 4
	s_waitcnt vmcnt(0)
	v_add3_u32 v47, v47, 0, 16
.LBB48_51:                              ; =>This Inner Loop Header: Depth=1
	ds_read_b32 v49, v47
	v_add_u32_e32 v47, 4, v47
	s_waitcnt lgkmcnt(0)
	v_cmp_lt_f32_e64 vcc, |v25|, |v49|
	s_nop 1
	v_cndmask_b32_e32 v25, v25, v49, vcc
	v_mov_b32_e32 v49, s0
	s_add_i32 s0, s0, 1
	v_cndmask_b32_e32 v48, v48, v49, vcc
	s_cmp_lg_u32 s22, s0
	s_cbranch_scc1 .LBB48_51
.LBB48_52:
	s_waitcnt lgkmcnt(0)
	v_cmp_eq_f32_e32 vcc, 0, v25
	s_and_saveexec_b64 s[0:1], vcc
	s_xor_b64 s[0:1], exec, s[0:1]
; %bb.53:
	v_cmp_ne_u32_e32 vcc, 0, v74
	s_nop 1
	v_cndmask_b32_e32 v74, 4, v74, vcc
; %bb.54:
	s_andn2_saveexec_b64 s[0:1], s[0:1]
	s_cbranch_execz .LBB48_56
; %bb.55:
	v_div_scale_f32 v47, s[2:3], v25, v25, 1.0
	v_rcp_f32_e32 v49, v47
	v_div_scale_f32 v50, vcc, 1.0, v25, 1.0
	v_fma_f32 v51, -v47, v49, 1.0
	v_fmac_f32_e32 v49, v51, v49
	v_mul_f32_e32 v51, v50, v49
	v_fma_f32 v52, -v47, v51, v50
	v_fmac_f32_e32 v51, v52, v49
	v_fma_f32 v47, -v47, v51, v50
	v_div_fmas_f32 v47, v47, v49, v51
	v_div_fixup_f32 v25, v47, v25, 1.0
.LBB48_56:
	s_or_b64 exec, exec, s[0:1]
	v_cmp_ne_u32_e32 vcc, v253, v48
	s_and_saveexec_b64 s[0:1], vcc
	s_xor_b64 s[0:1], exec, s[0:1]
	s_cbranch_execz .LBB48_62
; %bb.57:
	v_cmp_eq_u32_e32 vcc, 3, v253
	s_and_saveexec_b64 s[2:3], vcc
	s_cbranch_execz .LBB48_61
; %bb.58:
	v_cmp_ne_u32_e32 vcc, 3, v48
	s_xor_b64 s[18:19], s[16:17], -1
	s_and_b64 s[20:21], s[18:19], vcc
	s_and_saveexec_b64 s[18:19], s[20:21]
	s_cbranch_execz .LBB48_60
; %bb.59:
	scratch_load_dwordx2 v[52:53], off, off offset:3084 ; 8-byte Folded Reload
	v_ashrrev_i32_e32 v49, 31, v48
	s_waitcnt vmcnt(0)
	v_lshl_add_u64 v[50:51], v[48:49], 2, v[52:53]
	global_load_dword v47, v[50:51], off
	global_load_dword v49, v[52:53], off offset:12
	s_waitcnt vmcnt(1)
	global_store_dword v[52:53], v47, off offset:12
	s_waitcnt vmcnt(1)
	global_store_dword v[50:51], v49, off
.LBB48_60:
	s_or_b64 exec, exec, s[18:19]
	v_mov_b32_e32 v47, v48
	v_mov_b32_e32 v253, v48
	scratch_store_dword off, v47, off offset:1160 ; 4-byte Folded Spill
.LBB48_61:
	s_or_b64 exec, exec, s[2:3]
.LBB48_62:
	s_or_saveexec_b64 s[0:1], s[0:1]
	s_waitcnt vmcnt(0)
	v_mov_b32_e32 v89, v219
	s_xor_b64 exec, exec, s[0:1]
	s_cbranch_execz .LBB48_64
; %bb.63:
	v_mov_b32_e32 v253, 3
	ds_write2_b32 v252, v4, v5 offset0:4 offset1:5
	ds_write2_b32 v252, v6, v7 offset0:6 offset1:7
	;; [unrolled: 1-line block ×10, first 2 shown]
	ds_write_b32 v252, v255 offset:96
.LBB48_64:
	s_or_b64 exec, exec, s[0:1]
	v_cmp_lt_i32_e32 vcc, 3, v253
	s_waitcnt lgkmcnt(0)
	s_barrier
	s_and_saveexec_b64 s[0:1], vcc
	s_cbranch_execz .LBB48_66
; %bb.65:
	ds_read2_b32 v[2:3], v252 offset0:4 offset1:5
	ds_read2_b32 v[26:27], v252 offset0:6 offset1:7
	;; [unrolled: 1-line block ×3, first 2 shown]
	v_mul_f32_e32 v0, v31, v25
	ds_read2_b32 v[24:25], v252 offset0:10 offset1:11
	s_waitcnt lgkmcnt(3)
	v_pk_fma_f32 v[150:151], v[0:1], v[2:3], v[4:5] op_sel_hi:[0,1,1] neg_lo:[1,0,0] neg_hi:[1,0,0]
	ds_read2_b32 v[2:3], v252 offset0:12 offset1:13
	s_waitcnt lgkmcnt(3)
	v_pk_fma_f32 v[118:119], v[0:1], v[26:27], v[6:7] op_sel_hi:[0,1,1] neg_lo:[1,0,0] neg_hi:[1,0,0]
	s_waitcnt lgkmcnt(2)
	v_pk_fma_f32 v[72:73], v[0:1], v[28:29], v[8:9] op_sel_hi:[0,1,1] neg_lo:[1,0,0] neg_hi:[1,0,0]
	;; [unrolled: 2-line block ×3, first 2 shown]
	ds_read2_b32 v[4:5], v252 offset0:14 offset1:15
	ds_read2_b32 v[6:7], v252 offset0:16 offset1:17
	;; [unrolled: 1-line block ×3, first 2 shown]
	s_waitcnt lgkmcnt(3)
	v_pk_fma_f32 v[88:89], v[0:1], v[2:3], v[12:13] op_sel_hi:[0,1,1] neg_lo:[1,0,0] neg_hi:[1,0,0]
	ds_read2_b32 v[2:3], v252 offset0:20 offset1:21
	ds_read2_b32 v[10:11], v252 offset0:22 offset1:23
	ds_read_b32 v1, v252 offset:96
	s_movk_i32 s2, 0xf94
	v_mov_b32_e32 v149, v0
	v_mov_b32_e32 v115, v0
	;; [unrolled: 1-line block ×3, first 2 shown]
	s_waitcnt lgkmcnt(0)
	v_pk_fma_f32 v[62:63], v[0:1], v[4:5], v[14:15] op_sel_hi:[0,1,1] neg_lo:[1,0,0] neg_hi:[1,0,0]
	v_pk_fma_f32 v[46:47], v[0:1], v[6:7], v[16:17] op_sel_hi:[0,1,1] neg_lo:[1,0,0] neg_hi:[1,0,0]
	;; [unrolled: 1-line block ×5, first 2 shown]
	scratch_load_dwordx4 v[2:5], off, s2    ; 16-byte Folded Reload
	scratch_load_dwordx4 v[6:9], off, s2 offset:16 ; 16-byte Folded Reload
	scratch_load_dwordx4 v[10:13], off, s2 offset:32 ; 16-byte Folded Reload
	;; [unrolled: 1-line block ×7, first 2 shown]
	s_waitcnt vmcnt(1)
	v_mov_b32_e32 v29, v0
	v_mov_b32_e32 v5, v0
	;; [unrolled: 1-line block ×78, first 2 shown]
	scratch_store_dwordx4 off, v[2:5], off offset:3220 ; 16-byte Folded Spill
	s_nop 0
	scratch_store_dwordx4 off, v[6:9], off offset:3236 ; 16-byte Folded Spill
	scratch_store_dwordx4 off, v[10:13], off offset:3252 ; 16-byte Folded Spill
	scratch_store_dwordx4 off, v[14:17], off offset:3268 ; 16-byte Folded Spill
	scratch_store_dwordx4 off, v[18:21], off offset:3284 ; 16-byte Folded Spill
	scratch_store_dwordx4 off, v[22:25], off offset:3300 ; 16-byte Folded Spill
	scratch_store_dwordx4 off, v[26:29], off offset:3316 ; 16-byte Folded Spill
	s_waitcnt vmcnt(7)
	scratch_store_dwordx4 off, v[30:33], off offset:3332 ; 16-byte Folded Spill
	v_mov_b32_e32 v8, v118
	v_mov_b32_e32 v9, v119
	;; [unrolled: 1-line block ×52, first 2 shown]
	scratch_store_dwordx4 off, v[2:5], off offset:2956 ; 16-byte Folded Spill
	s_nop 0
	scratch_store_dwordx4 off, v[6:9], off offset:2972 ; 16-byte Folded Spill
	scratch_store_dwordx4 off, v[10:13], off offset:2988 ; 16-byte Folded Spill
	scratch_store_dwordx4 off, v[14:17], off offset:3004 ; 16-byte Folded Spill
	scratch_store_dwordx4 off, v[18:21], off offset:3020 ; 16-byte Folded Spill
	scratch_store_dwordx4 off, v[22:25], off offset:3036 ; 16-byte Folded Spill
	scratch_store_dwordx4 off, v[26:29], off offset:3052 ; 16-byte Folded Spill
	scratch_store_dwordx4 off, v[30:33], off offset:3068 ; 16-byte Folded Spill
	v_mov_b32_e32 v10, v72
	v_mov_b32_e32 v11, v73
	v_mov_b32_e32 v64, v26
	v_mov_b32_e32 v65, v27
	v_mov_b32_e32 v66, v28
	scratch_store_dwordx4 off, v[2:5], off offset:2188 ; 16-byte Folded Spill
	s_nop 0
	scratch_store_dwordx4 off, v[6:9], off offset:2204 ; 16-byte Folded Spill
	scratch_store_dwordx4 off, v[10:13], off offset:2220 ; 16-byte Folded Spill
	scratch_store_dwordx4 off, v[14:17], off offset:2236 ; 16-byte Folded Spill
	scratch_store_dwordx4 off, v[18:21], off offset:2252 ; 16-byte Folded Spill
	scratch_store_dwordx4 off, v[22:25], off offset:2268 ; 16-byte Folded Spill
	scratch_store_dwordx4 off, v[26:29], off offset:2284 ; 16-byte Folded Spill
	scratch_store_dwordx4 off, v[30:33], off offset:2300 ; 16-byte Folded Spill
	v_mov_b32_e32 v12, v184
	v_mov_b32_e32 v13, v185
	v_mov_b32_e32 v174, v26
	v_mov_b32_e32 v175, v27
	v_mov_b32_e32 v176, v28
	;; [unrolled: 14-line block ×5, first 2 shown]
	v_mov_b32_e32 v32, v28
	scratch_store_dwordx4 off, v[2:5], off offset:132 ; 16-byte Folded Spill
	s_nop 0
	scratch_store_dwordx4 off, v[6:9], off offset:148 ; 16-byte Folded Spill
	scratch_store_dwordx4 off, v[10:13], off offset:164 ; 16-byte Folded Spill
	;; [unrolled: 1-line block ×7, first 2 shown]
	v_mov_b32_e32 v20, v170
	v_mov_b32_e32 v21, v171
	;; [unrolled: 1-line block ×5, first 2 shown]
	scratch_store_dwordx4 off, v[2:5], off offset:516 ; 16-byte Folded Spill
	s_nop 0
	scratch_store_dwordx4 off, v[6:9], off offset:532 ; 16-byte Folded Spill
	scratch_store_dwordx4 off, v[10:13], off offset:548 ; 16-byte Folded Spill
	scratch_store_dwordx4 off, v[14:17], off offset:564 ; 16-byte Folded Spill
	scratch_store_dwordx4 off, v[18:21], off offset:580 ; 16-byte Folded Spill
	scratch_store_dwordx4 off, v[22:25], off offset:596 ; 16-byte Folded Spill
	scratch_store_dwordx4 off, v[26:29], off offset:612 ; 16-byte Folded Spill
	scratch_store_dwordx4 off, v[30:33], off offset:628 ; 16-byte Folded Spill
	v_fma_f32 v24, -v0, v1, v255
	v_mov_b32_e32 v3, v0
	v_mov_b32_e32 v4, v150
	v_mov_b32_e32 v5, v151
	v_mov_b32_e32 v16, v46
	v_mov_b32_e32 v17, v47
	v_mov_b32_e32 v18, v170
	v_mov_b32_e32 v19, v171
	v_mov_b32_e32 v8, v72
	v_mov_b32_e32 v9, v73
	v_mov_b32_e32 v12, v88
	v_mov_b32_e32 v13, v89
	v_mov_b32_e32 v10, v184
	v_mov_b32_e32 v11, v185
	v_mov_b32_e32 v14, v62
	v_mov_b32_e32 v15, v63
	v_mov_b32_e32 v20, v226
	v_mov_b32_e32 v21, v227
	v_mov_b32_e32 v22, v144
	v_mov_b32_e32 v23, v145
	v_mov_b32_e32 v255, v24
	v_mov_b32_e32 v90, v26
	v_mov_b32_e32 v91, v27
	v_mov_b32_e32 v92, v28
	v_mov_b32_e32 v206, v26
	v_mov_b32_e32 v207, v27
	v_mov_b32_e32 v208, v28
	scratch_store_dwordx4 off, v[90:93], off offset:260 ; 16-byte Folded Spill
	s_nop 0
	scratch_store_dwordx4 off, v[94:97], off offset:276 ; 16-byte Folded Spill
	scratch_store_dwordx4 off, v[98:101], off offset:292 ; 16-byte Folded Spill
	;; [unrolled: 1-line block ×7, first 2 shown]
	v_mov_b32_e32 v122, v26
	v_mov_b32_e32 v123, v27
	;; [unrolled: 1-line block ×6, first 2 shown]
	scratch_store_dwordx4 off, v[26:29], off offset:3604 ; 16-byte Folded Spill
	s_nop 0
	scratch_store_dwordx4 off, v[30:33], off offset:3620 ; 16-byte Folded Spill
	scratch_store_dwordx4 off, v[34:37], off offset:3636 ; 16-byte Folded Spill
	;; [unrolled: 1-line block ×8, first 2 shown]
	s_nop 0
	scratch_store_dwordx4 off, v[150:153], off offset:3492 ; 16-byte Folded Spill
	scratch_store_dwordx4 off, v[154:157], off offset:3508 ; 16-byte Folded Spill
	;; [unrolled: 1-line block ×7, first 2 shown]
	v_mov_b32_e32 v128, v118
	v_mov_b32_e32 v129, v119
	;; [unrolled: 1-line block ×6, first 2 shown]
	scratch_store_dwordx4 off, v[112:115], off offset:3092 ; 16-byte Folded Spill
	s_nop 0
	scratch_store_dwordx4 off, v[116:119], off offset:3108 ; 16-byte Folded Spill
	scratch_store_dwordx4 off, v[120:123], off offset:3124 ; 16-byte Folded Spill
	scratch_store_dwordx4 off, v[124:127], off offset:3140 ; 16-byte Folded Spill
	scratch_store_dwordx4 off, v[128:131], off offset:3156 ; 16-byte Folded Spill
	scratch_store_dwordx4 off, v[132:135], off offset:3172 ; 16-byte Folded Spill
	scratch_store_dwordx4 off, v[136:139], off offset:3188 ; 16-byte Folded Spill
	scratch_store_dwordx4 off, v[140:143], off offset:3204 ; 16-byte Folded Spill
	v_mov_b32_e32 v118, v72
	scratch_store_dwordx4 off, v[64:67], off offset:2828 ; 16-byte Folded Spill
	s_nop 0
	scratch_store_dwordx4 off, v[68:71], off offset:2844 ; 16-byte Folded Spill
	scratch_store_dwordx4 off, v[72:75], off offset:2860 ; 16-byte Folded Spill
	scratch_store_dwordx4 off, v[76:79], off offset:2876 ; 16-byte Folded Spill
	scratch_store_dwordx4 off, v[80:83], off offset:2892 ; 16-byte Folded Spill
	scratch_store_dwordx4 off, v[84:87], off offset:2908 ; 16-byte Folded Spill
	scratch_store_dwordx4 off, v[88:91], off offset:2924 ; 16-byte Folded Spill
	scratch_store_dwordx4 off, v[92:95], off offset:2940 ; 16-byte Folded Spill
	v_mov_b32_e32 v116, v184
	scratch_store_dwordx4 off, v[174:177], off offset:2060 ; 16-byte Folded Spill
	s_nop 0
	scratch_store_dwordx4 off, v[178:181], off offset:2076 ; 16-byte Folded Spill
	scratch_store_dwordx4 off, v[182:185], off offset:2092 ; 16-byte Folded Spill
	scratch_store_dwordx4 off, v[186:189], off offset:2108 ; 16-byte Folded Spill
	scratch_store_dwordx4 off, v[190:193], off offset:2124 ; 16-byte Folded Spill
	scratch_store_dwordx4 off, v[194:197], off offset:2140 ; 16-byte Folded Spill
	scratch_store_dwordx4 off, v[198:201], off offset:2156 ; 16-byte Folded Spill
	scratch_store_dwordx4 off, v[202:205], off offset:2172 ; 16-byte Folded Spill
	v_mov_b32_e32 v176, v62
	v_mov_b32_e32 v174, v46
	v_mov_b32_e32 v26, v170
	;; [unrolled: 1-line block ×3, first 2 shown]
	scratch_store_dwordx4 off, v[76:79], off offset:1548 ; 16-byte Folded Spill
	s_nop 0
	scratch_store_dwordx4 off, v[80:83], off offset:1564 ; 16-byte Folded Spill
	scratch_store_dwordx4 off, v[84:87], off offset:1580 ; 16-byte Folded Spill
	;; [unrolled: 1-line block ×7, first 2 shown]
	v_mov_b32_e32 v115, v73
	scratch_store_dwordx4 off, v[48:51], off offset:1032 ; 16-byte Folded Spill
	s_nop 0
	scratch_store_dwordx4 off, v[52:55], off offset:1048 ; 16-byte Folded Spill
	scratch_store_dwordx4 off, v[56:59], off offset:1064 ; 16-byte Folded Spill
	scratch_store_dwordx4 off, v[60:63], off offset:1080 ; 16-byte Folded Spill
	scratch_store_dwordx4 off, v[64:67], off offset:1096 ; 16-byte Folded Spill
	scratch_store_dwordx4 off, v[68:71], off offset:1112 ; 16-byte Folded Spill
	scratch_store_dwordx4 off, v[72:75], off offset:1128 ; 16-byte Folded Spill
	scratch_store_dwordx4 off, v[76:79], off offset:1144 ; 16-byte Folded Spill
	scratch_store_dwordx4 off, v[30:33], off offset:772 ; 16-byte Folded Spill
	s_nop 0
	scratch_store_dwordx4 off, v[34:37], off offset:788 ; 16-byte Folded Spill
	scratch_store_dwordx4 off, v[38:41], off offset:804 ; 16-byte Folded Spill
	scratch_store_dwordx4 off, v[42:45], off offset:820 ; 16-byte Folded Spill
	scratch_store_dwordx4 off, v[46:49], off offset:836 ; 16-byte Folded Spill
	scratch_store_dwordx4 off, v[50:53], off offset:852 ; 16-byte Folded Spill
	scratch_store_dwordx4 off, v[54:57], off offset:868 ; 16-byte Folded Spill
	scratch_store_dwordx4 off, v[58:61], off offset:884 ; 16-byte Folded Spill
	;; [unrolled: 9-line block ×3, first 2 shown]
	v_mov_b32_e32 v29, v63
	v_mov_b32_e32 v178, v226
	scratch_store_dwordx4 off, v[206:209], off offset:388 ; 16-byte Folded Spill
	s_nop 0
	scratch_store_dwordx4 off, v[210:213], off offset:404 ; 16-byte Folded Spill
	scratch_store_dwordx4 off, v[214:217], off offset:420 ; 16-byte Folded Spill
	;; [unrolled: 1-line block ×7, first 2 shown]
	v_mov_b32_e32 v48, v144
	v_mov_b32_e32 v117, v47
	;; [unrolled: 1-line block ×3, first 2 shown]
	scratch_store_dwordx4 off, v[26:29], off offset:4 ; 16-byte Folded Spill
	s_nop 0
	scratch_store_dwordx4 off, v[30:33], off offset:20 ; 16-byte Folded Spill
	scratch_store_dwordx4 off, v[34:37], off offset:36 ; 16-byte Folded Spill
	;; [unrolled: 1-line block ×7, first 2 shown]
	v_mov_b32_e32 v173, v227
.LBB48_66:
	s_or_b64 exec, exec, s[0:1]
	v_lshl_add_u32 v25, v253, 2, v252
	s_waitcnt vmcnt(63) expcnt(7) lgkmcnt(15)
	s_barrier
	ds_write_b32 v25, v228
	s_waitcnt lgkmcnt(0)
	s_barrier
	ds_read_b32 v25, v252 offset:16
	s_cmp_lt_i32 s22, 6
	v_mov_b32_e32 v48, 4
	s_cbranch_scc1 .LBB48_426
; %bb.67:
	scratch_load_dword v47, off, off offset:1028 ; 4-byte Folded Reload
	v_mov_b32_e32 v48, 4
	s_mov_b32 s0, 5
	v_mov_b32_e32 v31, v89
	s_waitcnt vmcnt(0)
	v_add3_u32 v47, v47, 0, 20
.LBB48_68:                              ; =>This Inner Loop Header: Depth=1
	ds_read_b32 v49, v47
	v_add_u32_e32 v47, 4, v47
	s_waitcnt lgkmcnt(0)
	v_cmp_lt_f32_e64 vcc, |v25|, |v49|
	s_nop 1
	v_cndmask_b32_e32 v25, v25, v49, vcc
	v_mov_b32_e32 v49, s0
	s_add_i32 s0, s0, 1
	v_cndmask_b32_e32 v48, v48, v49, vcc
	s_cmp_lg_u32 s22, s0
	s_cbranch_scc1 .LBB48_68
; %bb.69:
	v_cmp_eq_f32_e32 vcc, 0, v25
	s_and_saveexec_b64 s[0:1], vcc
	s_xor_b64 s[0:1], exec, s[0:1]
.LBB48_70:
	v_cmp_ne_u32_e32 vcc, 0, v74
	s_nop 1
	v_cndmask_b32_e32 v74, 5, v74, vcc
.LBB48_71:
	s_andn2_saveexec_b64 s[0:1], s[0:1]
	s_cbranch_execz .LBB48_73
; %bb.72:
	v_div_scale_f32 v47, s[2:3], v25, v25, 1.0
	v_rcp_f32_e32 v49, v47
	v_div_scale_f32 v50, vcc, 1.0, v25, 1.0
	v_fma_f32 v51, -v47, v49, 1.0
	v_fmac_f32_e32 v49, v51, v49
	v_mul_f32_e32 v51, v50, v49
	v_fma_f32 v52, -v47, v51, v50
	v_fmac_f32_e32 v51, v52, v49
	v_fma_f32 v47, -v47, v51, v50
	v_div_fmas_f32 v47, v47, v49, v51
	v_div_fixup_f32 v25, v47, v25, 1.0
.LBB48_73:
	s_or_b64 exec, exec, s[0:1]
	v_cmp_ne_u32_e32 vcc, v253, v48
	s_and_saveexec_b64 s[0:1], vcc
	s_xor_b64 s[0:1], exec, s[0:1]
	s_cbranch_execz .LBB48_79
; %bb.74:
	v_cmp_eq_u32_e32 vcc, 4, v253
	s_and_saveexec_b64 s[2:3], vcc
	s_cbranch_execz .LBB48_78
; %bb.75:
	v_cmp_ne_u32_e32 vcc, 4, v48
	s_xor_b64 s[18:19], s[16:17], -1
	s_and_b64 s[20:21], s[18:19], vcc
	s_and_saveexec_b64 s[18:19], s[20:21]
	s_cbranch_execz .LBB48_77
; %bb.76:
	scratch_load_dwordx2 v[52:53], off, off offset:3084 ; 8-byte Folded Reload
	v_ashrrev_i32_e32 v49, 31, v48
	s_waitcnt vmcnt(0)
	v_lshl_add_u64 v[50:51], v[48:49], 2, v[52:53]
	global_load_dword v47, v[50:51], off
	global_load_dword v49, v[52:53], off offset:16
	s_waitcnt vmcnt(1)
	global_store_dword v[52:53], v47, off offset:16
	s_waitcnt vmcnt(1)
	global_store_dword v[50:51], v49, off
.LBB48_77:
	s_or_b64 exec, exec, s[18:19]
	v_mov_b32_e32 v47, v48
	v_mov_b32_e32 v253, v48
	scratch_store_dword off, v47, off offset:1160 ; 4-byte Folded Spill
.LBB48_78:
	s_or_b64 exec, exec, s[2:3]
.LBB48_79:
	s_andn2_saveexec_b64 s[0:1], s[0:1]
	s_cbranch_execz .LBB48_81
; %bb.80:
	v_mov_b32_e32 v253, 4
	ds_write2_b32 v252, v5, v6 offset0:5 offset1:6
	ds_write2_b32 v252, v7, v8 offset0:7 offset1:8
	ds_write2_b32 v252, v9, v10 offset0:9 offset1:10
	ds_write2_b32 v252, v11, v12 offset0:11 offset1:12
	ds_write2_b32 v252, v13, v14 offset0:13 offset1:14
	ds_write2_b32 v252, v15, v16 offset0:15 offset1:16
	ds_write2_b32 v252, v17, v18 offset0:17 offset1:18
	ds_write2_b32 v252, v19, v20 offset0:19 offset1:20
	ds_write2_b32 v252, v21, v22 offset0:21 offset1:22
	ds_write2_b32 v252, v23, v24 offset0:23 offset1:24
.LBB48_81:
	s_or_b64 exec, exec, s[0:1]
	v_cmp_lt_i32_e32 vcc, 4, v253
	s_waitcnt lgkmcnt(0)
	s_barrier
	s_and_saveexec_b64 s[0:1], vcc
	s_cbranch_execz .LBB48_83
; %bb.82:
	scratch_load_dwordx4 v[30:33], off, off offset:3604 ; 16-byte Folded Reload
	scratch_load_dwordx4 v[34:37], off, off offset:3620 ; 16-byte Folded Reload
	scratch_load_dwordx4 v[38:41], off, off offset:3636 ; 16-byte Folded Reload
	scratch_load_dwordx4 v[42:45], off, off offset:3652 ; 16-byte Folded Reload
	scratch_load_dwordx4 v[46:49], off, off offset:3668 ; 16-byte Folded Reload
	scratch_load_dwordx4 v[50:53], off, off offset:3684 ; 16-byte Folded Reload
	scratch_load_dwordx4 v[54:57], off, off offset:3700 ; 16-byte Folded Reload
	scratch_load_dwordx4 v[58:61], off, off offset:3716 ; 16-byte Folded Reload
	ds_read2_b32 v[0:1], v252 offset0:5 offset1:6
	v_mov_b32_e32 v2, v5
	ds_read2_b32 v[4:5], v252 offset0:7 offset1:8
	ds_read2_b32 v[26:27], v252 offset0:9 offset1:10
	;; [unrolled: 1-line block ×3, first 2 shown]
	s_waitcnt vmcnt(6)
	v_mul_f32_e32 v34, v228, v25
	v_mov_b32_e32 v3, v6
	v_mov_b32_e32 v126, v34
	;; [unrolled: 1-line block ×3, first 2 shown]
	s_waitcnt vmcnt(3) lgkmcnt(3)
	v_pk_fma_f32 v[48:49], v[34:35], v[0:1], v[2:3] op_sel_hi:[0,1,1] neg_lo:[1,0,0] neg_hi:[1,0,0]
	v_mov_b32_e32 v0, v7
	v_mov_b32_e32 v1, v8
	s_waitcnt vmcnt(2) lgkmcnt(2)
	v_pk_fma_f32 v[50:51], v[34:35], v[4:5], v[0:1] op_sel_hi:[0,1,1] neg_lo:[1,0,0] neg_hi:[1,0,0]
	v_mov_b32_e32 v0, v9
	v_mov_b32_e32 v1, v10
	s_waitcnt lgkmcnt(1)
	v_pk_fma_f32 v[52:53], v[34:35], v[26:27], v[0:1] op_sel_hi:[0,1,1] neg_lo:[1,0,0] neg_hi:[1,0,0]
	v_mov_b32_e32 v0, v11
	v_mov_b32_e32 v1, v12
	s_waitcnt vmcnt(1) lgkmcnt(0)
	v_pk_fma_f32 v[54:55], v[34:35], v[28:29], v[0:1] op_sel_hi:[0,1,1] neg_lo:[1,0,0] neg_hi:[1,0,0]
	ds_read2_b32 v[0:1], v252 offset0:13 offset1:14
	ds_read2_b32 v[4:5], v252 offset0:15 offset1:16
	;; [unrolled: 1-line block ×4, first 2 shown]
	v_mov_b32_e32 v2, v13
	v_mov_b32_e32 v3, v14
	v_mov_b32_e32 v125, v33
	s_waitcnt lgkmcnt(3)
	v_pk_fma_f32 v[56:57], v[34:35], v[0:1], v[2:3] op_sel_hi:[0,1,1] neg_lo:[1,0,0] neg_hi:[1,0,0]
	v_mov_b32_e32 v0, v15
	v_mov_b32_e32 v1, v16
	ds_read2_b32 v[2:3], v252 offset0:21 offset1:22
	s_waitcnt lgkmcnt(3)
	v_pk_fma_f32 v[82:83], v[34:35], v[4:5], v[0:1] op_sel_hi:[0,1,1] neg_lo:[1,0,0] neg_hi:[1,0,0]
	ds_read2_b32 v[4:5], v252 offset0:23 offset1:24
	v_mov_b32_e32 v0, v17
	v_mov_b32_e32 v1, v18
	s_waitcnt lgkmcnt(3)
	v_pk_fma_f32 v[84:85], v[34:35], v[6:7], v[0:1] op_sel_hi:[0,1,1] neg_lo:[1,0,0] neg_hi:[1,0,0]
	v_mov_b32_e32 v0, v19
	v_mov_b32_e32 v1, v20
	s_waitcnt lgkmcnt(2)
	v_pk_fma_f32 v[86:87], v[34:35], v[8:9], v[0:1] op_sel_hi:[0,1,1] neg_lo:[1,0,0] neg_hi:[1,0,0]
	;; [unrolled: 4-line block ×4, first 2 shown]
	v_mov_b32_e32 v0, v30
	v_mov_b32_e32 v1, v31
	v_mov_b32_e32 v2, v32
	v_mov_b32_e32 v3, v33
	v_mov_b32_e32 v4, v34
	v_mov_b32_e32 v5, v48
	v_mov_b32_e32 v6, v49
	scratch_store_dwordx4 off, v[0:3], off offset:3092 ; 16-byte Folded Spill
	s_nop 0
	scratch_store_dwordx4 off, v[4:7], off offset:3108 ; 16-byte Folded Spill
	scratch_store_dwordx4 off, v[8:11], off offset:3124 ; 16-byte Folded Spill
	;; [unrolled: 1-line block ×7, first 2 shown]
	v_mov_b32_e32 v7, v50
	v_mov_b32_e32 v35, v48
	;; [unrolled: 1-line block ×24, first 2 shown]
	scratch_store_dwordx4 off, v[0:3], off offset:2956 ; 16-byte Folded Spill
	s_nop 0
	scratch_store_dwordx4 off, v[4:7], off offset:2972 ; 16-byte Folded Spill
	scratch_store_dwordx4 off, v[8:11], off offset:2988 ; 16-byte Folded Spill
	scratch_store_dwordx4 off, v[12:15], off offset:3004 ; 16-byte Folded Spill
	scratch_store_dwordx4 off, v[16:19], off offset:3020 ; 16-byte Folded Spill
	scratch_store_dwordx4 off, v[20:23], off offset:3036 ; 16-byte Folded Spill
	scratch_store_dwordx4 off, v[24:27], off offset:3052 ; 16-byte Folded Spill
	scratch_store_dwordx4 off, v[28:31], off offset:3068 ; 16-byte Folded Spill
	v_mov_b32_e32 v8, v51
	scratch_store_dwordx4 off, v[0:3], off offset:2828 ; 16-byte Folded Spill
	s_nop 0
	scratch_store_dwordx4 off, v[4:7], off offset:2844 ; 16-byte Folded Spill
	scratch_store_dwordx4 off, v[8:11], off offset:2860 ; 16-byte Folded Spill
	scratch_store_dwordx4 off, v[12:15], off offset:2876 ; 16-byte Folded Spill
	scratch_store_dwordx4 off, v[16:19], off offset:2892 ; 16-byte Folded Spill
	scratch_store_dwordx4 off, v[20:23], off offset:2908 ; 16-byte Folded Spill
	scratch_store_dwordx4 off, v[24:27], off offset:2924 ; 16-byte Folded Spill
	scratch_store_dwordx4 off, v[28:31], off offset:2940 ; 16-byte Folded Spill
	v_mov_b32_e32 v9, v52
	;; [unrolled: 10-line block ×15, first 2 shown]
	v_mov_b32_e32 v23, v254
	v_mov_b32_e32 v24, v255
	;; [unrolled: 1-line block ×7, first 2 shown]
	scratch_store_dwordx4 off, v[30:33], off offset:3220 ; 16-byte Folded Spill
	s_nop 0
	scratch_store_dwordx4 off, v[34:37], off offset:3236 ; 16-byte Folded Spill
	scratch_store_dwordx4 off, v[38:41], off offset:3252 ; 16-byte Folded Spill
	;; [unrolled: 1-line block ×6, first 2 shown]
	s_waitcnt vmcnt(62)
	scratch_store_dwordx4 off, v[58:61], off offset:3332 ; 16-byte Folded Spill
	scratch_store_dwordx4 off, v[30:33], off offset:3476 ; 16-byte Folded Spill
	s_nop 0
	scratch_store_dwordx4 off, v[34:37], off offset:3492 ; 16-byte Folded Spill
	scratch_store_dwordx4 off, v[38:41], off offset:3508 ; 16-byte Folded Spill
	;; [unrolled: 1-line block ×7, first 2 shown]
	v_mov_b32_e32 v121, v48
	v_mov_b32_e32 v120, v49
	;; [unrolled: 1-line block ×11, first 2 shown]
	scratch_store_dwordx4 off, v[26:29], off offset:4 ; 16-byte Folded Spill
	s_nop 0
	scratch_store_dwordx4 off, v[30:33], off offset:20 ; 16-byte Folded Spill
	scratch_store_dwordx4 off, v[34:37], off offset:36 ; 16-byte Folded Spill
	;; [unrolled: 1-line block ×7, first 2 shown]
.LBB48_83:
	s_or_b64 exec, exec, s[0:1]
	v_lshl_add_u32 v25, v253, 2, v252
	s_waitcnt vmcnt(63) expcnt(7) lgkmcnt(15)
	s_barrier
	ds_write_b32 v25, v121
	s_waitcnt lgkmcnt(0)
	s_barrier
	ds_read_b32 v25, v252 offset:20
	s_cmp_lt_i32 s22, 7
	v_mov_b32_e32 v48, 5
	s_cbranch_scc1 .LBB48_86
; %bb.84:
	scratch_load_dword v47, off, off offset:1028 ; 4-byte Folded Reload
	v_mov_b32_e32 v48, 5
	s_mov_b32 s0, 6
	s_waitcnt vmcnt(0)
	v_add3_u32 v47, v47, 0, 24
.LBB48_85:                              ; =>This Inner Loop Header: Depth=1
	ds_read_b32 v49, v47
	v_add_u32_e32 v47, 4, v47
	s_waitcnt lgkmcnt(0)
	v_cmp_lt_f32_e64 vcc, |v25|, |v49|
	s_nop 1
	v_cndmask_b32_e32 v25, v25, v49, vcc
	v_mov_b32_e32 v49, s0
	s_add_i32 s0, s0, 1
	v_cndmask_b32_e32 v48, v48, v49, vcc
	s_cmp_lg_u32 s22, s0
	s_cbranch_scc1 .LBB48_85
.LBB48_86:
	s_waitcnt lgkmcnt(0)
	v_cmp_eq_f32_e32 vcc, 0, v25
	s_and_saveexec_b64 s[0:1], vcc
	s_xor_b64 s[0:1], exec, s[0:1]
; %bb.87:
	v_cmp_ne_u32_e32 vcc, 0, v74
	s_nop 1
	v_cndmask_b32_e32 v74, 6, v74, vcc
; %bb.88:
	s_andn2_saveexec_b64 s[0:1], s[0:1]
	s_cbranch_execz .LBB48_90
; %bb.89:
	v_div_scale_f32 v47, s[2:3], v25, v25, 1.0
	v_rcp_f32_e32 v49, v47
	v_div_scale_f32 v50, vcc, 1.0, v25, 1.0
	v_fma_f32 v51, -v47, v49, 1.0
	v_fmac_f32_e32 v49, v51, v49
	v_mul_f32_e32 v51, v50, v49
	v_fma_f32 v52, -v47, v51, v50
	v_fmac_f32_e32 v51, v52, v49
	v_fma_f32 v47, -v47, v51, v50
	v_div_fmas_f32 v47, v47, v49, v51
	v_div_fixup_f32 v25, v47, v25, 1.0
.LBB48_90:
	s_or_b64 exec, exec, s[0:1]
	v_cmp_ne_u32_e32 vcc, v253, v48
	s_and_saveexec_b64 s[0:1], vcc
	s_xor_b64 s[0:1], exec, s[0:1]
	s_cbranch_execz .LBB48_96
; %bb.91:
	v_cmp_eq_u32_e32 vcc, 5, v253
	s_and_saveexec_b64 s[2:3], vcc
	s_cbranch_execz .LBB48_95
; %bb.92:
	v_cmp_ne_u32_e32 vcc, 5, v48
	s_xor_b64 s[18:19], s[16:17], -1
	s_and_b64 s[20:21], s[18:19], vcc
	s_and_saveexec_b64 s[18:19], s[20:21]
	s_cbranch_execz .LBB48_94
; %bb.93:
	scratch_load_dwordx2 v[52:53], off, off offset:3084 ; 8-byte Folded Reload
	v_ashrrev_i32_e32 v49, 31, v48
	s_waitcnt vmcnt(0)
	v_lshl_add_u64 v[50:51], v[48:49], 2, v[52:53]
	global_load_dword v47, v[50:51], off
	global_load_dword v49, v[52:53], off offset:20
	s_waitcnt vmcnt(1)
	global_store_dword v[52:53], v47, off offset:20
	s_waitcnt vmcnt(1)
	global_store_dword v[50:51], v49, off
.LBB48_94:
	s_or_b64 exec, exec, s[18:19]
	v_mov_b32_e32 v47, v48
	v_mov_b32_e32 v253, v48
	scratch_store_dword off, v47, off offset:1160 ; 4-byte Folded Spill
.LBB48_95:
	s_or_b64 exec, exec, s[2:3]
.LBB48_96:
	s_or_saveexec_b64 s[0:1], s[0:1]
	v_mov_b32_e32 v89, v31
	s_xor_b64 exec, exec, s[0:1]
	s_cbranch_execz .LBB48_98
; %bb.97:
	v_mov_b32_e32 v253, 5
	ds_write2_b32 v252, v6, v7 offset0:6 offset1:7
	ds_write2_b32 v252, v8, v9 offset0:8 offset1:9
	;; [unrolled: 1-line block ×9, first 2 shown]
	ds_write_b32 v252, v255 offset:96
.LBB48_98:
	s_or_b64 exec, exec, s[0:1]
	v_cmp_lt_i32_e32 vcc, 5, v253
	s_waitcnt lgkmcnt(0)
	s_barrier
	s_and_saveexec_b64 s[0:1], vcc
	s_cbranch_execz .LBB48_100
; %bb.99:
	ds_read2_b32 v[2:3], v252 offset0:6 offset1:7
	ds_read2_b32 v[4:5], v252 offset0:8 offset1:9
	;; [unrolled: 1-line block ×3, first 2 shown]
	v_mul_f32_e32 v0, v121, v25
	ds_read2_b32 v[24:25], v252 offset0:12 offset1:13
	s_waitcnt lgkmcnt(3)
	v_pk_fma_f32 v[118:119], v[0:1], v[2:3], v[6:7] op_sel_hi:[0,1,1] neg_lo:[1,0,0] neg_hi:[1,0,0]
	ds_read2_b32 v[2:3], v252 offset0:14 offset1:15
	s_waitcnt lgkmcnt(3)
	v_pk_fma_f32 v[72:73], v[0:1], v[4:5], v[8:9] op_sel_hi:[0,1,1] neg_lo:[1,0,0] neg_hi:[1,0,0]
	s_waitcnt lgkmcnt(2)
	v_pk_fma_f32 v[184:185], v[0:1], v[26:27], v[10:11] op_sel_hi:[0,1,1] neg_lo:[1,0,0] neg_hi:[1,0,0]
	;; [unrolled: 2-line block ×3, first 2 shown]
	ds_read2_b32 v[4:5], v252 offset0:16 offset1:17
	ds_read2_b32 v[6:7], v252 offset0:18 offset1:19
	ds_read2_b32 v[8:9], v252 offset0:20 offset1:21
	s_waitcnt lgkmcnt(3)
	v_pk_fma_f32 v[62:63], v[0:1], v[2:3], v[14:15] op_sel_hi:[0,1,1] neg_lo:[1,0,0] neg_hi:[1,0,0]
	ds_read2_b32 v[2:3], v252 offset0:22 offset1:23
	ds_read_b32 v1, v252 offset:96
	v_mov_b32_e32 v117, v0
	v_mov_b32_e32 v95, v0
	;; [unrolled: 1-line block ×4, first 2 shown]
	s_waitcnt lgkmcnt(0)
	v_pk_fma_f32 v[46:47], v[0:1], v[4:5], v[16:17] op_sel_hi:[0,1,1] neg_lo:[1,0,0] neg_hi:[1,0,0]
	v_pk_fma_f32 v[170:171], v[0:1], v[6:7], v[18:19] op_sel_hi:[0,1,1] neg_lo:[1,0,0] neg_hi:[1,0,0]
	;; [unrolled: 1-line block ×4, first 2 shown]
	scratch_load_dwordx4 v[2:5], off, off offset:3476 ; 16-byte Folded Reload
	scratch_load_dwordx4 v[6:9], off, off offset:3492 ; 16-byte Folded Reload
	;; [unrolled: 1-line block ×8, first 2 shown]
	s_waitcnt vmcnt(6)
	v_mov_b32_e32 v7, v0
	v_mov_b32_e32 v8, v118
	;; [unrolled: 1-line block ×78, first 2 shown]
	scratch_store_dwordx4 off, v[2:5], off offset:2956 ; 16-byte Folded Spill
	s_nop 0
	scratch_store_dwordx4 off, v[6:9], off offset:2972 ; 16-byte Folded Spill
	s_waitcnt vmcnt(7)
	scratch_store_dwordx4 off, v[10:13], off offset:2988 ; 16-byte Folded Spill
	s_waitcnt vmcnt(7)
	;; [unrolled: 2-line block ×6, first 2 shown]
	scratch_store_dwordx4 off, v[30:33], off offset:3068 ; 16-byte Folded Spill
	v_mov_b32_e32 v10, v72
	v_mov_b32_e32 v11, v73
	;; [unrolled: 1-line block ×66, first 2 shown]
	scratch_store_dwordx4 off, v[2:5], off offset:2188 ; 16-byte Folded Spill
	s_nop 0
	scratch_store_dwordx4 off, v[6:9], off offset:2204 ; 16-byte Folded Spill
	scratch_store_dwordx4 off, v[10:13], off offset:2220 ; 16-byte Folded Spill
	;; [unrolled: 1-line block ×7, first 2 shown]
	v_mov_b32_e32 v12, v184
	v_mov_b32_e32 v13, v185
	;; [unrolled: 1-line block ×8, first 2 shown]
	scratch_store_dwordx4 off, v[2:5], off offset:1676 ; 16-byte Folded Spill
	s_nop 0
	scratch_store_dwordx4 off, v[6:9], off offset:1692 ; 16-byte Folded Spill
	scratch_store_dwordx4 off, v[10:13], off offset:1708 ; 16-byte Folded Spill
	;; [unrolled: 1-line block ×7, first 2 shown]
	v_mov_b32_e32 v14, v88
	v_mov_b32_e32 v15, v89
	scratch_store_dwordx4 off, v[2:5], off offset:1164 ; 16-byte Folded Spill
	s_nop 0
	scratch_store_dwordx4 off, v[6:9], off offset:1180 ; 16-byte Folded Spill
	scratch_store_dwordx4 off, v[10:13], off offset:1196 ; 16-byte Folded Spill
	;; [unrolled: 1-line block ×7, first 2 shown]
	v_mov_b32_e32 v16, v62
	v_mov_b32_e32 v17, v63
	scratch_store_dwordx4 off, v[2:5], off offset:900 ; 16-byte Folded Spill
	s_nop 0
	scratch_store_dwordx4 off, v[6:9], off offset:916 ; 16-byte Folded Spill
	scratch_store_dwordx4 off, v[10:13], off offset:932 ; 16-byte Folded Spill
	;; [unrolled: 1-line block ×7, first 2 shown]
	s_nop 1
	v_mov_b32_e32 v30, v146
	v_mov_b32_e32 v31, v147
	;; [unrolled: 1-line block ×6, first 2 shown]
	scratch_store_dwordx4 off, v[2:5], off offset:132 ; 16-byte Folded Spill
	s_nop 0
	scratch_store_dwordx4 off, v[6:9], off offset:148 ; 16-byte Folded Spill
	scratch_store_dwordx4 off, v[10:13], off offset:164 ; 16-byte Folded Spill
	;; [unrolled: 1-line block ×7, first 2 shown]
	v_mov_b32_e32 v20, v170
	v_mov_b32_e32 v21, v171
	scratch_store_dwordx4 off, v[2:5], off offset:516 ; 16-byte Folded Spill
	s_nop 0
	scratch_store_dwordx4 off, v[6:9], off offset:532 ; 16-byte Folded Spill
	scratch_store_dwordx4 off, v[10:13], off offset:548 ; 16-byte Folded Spill
	;; [unrolled: 1-line block ×8, first 2 shown]
	s_nop 0
	scratch_store_dwordx4 off, v[94:97], off offset:276 ; 16-byte Folded Spill
	scratch_store_dwordx4 off, v[98:101], off offset:292 ; 16-byte Folded Spill
	;; [unrolled: 1-line block ×7, first 2 shown]
	v_fma_f32 v24, -v0, v1, v255
	v_mov_b32_e32 v5, v0
	v_mov_b32_e32 v0, v146
	;; [unrolled: 1-line block ×8, first 2 shown]
	scratch_store_dwordx4 off, v[146:149], off offset:3220 ; 16-byte Folded Spill
	s_nop 0
	scratch_store_dwordx4 off, v[150:153], off offset:3236 ; 16-byte Folded Spill
	scratch_store_dwordx4 off, v[154:157], off offset:3252 ; 16-byte Folded Spill
	;; [unrolled: 1-line block ×7, first 2 shown]
	v_mov_b32_e32 v8, v72
	v_mov_b32_e32 v9, v73
	;; [unrolled: 1-line block ×20, first 2 shown]
	scratch_store_dwordx4 off, v[112:115], off offset:3092 ; 16-byte Folded Spill
	s_nop 0
	scratch_store_dwordx4 off, v[116:119], off offset:3108 ; 16-byte Folded Spill
	scratch_store_dwordx4 off, v[120:123], off offset:3124 ; 16-byte Folded Spill
	scratch_store_dwordx4 off, v[124:127], off offset:3140 ; 16-byte Folded Spill
	scratch_store_dwordx4 off, v[128:131], off offset:3156 ; 16-byte Folded Spill
	scratch_store_dwordx4 off, v[132:135], off offset:3172 ; 16-byte Folded Spill
	scratch_store_dwordx4 off, v[136:139], off offset:3188 ; 16-byte Folded Spill
	scratch_store_dwordx4 off, v[140:143], off offset:3204 ; 16-byte Folded Spill
	v_mov_b32_e32 v118, v72
	scratch_store_dwordx4 off, v[64:67], off offset:2828 ; 16-byte Folded Spill
	s_nop 0
	scratch_store_dwordx4 off, v[68:71], off offset:2844 ; 16-byte Folded Spill
	scratch_store_dwordx4 off, v[72:75], off offset:2860 ; 16-byte Folded Spill
	scratch_store_dwordx4 off, v[76:79], off offset:2876 ; 16-byte Folded Spill
	scratch_store_dwordx4 off, v[80:83], off offset:2892 ; 16-byte Folded Spill
	scratch_store_dwordx4 off, v[84:87], off offset:2908 ; 16-byte Folded Spill
	scratch_store_dwordx4 off, v[88:91], off offset:2924 ; 16-byte Folded Spill
	scratch_store_dwordx4 off, v[92:95], off offset:2940 ; 16-byte Folded Spill
	v_mov_b32_e32 v116, v184
	;; [unrolled: 10-line block ×3, first 2 shown]
	v_mov_b32_e32 v174, v46
	v_mov_b32_e32 v26, v170
	;; [unrolled: 1-line block ×3, first 2 shown]
	scratch_store_dwordx4 off, v[76:79], off offset:1548 ; 16-byte Folded Spill
	s_nop 0
	scratch_store_dwordx4 off, v[80:83], off offset:1564 ; 16-byte Folded Spill
	scratch_store_dwordx4 off, v[84:87], off offset:1580 ; 16-byte Folded Spill
	;; [unrolled: 1-line block ×7, first 2 shown]
	v_mov_b32_e32 v115, v73
	scratch_store_dwordx4 off, v[48:51], off offset:1032 ; 16-byte Folded Spill
	s_nop 0
	scratch_store_dwordx4 off, v[52:55], off offset:1048 ; 16-byte Folded Spill
	scratch_store_dwordx4 off, v[56:59], off offset:1064 ; 16-byte Folded Spill
	scratch_store_dwordx4 off, v[60:63], off offset:1080 ; 16-byte Folded Spill
	scratch_store_dwordx4 off, v[64:67], off offset:1096 ; 16-byte Folded Spill
	scratch_store_dwordx4 off, v[68:71], off offset:1112 ; 16-byte Folded Spill
	scratch_store_dwordx4 off, v[72:75], off offset:1128 ; 16-byte Folded Spill
	scratch_store_dwordx4 off, v[76:79], off offset:1144 ; 16-byte Folded Spill
	scratch_store_dwordx4 off, v[30:33], off offset:772 ; 16-byte Folded Spill
	s_nop 0
	scratch_store_dwordx4 off, v[34:37], off offset:788 ; 16-byte Folded Spill
	scratch_store_dwordx4 off, v[38:41], off offset:804 ; 16-byte Folded Spill
	scratch_store_dwordx4 off, v[42:45], off offset:820 ; 16-byte Folded Spill
	scratch_store_dwordx4 off, v[46:49], off offset:836 ; 16-byte Folded Spill
	scratch_store_dwordx4 off, v[50:53], off offset:852 ; 16-byte Folded Spill
	scratch_store_dwordx4 off, v[54:57], off offset:868 ; 16-byte Folded Spill
	scratch_store_dwordx4 off, v[58:61], off offset:884 ; 16-byte Folded Spill
	;; [unrolled: 9-line block ×3, first 2 shown]
	v_mov_b32_e32 v29, v63
	v_mov_b32_e32 v178, v226
	scratch_store_dwordx4 off, v[206:209], off offset:388 ; 16-byte Folded Spill
	s_nop 0
	scratch_store_dwordx4 off, v[210:213], off offset:404 ; 16-byte Folded Spill
	scratch_store_dwordx4 off, v[214:217], off offset:420 ; 16-byte Folded Spill
	scratch_store_dwordx4 off, v[218:221], off offset:436 ; 16-byte Folded Spill
	scratch_store_dwordx4 off, v[222:225], off offset:452 ; 16-byte Folded Spill
	scratch_store_dwordx4 off, v[226:229], off offset:468 ; 16-byte Folded Spill
	scratch_store_dwordx4 off, v[230:233], off offset:484 ; 16-byte Folded Spill
	scratch_store_dwordx4 off, v[234:237], off offset:500 ; 16-byte Folded Spill
	v_mov_b32_e32 v48, v144
	v_mov_b32_e32 v117, v47
	;; [unrolled: 1-line block ×3, first 2 shown]
	scratch_store_dwordx4 off, v[26:29], off offset:4 ; 16-byte Folded Spill
	s_nop 0
	scratch_store_dwordx4 off, v[30:33], off offset:20 ; 16-byte Folded Spill
	scratch_store_dwordx4 off, v[34:37], off offset:36 ; 16-byte Folded Spill
	;; [unrolled: 1-line block ×7, first 2 shown]
	v_mov_b32_e32 v173, v227
.LBB48_100:
	s_or_b64 exec, exec, s[0:1]
	v_lshl_add_u32 v25, v253, 2, v252
	s_waitcnt vmcnt(63) expcnt(7) lgkmcnt(15)
	s_barrier
	ds_write_b32 v25, v120
	s_waitcnt lgkmcnt(0)
	s_barrier
	ds_read_b32 v25, v252 offset:24
	s_cmp_lt_i32 s22, 8
	v_mov_b32_e32 v48, 6
	s_cbranch_scc1 .LBB48_427
; %bb.101:
	scratch_load_dword v47, off, off offset:1028 ; 4-byte Folded Reload
	v_mov_b32_e32 v48, 6
	s_mov_b32 s0, 7
	v_mov_b32_e32 v31, v89
	v_mov_b32_e32 v30, v116
	;; [unrolled: 1-line block ×6, first 2 shown]
	s_waitcnt vmcnt(0)
	v_add3_u32 v47, v47, 0, 28
.LBB48_102:                             ; =>This Inner Loop Header: Depth=1
	ds_read_b32 v49, v47
	v_add_u32_e32 v47, 4, v47
	s_waitcnt lgkmcnt(0)
	v_cmp_lt_f32_e64 vcc, |v25|, |v49|
	s_nop 1
	v_cndmask_b32_e32 v25, v25, v49, vcc
	v_mov_b32_e32 v49, s0
	s_add_i32 s0, s0, 1
	v_cndmask_b32_e32 v48, v48, v49, vcc
	s_cmp_lg_u32 s22, s0
	s_cbranch_scc1 .LBB48_102
; %bb.103:
	v_cmp_eq_f32_e32 vcc, 0, v25
	s_and_saveexec_b64 s[0:1], vcc
	s_xor_b64 s[0:1], exec, s[0:1]
.LBB48_104:
	v_cmp_ne_u32_e32 vcc, 0, v74
	s_nop 1
	v_cndmask_b32_e32 v74, 7, v74, vcc
.LBB48_105:
	s_andn2_saveexec_b64 s[0:1], s[0:1]
	s_cbranch_execz .LBB48_107
; %bb.106:
	v_div_scale_f32 v47, s[2:3], v25, v25, 1.0
	v_rcp_f32_e32 v49, v47
	v_div_scale_f32 v50, vcc, 1.0, v25, 1.0
	v_fma_f32 v51, -v47, v49, 1.0
	v_fmac_f32_e32 v49, v51, v49
	v_mul_f32_e32 v51, v50, v49
	v_fma_f32 v52, -v47, v51, v50
	v_fmac_f32_e32 v51, v52, v49
	v_fma_f32 v47, -v47, v51, v50
	v_div_fmas_f32 v47, v47, v49, v51
	v_div_fixup_f32 v25, v47, v25, 1.0
.LBB48_107:
	s_or_b64 exec, exec, s[0:1]
	v_cmp_ne_u32_e32 vcc, v253, v48
	s_and_saveexec_b64 s[0:1], vcc
	s_xor_b64 s[0:1], exec, s[0:1]
	s_cbranch_execz .LBB48_113
; %bb.108:
	v_cmp_eq_u32_e32 vcc, 6, v253
	s_and_saveexec_b64 s[2:3], vcc
	s_cbranch_execz .LBB48_112
; %bb.109:
	v_cmp_ne_u32_e32 vcc, 6, v48
	s_xor_b64 s[18:19], s[16:17], -1
	s_and_b64 s[20:21], s[18:19], vcc
	s_and_saveexec_b64 s[18:19], s[20:21]
	s_cbranch_execz .LBB48_111
; %bb.110:
	scratch_load_dwordx2 v[52:53], off, off offset:3084 ; 8-byte Folded Reload
	v_ashrrev_i32_e32 v49, 31, v48
	s_waitcnt vmcnt(0)
	v_lshl_add_u64 v[50:51], v[48:49], 2, v[52:53]
	global_load_dword v47, v[50:51], off
	global_load_dword v49, v[52:53], off offset:24
	s_waitcnt vmcnt(1)
	global_store_dword v[52:53], v47, off offset:24
	s_waitcnt vmcnt(1)
	global_store_dword v[50:51], v49, off
.LBB48_111:
	s_or_b64 exec, exec, s[18:19]
	v_mov_b32_e32 v47, v48
	v_mov_b32_e32 v253, v48
	scratch_store_dword off, v47, off offset:1160 ; 4-byte Folded Spill
.LBB48_112:
	s_or_b64 exec, exec, s[2:3]
.LBB48_113:
	s_andn2_saveexec_b64 s[0:1], s[0:1]
	s_cbranch_execz .LBB48_115
; %bb.114:
	v_mov_b32_e32 v253, 6
	ds_write2_b32 v252, v7, v8 offset0:7 offset1:8
	ds_write2_b32 v252, v9, v10 offset0:9 offset1:10
	ds_write2_b32 v252, v11, v12 offset0:11 offset1:12
	ds_write2_b32 v252, v13, v14 offset0:13 offset1:14
	ds_write2_b32 v252, v15, v16 offset0:15 offset1:16
	ds_write2_b32 v252, v17, v18 offset0:17 offset1:18
	ds_write2_b32 v252, v19, v20 offset0:19 offset1:20
	ds_write2_b32 v252, v21, v22 offset0:21 offset1:22
	ds_write2_b32 v252, v23, v24 offset0:23 offset1:24
.LBB48_115:
	s_or_b64 exec, exec, s[0:1]
	v_cmp_lt_i32_e32 vcc, 6, v253
	s_waitcnt lgkmcnt(0)
	s_barrier
	s_and_saveexec_b64 s[0:1], vcc
	s_cbranch_execz .LBB48_117
; %bb.116:
	scratch_load_dwordx4 v[28:31], off, off offset:3220 ; 16-byte Folded Reload
	scratch_load_dwordx4 v[32:35], off, off offset:3236 ; 16-byte Folded Reload
	scratch_load_dwordx4 v[36:39], off, off offset:3252 ; 16-byte Folded Reload
	scratch_load_dwordx4 v[40:43], off, off offset:3268 ; 16-byte Folded Reload
	scratch_load_dwordx4 v[44:47], off, off offset:3284 ; 16-byte Folded Reload
	scratch_load_dwordx4 v[48:51], off, off offset:3300 ; 16-byte Folded Reload
	scratch_load_dwordx4 v[52:55], off, off offset:3316 ; 16-byte Folded Reload
	scratch_load_dwordx4 v[56:59], off, off offset:3332 ; 16-byte Folded Reload
	ds_read2_b32 v[0:1], v252 offset0:7 offset1:8
	v_mov_b32_e32 v2, v7
	ds_read2_b32 v[4:5], v252 offset0:9 offset1:10
	ds_read2_b32 v[6:7], v252 offset0:11 offset1:12
	;; [unrolled: 1-line block ×3, first 2 shown]
	s_waitcnt vmcnt(6)
	v_mul_f32_e32 v34, v120, v25
	v_mov_b32_e32 v3, v8
	v_mov_b32_e32 v128, v34
	s_waitcnt vmcnt(2) lgkmcnt(3)
	v_pk_fma_f32 v[48:49], v[34:35], v[0:1], v[2:3] op_sel_hi:[0,1,1] neg_lo:[1,0,0] neg_hi:[1,0,0]
	v_mov_b32_e32 v0, v9
	v_mov_b32_e32 v1, v10
	s_waitcnt lgkmcnt(2)
	v_pk_fma_f32 v[50:51], v[34:35], v[4:5], v[0:1] op_sel_hi:[0,1,1] neg_lo:[1,0,0] neg_hi:[1,0,0]
	v_mov_b32_e32 v0, v11
	v_mov_b32_e32 v1, v12
	s_waitcnt vmcnt(1) lgkmcnt(1)
	v_pk_fma_f32 v[52:53], v[34:35], v[6:7], v[0:1] op_sel_hi:[0,1,1] neg_lo:[1,0,0] neg_hi:[1,0,0]
	v_mov_b32_e32 v0, v13
	v_mov_b32_e32 v1, v14
	s_waitcnt lgkmcnt(0)
	v_pk_fma_f32 v[54:55], v[34:35], v[26:27], v[0:1] op_sel_hi:[0,1,1] neg_lo:[1,0,0] neg_hi:[1,0,0]
	ds_read2_b32 v[0:1], v252 offset0:15 offset1:16
	v_mov_b32_e32 v2, v15
	v_mov_b32_e32 v3, v16
	ds_read2_b32 v[4:5], v252 offset0:17 offset1:18
	ds_read2_b32 v[6:7], v252 offset0:19 offset1:20
	;; [unrolled: 1-line block ×3, first 2 shown]
	v_mov_b32_e32 v126, v32
	s_waitcnt vmcnt(0) lgkmcnt(3)
	v_pk_fma_f32 v[56:57], v[34:35], v[0:1], v[2:3] op_sel_hi:[0,1,1] neg_lo:[1,0,0] neg_hi:[1,0,0]
	ds_read2_b32 v[2:3], v252 offset0:23 offset1:24
	v_mov_b32_e32 v0, v17
	v_mov_b32_e32 v1, v18
	s_waitcnt lgkmcnt(3)
	v_pk_fma_f32 v[82:83], v[34:35], v[4:5], v[0:1] op_sel_hi:[0,1,1] neg_lo:[1,0,0] neg_hi:[1,0,0]
	v_mov_b32_e32 v0, v19
	v_mov_b32_e32 v1, v20
	s_waitcnt lgkmcnt(2)
	v_pk_fma_f32 v[84:85], v[34:35], v[6:7], v[0:1] op_sel_hi:[0,1,1] neg_lo:[1,0,0] neg_hi:[1,0,0]
	;; [unrolled: 4-line block ×4, first 2 shown]
	v_mov_b32_e32 v0, v28
	v_mov_b32_e32 v1, v29
	;; [unrolled: 1-line block ×9, first 2 shown]
	scratch_store_dwordx4 off, v[0:3], off offset:2828 ; 16-byte Folded Spill
	s_nop 0
	scratch_store_dwordx4 off, v[4:7], off offset:2844 ; 16-byte Folded Spill
	scratch_store_dwordx4 off, v[8:11], off offset:2860 ; 16-byte Folded Spill
	;; [unrolled: 1-line block ×7, first 2 shown]
	v_mov_b32_e32 v9, v50
	v_mov_b32_e32 v35, v48
	v_mov_b32_e32 v127, v33
	v_mov_b32_e32 v129, v48
	v_mov_b32_e32 v130, v49
	v_mov_b32_e32 v131, v50
	v_mov_b32_e32 v132, v51
	v_mov_b32_e32 v133, v52
	v_mov_b32_e32 v134, v53
	v_mov_b32_e32 v135, v54
	v_mov_b32_e32 v136, v55
	v_mov_b32_e32 v137, v56
	v_mov_b32_e32 v138, v57
	v_mov_b32_e32 v139, v82
	v_mov_b32_e32 v140, v83
	v_mov_b32_e32 v141, v84
	v_mov_b32_e32 v142, v85
	v_mov_b32_e32 v143, v86
	v_mov_b32_e32 v144, v87
	v_mov_b32_e32 v117, v82
	v_mov_b32_e32 v178, v85
	v_mov_b32_e32 v173, v86
	scratch_store_dwordx4 off, v[0:3], off offset:2188 ; 16-byte Folded Spill
	s_nop 0
	scratch_store_dwordx4 off, v[4:7], off offset:2204 ; 16-byte Folded Spill
	scratch_store_dwordx4 off, v[8:11], off offset:2220 ; 16-byte Folded Spill
	scratch_store_dwordx4 off, v[12:15], off offset:2236 ; 16-byte Folded Spill
	scratch_store_dwordx4 off, v[16:19], off offset:2252 ; 16-byte Folded Spill
	scratch_store_dwordx4 off, v[20:23], off offset:2268 ; 16-byte Folded Spill
	scratch_store_dwordx4 off, v[24:27], off offset:2284 ; 16-byte Folded Spill
	scratch_store_dwordx4 off, v[28:31], off offset:2300 ; 16-byte Folded Spill
	v_mov_b32_e32 v10, v51
	scratch_store_dwordx4 off, v[0:3], off offset:2060 ; 16-byte Folded Spill
	s_nop 0
	scratch_store_dwordx4 off, v[4:7], off offset:2076 ; 16-byte Folded Spill
	scratch_store_dwordx4 off, v[8:11], off offset:2092 ; 16-byte Folded Spill
	scratch_store_dwordx4 off, v[12:15], off offset:2108 ; 16-byte Folded Spill
	scratch_store_dwordx4 off, v[16:19], off offset:2124 ; 16-byte Folded Spill
	scratch_store_dwordx4 off, v[20:23], off offset:2140 ; 16-byte Folded Spill
	scratch_store_dwordx4 off, v[24:27], off offset:2156 ; 16-byte Folded Spill
	scratch_store_dwordx4 off, v[28:31], off offset:2172 ; 16-byte Folded Spill
	v_mov_b32_e32 v11, v52
	;; [unrolled: 10-line block ×13, first 2 shown]
	v_mov_b32_e32 v23, v254
	v_mov_b32_e32 v24, v255
	;; [unrolled: 1-line block ×8, first 2 shown]
	scratch_store_dwordx4 off, v[28:31], off offset:2956 ; 16-byte Folded Spill
	s_nop 0
	scratch_store_dwordx4 off, v[32:35], off offset:2972 ; 16-byte Folded Spill
	scratch_store_dwordx4 off, v[36:39], off offset:2988 ; 16-byte Folded Spill
	;; [unrolled: 1-line block ×8, first 2 shown]
	s_nop 0
	scratch_store_dwordx4 off, v[32:35], off offset:3108 ; 16-byte Folded Spill
	scratch_store_dwordx4 off, v[36:39], off offset:3124 ; 16-byte Folded Spill
	;; [unrolled: 1-line block ×7, first 2 shown]
	v_mov_b32_e32 v37, v48
	v_mov_b32_e32 v112, v49
	;; [unrolled: 1-line block ×11, first 2 shown]
	scratch_store_dwordx4 off, v[26:29], off offset:4 ; 16-byte Folded Spill
	s_nop 0
	scratch_store_dwordx4 off, v[30:33], off offset:20 ; 16-byte Folded Spill
	scratch_store_dwordx4 off, v[34:37], off offset:36 ; 16-byte Folded Spill
	;; [unrolled: 1-line block ×7, first 2 shown]
.LBB48_117:
	s_or_b64 exec, exec, s[0:1]
	v_lshl_add_u32 v25, v253, 2, v252
	s_waitcnt vmcnt(63) expcnt(7) lgkmcnt(15)
	s_barrier
	ds_write_b32 v25, v37
	s_waitcnt lgkmcnt(0)
	s_barrier
	ds_read_b32 v25, v252 offset:28
	s_cmp_lt_i32 s22, 9
	v_mov_b32_e32 v48, 7
	s_cbranch_scc1 .LBB48_120
; %bb.118:
	scratch_load_dword v47, off, off offset:1028 ; 4-byte Folded Reload
	v_mov_b32_e32 v48, 7
	s_mov_b32 s0, 8
	s_waitcnt vmcnt(0)
	v_add3_u32 v47, v47, 0, 32
.LBB48_119:                             ; =>This Inner Loop Header: Depth=1
	ds_read_b32 v49, v47
	v_add_u32_e32 v47, 4, v47
	s_waitcnt lgkmcnt(0)
	v_cmp_lt_f32_e64 vcc, |v25|, |v49|
	s_nop 1
	v_cndmask_b32_e32 v25, v25, v49, vcc
	v_mov_b32_e32 v49, s0
	s_add_i32 s0, s0, 1
	v_cndmask_b32_e32 v48, v48, v49, vcc
	s_cmp_lg_u32 s22, s0
	s_cbranch_scc1 .LBB48_119
.LBB48_120:
	s_waitcnt lgkmcnt(0)
	v_cmp_eq_f32_e32 vcc, 0, v25
	s_and_saveexec_b64 s[0:1], vcc
	s_xor_b64 s[0:1], exec, s[0:1]
; %bb.121:
	v_cmp_ne_u32_e32 vcc, 0, v74
	s_nop 1
	v_cndmask_b32_e32 v74, 8, v74, vcc
; %bb.122:
	s_andn2_saveexec_b64 s[0:1], s[0:1]
	s_cbranch_execz .LBB48_124
; %bb.123:
	v_div_scale_f32 v47, s[2:3], v25, v25, 1.0
	v_rcp_f32_e32 v49, v47
	v_div_scale_f32 v50, vcc, 1.0, v25, 1.0
	v_fma_f32 v51, -v47, v49, 1.0
	v_fmac_f32_e32 v49, v51, v49
	v_mul_f32_e32 v51, v50, v49
	v_fma_f32 v52, -v47, v51, v50
	v_fmac_f32_e32 v51, v52, v49
	v_fma_f32 v47, -v47, v51, v50
	v_div_fmas_f32 v47, v47, v49, v51
	v_div_fixup_f32 v25, v47, v25, 1.0
.LBB48_124:
	s_or_b64 exec, exec, s[0:1]
	v_cmp_ne_u32_e32 vcc, v253, v48
	s_and_saveexec_b64 s[0:1], vcc
	s_xor_b64 s[0:1], exec, s[0:1]
	s_cbranch_execz .LBB48_130
; %bb.125:
	v_cmp_eq_u32_e32 vcc, 7, v253
	s_and_saveexec_b64 s[2:3], vcc
	s_cbranch_execz .LBB48_129
; %bb.126:
	v_cmp_ne_u32_e32 vcc, 7, v48
	s_xor_b64 s[18:19], s[16:17], -1
	s_and_b64 s[20:21], s[18:19], vcc
	s_and_saveexec_b64 s[18:19], s[20:21]
	s_cbranch_execz .LBB48_128
; %bb.127:
	scratch_load_dwordx2 v[52:53], off, off offset:3084 ; 8-byte Folded Reload
	v_ashrrev_i32_e32 v49, 31, v48
	s_waitcnt vmcnt(0)
	v_lshl_add_u64 v[50:51], v[48:49], 2, v[52:53]
	global_load_dword v47, v[50:51], off
	global_load_dword v49, v[52:53], off offset:28
	s_waitcnt vmcnt(1)
	global_store_dword v[52:53], v47, off offset:28
	s_waitcnt vmcnt(1)
	global_store_dword v[50:51], v49, off
.LBB48_128:
	s_or_b64 exec, exec, s[18:19]
	v_mov_b32_e32 v47, v48
	v_mov_b32_e32 v253, v48
	scratch_store_dword off, v47, off offset:1160 ; 4-byte Folded Spill
.LBB48_129:
	s_or_b64 exec, exec, s[2:3]
.LBB48_130:
	s_or_saveexec_b64 s[0:1], s[0:1]
	v_mov_b32_e32 v73, v35
	v_mov_b32_e32 v185, v33
	;; [unrolled: 1-line block ×4, first 2 shown]
	s_xor_b64 exec, exec, s[0:1]
	s_cbranch_execz .LBB48_132
; %bb.131:
	v_mov_b32_e32 v253, 7
	ds_write2_b32 v252, v8, v9 offset0:8 offset1:9
	ds_write2_b32 v252, v10, v11 offset0:10 offset1:11
	;; [unrolled: 1-line block ×8, first 2 shown]
	ds_write_b32 v252, v255 offset:96
.LBB48_132:
	s_or_b64 exec, exec, s[0:1]
	v_cmp_lt_i32_e32 vcc, 7, v253
	s_waitcnt lgkmcnt(0)
	s_barrier
	s_and_saveexec_b64 s[0:1], vcc
	s_cbranch_execz .LBB48_134
; %bb.133:
	ds_read2_b32 v[2:3], v252 offset0:8 offset1:9
	ds_read2_b32 v[4:5], v252 offset0:10 offset1:11
	ds_read2_b32 v[6:7], v252 offset0:12 offset1:13
	v_mul_f32_e32 v0, v37, v25
	ds_read2_b32 v[24:25], v252 offset0:14 offset1:15
	s_waitcnt lgkmcnt(3)
	v_pk_fma_f32 v[72:73], v[0:1], v[2:3], v[8:9] op_sel_hi:[0,1,1] neg_lo:[1,0,0] neg_hi:[1,0,0]
	s_waitcnt lgkmcnt(2)
	v_pk_fma_f32 v[184:185], v[0:1], v[4:5], v[10:11] op_sel_hi:[0,1,1] neg_lo:[1,0,0] neg_hi:[1,0,0]
	;; [unrolled: 2-line block ×3, first 2 shown]
	ds_read2_b32 v[2:3], v252 offset0:16 offset1:17
	ds_read2_b32 v[4:5], v252 offset0:18 offset1:19
	;; [unrolled: 1-line block ×4, first 2 shown]
	scratch_load_dwordx4 v[112:115], off, off offset:3092 ; 16-byte Folded Reload
	scratch_load_dwordx4 v[116:119], off, off offset:3108 ; 16-byte Folded Reload
	;; [unrolled: 1-line block ×8, first 2 shown]
	s_waitcnt lgkmcnt(3)
	v_pk_fma_f32 v[46:47], v[0:1], v[2:3], v[16:17] op_sel_hi:[0,1,1] neg_lo:[1,0,0] neg_hi:[1,0,0]
	s_waitcnt lgkmcnt(2)
	v_pk_fma_f32 v[164:165], v[0:1], v[4:5], v[18:19] op_sel_hi:[0,1,1] neg_lo:[1,0,0] neg_hi:[1,0,0]
	;; [unrolled: 2-line block ×4, first 2 shown]
	v_mov_b32_e32 v9, v0
	v_mov_b32_e32 v10, v72
	;; [unrolled: 1-line block ×3, first 2 shown]
	v_pk_fma_f32 v[62:63], v[0:1], v[24:25], v[14:15] op_sel_hi:[0,1,1] neg_lo:[1,0,0] neg_hi:[1,0,0]
	s_waitcnt vmcnt(6)
	v_mov_b32_e32 v119, v0
	v_mov_b32_e32 v97, v0
	;; [unrolled: 1-line block ×16, first 2 shown]
	s_waitcnt vmcnt(3)
	v_mov_b32_e32 v129, v0
	v_mov_b32_e32 v130, v72
	v_mov_b32_e32 v131, v73
	s_waitcnt vmcnt(2)
	v_mov_b32_e32 v132, v184
	v_mov_b32_e32 v133, v185
	v_mov_b32_e32 v134, v88
	v_mov_b32_e32 v135, v89
	s_waitcnt vmcnt(1)
	v_mov_b32_e32 v136, v62
	;; [unrolled: 5-line block ×3, first 2 shown]
	v_mov_b32_e32 v141, v165
	v_mov_b32_e32 v142, v226
	;; [unrolled: 1-line block ×43, first 2 shown]
	scratch_store_dwordx4 off, v[2:5], off offset:2188 ; 16-byte Folded Spill
	s_nop 0
	scratch_store_dwordx4 off, v[6:9], off offset:2204 ; 16-byte Folded Spill
	scratch_store_dwordx4 off, v[10:13], off offset:2220 ; 16-byte Folded Spill
	;; [unrolled: 1-line block ×7, first 2 shown]
	v_mov_b32_e32 v12, v184
	v_mov_b32_e32 v13, v185
	;; [unrolled: 1-line block ×65, first 2 shown]
	scratch_store_dwordx4 off, v[2:5], off offset:1676 ; 16-byte Folded Spill
	s_nop 0
	scratch_store_dwordx4 off, v[6:9], off offset:1692 ; 16-byte Folded Spill
	scratch_store_dwordx4 off, v[10:13], off offset:1708 ; 16-byte Folded Spill
	;; [unrolled: 1-line block ×7, first 2 shown]
	v_mov_b32_e32 v14, v88
	v_mov_b32_e32 v15, v89
	;; [unrolled: 1-line block ×8, first 2 shown]
	scratch_store_dwordx4 off, v[2:5], off offset:1164 ; 16-byte Folded Spill
	s_nop 0
	scratch_store_dwordx4 off, v[6:9], off offset:1180 ; 16-byte Folded Spill
	scratch_store_dwordx4 off, v[10:13], off offset:1196 ; 16-byte Folded Spill
	scratch_store_dwordx4 off, v[14:17], off offset:1212 ; 16-byte Folded Spill
	scratch_store_dwordx4 off, v[18:21], off offset:1228 ; 16-byte Folded Spill
	scratch_store_dwordx4 off, v[22:25], off offset:1244 ; 16-byte Folded Spill
	scratch_store_dwordx4 off, v[26:29], off offset:1260 ; 16-byte Folded Spill
	scratch_store_dwordx4 off, v[30:33], off offset:1276 ; 16-byte Folded Spill
	v_mov_b32_e32 v16, v62
	v_mov_b32_e32 v17, v63
	scratch_store_dwordx4 off, v[2:5], off offset:900 ; 16-byte Folded Spill
	s_nop 0
	scratch_store_dwordx4 off, v[6:9], off offset:916 ; 16-byte Folded Spill
	scratch_store_dwordx4 off, v[10:13], off offset:932 ; 16-byte Folded Spill
	;; [unrolled: 1-line block ×7, first 2 shown]
	s_nop 1
	v_mov_b32_e32 v30, v112
	v_mov_b32_e32 v31, v113
	;; [unrolled: 1-line block ×6, first 2 shown]
	scratch_store_dwordx4 off, v[2:5], off offset:132 ; 16-byte Folded Spill
	s_nop 0
	scratch_store_dwordx4 off, v[6:9], off offset:148 ; 16-byte Folded Spill
	scratch_store_dwordx4 off, v[10:13], off offset:164 ; 16-byte Folded Spill
	scratch_store_dwordx4 off, v[14:17], off offset:180 ; 16-byte Folded Spill
	scratch_store_dwordx4 off, v[18:21], off offset:196 ; 16-byte Folded Spill
	scratch_store_dwordx4 off, v[22:25], off offset:212 ; 16-byte Folded Spill
	scratch_store_dwordx4 off, v[26:29], off offset:228 ; 16-byte Folded Spill
	scratch_store_dwordx4 off, v[30:33], off offset:244 ; 16-byte Folded Spill
	v_mov_b32_e32 v20, v164
	v_mov_b32_e32 v21, v165
	scratch_store_dwordx4 off, v[2:5], off offset:516 ; 16-byte Folded Spill
	s_nop 0
	scratch_store_dwordx4 off, v[6:9], off offset:532 ; 16-byte Folded Spill
	scratch_store_dwordx4 off, v[10:13], off offset:548 ; 16-byte Folded Spill
	;; [unrolled: 1-line block ×7, first 2 shown]
	ds_read_b32 v1, v252 offset:96
	scratch_store_dwordx4 off, v[90:93], off offset:260 ; 16-byte Folded Spill
	s_nop 0
	scratch_store_dwordx4 off, v[94:97], off offset:276 ; 16-byte Folded Spill
	scratch_store_dwordx4 off, v[98:101], off offset:292 ; 16-byte Folded Spill
	;; [unrolled: 1-line block ×7, first 2 shown]
	v_mov_b32_e32 v7, v0
	v_mov_b32_e32 v8, v72
	;; [unrolled: 1-line block ×3, first 2 shown]
	s_waitcnt lgkmcnt(0)
	v_fma_f32 v24, -v0, v1, v255
	v_mov_b32_e32 v12, v88
	v_mov_b32_e32 v13, v89
	;; [unrolled: 1-line block ×30, first 2 shown]
	scratch_store_dwordx4 off, v[112:115], off offset:2956 ; 16-byte Folded Spill
	s_nop 0
	scratch_store_dwordx4 off, v[116:119], off offset:2972 ; 16-byte Folded Spill
	scratch_store_dwordx4 off, v[120:123], off offset:2988 ; 16-byte Folded Spill
	scratch_store_dwordx4 off, v[124:127], off offset:3004 ; 16-byte Folded Spill
	scratch_store_dwordx4 off, v[128:131], off offset:3020 ; 16-byte Folded Spill
	scratch_store_dwordx4 off, v[132:135], off offset:3036 ; 16-byte Folded Spill
	scratch_store_dwordx4 off, v[136:139], off offset:3052 ; 16-byte Folded Spill
	scratch_store_dwordx4 off, v[140:143], off offset:3068 ; 16-byte Folded Spill
	v_mov_b32_e32 v112, v72
	scratch_store_dwordx4 off, v[64:67], off offset:2828 ; 16-byte Folded Spill
	s_nop 0
	scratch_store_dwordx4 off, v[68:71], off offset:2844 ; 16-byte Folded Spill
	scratch_store_dwordx4 off, v[72:75], off offset:2860 ; 16-byte Folded Spill
	scratch_store_dwordx4 off, v[76:79], off offset:2876 ; 16-byte Folded Spill
	scratch_store_dwordx4 off, v[80:83], off offset:2892 ; 16-byte Folded Spill
	scratch_store_dwordx4 off, v[84:87], off offset:2908 ; 16-byte Folded Spill
	scratch_store_dwordx4 off, v[88:91], off offset:2924 ; 16-byte Folded Spill
	scratch_store_dwordx4 off, v[92:95], off offset:2940 ; 16-byte Folded Spill
	v_mov_b32_e32 v68, v184
	;; [unrolled: 10-line block ×3, first 2 shown]
	v_mov_b32_e32 v174, v46
	v_mov_b32_e32 v178, v226
	;; [unrolled: 1-line block ×3, first 2 shown]
	scratch_store_dwordx4 off, v[76:79], off offset:1548 ; 16-byte Folded Spill
	s_nop 0
	scratch_store_dwordx4 off, v[80:83], off offset:1564 ; 16-byte Folded Spill
	scratch_store_dwordx4 off, v[84:87], off offset:1580 ; 16-byte Folded Spill
	scratch_store_dwordx4 off, v[88:91], off offset:1596 ; 16-byte Folded Spill
	scratch_store_dwordx4 off, v[92:95], off offset:1612 ; 16-byte Folded Spill
	scratch_store_dwordx4 off, v[96:99], off offset:1628 ; 16-byte Folded Spill
	scratch_store_dwordx4 off, v[100:103], off offset:1644 ; 16-byte Folded Spill
	scratch_store_dwordx4 off, v[104:107], off offset:1660 ; 16-byte Folded Spill
	scratch_store_dwordx4 off, v[48:51], off offset:1032 ; 16-byte Folded Spill
	s_nop 0
	scratch_store_dwordx4 off, v[52:55], off offset:1048 ; 16-byte Folded Spill
	scratch_store_dwordx4 off, v[56:59], off offset:1064 ; 16-byte Folded Spill
	scratch_store_dwordx4 off, v[60:63], off offset:1080 ; 16-byte Folded Spill
	scratch_store_dwordx4 off, v[64:67], off offset:1096 ; 16-byte Folded Spill
	scratch_store_dwordx4 off, v[68:71], off offset:1112 ; 16-byte Folded Spill
	scratch_store_dwordx4 off, v[72:75], off offset:1128 ; 16-byte Folded Spill
	scratch_store_dwordx4 off, v[76:79], off offset:1144 ; 16-byte Folded Spill
	;; [unrolled: 9-line block ×5, first 2 shown]
	v_mov_b32_e32 v29, v63
	v_mov_b32_e32 v48, v144
	;; [unrolled: 1-line block ×5, first 2 shown]
	scratch_store_dwordx4 off, v[26:29], off offset:4 ; 16-byte Folded Spill
	s_nop 0
	scratch_store_dwordx4 off, v[30:33], off offset:20 ; 16-byte Folded Spill
	scratch_store_dwordx4 off, v[34:37], off offset:36 ; 16-byte Folded Spill
	;; [unrolled: 1-line block ×7, first 2 shown]
.LBB48_134:
	s_or_b64 exec, exec, s[0:1]
	v_lshl_add_u32 v25, v253, 2, v252
	s_waitcnt vmcnt(63) expcnt(7) lgkmcnt(15)
	s_barrier
	ds_write_b32 v25, v112
	s_waitcnt lgkmcnt(0)
	s_barrier
	ds_read_b32 v25, v252 offset:32
	s_cmp_lt_i32 s22, 10
	v_mov_b32_e32 v48, 8
	s_cbranch_scc1 .LBB48_428
; %bb.135:
	scratch_load_dword v47, off, off offset:1028 ; 4-byte Folded Reload
	v_mov_b32_e32 v48, 8
	s_mov_b32 s0, 9
	v_mov_b32_e32 v31, v89
	v_mov_b32_e32 v33, v185
	v_mov_b32_e32 v35, v73
	s_waitcnt vmcnt(0)
	v_add3_u32 v47, v47, 0, 36
.LBB48_136:                             ; =>This Inner Loop Header: Depth=1
	ds_read_b32 v49, v47
	v_add_u32_e32 v47, 4, v47
	s_waitcnt lgkmcnt(0)
	v_cmp_lt_f32_e64 vcc, |v25|, |v49|
	s_nop 1
	v_cndmask_b32_e32 v25, v25, v49, vcc
	v_mov_b32_e32 v49, s0
	s_add_i32 s0, s0, 1
	v_cndmask_b32_e32 v48, v48, v49, vcc
	s_cmp_lg_u32 s22, s0
	s_cbranch_scc1 .LBB48_136
; %bb.137:
	v_cmp_eq_f32_e32 vcc, 0, v25
	s_and_saveexec_b64 s[0:1], vcc
	s_xor_b64 s[0:1], exec, s[0:1]
.LBB48_138:
	v_cmp_ne_u32_e32 vcc, 0, v74
	s_nop 1
	v_cndmask_b32_e32 v74, 9, v74, vcc
.LBB48_139:
	s_andn2_saveexec_b64 s[0:1], s[0:1]
	s_cbranch_execz .LBB48_141
; %bb.140:
	v_div_scale_f32 v47, s[2:3], v25, v25, 1.0
	v_rcp_f32_e32 v49, v47
	v_div_scale_f32 v50, vcc, 1.0, v25, 1.0
	v_fma_f32 v51, -v47, v49, 1.0
	v_fmac_f32_e32 v49, v51, v49
	v_mul_f32_e32 v51, v50, v49
	v_fma_f32 v52, -v47, v51, v50
	v_fmac_f32_e32 v51, v52, v49
	v_fma_f32 v47, -v47, v51, v50
	v_div_fmas_f32 v47, v47, v49, v51
	v_div_fixup_f32 v25, v47, v25, 1.0
.LBB48_141:
	s_or_b64 exec, exec, s[0:1]
	v_cmp_ne_u32_e32 vcc, v253, v48
	s_and_saveexec_b64 s[0:1], vcc
	s_xor_b64 s[0:1], exec, s[0:1]
	s_cbranch_execz .LBB48_147
; %bb.142:
	v_cmp_eq_u32_e32 vcc, 8, v253
	s_and_saveexec_b64 s[2:3], vcc
	s_cbranch_execz .LBB48_146
; %bb.143:
	v_cmp_ne_u32_e32 vcc, 8, v48
	s_xor_b64 s[18:19], s[16:17], -1
	s_and_b64 s[20:21], s[18:19], vcc
	s_and_saveexec_b64 s[18:19], s[20:21]
	s_cbranch_execz .LBB48_145
; %bb.144:
	scratch_load_dwordx2 v[52:53], off, off offset:3084 ; 8-byte Folded Reload
	v_ashrrev_i32_e32 v49, 31, v48
	s_waitcnt vmcnt(0)
	v_lshl_add_u64 v[50:51], v[48:49], 2, v[52:53]
	global_load_dword v47, v[50:51], off
	global_load_dword v49, v[52:53], off offset:32
	s_waitcnt vmcnt(1)
	global_store_dword v[52:53], v47, off offset:32
	s_waitcnt vmcnt(1)
	global_store_dword v[50:51], v49, off
.LBB48_145:
	s_or_b64 exec, exec, s[18:19]
	v_mov_b32_e32 v47, v48
	v_mov_b32_e32 v253, v48
	scratch_store_dword off, v47, off offset:1160 ; 4-byte Folded Spill
.LBB48_146:
	s_or_b64 exec, exec, s[2:3]
.LBB48_147:
	s_andn2_saveexec_b64 s[0:1], s[0:1]
	s_cbranch_execz .LBB48_149
; %bb.148:
	v_mov_b32_e32 v253, 8
	ds_write2_b32 v252, v9, v10 offset0:9 offset1:10
	ds_write2_b32 v252, v11, v12 offset0:11 offset1:12
	;; [unrolled: 1-line block ×8, first 2 shown]
.LBB48_149:
	s_or_b64 exec, exec, s[0:1]
	v_cmp_lt_i32_e32 vcc, 8, v253
	s_waitcnt lgkmcnt(0)
	s_barrier
	s_and_saveexec_b64 s[0:1], vcc
	s_cbranch_execz .LBB48_151
; %bb.150:
	scratch_load_dwordx4 v[26:29], off, off offset:2956 ; 16-byte Folded Reload
	scratch_load_dwordx4 v[30:33], off, off offset:2972 ; 16-byte Folded Reload
	;; [unrolled: 1-line block ×8, first 2 shown]
	ds_read2_b32 v[0:1], v252 offset0:9 offset1:10
	v_mov_b32_e32 v2, v9
	ds_read2_b32 v[4:5], v252 offset0:11 offset1:12
	ds_read2_b32 v[6:7], v252 offset0:13 offset1:14
	;; [unrolled: 1-line block ×3, first 2 shown]
	s_waitcnt vmcnt(5)
	v_mul_f32_e32 v34, v112, v25
	v_mov_b32_e32 v3, v10
	v_mov_b32_e32 v130, v34
	;; [unrolled: 1-line block ×3, first 2 shown]
	s_waitcnt vmcnt(2) lgkmcnt(3)
	v_pk_fma_f32 v[48:49], v[34:35], v[0:1], v[2:3] op_sel_hi:[0,1,1] neg_lo:[1,0,0] neg_hi:[1,0,0]
	v_mov_b32_e32 v0, v11
	v_mov_b32_e32 v1, v12
	s_waitcnt vmcnt(1) lgkmcnt(2)
	v_pk_fma_f32 v[50:51], v[34:35], v[4:5], v[0:1] op_sel_hi:[0,1,1] neg_lo:[1,0,0] neg_hi:[1,0,0]
	v_mov_b32_e32 v0, v13
	v_mov_b32_e32 v1, v14
	s_waitcnt lgkmcnt(1)
	v_pk_fma_f32 v[52:53], v[34:35], v[6:7], v[0:1] op_sel_hi:[0,1,1] neg_lo:[1,0,0] neg_hi:[1,0,0]
	v_mov_b32_e32 v0, v15
	v_mov_b32_e32 v1, v16
	s_waitcnt vmcnt(0) lgkmcnt(0)
	v_pk_fma_f32 v[54:55], v[34:35], v[8:9], v[0:1] op_sel_hi:[0,1,1] neg_lo:[1,0,0] neg_hi:[1,0,0]
	ds_read2_b32 v[0:1], v252 offset0:17 offset1:18
	ds_read2_b32 v[4:5], v252 offset0:19 offset1:20
	;; [unrolled: 1-line block ×4, first 2 shown]
	v_mov_b32_e32 v2, v17
	v_mov_b32_e32 v3, v18
	;; [unrolled: 1-line block ×3, first 2 shown]
	s_waitcnt lgkmcnt(3)
	v_pk_fma_f32 v[56:57], v[34:35], v[0:1], v[2:3] op_sel_hi:[0,1,1] neg_lo:[1,0,0] neg_hi:[1,0,0]
	v_mov_b32_e32 v0, v19
	v_mov_b32_e32 v1, v20
	s_waitcnt lgkmcnt(2)
	v_pk_fma_f32 v[82:83], v[34:35], v[4:5], v[0:1] op_sel_hi:[0,1,1] neg_lo:[1,0,0] neg_hi:[1,0,0]
	v_mov_b32_e32 v0, v21
	v_mov_b32_e32 v1, v22
	s_waitcnt lgkmcnt(1)
	v_pk_fma_f32 v[84:85], v[34:35], v[6:7], v[0:1] op_sel_hi:[0,1,1] neg_lo:[1,0,0] neg_hi:[1,0,0]
	v_mov_b32_e32 v0, v23
	v_mov_b32_e32 v1, v24
	s_waitcnt lgkmcnt(0)
	v_pk_fma_f32 v[254:255], v[34:35], v[8:9], v[0:1] op_sel_hi:[0,1,1] neg_lo:[1,0,0] neg_hi:[1,0,0]
	v_mov_b32_e32 v0, v26
	v_mov_b32_e32 v1, v27
	v_mov_b32_e32 v2, v28
	v_mov_b32_e32 v3, v29
	;; [unrolled: 1-line block ×8, first 2 shown]
	scratch_store_dwordx4 off, v[0:3], off offset:2060 ; 16-byte Folded Spill
	s_nop 0
	scratch_store_dwordx4 off, v[4:7], off offset:2076 ; 16-byte Folded Spill
	scratch_store_dwordx4 off, v[8:11], off offset:2092 ; 16-byte Folded Spill
	;; [unrolled: 1-line block ×7, first 2 shown]
	v_mov_b32_e32 v11, v50
	v_mov_b32_e32 v35, v48
	;; [unrolled: 1-line block ×19, first 2 shown]
	scratch_store_dwordx4 off, v[0:3], off offset:1676 ; 16-byte Folded Spill
	s_nop 0
	scratch_store_dwordx4 off, v[4:7], off offset:1692 ; 16-byte Folded Spill
	scratch_store_dwordx4 off, v[8:11], off offset:1708 ; 16-byte Folded Spill
	scratch_store_dwordx4 off, v[12:15], off offset:1724 ; 16-byte Folded Spill
	scratch_store_dwordx4 off, v[16:19], off offset:1740 ; 16-byte Folded Spill
	scratch_store_dwordx4 off, v[20:23], off offset:1756 ; 16-byte Folded Spill
	scratch_store_dwordx4 off, v[24:27], off offset:1772 ; 16-byte Folded Spill
	scratch_store_dwordx4 off, v[28:31], off offset:1788 ; 16-byte Folded Spill
	v_mov_b32_e32 v12, v51
	scratch_store_dwordx4 off, v[0:3], off offset:1548 ; 16-byte Folded Spill
	s_nop 0
	scratch_store_dwordx4 off, v[4:7], off offset:1564 ; 16-byte Folded Spill
	scratch_store_dwordx4 off, v[8:11], off offset:1580 ; 16-byte Folded Spill
	scratch_store_dwordx4 off, v[12:15], off offset:1596 ; 16-byte Folded Spill
	scratch_store_dwordx4 off, v[16:19], off offset:1612 ; 16-byte Folded Spill
	scratch_store_dwordx4 off, v[20:23], off offset:1628 ; 16-byte Folded Spill
	scratch_store_dwordx4 off, v[24:27], off offset:1644 ; 16-byte Folded Spill
	scratch_store_dwordx4 off, v[28:31], off offset:1660 ; 16-byte Folded Spill
	v_mov_b32_e32 v13, v52
	;; [unrolled: 10-line block ×11, first 2 shown]
	v_mov_b32_e32 v23, v254
	v_mov_b32_e32 v24, v255
	;; [unrolled: 1-line block ×8, first 2 shown]
	scratch_store_dwordx4 off, v[26:29], off offset:2188 ; 16-byte Folded Spill
	s_nop 0
	scratch_store_dwordx4 off, v[30:33], off offset:2204 ; 16-byte Folded Spill
	scratch_store_dwordx4 off, v[34:37], off offset:2220 ; 16-byte Folded Spill
	;; [unrolled: 1-line block ×8, first 2 shown]
	s_nop 0
	scratch_store_dwordx4 off, v[30:33], off offset:2844 ; 16-byte Folded Spill
	scratch_store_dwordx4 off, v[34:37], off offset:2860 ; 16-byte Folded Spill
	;; [unrolled: 1-line block ×7, first 2 shown]
	v_mov_b32_e32 v27, v82
	v_mov_b32_e32 v48, v85
	;; [unrolled: 1-line block ×11, first 2 shown]
	scratch_store_dwordx4 off, v[26:29], off offset:4 ; 16-byte Folded Spill
	s_nop 0
	scratch_store_dwordx4 off, v[30:33], off offset:20 ; 16-byte Folded Spill
	scratch_store_dwordx4 off, v[34:37], off offset:36 ; 16-byte Folded Spill
	;; [unrolled: 1-line block ×7, first 2 shown]
.LBB48_151:
	s_or_b64 exec, exec, s[0:1]
	v_lshl_add_u32 v25, v253, 2, v252
	s_waitcnt vmcnt(63) expcnt(7) lgkmcnt(15)
	s_barrier
	ds_write_b32 v25, v35
	s_waitcnt lgkmcnt(0)
	s_barrier
	ds_read_b32 v25, v252 offset:36
	s_cmp_lt_i32 s22, 11
	v_mov_b32_e32 v48, 9
	s_cbranch_scc1 .LBB48_154
; %bb.152:
	scratch_load_dword v47, off, off offset:1028 ; 4-byte Folded Reload
	v_mov_b32_e32 v48, 9
	s_mov_b32 s0, 10
	s_waitcnt vmcnt(0)
	v_add3_u32 v47, v47, 0, 40
.LBB48_153:                             ; =>This Inner Loop Header: Depth=1
	ds_read_b32 v49, v47
	v_add_u32_e32 v47, 4, v47
	s_waitcnt lgkmcnt(0)
	v_cmp_lt_f32_e64 vcc, |v25|, |v49|
	s_nop 1
	v_cndmask_b32_e32 v25, v25, v49, vcc
	v_mov_b32_e32 v49, s0
	s_add_i32 s0, s0, 1
	v_cndmask_b32_e32 v48, v48, v49, vcc
	s_cmp_lg_u32 s22, s0
	s_cbranch_scc1 .LBB48_153
.LBB48_154:
	s_waitcnt lgkmcnt(0)
	v_cmp_eq_f32_e32 vcc, 0, v25
	s_and_saveexec_b64 s[0:1], vcc
	s_xor_b64 s[0:1], exec, s[0:1]
; %bb.155:
	v_cmp_ne_u32_e32 vcc, 0, v74
	s_nop 1
	v_cndmask_b32_e32 v74, 10, v74, vcc
; %bb.156:
	s_andn2_saveexec_b64 s[0:1], s[0:1]
	s_cbranch_execz .LBB48_158
; %bb.157:
	v_div_scale_f32 v47, s[2:3], v25, v25, 1.0
	v_rcp_f32_e32 v49, v47
	v_div_scale_f32 v50, vcc, 1.0, v25, 1.0
	v_fma_f32 v51, -v47, v49, 1.0
	v_fmac_f32_e32 v49, v51, v49
	v_mul_f32_e32 v51, v50, v49
	v_fma_f32 v52, -v47, v51, v50
	v_fmac_f32_e32 v51, v52, v49
	v_fma_f32 v47, -v47, v51, v50
	v_div_fmas_f32 v47, v47, v49, v51
	v_div_fixup_f32 v25, v47, v25, 1.0
.LBB48_158:
	s_or_b64 exec, exec, s[0:1]
	v_cmp_ne_u32_e32 vcc, v253, v48
	s_and_saveexec_b64 s[0:1], vcc
	s_xor_b64 s[0:1], exec, s[0:1]
	s_cbranch_execz .LBB48_164
; %bb.159:
	v_cmp_eq_u32_e32 vcc, 9, v253
	s_and_saveexec_b64 s[2:3], vcc
	s_cbranch_execz .LBB48_163
; %bb.160:
	v_cmp_ne_u32_e32 vcc, 9, v48
	s_xor_b64 s[18:19], s[16:17], -1
	s_and_b64 s[20:21], s[18:19], vcc
	s_and_saveexec_b64 s[18:19], s[20:21]
	s_cbranch_execz .LBB48_162
; %bb.161:
	scratch_load_dwordx2 v[52:53], off, off offset:3084 ; 8-byte Folded Reload
	v_ashrrev_i32_e32 v49, 31, v48
	s_waitcnt vmcnt(0)
	v_lshl_add_u64 v[50:51], v[48:49], 2, v[52:53]
	global_load_dword v47, v[50:51], off
	global_load_dword v49, v[52:53], off offset:36
	s_waitcnt vmcnt(1)
	global_store_dword v[52:53], v47, off offset:36
	s_waitcnt vmcnt(1)
	global_store_dword v[50:51], v49, off
.LBB48_162:
	s_or_b64 exec, exec, s[18:19]
	v_mov_b32_e32 v47, v48
	v_mov_b32_e32 v253, v48
	scratch_store_dword off, v47, off offset:1160 ; 4-byte Folded Spill
.LBB48_163:
	s_or_b64 exec, exec, s[2:3]
.LBB48_164:
	s_or_saveexec_b64 s[0:1], s[0:1]
	v_mov_b32_e32 v185, v33
	v_mov_b32_e32 v89, v31
	s_xor_b64 exec, exec, s[0:1]
	s_cbranch_execz .LBB48_166
; %bb.165:
	v_mov_b32_e32 v253, 9
	ds_write2_b32 v252, v10, v11 offset0:10 offset1:11
	ds_write2_b32 v252, v12, v13 offset0:12 offset1:13
	;; [unrolled: 1-line block ×7, first 2 shown]
	ds_write_b32 v252, v255 offset:96
.LBB48_166:
	s_or_b64 exec, exec, s[0:1]
	v_cmp_lt_i32_e32 vcc, 9, v253
	s_waitcnt lgkmcnt(0)
	s_barrier
	s_and_saveexec_b64 s[0:1], vcc
	s_cbranch_execz .LBB48_168
; %bb.167:
	ds_read2_b32 v[2:3], v252 offset0:10 offset1:11
	ds_read2_b32 v[4:5], v252 offset0:12 offset1:13
	;; [unrolled: 1-line block ×4, first 2 shown]
	v_mul_f32_e32 v0, v35, v25
	s_waitcnt lgkmcnt(3)
	v_pk_fma_f32 v[184:185], v[0:1], v[2:3], v[10:11] op_sel_hi:[0,1,1] neg_lo:[1,0,0] neg_hi:[1,0,0]
	s_waitcnt lgkmcnt(2)
	v_pk_fma_f32 v[88:89], v[0:1], v[4:5], v[12:13] op_sel_hi:[0,1,1] neg_lo:[1,0,0] neg_hi:[1,0,0]
	s_waitcnt lgkmcnt(1)
	v_pk_fma_f32 v[62:63], v[0:1], v[6:7], v[14:15] op_sel_hi:[0,1,1] neg_lo:[1,0,0] neg_hi:[1,0,0]
	ds_read2_b32 v[2:3], v252 offset0:18 offset1:19
	ds_read2_b32 v[4:5], v252 offset0:20 offset1:21
	;; [unrolled: 1-line block ×3, first 2 shown]
	s_waitcnt lgkmcnt(3)
	v_pk_fma_f32 v[46:47], v[0:1], v[8:9], v[16:17] op_sel_hi:[0,1,1] neg_lo:[1,0,0] neg_hi:[1,0,0]
	ds_read_b32 v1, v252 offset:96
	v_mov_b32_e32 v99, v0
	v_mov_b32_e32 v100, v184
	;; [unrolled: 1-line block ×4, first 2 shown]
	s_waitcnt lgkmcnt(0)
	v_pk_fma_f32 v[164:165], v[0:1], v[2:3], v[18:19] op_sel_hi:[0,1,1] neg_lo:[1,0,0] neg_hi:[1,0,0]
	v_pk_fma_f32 v[238:239], v[0:1], v[4:5], v[20:21] op_sel_hi:[0,1,1] neg_lo:[1,0,0] neg_hi:[1,0,0]
	;; [unrolled: 1-line block ×3, first 2 shown]
	scratch_load_dwordx4 v[2:5], off, off offset:2828 ; 16-byte Folded Reload
	scratch_load_dwordx4 v[6:9], off, off offset:2844 ; 16-byte Folded Reload
	;; [unrolled: 1-line block ×8, first 2 shown]
	s_waitcnt vmcnt(5)
	v_mov_b32_e32 v11, v0
	v_mov_b32_e32 v12, v184
	;; [unrolled: 1-line block ×72, first 2 shown]
	scratch_store_dwordx4 off, v[2:5], off offset:1676 ; 16-byte Folded Spill
	s_nop 0
	scratch_store_dwordx4 off, v[6:9], off offset:1692 ; 16-byte Folded Spill
	scratch_store_dwordx4 off, v[10:13], off offset:1708 ; 16-byte Folded Spill
	s_waitcnt vmcnt(7)
	scratch_store_dwordx4 off, v[14:17], off offset:1724 ; 16-byte Folded Spill
	s_waitcnt vmcnt(7)
	;; [unrolled: 2-line block ×5, first 2 shown]
	scratch_store_dwordx4 off, v[30:33], off offset:1788 ; 16-byte Folded Spill
	v_mov_b32_e32 v14, v88
	v_mov_b32_e32 v15, v89
	;; [unrolled: 1-line block ×62, first 2 shown]
	scratch_store_dwordx4 off, v[2:5], off offset:1164 ; 16-byte Folded Spill
	s_nop 0
	scratch_store_dwordx4 off, v[6:9], off offset:1180 ; 16-byte Folded Spill
	scratch_store_dwordx4 off, v[10:13], off offset:1196 ; 16-byte Folded Spill
	scratch_store_dwordx4 off, v[14:17], off offset:1212 ; 16-byte Folded Spill
	scratch_store_dwordx4 off, v[18:21], off offset:1228 ; 16-byte Folded Spill
	scratch_store_dwordx4 off, v[22:25], off offset:1244 ; 16-byte Folded Spill
	scratch_store_dwordx4 off, v[26:29], off offset:1260 ; 16-byte Folded Spill
	scratch_store_dwordx4 off, v[30:33], off offset:1276 ; 16-byte Folded Spill
	v_mov_b32_e32 v16, v62
	v_mov_b32_e32 v17, v63
	;; [unrolled: 1-line block ×10, first 2 shown]
	scratch_store_dwordx4 off, v[2:5], off offset:900 ; 16-byte Folded Spill
	s_nop 0
	scratch_store_dwordx4 off, v[6:9], off offset:916 ; 16-byte Folded Spill
	scratch_store_dwordx4 off, v[10:13], off offset:932 ; 16-byte Folded Spill
	;; [unrolled: 1-line block ×7, first 2 shown]
	s_nop 1
	v_mov_b32_e32 v30, v64
	v_mov_b32_e32 v31, v65
	;; [unrolled: 1-line block ×6, first 2 shown]
	scratch_store_dwordx4 off, v[2:5], off offset:132 ; 16-byte Folded Spill
	s_nop 0
	scratch_store_dwordx4 off, v[6:9], off offset:148 ; 16-byte Folded Spill
	scratch_store_dwordx4 off, v[10:13], off offset:164 ; 16-byte Folded Spill
	;; [unrolled: 1-line block ×7, first 2 shown]
	v_mov_b32_e32 v20, v164
	v_mov_b32_e32 v21, v165
	scratch_store_dwordx4 off, v[2:5], off offset:516 ; 16-byte Folded Spill
	s_nop 0
	scratch_store_dwordx4 off, v[6:9], off offset:532 ; 16-byte Folded Spill
	scratch_store_dwordx4 off, v[10:13], off offset:548 ; 16-byte Folded Spill
	;; [unrolled: 1-line block ×8, first 2 shown]
	s_nop 0
	scratch_store_dwordx4 off, v[94:97], off offset:276 ; 16-byte Folded Spill
	scratch_store_dwordx4 off, v[98:101], off offset:292 ; 16-byte Folded Spill
	;; [unrolled: 1-line block ×7, first 2 shown]
	v_fma_f32 v24, -v0, v1, v255
	v_mov_b32_e32 v9, v0
	v_mov_b32_e32 v0, v64
	v_mov_b32_e32 v1, v65
	v_mov_b32_e32 v2, v66
	v_mov_b32_e32 v3, v67
	v_mov_b32_e32 v4, v68
	v_mov_b32_e32 v5, v69
	v_mov_b32_e32 v6, v70
	v_mov_b32_e32 v7, v71
	v_mov_b32_e32 v8, v72
	v_mov_b32_e32 v12, v88
	v_mov_b32_e32 v13, v89
	v_mov_b32_e32 v10, v184
	v_mov_b32_e32 v11, v185
	v_mov_b32_e32 v14, v62
	v_mov_b32_e32 v15, v63
	v_mov_b32_e32 v16, v46
	v_mov_b32_e32 v17, v47
	v_mov_b32_e32 v18, v164
	v_mov_b32_e32 v19, v165
	v_mov_b32_e32 v20, v238
	v_mov_b32_e32 v21, v239
	v_mov_b32_e32 v26, v164
	v_mov_b32_e32 v22, v144
	v_mov_b32_e32 v23, v145
	v_mov_b32_e32 v255, v24
	scratch_store_dwordx4 off, v[64:67], off offset:2188 ; 16-byte Folded Spill
	s_nop 0
	scratch_store_dwordx4 off, v[68:71], off offset:2204 ; 16-byte Folded Spill
	scratch_store_dwordx4 off, v[72:75], off offset:2220 ; 16-byte Folded Spill
	;; [unrolled: 1-line block ×7, first 2 shown]
	v_mov_b32_e32 v64, v184
	scratch_store_dwordx4 off, v[174:177], off offset:2060 ; 16-byte Folded Spill
	s_nop 0
	scratch_store_dwordx4 off, v[178:181], off offset:2076 ; 16-byte Folded Spill
	scratch_store_dwordx4 off, v[182:185], off offset:2092 ; 16-byte Folded Spill
	scratch_store_dwordx4 off, v[186:189], off offset:2108 ; 16-byte Folded Spill
	scratch_store_dwordx4 off, v[190:193], off offset:2124 ; 16-byte Folded Spill
	scratch_store_dwordx4 off, v[194:197], off offset:2140 ; 16-byte Folded Spill
	scratch_store_dwordx4 off, v[198:201], off offset:2156 ; 16-byte Folded Spill
	scratch_store_dwordx4 off, v[202:205], off offset:2172 ; 16-byte Folded Spill
	v_mov_b32_e32 v176, v62
	v_mov_b32_e32 v174, v46
	;; [unrolled: 1-line block ×4, first 2 shown]
	scratch_store_dwordx4 off, v[76:79], off offset:1548 ; 16-byte Folded Spill
	s_nop 0
	scratch_store_dwordx4 off, v[80:83], off offset:1564 ; 16-byte Folded Spill
	scratch_store_dwordx4 off, v[84:87], off offset:1580 ; 16-byte Folded Spill
	scratch_store_dwordx4 off, v[88:91], off offset:1596 ; 16-byte Folded Spill
	scratch_store_dwordx4 off, v[92:95], off offset:1612 ; 16-byte Folded Spill
	scratch_store_dwordx4 off, v[96:99], off offset:1628 ; 16-byte Folded Spill
	scratch_store_dwordx4 off, v[100:103], off offset:1644 ; 16-byte Folded Spill
	scratch_store_dwordx4 off, v[104:107], off offset:1660 ; 16-byte Folded Spill
	scratch_store_dwordx4 off, v[48:51], off offset:1032 ; 16-byte Folded Spill
	s_nop 0
	scratch_store_dwordx4 off, v[52:55], off offset:1048 ; 16-byte Folded Spill
	scratch_store_dwordx4 off, v[56:59], off offset:1064 ; 16-byte Folded Spill
	;; [unrolled: 1-line block ×7, first 2 shown]
	v_mov_b32_e32 v68, v184
	scratch_store_dwordx4 off, v[30:33], off offset:772 ; 16-byte Folded Spill
	s_nop 0
	scratch_store_dwordx4 off, v[34:37], off offset:788 ; 16-byte Folded Spill
	scratch_store_dwordx4 off, v[38:41], off offset:804 ; 16-byte Folded Spill
	scratch_store_dwordx4 off, v[42:45], off offset:820 ; 16-byte Folded Spill
	scratch_store_dwordx4 off, v[46:49], off offset:836 ; 16-byte Folded Spill
	scratch_store_dwordx4 off, v[50:53], off offset:852 ; 16-byte Folded Spill
	scratch_store_dwordx4 off, v[54:57], off offset:868 ; 16-byte Folded Spill
	scratch_store_dwordx4 off, v[58:61], off offset:884 ; 16-byte Folded Spill
	scratch_store_dwordx4 off, v[146:149], off offset:644 ; 16-byte Folded Spill
	s_nop 0
	scratch_store_dwordx4 off, v[150:153], off offset:660 ; 16-byte Folded Spill
	scratch_store_dwordx4 off, v[154:157], off offset:676 ; 16-byte Folded Spill
	scratch_store_dwordx4 off, v[158:161], off offset:692 ; 16-byte Folded Spill
	scratch_store_dwordx4 off, v[162:165], off offset:708 ; 16-byte Folded Spill
	scratch_store_dwordx4 off, v[166:169], off offset:724 ; 16-byte Folded Spill
	scratch_store_dwordx4 off, v[170:173], off offset:740 ; 16-byte Folded Spill
	scratch_store_dwordx4 off, v[174:177], off offset:756 ; 16-byte Folded Spill
	;; [unrolled: 9-line block ×3, first 2 shown]
	v_mov_b32_e32 v29, v63
	v_mov_b32_e32 v48, v144
	;; [unrolled: 1-line block ×5, first 2 shown]
	scratch_store_dwordx4 off, v[26:29], off offset:4 ; 16-byte Folded Spill
	s_nop 0
	scratch_store_dwordx4 off, v[30:33], off offset:20 ; 16-byte Folded Spill
	scratch_store_dwordx4 off, v[34:37], off offset:36 ; 16-byte Folded Spill
	;; [unrolled: 1-line block ×7, first 2 shown]
.LBB48_168:
	s_or_b64 exec, exec, s[0:1]
	v_lshl_add_u32 v25, v253, 2, v252
	s_waitcnt vmcnt(63) expcnt(7) lgkmcnt(15)
	s_barrier
	ds_write_b32 v25, v68
	s_waitcnt lgkmcnt(0)
	s_barrier
	ds_read_b32 v25, v252 offset:40
	s_cmp_lt_i32 s22, 12
	v_mov_b32_e32 v48, 10
	s_cbranch_scc1 .LBB48_429
; %bb.169:
	scratch_load_dword v47, off, off offset:1028 ; 4-byte Folded Reload
	v_mov_b32_e32 v48, 10
	s_mov_b32 s0, 11
	v_mov_b32_e32 v31, v89
	v_mov_b32_e32 v33, v185
	s_waitcnt vmcnt(0)
	v_add3_u32 v47, v47, 0, 44
.LBB48_170:                             ; =>This Inner Loop Header: Depth=1
	ds_read_b32 v49, v47
	v_add_u32_e32 v47, 4, v47
	s_waitcnt lgkmcnt(0)
	v_cmp_lt_f32_e64 vcc, |v25|, |v49|
	s_nop 1
	v_cndmask_b32_e32 v25, v25, v49, vcc
	v_mov_b32_e32 v49, s0
	s_add_i32 s0, s0, 1
	v_cndmask_b32_e32 v48, v48, v49, vcc
	s_cmp_lg_u32 s22, s0
	s_cbranch_scc1 .LBB48_170
; %bb.171:
	v_cmp_eq_f32_e32 vcc, 0, v25
	s_and_saveexec_b64 s[0:1], vcc
	s_xor_b64 s[0:1], exec, s[0:1]
.LBB48_172:
	v_cmp_ne_u32_e32 vcc, 0, v74
	s_nop 1
	v_cndmask_b32_e32 v74, 11, v74, vcc
.LBB48_173:
	s_andn2_saveexec_b64 s[0:1], s[0:1]
	s_cbranch_execz .LBB48_175
; %bb.174:
	v_div_scale_f32 v47, s[2:3], v25, v25, 1.0
	v_rcp_f32_e32 v49, v47
	v_div_scale_f32 v50, vcc, 1.0, v25, 1.0
	v_fma_f32 v51, -v47, v49, 1.0
	v_fmac_f32_e32 v49, v51, v49
	v_mul_f32_e32 v51, v50, v49
	v_fma_f32 v52, -v47, v51, v50
	v_fmac_f32_e32 v51, v52, v49
	v_fma_f32 v47, -v47, v51, v50
	v_div_fmas_f32 v47, v47, v49, v51
	v_div_fixup_f32 v25, v47, v25, 1.0
.LBB48_175:
	s_or_b64 exec, exec, s[0:1]
	v_cmp_ne_u32_e32 vcc, v253, v48
	s_and_saveexec_b64 s[0:1], vcc
	s_xor_b64 s[0:1], exec, s[0:1]
	s_cbranch_execz .LBB48_181
; %bb.176:
	v_cmp_eq_u32_e32 vcc, 10, v253
	s_and_saveexec_b64 s[2:3], vcc
	s_cbranch_execz .LBB48_180
; %bb.177:
	v_cmp_ne_u32_e32 vcc, 10, v48
	s_xor_b64 s[18:19], s[16:17], -1
	s_and_b64 s[20:21], s[18:19], vcc
	s_and_saveexec_b64 s[18:19], s[20:21]
	s_cbranch_execz .LBB48_179
; %bb.178:
	scratch_load_dwordx2 v[52:53], off, off offset:3084 ; 8-byte Folded Reload
	v_ashrrev_i32_e32 v49, 31, v48
	s_waitcnt vmcnt(0)
	v_lshl_add_u64 v[50:51], v[48:49], 2, v[52:53]
	global_load_dword v47, v[50:51], off
	global_load_dword v49, v[52:53], off offset:40
	s_waitcnt vmcnt(1)
	global_store_dword v[52:53], v47, off offset:40
	s_waitcnt vmcnt(1)
	global_store_dword v[50:51], v49, off
.LBB48_179:
	s_or_b64 exec, exec, s[18:19]
	v_mov_b32_e32 v47, v48
	v_mov_b32_e32 v253, v48
	scratch_store_dword off, v47, off offset:1160 ; 4-byte Folded Spill
.LBB48_180:
	s_or_b64 exec, exec, s[2:3]
.LBB48_181:
	s_andn2_saveexec_b64 s[0:1], s[0:1]
	s_cbranch_execz .LBB48_183
; %bb.182:
	v_mov_b32_e32 v253, 10
	ds_write2_b32 v252, v11, v12 offset0:11 offset1:12
	ds_write2_b32 v252, v13, v14 offset0:13 offset1:14
	;; [unrolled: 1-line block ×7, first 2 shown]
.LBB48_183:
	s_or_b64 exec, exec, s[0:1]
	v_cmp_lt_i32_e32 vcc, 10, v253
	s_waitcnt lgkmcnt(0)
	s_barrier
	s_and_saveexec_b64 s[0:1], vcc
	s_cbranch_execz .LBB48_185
; %bb.184:
	scratch_load_dwordx4 v[26:29], off, off offset:2188 ; 16-byte Folded Reload
	scratch_load_dwordx4 v[30:33], off, off offset:2204 ; 16-byte Folded Reload
	;; [unrolled: 1-line block ×8, first 2 shown]
	ds_read2_b32 v[0:1], v252 offset0:11 offset1:12
	ds_read2_b32 v[4:5], v252 offset0:13 offset1:14
	;; [unrolled: 1-line block ×4, first 2 shown]
	v_mul_f32_e32 v68, v68, v25
	v_mov_b32_e32 v2, v11
	v_mov_b32_e32 v3, v12
	s_waitcnt vmcnt(2) lgkmcnt(3)
	v_pk_fma_f32 v[48:49], v[68:69], v[0:1], v[2:3] op_sel_hi:[0,1,1] neg_lo:[1,0,0] neg_hi:[1,0,0]
	v_mov_b32_e32 v0, v13
	v_mov_b32_e32 v1, v14
	s_waitcnt vmcnt(1) lgkmcnt(2)
	v_pk_fma_f32 v[50:51], v[68:69], v[4:5], v[0:1] op_sel_hi:[0,1,1] neg_lo:[1,0,0] neg_hi:[1,0,0]
	v_mov_b32_e32 v0, v15
	v_mov_b32_e32 v1, v16
	s_waitcnt lgkmcnt(1)
	v_pk_fma_f32 v[52:53], v[68:69], v[6:7], v[0:1] op_sel_hi:[0,1,1] neg_lo:[1,0,0] neg_hi:[1,0,0]
	v_mov_b32_e32 v0, v17
	v_mov_b32_e32 v1, v18
	s_waitcnt vmcnt(0) lgkmcnt(0)
	v_pk_fma_f32 v[54:55], v[68:69], v[8:9], v[0:1] op_sel_hi:[0,1,1] neg_lo:[1,0,0] neg_hi:[1,0,0]
	ds_read2_b32 v[0:1], v252 offset0:19 offset1:20
	ds_read2_b32 v[4:5], v252 offset0:21 offset1:22
	ds_read2_b32 v[6:7], v252 offset0:23 offset1:24
	v_mov_b32_e32 v2, v19
	v_mov_b32_e32 v3, v20
	;; [unrolled: 1-line block ×3, first 2 shown]
	s_waitcnt lgkmcnt(2)
	v_pk_fma_f32 v[56:57], v[68:69], v[0:1], v[2:3] op_sel_hi:[0,1,1] neg_lo:[1,0,0] neg_hi:[1,0,0]
	v_mov_b32_e32 v0, v21
	v_mov_b32_e32 v1, v22
	s_waitcnt lgkmcnt(1)
	v_pk_fma_f32 v[82:83], v[68:69], v[4:5], v[0:1] op_sel_hi:[0,1,1] neg_lo:[1,0,0] neg_hi:[1,0,0]
	v_mov_b32_e32 v0, v23
	v_mov_b32_e32 v1, v24
	;; [unrolled: 4-line block ×3, first 2 shown]
	v_mov_b32_e32 v69, v48
	v_mov_b32_e32 v132, v68
	v_mov_b32_e32 v143, v82
	v_mov_b32_e32 v144, v83
	v_mov_b32_e32 v133, v48
	v_mov_b32_e32 v134, v49
	v_mov_b32_e32 v135, v50
	v_mov_b32_e32 v136, v51
	v_mov_b32_e32 v137, v52
	v_mov_b32_e32 v138, v53
	v_mov_b32_e32 v139, v54
	v_mov_b32_e32 v140, v55
	v_mov_b32_e32 v141, v56
	v_mov_b32_e32 v142, v57
	v_mov_b32_e32 v114, v49
	v_mov_b32_e32 v176, v51
	v_mov_b32_e32 v174, v53
	v_mov_b32_e32 v117, v54
	v_mov_b32_e32 v178, v57
	v_mov_b64_e32 v[66:67], v[34:35]
	v_mov_b64_e32 v[64:65], v[32:33]
	;; [unrolled: 1-line block ×5, first 2 shown]
	v_mov_b32_e32 v0, v58
	v_mov_b32_e32 v1, v59
	;; [unrolled: 1-line block ×10, first 2 shown]
	scratch_store_dwordx4 off, v[0:3], off offset:1548 ; 16-byte Folded Spill
	s_nop 0
	scratch_store_dwordx4 off, v[4:7], off offset:1564 ; 16-byte Folded Spill
	scratch_store_dwordx4 off, v[8:11], off offset:1580 ; 16-byte Folded Spill
	scratch_store_dwordx4 off, v[12:15], off offset:1596 ; 16-byte Folded Spill
	scratch_store_dwordx4 off, v[16:19], off offset:1612 ; 16-byte Folded Spill
	scratch_store_dwordx4 off, v[20:23], off offset:1628 ; 16-byte Folded Spill
	scratch_store_dwordx4 off, v[24:27], off offset:1644 ; 16-byte Folded Spill
	scratch_store_dwordx4 off, v[28:31], off offset:1660 ; 16-byte Folded Spill
	v_mov_b32_e32 v13, v50
	v_mov_b32_e32 v122, v58
	;; [unrolled: 1-line block ×12, first 2 shown]
	scratch_store_dwordx4 off, v[0:3], off offset:1164 ; 16-byte Folded Spill
	s_nop 0
	scratch_store_dwordx4 off, v[4:7], off offset:1180 ; 16-byte Folded Spill
	scratch_store_dwordx4 off, v[8:11], off offset:1196 ; 16-byte Folded Spill
	scratch_store_dwordx4 off, v[12:15], off offset:1212 ; 16-byte Folded Spill
	scratch_store_dwordx4 off, v[16:19], off offset:1228 ; 16-byte Folded Spill
	scratch_store_dwordx4 off, v[20:23], off offset:1244 ; 16-byte Folded Spill
	scratch_store_dwordx4 off, v[24:27], off offset:1260 ; 16-byte Folded Spill
	scratch_store_dwordx4 off, v[28:31], off offset:1276 ; 16-byte Folded Spill
	v_mov_b32_e32 v14, v51
	scratch_store_dwordx4 off, v[0:3], off offset:1032 ; 16-byte Folded Spill
	s_nop 0
	scratch_store_dwordx4 off, v[4:7], off offset:1048 ; 16-byte Folded Spill
	scratch_store_dwordx4 off, v[8:11], off offset:1064 ; 16-byte Folded Spill
	scratch_store_dwordx4 off, v[12:15], off offset:1080 ; 16-byte Folded Spill
	scratch_store_dwordx4 off, v[16:19], off offset:1096 ; 16-byte Folded Spill
	scratch_store_dwordx4 off, v[20:23], off offset:1112 ; 16-byte Folded Spill
	scratch_store_dwordx4 off, v[24:27], off offset:1128 ; 16-byte Folded Spill
	scratch_store_dwordx4 off, v[28:31], off offset:1144 ; 16-byte Folded Spill
	v_mov_b32_e32 v15, v52
	;; [unrolled: 10-line block ×9, first 2 shown]
	scratch_store_dwordx4 off, v[58:61], off offset:1676 ; 16-byte Folded Spill
	s_nop 0
	scratch_store_dwordx4 off, v[62:65], off offset:1692 ; 16-byte Folded Spill
	scratch_store_dwordx4 off, v[66:69], off offset:1708 ; 16-byte Folded Spill
	;; [unrolled: 1-line block ×8, first 2 shown]
	s_nop 0
	scratch_store_dwordx4 off, v[62:65], off offset:2076 ; 16-byte Folded Spill
	scratch_store_dwordx4 off, v[66:69], off offset:2092 ; 16-byte Folded Spill
	;; [unrolled: 1-line block ×7, first 2 shown]
	v_mov_b32_e32 v23, v254
	v_mov_b32_e32 v24, v255
	;; [unrolled: 1-line block ×8, first 2 shown]
	scratch_store_dwordx4 off, v[26:29], off offset:4 ; 16-byte Folded Spill
	s_nop 0
	scratch_store_dwordx4 off, v[30:33], off offset:20 ; 16-byte Folded Spill
	scratch_store_dwordx4 off, v[34:37], off offset:36 ; 16-byte Folded Spill
	;; [unrolled: 1-line block ×7, first 2 shown]
.LBB48_185:
	s_or_b64 exec, exec, s[0:1]
	v_lshl_add_u32 v25, v253, 2, v252
	s_waitcnt vmcnt(63) expcnt(7) lgkmcnt(15)
	s_barrier
	ds_write_b32 v25, v33
	s_waitcnt lgkmcnt(0)
	s_barrier
	ds_read_b32 v25, v252 offset:44
	s_cmp_lt_i32 s22, 13
	v_mov_b32_e32 v48, 11
	s_cbranch_scc1 .LBB48_188
; %bb.186:
	scratch_load_dword v47, off, off offset:1028 ; 4-byte Folded Reload
	v_mov_b32_e32 v48, 11
	s_mov_b32 s0, 12
	s_waitcnt vmcnt(0)
	v_add3_u32 v47, v47, 0, 48
.LBB48_187:                             ; =>This Inner Loop Header: Depth=1
	ds_read_b32 v49, v47
	v_add_u32_e32 v47, 4, v47
	s_waitcnt lgkmcnt(0)
	v_cmp_lt_f32_e64 vcc, |v25|, |v49|
	s_nop 1
	v_cndmask_b32_e32 v25, v25, v49, vcc
	v_mov_b32_e32 v49, s0
	s_add_i32 s0, s0, 1
	v_cndmask_b32_e32 v48, v48, v49, vcc
	s_cmp_lg_u32 s22, s0
	s_cbranch_scc1 .LBB48_187
.LBB48_188:
	s_waitcnt lgkmcnt(0)
	v_cmp_eq_f32_e32 vcc, 0, v25
	s_and_saveexec_b64 s[0:1], vcc
	s_xor_b64 s[0:1], exec, s[0:1]
; %bb.189:
	v_cmp_ne_u32_e32 vcc, 0, v74
	s_nop 1
	v_cndmask_b32_e32 v74, 12, v74, vcc
; %bb.190:
	s_andn2_saveexec_b64 s[0:1], s[0:1]
	s_cbranch_execz .LBB48_192
; %bb.191:
	v_div_scale_f32 v47, s[2:3], v25, v25, 1.0
	v_rcp_f32_e32 v49, v47
	v_div_scale_f32 v50, vcc, 1.0, v25, 1.0
	v_fma_f32 v51, -v47, v49, 1.0
	v_fmac_f32_e32 v49, v51, v49
	v_mul_f32_e32 v51, v50, v49
	v_fma_f32 v52, -v47, v51, v50
	v_fmac_f32_e32 v51, v52, v49
	v_fma_f32 v47, -v47, v51, v50
	v_div_fmas_f32 v47, v47, v49, v51
	v_div_fixup_f32 v25, v47, v25, 1.0
.LBB48_192:
	s_or_b64 exec, exec, s[0:1]
	v_cmp_ne_u32_e32 vcc, v253, v48
	s_and_saveexec_b64 s[0:1], vcc
	s_xor_b64 s[0:1], exec, s[0:1]
	s_cbranch_execz .LBB48_198
; %bb.193:
	v_cmp_eq_u32_e32 vcc, 11, v253
	s_and_saveexec_b64 s[2:3], vcc
	s_cbranch_execz .LBB48_197
; %bb.194:
	v_cmp_ne_u32_e32 vcc, 11, v48
	s_xor_b64 s[18:19], s[16:17], -1
	s_and_b64 s[20:21], s[18:19], vcc
	s_and_saveexec_b64 s[18:19], s[20:21]
	s_cbranch_execz .LBB48_196
; %bb.195:
	scratch_load_dwordx2 v[52:53], off, off offset:3084 ; 8-byte Folded Reload
	v_ashrrev_i32_e32 v49, 31, v48
	s_waitcnt vmcnt(0)
	v_lshl_add_u64 v[50:51], v[48:49], 2, v[52:53]
	global_load_dword v47, v[50:51], off
	global_load_dword v49, v[52:53], off offset:44
	s_waitcnt vmcnt(1)
	global_store_dword v[52:53], v47, off offset:44
	s_waitcnt vmcnt(1)
	global_store_dword v[50:51], v49, off
.LBB48_196:
	s_or_b64 exec, exec, s[18:19]
	v_mov_b32_e32 v47, v48
	v_mov_b32_e32 v253, v48
	scratch_store_dword off, v47, off offset:1160 ; 4-byte Folded Spill
.LBB48_197:
	s_or_b64 exec, exec, s[2:3]
.LBB48_198:
	s_or_saveexec_b64 s[0:1], s[0:1]
	v_mov_b32_e32 v89, v31
	s_xor_b64 exec, exec, s[0:1]
	s_cbranch_execz .LBB48_200
; %bb.199:
	v_mov_b32_e32 v253, 11
	ds_write2_b32 v252, v12, v13 offset0:12 offset1:13
	ds_write2_b32 v252, v14, v15 offset0:14 offset1:15
	;; [unrolled: 1-line block ×6, first 2 shown]
	ds_write_b32 v252, v255 offset:96
.LBB48_200:
	s_or_b64 exec, exec, s[0:1]
	v_cmp_lt_i32_e32 vcc, 11, v253
	s_waitcnt lgkmcnt(0)
	s_barrier
	s_and_saveexec_b64 s[0:1], vcc
	s_cbranch_execz .LBB48_202
; %bb.201:
	ds_read2_b32 v[2:3], v252 offset0:12 offset1:13
	ds_read2_b32 v[4:5], v252 offset0:14 offset1:15
	;; [unrolled: 1-line block ×4, first 2 shown]
	v_mul_f32_e32 v0, v33, v25
	v_mov_b32_e32 v101, v0
	s_waitcnt lgkmcnt(3)
	v_pk_fma_f32 v[88:89], v[0:1], v[2:3], v[12:13] op_sel_hi:[0,1,1] neg_lo:[1,0,0] neg_hi:[1,0,0]
	s_waitcnt lgkmcnt(2)
	v_pk_fma_f32 v[62:63], v[0:1], v[4:5], v[14:15] op_sel_hi:[0,1,1] neg_lo:[1,0,0] neg_hi:[1,0,0]
	ds_read2_b32 v[2:3], v252 offset0:20 offset1:21
	ds_read2_b32 v[4:5], v252 offset0:22 offset1:23
	s_waitcnt lgkmcnt(3)
	v_pk_fma_f32 v[46:47], v[0:1], v[6:7], v[16:17] op_sel_hi:[0,1,1] neg_lo:[1,0,0] neg_hi:[1,0,0]
	s_waitcnt lgkmcnt(2)
	v_pk_fma_f32 v[164:165], v[0:1], v[8:9], v[18:19] op_sel_hi:[0,1,1] neg_lo:[1,0,0] neg_hi:[1,0,0]
	ds_read_b32 v1, v252 offset:96
	scratch_load_dwordx4 v[174:177], off, off offset:2060 ; 16-byte Folded Reload
	scratch_load_dwordx4 v[178:181], off, off offset:2076 ; 16-byte Folded Reload
	;; [unrolled: 1-line block ×8, first 2 shown]
	v_mov_b32_e32 v13, v0
	v_mov_b32_e32 v14, v88
	;; [unrolled: 1-line block ×3, first 2 shown]
	s_waitcnt lgkmcnt(0)
	v_pk_fma_f32 v[226:227], v[0:1], v[2:3], v[20:21] op_sel_hi:[0,1,1] neg_lo:[1,0,0] neg_hi:[1,0,0]
	v_pk_fma_f32 v[144:145], v[0:1], v[4:5], v[22:23] op_sel_hi:[0,1,1] neg_lo:[1,0,0] neg_hi:[1,0,0]
	v_mov_b32_e32 v102, v88
	v_mov_b32_e32 v103, v89
	;; [unrolled: 1-line block ×10, first 2 shown]
	s_waitcnt vmcnt(5)
	v_mov_b32_e32 v185, v0
	v_mov_b32_e32 v87, v0
	;; [unrolled: 1-line block ×49, first 2 shown]
	scratch_store_dwordx4 off, v[2:5], off offset:1164 ; 16-byte Folded Spill
	s_nop 0
	scratch_store_dwordx4 off, v[6:9], off offset:1180 ; 16-byte Folded Spill
	scratch_store_dwordx4 off, v[10:13], off offset:1196 ; 16-byte Folded Spill
	;; [unrolled: 1-line block ×7, first 2 shown]
	v_mov_b32_e32 v16, v62
	v_mov_b32_e32 v17, v63
	;; [unrolled: 1-line block ×59, first 2 shown]
	scratch_store_dwordx4 off, v[2:5], off offset:900 ; 16-byte Folded Spill
	s_nop 0
	scratch_store_dwordx4 off, v[6:9], off offset:916 ; 16-byte Folded Spill
	scratch_store_dwordx4 off, v[10:13], off offset:932 ; 16-byte Folded Spill
	;; [unrolled: 1-line block ×7, first 2 shown]
	s_nop 1
	v_mov_b32_e32 v30, v174
	v_mov_b32_e32 v31, v175
	v_mov_b32_e32 v32, v176
	v_mov_b32_e32 v33, v177
	v_mov_b32_e32 v18, v46
	v_mov_b32_e32 v19, v47
	v_mov_b32_e32 v212, v180
	v_mov_b32_e32 v213, v181
	v_mov_b32_e32 v214, v182
	v_mov_b32_e32 v215, v183
	v_mov_b32_e32 v216, v184
	v_mov_b32_e32 v122, v174
	v_mov_b32_e32 v123, v175
	v_mov_b32_e32 v124, v176
	v_mov_b32_e32 v125, v177
	v_mov_b32_e32 v126, v178
	v_mov_b32_e32 v127, v179
	v_mov_b32_e32 v128, v180
	v_mov_b32_e32 v129, v181
	v_mov_b32_e32 v130, v182
	v_mov_b32_e32 v131, v183
	v_mov_b32_e32 v132, v184
	scratch_store_dwordx4 off, v[2:5], off offset:132 ; 16-byte Folded Spill
	s_nop 0
	scratch_store_dwordx4 off, v[6:9], off offset:148 ; 16-byte Folded Spill
	scratch_store_dwordx4 off, v[10:13], off offset:164 ; 16-byte Folded Spill
	;; [unrolled: 1-line block ×7, first 2 shown]
	v_mov_b32_e32 v20, v164
	v_mov_b32_e32 v21, v165
	scratch_store_dwordx4 off, v[2:5], off offset:516 ; 16-byte Folded Spill
	s_nop 0
	scratch_store_dwordx4 off, v[6:9], off offset:532 ; 16-byte Folded Spill
	scratch_store_dwordx4 off, v[10:13], off offset:548 ; 16-byte Folded Spill
	;; [unrolled: 1-line block ×8, first 2 shown]
	s_nop 0
	scratch_store_dwordx4 off, v[94:97], off offset:276 ; 16-byte Folded Spill
	scratch_store_dwordx4 off, v[98:101], off offset:292 ; 16-byte Folded Spill
	;; [unrolled: 1-line block ×7, first 2 shown]
	v_fma_f32 v24, -v0, v1, v255
	v_mov_b32_e32 v11, v0
	v_mov_b32_e32 v0, v174
	v_mov_b32_e32 v1, v175
	v_mov_b32_e32 v2, v176
	v_mov_b32_e32 v3, v177
	v_mov_b32_e32 v4, v178
	v_mov_b32_e32 v5, v179
	v_mov_b32_e32 v6, v180
	v_mov_b32_e32 v7, v181
	v_mov_b32_e32 v8, v182
	v_mov_b32_e32 v9, v183
	v_mov_b32_e32 v10, v184
	v_mov_b32_e32 v12, v88
	v_mov_b32_e32 v13, v89
	scratch_store_dwordx4 off, v[174:177], off offset:1676 ; 16-byte Folded Spill
	s_nop 0
	scratch_store_dwordx4 off, v[178:181], off offset:1692 ; 16-byte Folded Spill
	scratch_store_dwordx4 off, v[182:185], off offset:1708 ; 16-byte Folded Spill
	s_waitcnt vmcnt(47)
	scratch_store_dwordx4 off, v[186:189], off offset:1724 ; 16-byte Folded Spill
	s_waitcnt vmcnt(47)
	;; [unrolled: 2-line block ×5, first 2 shown]
	scratch_store_dwordx4 off, v[202:205], off offset:1788 ; 16-byte Folded Spill
	v_mov_b32_e32 v114, v88
	v_mov_b32_e32 v14, v62
	;; [unrolled: 1-line block ×16, first 2 shown]
	scratch_store_dwordx4 off, v[76:79], off offset:1548 ; 16-byte Folded Spill
	s_nop 0
	scratch_store_dwordx4 off, v[80:83], off offset:1564 ; 16-byte Folded Spill
	scratch_store_dwordx4 off, v[84:87], off offset:1580 ; 16-byte Folded Spill
	scratch_store_dwordx4 off, v[88:91], off offset:1596 ; 16-byte Folded Spill
	scratch_store_dwordx4 off, v[92:95], off offset:1612 ; 16-byte Folded Spill
	scratch_store_dwordx4 off, v[96:99], off offset:1628 ; 16-byte Folded Spill
	scratch_store_dwordx4 off, v[100:103], off offset:1644 ; 16-byte Folded Spill
	scratch_store_dwordx4 off, v[104:107], off offset:1660 ; 16-byte Folded Spill
	scratch_store_dwordx4 off, v[48:51], off offset:1032 ; 16-byte Folded Spill
	s_nop 0
	scratch_store_dwordx4 off, v[52:55], off offset:1048 ; 16-byte Folded Spill
	scratch_store_dwordx4 off, v[56:59], off offset:1064 ; 16-byte Folded Spill
	scratch_store_dwordx4 off, v[60:63], off offset:1080 ; 16-byte Folded Spill
	scratch_store_dwordx4 off, v[64:67], off offset:1096 ; 16-byte Folded Spill
	scratch_store_dwordx4 off, v[68:71], off offset:1112 ; 16-byte Folded Spill
	scratch_store_dwordx4 off, v[72:75], off offset:1128 ; 16-byte Folded Spill
	scratch_store_dwordx4 off, v[76:79], off offset:1144 ; 16-byte Folded Spill
	;; [unrolled: 9-line block ×5, first 2 shown]
	v_mov_b32_e32 v29, v63
	v_mov_b32_e32 v48, v144
	;; [unrolled: 1-line block ×5, first 2 shown]
	scratch_store_dwordx4 off, v[26:29], off offset:4 ; 16-byte Folded Spill
	s_nop 0
	scratch_store_dwordx4 off, v[30:33], off offset:20 ; 16-byte Folded Spill
	scratch_store_dwordx4 off, v[34:37], off offset:36 ; 16-byte Folded Spill
	;; [unrolled: 1-line block ×7, first 2 shown]
.LBB48_202:
	s_or_b64 exec, exec, s[0:1]
	v_lshl_add_u32 v25, v253, 2, v252
	s_waitcnt vmcnt(63) expcnt(7) lgkmcnt(15)
	s_barrier
	ds_write_b32 v25, v114
	s_waitcnt lgkmcnt(0)
	s_barrier
	ds_read_b32 v25, v252 offset:48
	s_cmp_lt_i32 s22, 14
	v_mov_b32_e32 v48, 12
	s_cbranch_scc1 .LBB48_430
; %bb.203:
	scratch_load_dword v47, off, off offset:1028 ; 4-byte Folded Reload
	v_mov_b32_e32 v48, 12
	s_mov_b32 s0, 13
	v_mov_b32_e32 v31, v89
	s_waitcnt vmcnt(0)
	v_add3_u32 v47, v47, 0, 52
.LBB48_204:                             ; =>This Inner Loop Header: Depth=1
	ds_read_b32 v49, v47
	v_add_u32_e32 v47, 4, v47
	s_waitcnt lgkmcnt(0)
	v_cmp_lt_f32_e64 vcc, |v25|, |v49|
	s_nop 1
	v_cndmask_b32_e32 v25, v25, v49, vcc
	v_mov_b32_e32 v49, s0
	s_add_i32 s0, s0, 1
	v_cndmask_b32_e32 v48, v48, v49, vcc
	s_cmp_lg_u32 s22, s0
	s_cbranch_scc1 .LBB48_204
; %bb.205:
	v_cmp_eq_f32_e32 vcc, 0, v25
	s_and_saveexec_b64 s[0:1], vcc
	s_xor_b64 s[0:1], exec, s[0:1]
.LBB48_206:
	v_cmp_ne_u32_e32 vcc, 0, v74
	s_nop 1
	v_cndmask_b32_e32 v74, 13, v74, vcc
.LBB48_207:
	s_andn2_saveexec_b64 s[0:1], s[0:1]
	s_cbranch_execz .LBB48_209
; %bb.208:
	v_div_scale_f32 v47, s[2:3], v25, v25, 1.0
	v_rcp_f32_e32 v49, v47
	v_div_scale_f32 v50, vcc, 1.0, v25, 1.0
	v_fma_f32 v51, -v47, v49, 1.0
	v_fmac_f32_e32 v49, v51, v49
	v_mul_f32_e32 v51, v50, v49
	v_fma_f32 v52, -v47, v51, v50
	v_fmac_f32_e32 v51, v52, v49
	v_fma_f32 v47, -v47, v51, v50
	v_div_fmas_f32 v47, v47, v49, v51
	v_div_fixup_f32 v25, v47, v25, 1.0
.LBB48_209:
	s_or_b64 exec, exec, s[0:1]
	v_cmp_ne_u32_e32 vcc, v253, v48
	s_and_saveexec_b64 s[0:1], vcc
	s_xor_b64 s[0:1], exec, s[0:1]
	s_cbranch_execz .LBB48_215
; %bb.210:
	v_cmp_eq_u32_e32 vcc, 12, v253
	s_and_saveexec_b64 s[2:3], vcc
	s_cbranch_execz .LBB48_214
; %bb.211:
	v_cmp_ne_u32_e32 vcc, 12, v48
	s_xor_b64 s[18:19], s[16:17], -1
	s_and_b64 s[20:21], s[18:19], vcc
	s_and_saveexec_b64 s[18:19], s[20:21]
	s_cbranch_execz .LBB48_213
; %bb.212:
	scratch_load_dwordx2 v[52:53], off, off offset:3084 ; 8-byte Folded Reload
	v_ashrrev_i32_e32 v49, 31, v48
	s_waitcnt vmcnt(0)
	v_lshl_add_u64 v[50:51], v[48:49], 2, v[52:53]
	global_load_dword v47, v[50:51], off
	global_load_dword v49, v[52:53], off offset:48
	s_waitcnt vmcnt(1)
	global_store_dword v[52:53], v47, off offset:48
	s_waitcnt vmcnt(1)
	global_store_dword v[50:51], v49, off
.LBB48_213:
	s_or_b64 exec, exec, s[18:19]
	v_mov_b32_e32 v47, v48
	v_mov_b32_e32 v253, v48
	scratch_store_dword off, v47, off offset:1160 ; 4-byte Folded Spill
.LBB48_214:
	s_or_b64 exec, exec, s[2:3]
.LBB48_215:
	s_andn2_saveexec_b64 s[0:1], s[0:1]
	s_cbranch_execz .LBB48_217
; %bb.216:
	v_mov_b32_e32 v253, 12
	ds_write2_b32 v252, v13, v14 offset0:13 offset1:14
	ds_write2_b32 v252, v15, v16 offset0:15 offset1:16
	;; [unrolled: 1-line block ×6, first 2 shown]
.LBB48_217:
	s_or_b64 exec, exec, s[0:1]
	v_cmp_lt_i32_e32 vcc, 12, v253
	s_waitcnt lgkmcnt(0)
	s_barrier
	s_and_saveexec_b64 s[0:1], vcc
	s_cbranch_execz .LBB48_219
; %bb.218:
	scratch_load_dwordx4 v[26:29], off, off offset:1676 ; 16-byte Folded Reload
	scratch_load_dwordx4 v[30:33], off, off offset:1692 ; 16-byte Folded Reload
	;; [unrolled: 1-line block ×8, first 2 shown]
	ds_read2_b32 v[0:1], v252 offset0:13 offset1:14
	ds_read2_b32 v[4:5], v252 offset0:15 offset1:16
	;; [unrolled: 1-line block ×4, first 2 shown]
	v_mul_f32_e32 v70, v114, v25
	v_mov_b32_e32 v2, v13
	v_mov_b32_e32 v3, v14
	s_waitcnt vmcnt(2) lgkmcnt(3)
	v_pk_fma_f32 v[48:49], v[70:71], v[0:1], v[2:3] op_sel_hi:[0,1,1] neg_lo:[1,0,0] neg_hi:[1,0,0]
	v_mov_b32_e32 v0, v15
	v_mov_b32_e32 v1, v16
	ds_read2_b32 v[2:3], v252 offset0:21 offset1:22
	s_waitcnt vmcnt(1) lgkmcnt(3)
	v_pk_fma_f32 v[50:51], v[70:71], v[4:5], v[0:1] op_sel_hi:[0,1,1] neg_lo:[1,0,0] neg_hi:[1,0,0]
	ds_read2_b32 v[4:5], v252 offset0:23 offset1:24
	v_mov_b32_e32 v0, v17
	v_mov_b32_e32 v1, v18
	s_waitcnt lgkmcnt(3)
	v_pk_fma_f32 v[52:53], v[70:71], v[6:7], v[0:1] op_sel_hi:[0,1,1] neg_lo:[1,0,0] neg_hi:[1,0,0]
	v_mov_b32_e32 v0, v19
	v_mov_b32_e32 v1, v20
	s_waitcnt vmcnt(0) lgkmcnt(2)
	v_pk_fma_f32 v[54:55], v[70:71], v[8:9], v[0:1] op_sel_hi:[0,1,1] neg_lo:[1,0,0] neg_hi:[1,0,0]
	v_mov_b32_e32 v0, v21
	v_mov_b32_e32 v1, v22
	s_waitcnt lgkmcnt(1)
	v_pk_fma_f32 v[56:57], v[70:71], v[2:3], v[0:1] op_sel_hi:[0,1,1] neg_lo:[1,0,0] neg_hi:[1,0,0]
	v_mov_b32_e32 v0, v23
	v_mov_b32_e32 v1, v24
	s_waitcnt lgkmcnt(0)
	v_pk_fma_f32 v[254:255], v[70:71], v[4:5], v[0:1] op_sel_hi:[0,1,1] neg_lo:[1,0,0] neg_hi:[1,0,0]
	v_mov_b32_e32 v12, v70
	v_mov_b32_e32 v13, v48
	;; [unrolled: 1-line block ×20, first 2 shown]
	v_mov_b64_e32 v[68:69], v[36:37]
	v_mov_b64_e32 v[66:67], v[34:35]
	;; [unrolled: 1-line block ×6, first 2 shown]
	v_mov_b32_e32 v0, v58
	v_mov_b32_e32 v1, v59
	;; [unrolled: 1-line block ×12, first 2 shown]
	scratch_store_dwordx4 off, v[0:3], off offset:1032 ; 16-byte Folded Spill
	s_nop 0
	scratch_store_dwordx4 off, v[4:7], off offset:1048 ; 16-byte Folded Spill
	scratch_store_dwordx4 off, v[8:11], off offset:1064 ; 16-byte Folded Spill
	;; [unrolled: 1-line block ×7, first 2 shown]
	v_mov_b32_e32 v15, v50
	v_mov_b32_e32 v122, v58
	;; [unrolled: 1-line block ×13, first 2 shown]
	scratch_store_dwordx4 off, v[0:3], off offset:900 ; 16-byte Folded Spill
	s_nop 0
	scratch_store_dwordx4 off, v[4:7], off offset:916 ; 16-byte Folded Spill
	scratch_store_dwordx4 off, v[8:11], off offset:932 ; 16-byte Folded Spill
	scratch_store_dwordx4 off, v[12:15], off offset:948 ; 16-byte Folded Spill
	scratch_store_dwordx4 off, v[16:19], off offset:964 ; 16-byte Folded Spill
	scratch_store_dwordx4 off, v[20:23], off offset:980 ; 16-byte Folded Spill
	scratch_store_dwordx4 off, v[24:27], off offset:996 ; 16-byte Folded Spill
	scratch_store_dwordx4 off, v[28:31], off offset:1012 ; 16-byte Folded Spill
	v_mov_b32_e32 v16, v51
	scratch_store_dwordx4 off, v[0:3], off offset:772 ; 16-byte Folded Spill
	s_nop 0
	scratch_store_dwordx4 off, v[4:7], off offset:788 ; 16-byte Folded Spill
	scratch_store_dwordx4 off, v[8:11], off offset:804 ; 16-byte Folded Spill
	scratch_store_dwordx4 off, v[12:15], off offset:820 ; 16-byte Folded Spill
	scratch_store_dwordx4 off, v[16:19], off offset:836 ; 16-byte Folded Spill
	scratch_store_dwordx4 off, v[20:23], off offset:852 ; 16-byte Folded Spill
	scratch_store_dwordx4 off, v[24:27], off offset:868 ; 16-byte Folded Spill
	scratch_store_dwordx4 off, v[28:31], off offset:884 ; 16-byte Folded Spill
	v_mov_b32_e32 v17, v52
	;; [unrolled: 10-line block ×7, first 2 shown]
	v_mov_b32_e32 v23, v254
	v_mov_b32_e32 v24, v255
	;; [unrolled: 1-line block ×7, first 2 shown]
	scratch_store_dwordx4 off, v[58:61], off offset:1164 ; 16-byte Folded Spill
	s_nop 0
	scratch_store_dwordx4 off, v[62:65], off offset:1180 ; 16-byte Folded Spill
	scratch_store_dwordx4 off, v[66:69], off offset:1196 ; 16-byte Folded Spill
	scratch_store_dwordx4 off, v[70:73], off offset:1212 ; 16-byte Folded Spill
	scratch_store_dwordx4 off, v[74:77], off offset:1228 ; 16-byte Folded Spill
	scratch_store_dwordx4 off, v[78:81], off offset:1244 ; 16-byte Folded Spill
	scratch_store_dwordx4 off, v[82:85], off offset:1260 ; 16-byte Folded Spill
	scratch_store_dwordx4 off, v[86:89], off offset:1276 ; 16-byte Folded Spill
	scratch_store_dwordx4 off, v[58:61], off offset:1548 ; 16-byte Folded Spill
	s_nop 0
	scratch_store_dwordx4 off, v[62:65], off offset:1564 ; 16-byte Folded Spill
	scratch_store_dwordx4 off, v[66:69], off offset:1580 ; 16-byte Folded Spill
	scratch_store_dwordx4 off, v[70:73], off offset:1596 ; 16-byte Folded Spill
	scratch_store_dwordx4 off, v[74:77], off offset:1612 ; 16-byte Folded Spill
	scratch_store_dwordx4 off, v[78:81], off offset:1628 ; 16-byte Folded Spill
	scratch_store_dwordx4 off, v[82:85], off offset:1644 ; 16-byte Folded Spill
	scratch_store_dwordx4 off, v[86:89], off offset:1660 ; 16-byte Folded Spill
	;; [unrolled: 9-line block ×3, first 2 shown]
.LBB48_219:
	s_or_b64 exec, exec, s[0:1]
	v_lshl_add_u32 v25, v253, 2, v252
	s_waitcnt vmcnt(63) expcnt(7) lgkmcnt(15)
	s_barrier
	ds_write_b32 v25, v31
	s_waitcnt lgkmcnt(0)
	s_barrier
	ds_read_b32 v25, v252 offset:52
	s_cmp_lt_i32 s22, 15
	v_mov_b32_e32 v48, 13
	s_cbranch_scc1 .LBB48_222
; %bb.220:
	scratch_load_dword v47, off, off offset:1028 ; 4-byte Folded Reload
	v_mov_b32_e32 v48, 13
	s_mov_b32 s0, 14
	s_waitcnt vmcnt(0)
	v_add3_u32 v47, v47, 0, 56
.LBB48_221:                             ; =>This Inner Loop Header: Depth=1
	ds_read_b32 v49, v47
	v_mov_b32_e32 v50, s0
	s_add_i32 s0, s0, 1
	v_add_u32_e32 v47, 4, v47
	s_cmp_lg_u32 s22, s0
	s_waitcnt lgkmcnt(0)
	v_cmp_lt_f32_e64 vcc, |v25|, |v49|
	s_nop 1
	v_cndmask_b32_e32 v25, v25, v49, vcc
	v_cndmask_b32_e32 v48, v48, v50, vcc
	s_cbranch_scc1 .LBB48_221
.LBB48_222:
	s_waitcnt lgkmcnt(0)
	v_cmp_eq_f32_e32 vcc, 0, v25
	s_and_saveexec_b64 s[0:1], vcc
	s_xor_b64 s[0:1], exec, s[0:1]
; %bb.223:
	v_cmp_ne_u32_e32 vcc, 0, v74
	s_nop 1
	v_cndmask_b32_e32 v74, 14, v74, vcc
; %bb.224:
	s_andn2_saveexec_b64 s[0:1], s[0:1]
	s_cbranch_execz .LBB48_226
; %bb.225:
	v_div_scale_f32 v47, s[2:3], v25, v25, 1.0
	v_rcp_f32_e32 v49, v47
	v_div_scale_f32 v50, vcc, 1.0, v25, 1.0
	v_fma_f32 v51, -v47, v49, 1.0
	v_fmac_f32_e32 v49, v51, v49
	v_mul_f32_e32 v51, v50, v49
	v_fma_f32 v52, -v47, v51, v50
	v_fmac_f32_e32 v51, v52, v49
	v_fma_f32 v47, -v47, v51, v50
	v_div_fmas_f32 v47, v47, v49, v51
	v_div_fixup_f32 v25, v47, v25, 1.0
.LBB48_226:
	s_or_b64 exec, exec, s[0:1]
	v_cmp_ne_u32_e32 vcc, v253, v48
	s_and_saveexec_b64 s[0:1], vcc
	s_xor_b64 s[0:1], exec, s[0:1]
	s_cbranch_execz .LBB48_232
; %bb.227:
	v_cmp_eq_u32_e32 vcc, 13, v253
	s_and_saveexec_b64 s[2:3], vcc
	s_cbranch_execz .LBB48_231
; %bb.228:
	v_cmp_ne_u32_e32 vcc, 13, v48
	s_xor_b64 s[18:19], s[16:17], -1
	s_and_b64 s[20:21], s[18:19], vcc
	s_and_saveexec_b64 s[18:19], s[20:21]
	s_cbranch_execz .LBB48_230
; %bb.229:
	scratch_load_dwordx2 v[52:53], off, off offset:3084 ; 8-byte Folded Reload
	v_ashrrev_i32_e32 v49, 31, v48
	s_waitcnt vmcnt(0)
	v_lshl_add_u64 v[50:51], v[48:49], 2, v[52:53]
	global_load_dword v47, v[50:51], off
	global_load_dword v49, v[52:53], off offset:52
	s_waitcnt vmcnt(1)
	global_store_dword v[52:53], v47, off offset:52
	s_waitcnt vmcnt(1)
	global_store_dword v[50:51], v49, off
.LBB48_230:
	s_or_b64 exec, exec, s[18:19]
	v_mov_b32_e32 v47, v48
	v_mov_b32_e32 v253, v48
	scratch_store_dword off, v47, off offset:1160 ; 4-byte Folded Spill
.LBB48_231:
	s_or_b64 exec, exec, s[2:3]
.LBB48_232:
	s_andn2_saveexec_b64 s[0:1], s[0:1]
	s_cbranch_execz .LBB48_234
; %bb.233:
	v_mov_b32_e32 v253, 13
	ds_write2_b32 v252, v14, v15 offset0:14 offset1:15
	ds_write2_b32 v252, v16, v17 offset0:16 offset1:17
	;; [unrolled: 1-line block ×5, first 2 shown]
	ds_write_b32 v252, v255 offset:96
.LBB48_234:
	s_or_b64 exec, exec, s[0:1]
	v_cmp_lt_i32_e32 vcc, 13, v253
	s_waitcnt lgkmcnt(0)
	s_barrier
	s_and_saveexec_b64 s[0:1], vcc
	s_cbranch_execz .LBB48_236
; %bb.235:
	ds_read2_b32 v[0:1], v252 offset0:14 offset1:15
	ds_read2_b32 v[4:5], v252 offset0:16 offset1:17
	;; [unrolled: 1-line block ×4, first 2 shown]
	v_mul_f32_e32 v2, v31, v25
	v_mov_b32_e32 v61, v2
	s_waitcnt lgkmcnt(2)
	v_pk_fma_f32 v[46:47], v[2:3], v[4:5], v[16:17] op_sel_hi:[0,1,1] neg_lo:[1,0,0] neg_hi:[1,0,0]
	v_pk_fma_f32 v[62:63], v[2:3], v[0:1], v[14:15] op_sel_hi:[0,1,1] neg_lo:[1,0,0] neg_hi:[1,0,0]
	ds_read2_b32 v[0:1], v252 offset0:22 offset1:23
	s_waitcnt lgkmcnt(2)
	v_pk_fma_f32 v[164:165], v[2:3], v[6:7], v[18:19] op_sel_hi:[0,1,1] neg_lo:[1,0,0] neg_hi:[1,0,0]
	s_waitcnt lgkmcnt(1)
	v_pk_fma_f32 v[226:227], v[2:3], v[8:9], v[20:21] op_sel_hi:[0,1,1] neg_lo:[1,0,0] neg_hi:[1,0,0]
	ds_read_b32 v3, v252 offset:96
	scratch_load_dwordx4 v[76:79], off, off offset:1548 ; 16-byte Folded Reload
	scratch_load_dwordx4 v[80:83], off, off offset:1564 ; 16-byte Folded Reload
	;; [unrolled: 1-line block ×8, first 2 shown]
	v_mov_b32_e32 v17, v2
	v_mov_b32_e32 v18, v62
	;; [unrolled: 1-line block ×3, first 2 shown]
	s_waitcnt lgkmcnt(0)
	v_pk_fma_f32 v[144:145], v[2:3], v[0:1], v[22:23] op_sel_hi:[0,1,1] neg_lo:[1,0,0] neg_hi:[1,0,0]
	s_waitcnt vmcnt(1)
	v_mov_b32_e32 v103, v2
	s_waitcnt vmcnt(0)
	v_mov_b32_e32 v104, v62
	v_mov_b32_e32 v105, v63
	;; [unrolled: 1-line block ×50, first 2 shown]
	scratch_store_dwordx4 off, v[4:7], off offset:900 ; 16-byte Folded Spill
	s_nop 0
	scratch_store_dwordx4 off, v[8:11], off offset:916 ; 16-byte Folded Spill
	scratch_store_dwordx4 off, v[12:15], off offset:932 ; 16-byte Folded Spill
	;; [unrolled: 1-line block ×7, first 2 shown]
	v_mov_b32_e32 v20, v46
	v_mov_b32_e32 v30, v76
	;; [unrolled: 1-line block ×58, first 2 shown]
	scratch_store_dwordx4 off, v[4:7], off offset:132 ; 16-byte Folded Spill
	s_nop 0
	scratch_store_dwordx4 off, v[8:11], off offset:148 ; 16-byte Folded Spill
	scratch_store_dwordx4 off, v[12:15], off offset:164 ; 16-byte Folded Spill
	;; [unrolled: 1-line block ×7, first 2 shown]
	v_mov_b32_e32 v22, v164
	v_mov_b32_e32 v23, v165
	;; [unrolled: 1-line block ×26, first 2 shown]
	scratch_store_dwordx4 off, v[4:7], off offset:516 ; 16-byte Folded Spill
	s_nop 0
	scratch_store_dwordx4 off, v[8:11], off offset:532 ; 16-byte Folded Spill
	scratch_store_dwordx4 off, v[12:15], off offset:548 ; 16-byte Folded Spill
	;; [unrolled: 1-line block ×8, first 2 shown]
	s_nop 0
	scratch_store_dwordx4 off, v[94:97], off offset:276 ; 16-byte Folded Spill
	scratch_store_dwordx4 off, v[98:101], off offset:292 ; 16-byte Folded Spill
	;; [unrolled: 1-line block ×7, first 2 shown]
	v_fma_f32 v24, -v2, v3, v255
	v_mov_b32_e32 v13, v2
	v_mov_b32_e32 v2, v78
	;; [unrolled: 1-line block ×24, first 2 shown]
	scratch_store_dwordx4 off, v[76:79], off offset:1164 ; 16-byte Folded Spill
	s_nop 0
	scratch_store_dwordx4 off, v[80:83], off offset:1180 ; 16-byte Folded Spill
	scratch_store_dwordx4 off, v[84:87], off offset:1196 ; 16-byte Folded Spill
	scratch_store_dwordx4 off, v[88:91], off offset:1212 ; 16-byte Folded Spill
	scratch_store_dwordx4 off, v[92:95], off offset:1228 ; 16-byte Folded Spill
	scratch_store_dwordx4 off, v[96:99], off offset:1244 ; 16-byte Folded Spill
	scratch_store_dwordx4 off, v[100:103], off offset:1260 ; 16-byte Folded Spill
	scratch_store_dwordx4 off, v[104:107], off offset:1276 ; 16-byte Folded Spill
	scratch_store_dwordx4 off, v[48:51], off offset:1032 ; 16-byte Folded Spill
	s_nop 0
	scratch_store_dwordx4 off, v[52:55], off offset:1048 ; 16-byte Folded Spill
	scratch_store_dwordx4 off, v[56:59], off offset:1064 ; 16-byte Folded Spill
	scratch_store_dwordx4 off, v[60:63], off offset:1080 ; 16-byte Folded Spill
	scratch_store_dwordx4 off, v[64:67], off offset:1096 ; 16-byte Folded Spill
	scratch_store_dwordx4 off, v[68:71], off offset:1112 ; 16-byte Folded Spill
	scratch_store_dwordx4 off, v[72:75], off offset:1128 ; 16-byte Folded Spill
	scratch_store_dwordx4 off, v[76:79], off offset:1144 ; 16-byte Folded Spill
	;; [unrolled: 9-line block ×5, first 2 shown]
	v_mov_b32_e32 v29, v63
	v_mov_b32_e32 v48, v144
	;; [unrolled: 1-line block ×5, first 2 shown]
	scratch_store_dwordx4 off, v[26:29], off offset:4 ; 16-byte Folded Spill
	s_nop 0
	scratch_store_dwordx4 off, v[30:33], off offset:20 ; 16-byte Folded Spill
	scratch_store_dwordx4 off, v[34:37], off offset:36 ; 16-byte Folded Spill
	;; [unrolled: 1-line block ×7, first 2 shown]
.LBB48_236:
	s_or_b64 exec, exec, s[0:1]
	v_lshl_add_u32 v25, v253, 2, v252
	s_waitcnt vmcnt(63) expcnt(7) lgkmcnt(15)
	s_barrier
	ds_write_b32 v25, v176
	s_waitcnt lgkmcnt(0)
	s_barrier
	ds_read_b32 v25, v252 offset:56
	s_cmp_lt_i32 s22, 16
	v_mov_b32_e32 v48, 14
	s_cbranch_scc1 .LBB48_239
; %bb.237:
	scratch_load_dword v47, off, off offset:1028 ; 4-byte Folded Reload
	v_mov_b32_e32 v48, 14
	s_mov_b32 s0, 15
	s_waitcnt vmcnt(0)
	v_add3_u32 v47, v47, 0, 60
.LBB48_238:                             ; =>This Inner Loop Header: Depth=1
	ds_read_b32 v49, v47
	v_mov_b32_e32 v50, s0
	s_add_i32 s0, s0, 1
	v_add_u32_e32 v47, 4, v47
	s_cmp_lg_u32 s22, s0
	s_waitcnt lgkmcnt(0)
	v_cmp_lt_f32_e64 vcc, |v25|, |v49|
	s_nop 1
	v_cndmask_b32_e32 v25, v25, v49, vcc
	v_cndmask_b32_e32 v48, v48, v50, vcc
	s_cbranch_scc1 .LBB48_238
.LBB48_239:
	s_waitcnt lgkmcnt(0)
	v_cmp_eq_f32_e32 vcc, 0, v25
	s_and_saveexec_b64 s[0:1], vcc
	s_xor_b64 s[0:1], exec, s[0:1]
; %bb.240:
	v_cmp_ne_u32_e32 vcc, 0, v74
	s_nop 1
	v_cndmask_b32_e32 v74, 15, v74, vcc
; %bb.241:
	s_andn2_saveexec_b64 s[0:1], s[0:1]
	s_cbranch_execz .LBB48_243
; %bb.242:
	v_div_scale_f32 v47, s[2:3], v25, v25, 1.0
	v_rcp_f32_e32 v49, v47
	v_div_scale_f32 v50, vcc, 1.0, v25, 1.0
	v_fma_f32 v51, -v47, v49, 1.0
	v_fmac_f32_e32 v49, v51, v49
	v_mul_f32_e32 v51, v50, v49
	v_fma_f32 v52, -v47, v51, v50
	v_fmac_f32_e32 v51, v52, v49
	v_fma_f32 v47, -v47, v51, v50
	v_div_fmas_f32 v47, v47, v49, v51
	v_div_fixup_f32 v25, v47, v25, 1.0
.LBB48_243:
	s_or_b64 exec, exec, s[0:1]
	v_cmp_ne_u32_e32 vcc, v253, v48
	s_and_saveexec_b64 s[0:1], vcc
	s_xor_b64 s[0:1], exec, s[0:1]
	s_cbranch_execz .LBB48_249
; %bb.244:
	v_cmp_eq_u32_e32 vcc, 14, v253
	s_and_saveexec_b64 s[2:3], vcc
	s_cbranch_execz .LBB48_248
; %bb.245:
	v_cmp_ne_u32_e32 vcc, 14, v48
	s_xor_b64 s[18:19], s[16:17], -1
	s_and_b64 s[20:21], s[18:19], vcc
	s_and_saveexec_b64 s[18:19], s[20:21]
	s_cbranch_execz .LBB48_247
; %bb.246:
	scratch_load_dwordx2 v[52:53], off, off offset:3084 ; 8-byte Folded Reload
	v_ashrrev_i32_e32 v49, 31, v48
	s_waitcnt vmcnt(0)
	v_lshl_add_u64 v[50:51], v[48:49], 2, v[52:53]
	global_load_dword v47, v[50:51], off
	global_load_dword v49, v[52:53], off offset:56
	s_waitcnt vmcnt(1)
	global_store_dword v[52:53], v47, off offset:56
	s_waitcnt vmcnt(1)
	global_store_dword v[50:51], v49, off
.LBB48_247:
	s_or_b64 exec, exec, s[18:19]
	v_mov_b32_e32 v47, v48
	v_mov_b32_e32 v253, v48
	scratch_store_dword off, v47, off offset:1160 ; 4-byte Folded Spill
.LBB48_248:
	s_or_b64 exec, exec, s[2:3]
.LBB48_249:
	s_andn2_saveexec_b64 s[0:1], s[0:1]
	s_cbranch_execz .LBB48_251
; %bb.250:
	v_mov_b32_e32 v253, 14
	ds_write2_b32 v252, v15, v16 offset0:15 offset1:16
	ds_write2_b32 v252, v17, v18 offset0:17 offset1:18
	;; [unrolled: 1-line block ×5, first 2 shown]
.LBB48_251:
	s_or_b64 exec, exec, s[0:1]
	v_cmp_lt_i32_e32 vcc, 14, v253
	s_waitcnt lgkmcnt(0)
	s_barrier
	s_and_saveexec_b64 s[0:1], vcc
	s_cbranch_execz .LBB48_253
; %bb.252:
	scratch_load_dwordx4 v[26:29], off, off offset:1164 ; 16-byte Folded Reload
	scratch_load_dwordx4 v[30:33], off, off offset:1180 ; 16-byte Folded Reload
	;; [unrolled: 1-line block ×8, first 2 shown]
	ds_read2_b32 v[0:1], v252 offset0:15 offset1:16
	v_mul_f32_e32 v70, v176, v25
	v_mov_b32_e32 v2, v15
	v_mov_b32_e32 v3, v16
	ds_read2_b32 v[4:5], v252 offset0:17 offset1:18
	ds_read2_b32 v[6:7], v252 offset0:19 offset1:20
	;; [unrolled: 1-line block ×3, first 2 shown]
	s_waitcnt vmcnt(2) lgkmcnt(3)
	v_pk_fma_f32 v[48:49], v[70:71], v[0:1], v[2:3] op_sel_hi:[0,1,1] neg_lo:[1,0,0] neg_hi:[1,0,0]
	ds_read2_b32 v[2:3], v252 offset0:23 offset1:24
	v_mov_b32_e32 v0, v17
	v_mov_b32_e32 v1, v18
	s_waitcnt vmcnt(1) lgkmcnt(3)
	v_pk_fma_f32 v[50:51], v[70:71], v[4:5], v[0:1] op_sel_hi:[0,1,1] neg_lo:[1,0,0] neg_hi:[1,0,0]
	v_mov_b32_e32 v0, v19
	v_mov_b32_e32 v1, v20
	s_waitcnt lgkmcnt(2)
	v_pk_fma_f32 v[52:53], v[70:71], v[6:7], v[0:1] op_sel_hi:[0,1,1] neg_lo:[1,0,0] neg_hi:[1,0,0]
	v_mov_b32_e32 v0, v21
	v_mov_b32_e32 v1, v22
	s_waitcnt vmcnt(0) lgkmcnt(1)
	v_pk_fma_f32 v[54:55], v[70:71], v[8:9], v[0:1] op_sel_hi:[0,1,1] neg_lo:[1,0,0] neg_hi:[1,0,0]
	v_mov_b32_e32 v0, v23
	v_mov_b32_e32 v1, v24
	s_waitcnt lgkmcnt(0)
	v_pk_fma_f32 v[254:255], v[70:71], v[2:3], v[0:1] op_sel_hi:[0,1,1] neg_lo:[1,0,0] neg_hi:[1,0,0]
	v_mov_b32_e32 v14, v70
	v_mov_b32_e32 v15, v48
	;; [unrolled: 1-line block ×17, first 2 shown]
	v_mov_b64_e32 v[66:67], v[36:37]
	v_mov_b64_e32 v[64:65], v[34:35]
	;; [unrolled: 1-line block ×7, first 2 shown]
	v_mov_b32_e32 v0, v56
	v_mov_b32_e32 v1, v57
	;; [unrolled: 1-line block ×14, first 2 shown]
	scratch_store_dwordx4 off, v[0:3], off offset:772 ; 16-byte Folded Spill
	s_nop 0
	scratch_store_dwordx4 off, v[4:7], off offset:788 ; 16-byte Folded Spill
	scratch_store_dwordx4 off, v[8:11], off offset:804 ; 16-byte Folded Spill
	;; [unrolled: 1-line block ×7, first 2 shown]
	v_mov_b32_e32 v17, v50
	v_mov_b32_e32 v122, v56
	;; [unrolled: 1-line block ×15, first 2 shown]
	scratch_store_dwordx4 off, v[0:3], off offset:132 ; 16-byte Folded Spill
	s_nop 0
	scratch_store_dwordx4 off, v[4:7], off offset:148 ; 16-byte Folded Spill
	scratch_store_dwordx4 off, v[8:11], off offset:164 ; 16-byte Folded Spill
	scratch_store_dwordx4 off, v[12:15], off offset:180 ; 16-byte Folded Spill
	scratch_store_dwordx4 off, v[16:19], off offset:196 ; 16-byte Folded Spill
	scratch_store_dwordx4 off, v[20:23], off offset:212 ; 16-byte Folded Spill
	scratch_store_dwordx4 off, v[24:27], off offset:228 ; 16-byte Folded Spill
	scratch_store_dwordx4 off, v[28:31], off offset:244 ; 16-byte Folded Spill
	v_mov_b32_e32 v18, v51
	scratch_store_dwordx4 off, v[0:3], off offset:644 ; 16-byte Folded Spill
	s_nop 0
	scratch_store_dwordx4 off, v[4:7], off offset:660 ; 16-byte Folded Spill
	scratch_store_dwordx4 off, v[8:11], off offset:676 ; 16-byte Folded Spill
	scratch_store_dwordx4 off, v[12:15], off offset:692 ; 16-byte Folded Spill
	scratch_store_dwordx4 off, v[16:19], off offset:708 ; 16-byte Folded Spill
	scratch_store_dwordx4 off, v[20:23], off offset:724 ; 16-byte Folded Spill
	scratch_store_dwordx4 off, v[24:27], off offset:740 ; 16-byte Folded Spill
	scratch_store_dwordx4 off, v[28:31], off offset:756 ; 16-byte Folded Spill
	v_mov_b32_e32 v19, v52
	;; [unrolled: 10-line block ×4, first 2 shown]
	scratch_store_dwordx4 off, v[0:3], off offset:260 ; 16-byte Folded Spill
	s_nop 0
	scratch_store_dwordx4 off, v[4:7], off offset:276 ; 16-byte Folded Spill
	scratch_store_dwordx4 off, v[8:11], off offset:292 ; 16-byte Folded Spill
	scratch_store_dwordx4 off, v[12:15], off offset:308 ; 16-byte Folded Spill
	scratch_store_dwordx4 off, v[16:19], off offset:324 ; 16-byte Folded Spill
	scratch_store_dwordx4 off, v[20:23], off offset:340 ; 16-byte Folded Spill
	scratch_store_dwordx4 off, v[24:27], off offset:356 ; 16-byte Folded Spill
	scratch_store_dwordx4 off, v[28:31], off offset:372 ; 16-byte Folded Spill
	scratch_store_dwordx4 off, v[56:59], off offset:900 ; 16-byte Folded Spill
	s_nop 0
	scratch_store_dwordx4 off, v[60:63], off offset:916 ; 16-byte Folded Spill
	scratch_store_dwordx4 off, v[64:67], off offset:932 ; 16-byte Folded Spill
	scratch_store_dwordx4 off, v[68:71], off offset:948 ; 16-byte Folded Spill
	scratch_store_dwordx4 off, v[72:75], off offset:964 ; 16-byte Folded Spill
	scratch_store_dwordx4 off, v[76:79], off offset:980 ; 16-byte Folded Spill
	scratch_store_dwordx4 off, v[80:83], off offset:996 ; 16-byte Folded Spill
	scratch_store_dwordx4 off, v[84:87], off offset:1012 ; 16-byte Folded Spill
	;; [unrolled: 9-line block ×3, first 2 shown]
	v_mov_b32_e32 v22, v55
	v_mov_b32_e32 v23, v254
	v_mov_b32_e32 v24, v255
	v_mov_b32_e32 v29, v48
	v_mov_b32_e32 v26, v51
	v_mov_b32_e32 v27, v52
	v_mov_b32_e32 v48, v55
	scratch_store_dwordx4 off, v[26:29], off offset:4 ; 16-byte Folded Spill
	s_nop 0
	scratch_store_dwordx4 off, v[30:33], off offset:20 ; 16-byte Folded Spill
	scratch_store_dwordx4 off, v[34:37], off offset:36 ; 16-byte Folded Spill
	;; [unrolled: 1-line block ×7, first 2 shown]
.LBB48_253:
	s_or_b64 exec, exec, s[0:1]
	v_lshl_add_u32 v25, v253, 2, v252
	s_waitcnt vmcnt(63) expcnt(7) lgkmcnt(15)
	s_barrier
	ds_write_b32 v25, v29
	s_waitcnt lgkmcnt(0)
	s_barrier
	ds_read_b32 v25, v252 offset:60
	s_cmp_lt_i32 s22, 17
	v_mov_b32_e32 v48, 15
	s_cbranch_scc1 .LBB48_256
; %bb.254:
	scratch_load_dword v47, off, off offset:1028 ; 4-byte Folded Reload
	v_mov_b32_e32 v48, 15
	s_mov_b32 s0, 16
	s_waitcnt vmcnt(0)
	v_add3_u32 v47, v47, 0, 64
.LBB48_255:                             ; =>This Inner Loop Header: Depth=1
	ds_read_b32 v49, v47
	v_mov_b32_e32 v50, s0
	s_add_i32 s0, s0, 1
	v_add_u32_e32 v47, 4, v47
	s_cmp_lg_u32 s22, s0
	s_waitcnt lgkmcnt(0)
	v_cmp_lt_f32_e64 vcc, |v25|, |v49|
	s_nop 1
	v_cndmask_b32_e32 v25, v25, v49, vcc
	v_cndmask_b32_e32 v48, v48, v50, vcc
	s_cbranch_scc1 .LBB48_255
.LBB48_256:
	s_waitcnt lgkmcnt(0)
	v_cmp_eq_f32_e32 vcc, 0, v25
	s_and_saveexec_b64 s[0:1], vcc
	s_xor_b64 s[0:1], exec, s[0:1]
; %bb.257:
	v_cmp_ne_u32_e32 vcc, 0, v74
	s_nop 1
	v_cndmask_b32_e32 v74, 16, v74, vcc
; %bb.258:
	s_andn2_saveexec_b64 s[0:1], s[0:1]
	s_cbranch_execz .LBB48_260
; %bb.259:
	v_div_scale_f32 v47, s[2:3], v25, v25, 1.0
	v_rcp_f32_e32 v49, v47
	v_div_scale_f32 v50, vcc, 1.0, v25, 1.0
	v_fma_f32 v51, -v47, v49, 1.0
	v_fmac_f32_e32 v49, v51, v49
	v_mul_f32_e32 v51, v50, v49
	v_fma_f32 v52, -v47, v51, v50
	v_fmac_f32_e32 v51, v52, v49
	v_fma_f32 v47, -v47, v51, v50
	v_div_fmas_f32 v47, v47, v49, v51
	v_div_fixup_f32 v25, v47, v25, 1.0
.LBB48_260:
	s_or_b64 exec, exec, s[0:1]
	v_cmp_ne_u32_e32 vcc, v253, v48
	s_and_saveexec_b64 s[0:1], vcc
	s_xor_b64 s[0:1], exec, s[0:1]
	s_cbranch_execz .LBB48_266
; %bb.261:
	v_cmp_eq_u32_e32 vcc, 15, v253
	s_and_saveexec_b64 s[2:3], vcc
	s_cbranch_execz .LBB48_265
; %bb.262:
	v_cmp_ne_u32_e32 vcc, 15, v48
	s_xor_b64 s[18:19], s[16:17], -1
	s_and_b64 s[20:21], s[18:19], vcc
	s_and_saveexec_b64 s[18:19], s[20:21]
	s_cbranch_execz .LBB48_264
; %bb.263:
	scratch_load_dwordx2 v[52:53], off, off offset:3084 ; 8-byte Folded Reload
	v_ashrrev_i32_e32 v49, 31, v48
	s_waitcnt vmcnt(0)
	v_lshl_add_u64 v[50:51], v[48:49], 2, v[52:53]
	global_load_dword v47, v[50:51], off
	global_load_dword v49, v[52:53], off offset:60
	s_waitcnt vmcnt(1)
	global_store_dword v[52:53], v47, off offset:60
	s_waitcnt vmcnt(1)
	global_store_dword v[50:51], v49, off
.LBB48_264:
	s_or_b64 exec, exec, s[18:19]
	v_mov_b32_e32 v47, v48
	v_mov_b32_e32 v253, v48
	scratch_store_dword off, v47, off offset:1160 ; 4-byte Folded Spill
.LBB48_265:
	s_or_b64 exec, exec, s[2:3]
.LBB48_266:
	s_andn2_saveexec_b64 s[0:1], s[0:1]
	s_cbranch_execz .LBB48_268
; %bb.267:
	v_mov_b32_e32 v253, 15
	ds_write2_b32 v252, v16, v17 offset0:16 offset1:17
	ds_write2_b32 v252, v18, v19 offset0:18 offset1:19
	;; [unrolled: 1-line block ×4, first 2 shown]
	ds_write_b32 v252, v255 offset:96
.LBB48_268:
	s_or_b64 exec, exec, s[0:1]
	v_cmp_lt_i32_e32 vcc, 15, v253
	s_waitcnt lgkmcnt(0)
	s_barrier
	s_and_saveexec_b64 s[0:1], vcc
	s_cbranch_execz .LBB48_270
; %bb.269:
	ds_read2_b32 v[0:1], v252 offset0:16 offset1:17
	ds_read2_b32 v[2:3], v252 offset0:18 offset1:19
	;; [unrolled: 1-line block ×4, first 2 shown]
	v_mul_f32_e32 v8, v29, v25
	s_waitcnt lgkmcnt(3)
	v_pk_fma_f32 v[222:223], v[8:9], v[0:1], v[16:17] op_sel_hi:[0,1,1] neg_lo:[1,0,0] neg_hi:[1,0,0]
	s_waitcnt lgkmcnt(2)
	v_pk_fma_f32 v[164:165], v[8:9], v[2:3], v[18:19] op_sel_hi:[0,1,1] neg_lo:[1,0,0] neg_hi:[1,0,0]
	;; [unrolled: 2-line block ×4, first 2 shown]
	ds_read_b32 v0, v252 offset:96
	scratch_load_dwordx4 v[10:13], off, off offset:1032 ; 16-byte Folded Reload
	scratch_load_dwordx4 v[14:17], off, off offset:1048 ; 16-byte Folded Reload
	;; [unrolled: 1-line block ×8, first 2 shown]
	s_waitcnt vmcnt(4)
	v_mov_b32_e32 v25, v8
	s_waitcnt vmcnt(3)
	v_mov_b32_e32 v26, v222
	v_mov_b32_e32 v27, v223
	;; [unrolled: 1-line block ×29, first 2 shown]
	v_mov_b64_e32 v[68:69], v[20:21]
	v_mov_b32_e32 v72, v24
	v_mov_b64_e32 v[66:67], v[18:19]
	v_mov_b64_e32 v[64:65], v[16:17]
	;; [unrolled: 1-line block ×5, first 2 shown]
	v_mov_b32_e32 v71, v23
	v_mov_b32_e32 v70, v22
	scratch_store_dwordx4 off, v[10:13], off offset:132 ; 16-byte Folded Spill
	s_nop 0
	scratch_store_dwordx4 off, v[14:17], off offset:148 ; 16-byte Folded Spill
	scratch_store_dwordx4 off, v[18:21], off offset:164 ; 16-byte Folded Spill
	;; [unrolled: 1-line block ×4, first 2 shown]
	s_waitcnt vmcnt(7)
	scratch_store_dwordx4 off, v[30:33], off offset:212 ; 16-byte Folded Spill
	s_waitcnt vmcnt(7)
	scratch_store_dwordx4 off, v[34:37], off offset:228 ; 16-byte Folded Spill
	;; [unrolled: 2-line block ×3, first 2 shown]
	v_mov_b32_e32 v28, v164
	v_mov_b32_e32 v29, v165
	;; [unrolled: 1-line block ×66, first 2 shown]
	scratch_store_dwordx4 off, v[10:13], off offset:516 ; 16-byte Folded Spill
	s_nop 0
	scratch_store_dwordx4 off, v[14:17], off offset:532 ; 16-byte Folded Spill
	scratch_store_dwordx4 off, v[18:21], off offset:548 ; 16-byte Folded Spill
	;; [unrolled: 1-line block ×8, first 2 shown]
	s_nop 0
	scratch_store_dwordx4 off, v[80:83], off offset:276 ; 16-byte Folded Spill
	scratch_store_dwordx4 off, v[84:87], off offset:292 ; 16-byte Folded Spill
	scratch_store_dwordx4 off, v[88:91], off offset:308 ; 16-byte Folded Spill
	scratch_store_dwordx4 off, v[92:95], off offset:324 ; 16-byte Folded Spill
	scratch_store_dwordx4 off, v[96:99], off offset:340 ; 16-byte Folded Spill
	scratch_store_dwordx4 off, v[100:103], off offset:356 ; 16-byte Folded Spill
	scratch_store_dwordx4 off, v[104:107], off offset:372 ; 16-byte Folded Spill
	v_mov_b32_e32 v30, v58
	v_mov_b32_e32 v31, v59
	;; [unrolled: 1-line block ×12, first 2 shown]
	s_waitcnt lgkmcnt(0)
	v_fma_f32 v24, -v8, v0, v255
	v_mov_b32_e32 v15, v8
	v_mov_b32_e32 v0, v58
	;; [unrolled: 1-line block ×25, first 2 shown]
	scratch_store_dwordx4 off, v[58:61], off offset:900 ; 16-byte Folded Spill
	s_nop 0
	scratch_store_dwordx4 off, v[62:65], off offset:916 ; 16-byte Folded Spill
	scratch_store_dwordx4 off, v[66:69], off offset:932 ; 16-byte Folded Spill
	scratch_store_dwordx4 off, v[70:73], off offset:948 ; 16-byte Folded Spill
	scratch_store_dwordx4 off, v[74:77], off offset:964 ; 16-byte Folded Spill
	scratch_store_dwordx4 off, v[78:81], off offset:980 ; 16-byte Folded Spill
	scratch_store_dwordx4 off, v[82:85], off offset:996 ; 16-byte Folded Spill
	scratch_store_dwordx4 off, v[86:89], off offset:1012 ; 16-byte Folded Spill
	scratch_store_dwordx4 off, v[206:209], off offset:772 ; 16-byte Folded Spill
	s_nop 0
	scratch_store_dwordx4 off, v[210:213], off offset:788 ; 16-byte Folded Spill
	scratch_store_dwordx4 off, v[214:217], off offset:804 ; 16-byte Folded Spill
	scratch_store_dwordx4 off, v[218:221], off offset:820 ; 16-byte Folded Spill
	scratch_store_dwordx4 off, v[222:225], off offset:836 ; 16-byte Folded Spill
	scratch_store_dwordx4 off, v[226:229], off offset:852 ; 16-byte Folded Spill
	scratch_store_dwordx4 off, v[230:233], off offset:868 ; 16-byte Folded Spill
	scratch_store_dwordx4 off, v[234:237], off offset:884 ; 16-byte Folded Spill
	scratch_store_dwordx4 off, v[146:149], off offset:644 ; 16-byte Folded Spill
	s_nop 0
	scratch_store_dwordx4 off, v[150:153], off offset:660 ; 16-byte Folded Spill
	scratch_store_dwordx4 off, v[154:157], off offset:676 ; 16-byte Folded Spill
	scratch_store_dwordx4 off, v[158:161], off offset:692 ; 16-byte Folded Spill
	scratch_store_dwordx4 off, v[162:165], off offset:708 ; 16-byte Folded Spill
	scratch_store_dwordx4 off, v[166:169], off offset:724 ; 16-byte Folded Spill
	scratch_store_dwordx4 off, v[170:173], off offset:740 ; 16-byte Folded Spill
	scratch_store_dwordx4 off, v[174:177], off offset:756 ; 16-byte Folded Spill
	scratch_store_dwordx4 off, v[30:33], off offset:388 ; 16-byte Folded Spill
	s_nop 0
	scratch_store_dwordx4 off, v[34:37], off offset:404 ; 16-byte Folded Spill
	scratch_store_dwordx4 off, v[38:41], off offset:420 ; 16-byte Folded Spill
	scratch_store_dwordx4 off, v[42:45], off offset:436 ; 16-byte Folded Spill
	scratch_store_dwordx4 off, v[46:49], off offset:452 ; 16-byte Folded Spill
	scratch_store_dwordx4 off, v[50:53], off offset:468 ; 16-byte Folded Spill
	scratch_store_dwordx4 off, v[54:57], off offset:484 ; 16-byte Folded Spill
	scratch_store_dwordx4 off, v[58:61], off offset:500 ; 16-byte Folded Spill
	v_mov_b32_e32 v117, v223
	v_mov_b32_e32 v27, v165
	;; [unrolled: 1-line block ×4, first 2 shown]
	scratch_store_dwordx4 off, v[26:29], off offset:4 ; 16-byte Folded Spill
	s_nop 0
	scratch_store_dwordx4 off, v[30:33], off offset:20 ; 16-byte Folded Spill
	scratch_store_dwordx4 off, v[34:37], off offset:36 ; 16-byte Folded Spill
	;; [unrolled: 1-line block ×7, first 2 shown]
.LBB48_270:
	s_or_b64 exec, exec, s[0:1]
	v_lshl_add_u32 v25, v253, 2, v252
	s_waitcnt vmcnt(63) expcnt(7) lgkmcnt(15)
	s_barrier
	ds_write_b32 v25, v174
	s_waitcnt lgkmcnt(0)
	s_barrier
	ds_read_b32 v25, v252 offset:64
	s_cmp_lt_i32 s22, 18
	v_mov_b32_e32 v48, 16
	s_cbranch_scc1 .LBB48_273
; %bb.271:
	v_add_u32_e32 v47, 0x44, v252
	v_mov_b32_e32 v48, 16
	s_mov_b32 s0, 17
.LBB48_272:                             ; =>This Inner Loop Header: Depth=1
	ds_read_b32 v49, v47
	v_mov_b32_e32 v50, s0
	s_add_i32 s0, s0, 1
	v_add_u32_e32 v47, 4, v47
	s_cmp_lg_u32 s22, s0
	s_waitcnt lgkmcnt(0)
	v_cmp_lt_f32_e64 vcc, |v25|, |v49|
	s_nop 1
	v_cndmask_b32_e32 v25, v25, v49, vcc
	v_cndmask_b32_e32 v48, v48, v50, vcc
	s_cbranch_scc1 .LBB48_272
.LBB48_273:
	s_waitcnt lgkmcnt(0)
	v_cmp_eq_f32_e32 vcc, 0, v25
	s_and_saveexec_b64 s[0:1], vcc
	s_xor_b64 s[0:1], exec, s[0:1]
; %bb.274:
	v_cmp_ne_u32_e32 vcc, 0, v74
	s_nop 1
	v_cndmask_b32_e32 v74, 17, v74, vcc
; %bb.275:
	s_andn2_saveexec_b64 s[0:1], s[0:1]
	s_cbranch_execz .LBB48_277
; %bb.276:
	v_div_scale_f32 v47, s[2:3], v25, v25, 1.0
	v_rcp_f32_e32 v49, v47
	v_div_scale_f32 v50, vcc, 1.0, v25, 1.0
	v_fma_f32 v51, -v47, v49, 1.0
	v_fmac_f32_e32 v49, v51, v49
	v_mul_f32_e32 v51, v50, v49
	v_fma_f32 v52, -v47, v51, v50
	v_fmac_f32_e32 v51, v52, v49
	v_fma_f32 v47, -v47, v51, v50
	v_div_fmas_f32 v47, v47, v49, v51
	v_div_fixup_f32 v25, v47, v25, 1.0
.LBB48_277:
	s_or_b64 exec, exec, s[0:1]
	v_cmp_ne_u32_e32 vcc, v253, v48
	s_and_saveexec_b64 s[0:1], vcc
	s_xor_b64 s[0:1], exec, s[0:1]
	s_cbranch_execz .LBB48_283
; %bb.278:
	v_cmp_eq_u32_e32 vcc, 16, v253
	s_and_saveexec_b64 s[2:3], vcc
	s_cbranch_execz .LBB48_282
; %bb.279:
	v_cmp_ne_u32_e32 vcc, 16, v48
	s_xor_b64 s[18:19], s[16:17], -1
	s_and_b64 s[20:21], s[18:19], vcc
	s_and_saveexec_b64 s[18:19], s[20:21]
	s_cbranch_execz .LBB48_281
; %bb.280:
	scratch_load_dwordx2 v[52:53], off, off offset:3084 ; 8-byte Folded Reload
	v_ashrrev_i32_e32 v49, 31, v48
	s_waitcnt vmcnt(0)
	v_lshl_add_u64 v[50:51], v[48:49], 2, v[52:53]
	global_load_dword v47, v[50:51], off
	global_load_dword v49, v[52:53], off offset:64
	s_waitcnt vmcnt(1)
	global_store_dword v[52:53], v47, off offset:64
	s_waitcnt vmcnt(1)
	global_store_dword v[50:51], v49, off
.LBB48_281:
	s_or_b64 exec, exec, s[18:19]
	v_mov_b32_e32 v47, v48
	v_mov_b32_e32 v253, v48
	scratch_store_dword off, v47, off offset:1160 ; 4-byte Folded Spill
.LBB48_282:
	s_or_b64 exec, exec, s[2:3]
.LBB48_283:
	s_andn2_saveexec_b64 s[0:1], s[0:1]
	s_cbranch_execz .LBB48_285
; %bb.284:
	v_mov_b32_e32 v253, 16
	ds_write2_b32 v252, v17, v18 offset0:17 offset1:18
	ds_write2_b32 v252, v19, v20 offset0:19 offset1:20
	;; [unrolled: 1-line block ×4, first 2 shown]
.LBB48_285:
	s_or_b64 exec, exec, s[0:1]
	v_cmp_lt_i32_e32 vcc, 16, v253
	s_waitcnt lgkmcnt(0)
	s_barrier
	s_and_saveexec_b64 s[0:1], vcc
	s_cbranch_execz .LBB48_287
; %bb.286:
	scratch_load_dwordx4 v[218:221], off, off offset:900 ; 16-byte Folded Reload
	scratch_load_dwordx4 v[222:225], off, off offset:916 ; 16-byte Folded Reload
	;; [unrolled: 1-line block ×8, first 2 shown]
	ds_read2_b32 v[0:1], v252 offset0:17 offset1:18
	ds_read2_b32 v[4:5], v252 offset0:19 offset1:20
	;; [unrolled: 1-line block ×4, first 2 shown]
	s_waitcnt vmcnt(3)
	v_mul_f32_e32 v234, v174, v25
	v_mov_b32_e32 v2, v17
	v_mov_b32_e32 v3, v18
	;; [unrolled: 1-line block ×8, first 2 shown]
	s_waitcnt lgkmcnt(3)
	v_pk_fma_f32 v[48:49], v[234:235], v[0:1], v[2:3] op_sel_hi:[0,1,1] neg_lo:[1,0,0] neg_hi:[1,0,0]
	v_mov_b32_e32 v0, v19
	v_mov_b32_e32 v1, v20
	s_waitcnt lgkmcnt(2)
	v_pk_fma_f32 v[50:51], v[234:235], v[4:5], v[0:1] op_sel_hi:[0,1,1] neg_lo:[1,0,0] neg_hi:[1,0,0]
	v_mov_b32_e32 v0, v21
	v_mov_b32_e32 v1, v22
	;; [unrolled: 4-line block ×4, first 2 shown]
	v_mov_b32_e32 v2, v220
	v_mov_b32_e32 v3, v221
	;; [unrolled: 1-line block ×14, first 2 shown]
	scratch_store_dwordx4 off, v[0:3], off offset:644 ; 16-byte Folded Spill
	s_nop 0
	scratch_store_dwordx4 off, v[4:7], off offset:660 ; 16-byte Folded Spill
	scratch_store_dwordx4 off, v[8:11], off offset:676 ; 16-byte Folded Spill
	;; [unrolled: 1-line block ×7, first 2 shown]
	v_mov_b32_e32 v19, v50
	v_mov_b32_e32 v235, v48
	;; [unrolled: 1-line block ×26, first 2 shown]
	scratch_store_dwordx4 off, v[0:3], off offset:516 ; 16-byte Folded Spill
	s_nop 0
	scratch_store_dwordx4 off, v[4:7], off offset:532 ; 16-byte Folded Spill
	scratch_store_dwordx4 off, v[8:11], off offset:548 ; 16-byte Folded Spill
	scratch_store_dwordx4 off, v[12:15], off offset:564 ; 16-byte Folded Spill
	scratch_store_dwordx4 off, v[16:19], off offset:580 ; 16-byte Folded Spill
	scratch_store_dwordx4 off, v[20:23], off offset:596 ; 16-byte Folded Spill
	scratch_store_dwordx4 off, v[24:27], off offset:612 ; 16-byte Folded Spill
	scratch_store_dwordx4 off, v[28:31], off offset:628 ; 16-byte Folded Spill
	v_mov_b32_e32 v20, v51
	scratch_store_dwordx4 off, v[0:3], off offset:388 ; 16-byte Folded Spill
	s_nop 0
	scratch_store_dwordx4 off, v[4:7], off offset:404 ; 16-byte Folded Spill
	scratch_store_dwordx4 off, v[8:11], off offset:420 ; 16-byte Folded Spill
	scratch_store_dwordx4 off, v[12:15], off offset:436 ; 16-byte Folded Spill
	scratch_store_dwordx4 off, v[16:19], off offset:452 ; 16-byte Folded Spill
	scratch_store_dwordx4 off, v[20:23], off offset:468 ; 16-byte Folded Spill
	scratch_store_dwordx4 off, v[24:27], off offset:484 ; 16-byte Folded Spill
	scratch_store_dwordx4 off, v[28:31], off offset:500 ; 16-byte Folded Spill
	v_mov_b32_e32 v21, v52
	;; [unrolled: 10-line block ×3, first 2 shown]
	v_mov_b32_e32 v23, v254
	v_mov_b32_e32 v24, v255
	;; [unrolled: 1-line block ×4, first 2 shown]
	scratch_store_dwordx4 off, v[218:221], off offset:132 ; 16-byte Folded Spill
	s_nop 0
	scratch_store_dwordx4 off, v[222:225], off offset:148 ; 16-byte Folded Spill
	scratch_store_dwordx4 off, v[226:229], off offset:164 ; 16-byte Folded Spill
	;; [unrolled: 1-line block ×4, first 2 shown]
	s_waitcnt vmcnt(39)
	scratch_store_dwordx4 off, v[238:241], off offset:212 ; 16-byte Folded Spill
	s_waitcnt vmcnt(39)
	scratch_store_dwordx4 off, v[242:245], off offset:228 ; 16-byte Folded Spill
	;; [unrolled: 2-line block ×3, first 2 shown]
	scratch_store_dwordx4 off, v[218:221], off offset:772 ; 16-byte Folded Spill
	s_nop 0
	scratch_store_dwordx4 off, v[222:225], off offset:788 ; 16-byte Folded Spill
	scratch_store_dwordx4 off, v[226:229], off offset:804 ; 16-byte Folded Spill
	scratch_store_dwordx4 off, v[230:233], off offset:820 ; 16-byte Folded Spill
	scratch_store_dwordx4 off, v[234:237], off offset:836 ; 16-byte Folded Spill
	scratch_store_dwordx4 off, v[238:241], off offset:852 ; 16-byte Folded Spill
	scratch_store_dwordx4 off, v[242:245], off offset:868 ; 16-byte Folded Spill
	scratch_store_dwordx4 off, v[246:249], off offset:884 ; 16-byte Folded Spill
	scratch_store_dwordx4 off, v[26:29], off offset:4 ; 16-byte Folded Spill
	s_nop 0
	scratch_store_dwordx4 off, v[30:33], off offset:20 ; 16-byte Folded Spill
	scratch_store_dwordx4 off, v[34:37], off offset:36 ; 16-byte Folded Spill
	;; [unrolled: 1-line block ×7, first 2 shown]
.LBB48_287:
	s_or_b64 exec, exec, s[0:1]
	v_lshl_add_u32 v25, v253, 2, v252
	s_barrier
	ds_write_b32 v25, v117
	s_waitcnt lgkmcnt(0)
	s_barrier
	ds_read_b32 v25, v252 offset:68
	s_cmp_lt_i32 s22, 19
	v_mov_b32_e32 v48, 17
	s_cbranch_scc1 .LBB48_290
; %bb.288:
	v_add_u32_e32 v47, 0x48, v252
	v_mov_b32_e32 v48, 17
	s_mov_b32 s0, 18
.LBB48_289:                             ; =>This Inner Loop Header: Depth=1
	ds_read_b32 v49, v47
	v_mov_b32_e32 v50, s0
	s_add_i32 s0, s0, 1
	v_add_u32_e32 v47, 4, v47
	s_cmp_lg_u32 s22, s0
	s_waitcnt lgkmcnt(0)
	v_cmp_lt_f32_e64 vcc, |v25|, |v49|
	s_nop 1
	v_cndmask_b32_e32 v25, v25, v49, vcc
	v_cndmask_b32_e32 v48, v48, v50, vcc
	s_cbranch_scc1 .LBB48_289
.LBB48_290:
	s_waitcnt lgkmcnt(0)
	v_cmp_eq_f32_e32 vcc, 0, v25
	s_and_saveexec_b64 s[0:1], vcc
	s_xor_b64 s[0:1], exec, s[0:1]
; %bb.291:
	v_cmp_ne_u32_e32 vcc, 0, v74
	s_nop 1
	v_cndmask_b32_e32 v74, 18, v74, vcc
; %bb.292:
	s_andn2_saveexec_b64 s[0:1], s[0:1]
	s_cbranch_execz .LBB48_294
; %bb.293:
	v_div_scale_f32 v47, s[2:3], v25, v25, 1.0
	v_rcp_f32_e32 v49, v47
	v_div_scale_f32 v50, vcc, 1.0, v25, 1.0
	v_fma_f32 v51, -v47, v49, 1.0
	v_fmac_f32_e32 v49, v51, v49
	v_mul_f32_e32 v51, v50, v49
	v_fma_f32 v52, -v47, v51, v50
	v_fmac_f32_e32 v51, v52, v49
	v_fma_f32 v47, -v47, v51, v50
	v_div_fmas_f32 v47, v47, v49, v51
	v_div_fixup_f32 v25, v47, v25, 1.0
.LBB48_294:
	s_or_b64 exec, exec, s[0:1]
	v_cmp_ne_u32_e32 vcc, v253, v48
	s_and_saveexec_b64 s[0:1], vcc
	s_xor_b64 s[0:1], exec, s[0:1]
	s_cbranch_execz .LBB48_300
; %bb.295:
	v_cmp_eq_u32_e32 vcc, 17, v253
	s_and_saveexec_b64 s[2:3], vcc
	s_cbranch_execz .LBB48_299
; %bb.296:
	v_cmp_ne_u32_e32 vcc, 17, v48
	s_xor_b64 s[18:19], s[16:17], -1
	s_and_b64 s[20:21], s[18:19], vcc
	s_and_saveexec_b64 s[18:19], s[20:21]
	s_cbranch_execz .LBB48_298
; %bb.297:
	scratch_load_dwordx2 v[52:53], off, off offset:3084 ; 8-byte Folded Reload
	v_ashrrev_i32_e32 v49, 31, v48
	s_waitcnt vmcnt(0)
	v_lshl_add_u64 v[50:51], v[48:49], 2, v[52:53]
	global_load_dword v47, v[50:51], off
	global_load_dword v49, v[52:53], off offset:68
	s_waitcnt vmcnt(1)
	global_store_dword v[52:53], v47, off offset:68
	s_waitcnt vmcnt(1)
	global_store_dword v[50:51], v49, off
.LBB48_298:
	s_or_b64 exec, exec, s[18:19]
	v_mov_b32_e32 v47, v48
	v_mov_b32_e32 v253, v48
	scratch_store_dword off, v47, off offset:1160 ; 4-byte Folded Spill
.LBB48_299:
	s_or_b64 exec, exec, s[2:3]
.LBB48_300:
	s_andn2_saveexec_b64 s[0:1], s[0:1]
	s_cbranch_execz .LBB48_302
; %bb.301:
	v_mov_b32_e32 v253, 17
	ds_write2_b32 v252, v18, v19 offset0:18 offset1:19
	ds_write2_b32 v252, v20, v21 offset0:20 offset1:21
	ds_write2_b32 v252, v22, v23 offset0:22 offset1:23
	ds_write_b32 v252, v255 offset:96
.LBB48_302:
	s_or_b64 exec, exec, s[0:1]
	v_cmp_lt_i32_e32 vcc, 17, v253
	s_waitcnt lgkmcnt(0)
	s_barrier
	s_and_saveexec_b64 s[0:1], vcc
	s_cbranch_execz .LBB48_304
; %bb.303:
	ds_read2_b32 v[0:1], v252 offset0:18 offset1:19
	ds_read2_b32 v[2:3], v252 offset0:20 offset1:21
	;; [unrolled: 1-line block ×3, first 2 shown]
	ds_read_b32 v6, v252 offset:96
	scratch_load_dwordx4 v[76:79], off, off offset:772 ; 16-byte Folded Reload
	scratch_load_dwordx4 v[80:83], off, off offset:788 ; 16-byte Folded Reload
	;; [unrolled: 1-line block ×8, first 2 shown]
	v_mul_f32_e32 v48, v117, v25
	s_waitcnt lgkmcnt(3)
	v_pk_fma_f32 v[164:165], v[48:49], v[0:1], v[18:19] op_sel_hi:[0,1,1] neg_lo:[1,0,0] neg_hi:[1,0,0]
	s_waitcnt lgkmcnt(2)
	v_pk_fma_f32 v[70:71], v[48:49], v[2:3], v[20:21] op_sel_hi:[0,1,1] neg_lo:[1,0,0] neg_hi:[1,0,0]
	;; [unrolled: 2-line block ×3, first 2 shown]
	s_waitcnt lgkmcnt(0)
	v_fma_f32 v24, -v48, v6, v255
	v_mov_b32_e32 v17, v48
	v_mov_b32_e32 v18, v164
	;; [unrolled: 1-line block ×15, first 2 shown]
	s_waitcnt vmcnt(4)
	v_mov_b64_e32 v[26:27], v[76:77]
	v_mov_b64_e32 v[28:29], v[78:79]
	;; [unrolled: 1-line block ×8, first 2 shown]
	v_mov_b32_e32 v0, v26
	v_mov_b32_e32 v1, v27
	;; [unrolled: 1-line block ×16, first 2 shown]
	s_waitcnt vmcnt(3)
	v_mov_b32_e32 v16, v92
	v_mov_b32_e32 v146, v26
	;; [unrolled: 1-line block ×7, first 2 shown]
	scratch_store_dwordx4 off, v[0:3], off offset:516 ; 16-byte Folded Spill
	s_nop 0
	scratch_store_dwordx4 off, v[4:7], off offset:532 ; 16-byte Folded Spill
	scratch_store_dwordx4 off, v[8:11], off offset:548 ; 16-byte Folded Spill
	;; [unrolled: 1-line block ×7, first 2 shown]
	v_mov_b32_e32 v16, v92
	v_mov_b32_e32 v20, v70
	;; [unrolled: 1-line block ×43, first 2 shown]
	scratch_store_dwordx4 off, v[0:3], off offset:260 ; 16-byte Folded Spill
	s_nop 0
	scratch_store_dwordx4 off, v[4:7], off offset:276 ; 16-byte Folded Spill
	scratch_store_dwordx4 off, v[8:11], off offset:292 ; 16-byte Folded Spill
	;; [unrolled: 1-line block ×7, first 2 shown]
	v_mov_b32_e32 v16, v92
	v_mov_b32_e32 v22, v144
	;; [unrolled: 1-line block ×9, first 2 shown]
	scratch_store_dwordx4 off, v[26:29], off offset:132 ; 16-byte Folded Spill
	s_nop 0
	scratch_store_dwordx4 off, v[30:33], off offset:148 ; 16-byte Folded Spill
	scratch_store_dwordx4 off, v[34:37], off offset:164 ; 16-byte Folded Spill
	;; [unrolled: 1-line block ×7, first 2 shown]
	v_mov_b32_e32 v26, v164
	scratch_store_dwordx4 off, v[146:149], off offset:644 ; 16-byte Folded Spill
	s_nop 0
	scratch_store_dwordx4 off, v[150:153], off offset:660 ; 16-byte Folded Spill
	scratch_store_dwordx4 off, v[154:157], off offset:676 ; 16-byte Folded Spill
	;; [unrolled: 1-line block ×7, first 2 shown]
	v_mov_b32_e32 v255, v24
	v_mov_b32_e32 v48, v144
	scratch_store_dwordx4 off, v[50:53], off offset:388 ; 16-byte Folded Spill
	s_nop 0
	scratch_store_dwordx4 off, v[54:57], off offset:404 ; 16-byte Folded Spill
	scratch_store_dwordx4 off, v[58:61], off offset:420 ; 16-byte Folded Spill
	;; [unrolled: 1-line block ×7, first 2 shown]
	v_mov_b32_e32 v27, v165
	scratch_store_dwordx4 off, v[26:29], off offset:4 ; 16-byte Folded Spill
	s_nop 0
	scratch_store_dwordx4 off, v[30:33], off offset:20 ; 16-byte Folded Spill
	scratch_store_dwordx4 off, v[34:37], off offset:36 ; 16-byte Folded Spill
	;; [unrolled: 1-line block ×7, first 2 shown]
	v_mov_b32_e32 v173, v71
.LBB48_304:
	s_or_b64 exec, exec, s[0:1]
	v_lshl_add_u32 v25, v253, 2, v252
	s_barrier
	ds_write_b32 v25, v26
	s_waitcnt lgkmcnt(0)
	s_barrier
	ds_read_b32 v25, v252 offset:72
	s_cmp_lt_i32 s22, 20
	v_mov_b32_e32 v48, 18
	s_cbranch_scc1 .LBB48_307
; %bb.305:
	v_add_u32_e32 v47, 0x4c, v252
	v_mov_b32_e32 v48, 18
	s_mov_b32 s0, 19
.LBB48_306:                             ; =>This Inner Loop Header: Depth=1
	ds_read_b32 v49, v47
	v_mov_b32_e32 v50, s0
	s_add_i32 s0, s0, 1
	v_add_u32_e32 v47, 4, v47
	s_cmp_lg_u32 s22, s0
	s_waitcnt lgkmcnt(0)
	v_cmp_lt_f32_e64 vcc, |v25|, |v49|
	s_nop 1
	v_cndmask_b32_e32 v25, v25, v49, vcc
	v_cndmask_b32_e32 v48, v48, v50, vcc
	s_cbranch_scc1 .LBB48_306
.LBB48_307:
	s_waitcnt lgkmcnt(0)
	v_cmp_eq_f32_e32 vcc, 0, v25
	s_and_saveexec_b64 s[0:1], vcc
	s_xor_b64 s[0:1], exec, s[0:1]
; %bb.308:
	v_cmp_ne_u32_e32 vcc, 0, v74
	s_nop 1
	v_cndmask_b32_e32 v74, 19, v74, vcc
; %bb.309:
	s_andn2_saveexec_b64 s[0:1], s[0:1]
	s_cbranch_execz .LBB48_311
; %bb.310:
	v_div_scale_f32 v47, s[2:3], v25, v25, 1.0
	v_rcp_f32_e32 v49, v47
	v_div_scale_f32 v50, vcc, 1.0, v25, 1.0
	v_fma_f32 v51, -v47, v49, 1.0
	v_fmac_f32_e32 v49, v51, v49
	v_mul_f32_e32 v51, v50, v49
	v_fma_f32 v52, -v47, v51, v50
	v_fmac_f32_e32 v51, v52, v49
	v_fma_f32 v47, -v47, v51, v50
	v_div_fmas_f32 v47, v47, v49, v51
	v_div_fixup_f32 v25, v47, v25, 1.0
.LBB48_311:
	s_or_b64 exec, exec, s[0:1]
	v_cmp_ne_u32_e32 vcc, v253, v48
	s_and_saveexec_b64 s[0:1], vcc
	s_xor_b64 s[0:1], exec, s[0:1]
	s_cbranch_execz .LBB48_317
; %bb.312:
	v_cmp_eq_u32_e32 vcc, 18, v253
	s_and_saveexec_b64 s[2:3], vcc
	s_cbranch_execz .LBB48_316
; %bb.313:
	v_cmp_ne_u32_e32 vcc, 18, v48
	s_xor_b64 s[18:19], s[16:17], -1
	s_and_b64 s[20:21], s[18:19], vcc
	s_and_saveexec_b64 s[18:19], s[20:21]
	s_cbranch_execz .LBB48_315
; %bb.314:
	scratch_load_dwordx2 v[52:53], off, off offset:3084 ; 8-byte Folded Reload
	v_ashrrev_i32_e32 v49, 31, v48
	s_waitcnt vmcnt(0)
	v_lshl_add_u64 v[50:51], v[48:49], 2, v[52:53]
	global_load_dword v47, v[50:51], off
	global_load_dword v49, v[52:53], off offset:72
	s_waitcnt vmcnt(1)
	global_store_dword v[52:53], v47, off offset:72
	s_waitcnt vmcnt(1)
	global_store_dword v[50:51], v49, off
.LBB48_315:
	s_or_b64 exec, exec, s[18:19]
	v_mov_b32_e32 v47, v48
	v_mov_b32_e32 v253, v48
	scratch_store_dword off, v47, off offset:1160 ; 4-byte Folded Spill
.LBB48_316:
	s_or_b64 exec, exec, s[2:3]
.LBB48_317:
	s_andn2_saveexec_b64 s[0:1], s[0:1]
	s_cbranch_execz .LBB48_319
; %bb.318:
	v_mov_b32_e32 v253, 18
	ds_write2_b32 v252, v19, v20 offset0:19 offset1:20
	ds_write2_b32 v252, v21, v22 offset0:21 offset1:22
	;; [unrolled: 1-line block ×3, first 2 shown]
.LBB48_319:
	s_or_b64 exec, exec, s[0:1]
	v_cmp_lt_i32_e32 vcc, 18, v253
	s_waitcnt lgkmcnt(0)
	s_barrier
	s_and_saveexec_b64 s[0:1], vcc
	s_cbranch_execz .LBB48_321
; %bb.320:
	scratch_load_dwordx4 v[154:157], off, off offset:132 ; 16-byte Folded Reload
	scratch_load_dwordx4 v[158:161], off, off offset:148 ; 16-byte Folded Reload
	;; [unrolled: 1-line block ×8, first 2 shown]
	ds_read2_b32 v[0:1], v252 offset0:19 offset1:20
	ds_read2_b32 v[4:5], v252 offset0:21 offset1:22
	;; [unrolled: 1-line block ×3, first 2 shown]
	s_waitcnt vmcnt(3)
	v_mul_f32_e32 v172, v26, v25
	v_mov_b32_e32 v2, v19
	v_mov_b32_e32 v3, v20
	;; [unrolled: 1-line block ×8, first 2 shown]
	s_waitcnt lgkmcnt(2)
	v_pk_fma_f32 v[48:49], v[172:173], v[0:1], v[2:3] op_sel_hi:[0,1,1] neg_lo:[1,0,0] neg_hi:[1,0,0]
	v_mov_b32_e32 v0, v21
	v_mov_b32_e32 v1, v22
	s_waitcnt lgkmcnt(1)
	v_pk_fma_f32 v[50:51], v[172:173], v[4:5], v[0:1] op_sel_hi:[0,1,1] neg_lo:[1,0,0] neg_hi:[1,0,0]
	v_mov_b32_e32 v0, v23
	v_mov_b32_e32 v1, v24
	;; [unrolled: 4-line block ×3, first 2 shown]
	v_mov_b32_e32 v2, v156
	v_mov_b32_e32 v3, v157
	;; [unrolled: 1-line block ×16, first 2 shown]
	scratch_store_dwordx4 off, v[0:3], off offset:388 ; 16-byte Folded Spill
	s_nop 0
	scratch_store_dwordx4 off, v[4:7], off offset:404 ; 16-byte Folded Spill
	scratch_store_dwordx4 off, v[8:11], off offset:420 ; 16-byte Folded Spill
	;; [unrolled: 1-line block ×7, first 2 shown]
	v_mov_b32_e32 v21, v50
	v_mov_b32_e32 v173, v48
	;; [unrolled: 1-line block ×22, first 2 shown]
	scratch_store_dwordx4 off, v[0:3], off offset:260 ; 16-byte Folded Spill
	s_nop 0
	scratch_store_dwordx4 off, v[4:7], off offset:276 ; 16-byte Folded Spill
	scratch_store_dwordx4 off, v[8:11], off offset:292 ; 16-byte Folded Spill
	;; [unrolled: 1-line block ×8, first 2 shown]
	s_nop 0
	scratch_store_dwordx4 off, v[158:161], off offset:532 ; 16-byte Folded Spill
	scratch_store_dwordx4 off, v[162:165], off offset:548 ; 16-byte Folded Spill
	;; [unrolled: 1-line block ×4, first 2 shown]
	s_waitcnt vmcnt(23)
	scratch_store_dwordx4 off, v[174:177], off offset:596 ; 16-byte Folded Spill
	s_waitcnt vmcnt(23)
	scratch_store_dwordx4 off, v[178:181], off offset:612 ; 16-byte Folded Spill
	;; [unrolled: 2-line block ×3, first 2 shown]
	scratch_store_dwordx4 off, v[154:157], off offset:644 ; 16-byte Folded Spill
	s_nop 0
	scratch_store_dwordx4 off, v[158:161], off offset:660 ; 16-byte Folded Spill
	scratch_store_dwordx4 off, v[162:165], off offset:676 ; 16-byte Folded Spill
	;; [unrolled: 1-line block ×7, first 2 shown]
	v_mov_b32_e32 v22, v51
	v_mov_b32_e32 v23, v254
	;; [unrolled: 1-line block ×7, first 2 shown]
	scratch_store_dwordx4 off, v[26:29], off offset:4 ; 16-byte Folded Spill
	s_nop 0
	scratch_store_dwordx4 off, v[30:33], off offset:20 ; 16-byte Folded Spill
	scratch_store_dwordx4 off, v[34:37], off offset:36 ; 16-byte Folded Spill
	;; [unrolled: 1-line block ×7, first 2 shown]
.LBB48_321:
	s_or_b64 exec, exec, s[0:1]
	v_lshl_add_u32 v25, v253, 2, v252
	s_barrier
	ds_write_b32 v25, v27
	s_waitcnt lgkmcnt(0)
	s_barrier
	ds_read_b32 v25, v252 offset:76
	s_cmp_lt_i32 s22, 21
	v_mov_b32_e32 v48, 19
	s_cbranch_scc1 .LBB48_324
; %bb.322:
	v_add_u32_e32 v47, 0x50, v252
	v_mov_b32_e32 v48, 19
	s_mov_b32 s0, 20
.LBB48_323:                             ; =>This Inner Loop Header: Depth=1
	ds_read_b32 v49, v47
	v_mov_b32_e32 v50, s0
	s_add_i32 s0, s0, 1
	v_add_u32_e32 v47, 4, v47
	s_cmp_lg_u32 s22, s0
	s_waitcnt lgkmcnt(0)
	v_cmp_lt_f32_e64 vcc, |v25|, |v49|
	s_nop 1
	v_cndmask_b32_e32 v25, v25, v49, vcc
	v_cndmask_b32_e32 v48, v48, v50, vcc
	s_cbranch_scc1 .LBB48_323
.LBB48_324:
	s_waitcnt lgkmcnt(0)
	v_cmp_eq_f32_e32 vcc, 0, v25
	s_and_saveexec_b64 s[0:1], vcc
	s_xor_b64 s[0:1], exec, s[0:1]
; %bb.325:
	v_cmp_ne_u32_e32 vcc, 0, v74
	s_nop 1
	v_cndmask_b32_e32 v74, 20, v74, vcc
; %bb.326:
	s_andn2_saveexec_b64 s[0:1], s[0:1]
	s_cbranch_execz .LBB48_328
; %bb.327:
	v_div_scale_f32 v47, s[2:3], v25, v25, 1.0
	v_rcp_f32_e32 v49, v47
	v_div_scale_f32 v50, vcc, 1.0, v25, 1.0
	v_fma_f32 v51, -v47, v49, 1.0
	v_fmac_f32_e32 v49, v51, v49
	v_mul_f32_e32 v51, v50, v49
	v_fma_f32 v52, -v47, v51, v50
	v_fmac_f32_e32 v51, v52, v49
	v_fma_f32 v47, -v47, v51, v50
	v_div_fmas_f32 v47, v47, v49, v51
	v_div_fixup_f32 v25, v47, v25, 1.0
.LBB48_328:
	s_or_b64 exec, exec, s[0:1]
	v_cmp_ne_u32_e32 vcc, v253, v48
	s_and_saveexec_b64 s[0:1], vcc
	s_xor_b64 s[0:1], exec, s[0:1]
	s_cbranch_execz .LBB48_334
; %bb.329:
	v_cmp_eq_u32_e32 vcc, 19, v253
	s_and_saveexec_b64 s[2:3], vcc
	s_cbranch_execz .LBB48_333
; %bb.330:
	v_cmp_ne_u32_e32 vcc, 19, v48
	s_xor_b64 s[18:19], s[16:17], -1
	s_and_b64 s[20:21], s[18:19], vcc
	s_and_saveexec_b64 s[18:19], s[20:21]
	s_cbranch_execz .LBB48_332
; %bb.331:
	scratch_load_dwordx2 v[52:53], off, off offset:3084 ; 8-byte Folded Reload
	v_ashrrev_i32_e32 v49, 31, v48
	s_waitcnt vmcnt(0)
	v_lshl_add_u64 v[50:51], v[48:49], 2, v[52:53]
	global_load_dword v47, v[50:51], off
	global_load_dword v49, v[52:53], off offset:76
	s_waitcnt vmcnt(1)
	global_store_dword v[52:53], v47, off offset:76
	s_waitcnt vmcnt(1)
	global_store_dword v[50:51], v49, off
.LBB48_332:
	s_or_b64 exec, exec, s[18:19]
	v_mov_b32_e32 v47, v48
	v_mov_b32_e32 v253, v48
	scratch_store_dword off, v47, off offset:1160 ; 4-byte Folded Spill
.LBB48_333:
	s_or_b64 exec, exec, s[2:3]
.LBB48_334:
	s_andn2_saveexec_b64 s[0:1], s[0:1]
	s_cbranch_execz .LBB48_336
; %bb.335:
	v_mov_b32_e32 v253, 19
	ds_write2_b32 v252, v20, v21 offset0:20 offset1:21
	ds_write2_b32 v252, v22, v23 offset0:22 offset1:23
	ds_write_b32 v252, v255 offset:96
.LBB48_336:
	s_or_b64 exec, exec, s[0:1]
	v_cmp_lt_i32_e32 vcc, 19, v253
	s_waitcnt lgkmcnt(0)
	s_barrier
	s_and_saveexec_b64 s[0:1], vcc
	s_cbranch_execz .LBB48_338
; %bb.337:
	ds_read2_b32 v[0:1], v252 offset0:20 offset1:21
	ds_read2_b32 v[2:3], v252 offset0:22 offset1:23
	ds_read_b32 v4, v252 offset:96
	scratch_load_dwordx4 v[76:79], off, off offset:644 ; 16-byte Folded Reload
	scratch_load_dwordx4 v[80:83], off, off offset:660 ; 16-byte Folded Reload
	;; [unrolled: 1-line block ×8, first 2 shown]
	v_mul_f32_e32 v48, v27, v25
	s_waitcnt lgkmcnt(2)
	v_pk_fma_f32 v[46:47], v[48:49], v[0:1], v[20:21] op_sel_hi:[0,1,1] neg_lo:[1,0,0] neg_hi:[1,0,0]
	s_waitcnt lgkmcnt(1)
	v_pk_fma_f32 v[144:145], v[48:49], v[2:3], v[22:23] op_sel_hi:[0,1,1] neg_lo:[1,0,0] neg_hi:[1,0,0]
	s_waitcnt lgkmcnt(0)
	v_fma_f32 v24, -v48, v4, v255
	v_mov_b32_e32 v69, v48
	v_mov_b32_e32 v19, v48
	;; [unrolled: 1-line block ×10, first 2 shown]
	s_waitcnt vmcnt(4)
	v_mov_b64_e32 v[50:51], v[76:77]
	s_waitcnt vmcnt(3)
	v_mov_b32_e32 v66, v92
	v_mov_b64_e32 v[52:53], v[78:79]
	v_mov_b64_e32 v[54:55], v[80:81]
	;; [unrolled: 1-line block ×7, first 2 shown]
	v_mov_b32_e32 v67, v93
	v_mov_b32_e32 v68, v94
	;; [unrolled: 1-line block ×40, first 2 shown]
	scratch_store_dwordx4 off, v[0:3], off offset:260 ; 16-byte Folded Spill
	s_nop 0
	scratch_store_dwordx4 off, v[4:7], off offset:276 ; 16-byte Folded Spill
	scratch_store_dwordx4 off, v[8:11], off offset:292 ; 16-byte Folded Spill
	;; [unrolled: 1-line block ×7, first 2 shown]
	v_mov_b32_e32 v122, v50
	v_mov_b32_e32 v123, v51
	;; [unrolled: 1-line block ×19, first 2 shown]
	scratch_store_dwordx4 off, v[50:53], off offset:516 ; 16-byte Folded Spill
	s_nop 0
	scratch_store_dwordx4 off, v[54:57], off offset:532 ; 16-byte Folded Spill
	scratch_store_dwordx4 off, v[58:61], off offset:548 ; 16-byte Folded Spill
	;; [unrolled: 1-line block ×7, first 2 shown]
	v_mov_b32_e32 v22, v144
	v_mov_b32_e32 v23, v145
	scratch_store_dwordx4 off, v[26:29], off offset:388 ; 16-byte Folded Spill
	s_nop 0
	scratch_store_dwordx4 off, v[30:33], off offset:404 ; 16-byte Folded Spill
	scratch_store_dwordx4 off, v[34:37], off offset:420 ; 16-byte Folded Spill
	;; [unrolled: 1-line block ×7, first 2 shown]
	v_mov_b32_e32 v255, v24
	v_mov_b32_e32 v48, v144
	;; [unrolled: 1-line block ×3, first 2 shown]
	scratch_store_dwordx4 off, v[26:29], off offset:4 ; 16-byte Folded Spill
	s_nop 0
	scratch_store_dwordx4 off, v[30:33], off offset:20 ; 16-byte Folded Spill
	scratch_store_dwordx4 off, v[34:37], off offset:36 ; 16-byte Folded Spill
	;; [unrolled: 1-line block ×7, first 2 shown]
.LBB48_338:
	s_or_b64 exec, exec, s[0:1]
	v_lshl_add_u32 v25, v253, 2, v252
	s_barrier
	ds_write_b32 v25, v178
	s_waitcnt lgkmcnt(0)
	s_barrier
	ds_read_b32 v25, v252 offset:80
	s_cmp_lt_i32 s22, 22
	v_mov_b32_e32 v48, 20
	s_cbranch_scc1 .LBB48_341
; %bb.339:
	v_add_u32_e32 v47, 0x54, v252
	v_mov_b32_e32 v48, 20
	s_mov_b32 s0, 21
.LBB48_340:                             ; =>This Inner Loop Header: Depth=1
	ds_read_b32 v49, v47
	v_mov_b32_e32 v50, s0
	s_add_i32 s0, s0, 1
	v_add_u32_e32 v47, 4, v47
	s_cmp_lg_u32 s22, s0
	s_waitcnt lgkmcnt(0)
	v_cmp_lt_f32_e64 vcc, |v25|, |v49|
	s_nop 1
	v_cndmask_b32_e32 v25, v25, v49, vcc
	v_cndmask_b32_e32 v48, v48, v50, vcc
	s_cbranch_scc1 .LBB48_340
.LBB48_341:
	s_waitcnt lgkmcnt(0)
	v_cmp_eq_f32_e32 vcc, 0, v25
	s_and_saveexec_b64 s[0:1], vcc
	s_xor_b64 s[0:1], exec, s[0:1]
; %bb.342:
	v_cmp_ne_u32_e32 vcc, 0, v74
	s_nop 1
	v_cndmask_b32_e32 v74, 21, v74, vcc
; %bb.343:
	s_andn2_saveexec_b64 s[0:1], s[0:1]
	s_cbranch_execz .LBB48_345
; %bb.344:
	v_div_scale_f32 v47, s[2:3], v25, v25, 1.0
	v_rcp_f32_e32 v49, v47
	v_div_scale_f32 v50, vcc, 1.0, v25, 1.0
	v_fma_f32 v51, -v47, v49, 1.0
	v_fmac_f32_e32 v49, v51, v49
	v_mul_f32_e32 v51, v50, v49
	v_fma_f32 v52, -v47, v51, v50
	v_fmac_f32_e32 v51, v52, v49
	v_fma_f32 v47, -v47, v51, v50
	v_div_fmas_f32 v47, v47, v49, v51
	v_div_fixup_f32 v25, v47, v25, 1.0
.LBB48_345:
	s_or_b64 exec, exec, s[0:1]
	v_cmp_ne_u32_e32 vcc, v253, v48
	s_and_saveexec_b64 s[0:1], vcc
	s_xor_b64 s[0:1], exec, s[0:1]
	s_cbranch_execz .LBB48_351
; %bb.346:
	v_cmp_eq_u32_e32 vcc, 20, v253
	s_and_saveexec_b64 s[2:3], vcc
	s_cbranch_execz .LBB48_350
; %bb.347:
	v_cmp_ne_u32_e32 vcc, 20, v48
	s_xor_b64 s[18:19], s[16:17], -1
	s_and_b64 s[20:21], s[18:19], vcc
	s_and_saveexec_b64 s[18:19], s[20:21]
	s_cbranch_execz .LBB48_349
; %bb.348:
	scratch_load_dwordx2 v[52:53], off, off offset:3084 ; 8-byte Folded Reload
	v_ashrrev_i32_e32 v49, 31, v48
	s_waitcnt vmcnt(0)
	v_lshl_add_u64 v[50:51], v[48:49], 2, v[52:53]
	global_load_dword v47, v[50:51], off
	global_load_dword v49, v[52:53], off offset:80
	s_waitcnt vmcnt(1)
	global_store_dword v[52:53], v47, off offset:80
	s_waitcnt vmcnt(1)
	global_store_dword v[50:51], v49, off
.LBB48_349:
	s_or_b64 exec, exec, s[18:19]
	v_mov_b32_e32 v47, v48
	v_mov_b32_e32 v253, v48
	scratch_store_dword off, v47, off offset:1160 ; 4-byte Folded Spill
.LBB48_350:
	s_or_b64 exec, exec, s[2:3]
.LBB48_351:
	s_andn2_saveexec_b64 s[0:1], s[0:1]
	s_cbranch_execz .LBB48_353
; %bb.352:
	v_mov_b32_e32 v253, 20
	ds_write2_b32 v252, v21, v22 offset0:21 offset1:22
	ds_write2_b32 v252, v23, v24 offset0:23 offset1:24
.LBB48_353:
	s_or_b64 exec, exec, s[0:1]
	v_cmp_lt_i32_e32 vcc, 20, v253
	s_waitcnt lgkmcnt(0)
	s_barrier
	s_and_saveexec_b64 s[0:1], vcc
	s_cbranch_execz .LBB48_355
; %bb.354:
	ds_read2_b32 v[0:1], v252 offset0:21 offset1:22
	scratch_load_dwordx4 v[26:29], off, off offset:516 ; 16-byte Folded Reload
	scratch_load_dwordx4 v[30:33], off, off offset:532 ; 16-byte Folded Reload
	;; [unrolled: 1-line block ×8, first 2 shown]
	ds_read2_b32 v[4:5], v252 offset0:23 offset1:24
	s_waitcnt vmcnt(2)
	v_mul_f32_e32 v46, v178, v25
	v_mov_b32_e32 v2, v21
	v_mov_b32_e32 v3, v22
	;; [unrolled: 1-line block ×9, first 2 shown]
	s_waitcnt lgkmcnt(1)
	v_pk_fma_f32 v[82:83], v[46:47], v[0:1], v[2:3] op_sel_hi:[0,1,1] neg_lo:[1,0,0] neg_hi:[1,0,0]
	v_mov_b32_e32 v0, v23
	v_mov_b32_e32 v1, v24
	s_waitcnt lgkmcnt(0)
	v_pk_fma_f32 v[254:255], v[46:47], v[4:5], v[0:1] op_sel_hi:[0,1,1] neg_lo:[1,0,0] neg_hi:[1,0,0]
	v_mov_b32_e32 v47, v82
	v_mov_b32_e32 v127, v31
	;; [unrolled: 1-line block ×36, first 2 shown]
	scratch_store_dwordx4 off, v[26:29], off offset:260 ; 16-byte Folded Spill
	s_nop 0
	scratch_store_dwordx4 off, v[30:33], off offset:276 ; 16-byte Folded Spill
	scratch_store_dwordx4 off, v[34:37], off offset:292 ; 16-byte Folded Spill
	;; [unrolled: 1-line block ×5, first 2 shown]
	s_waitcnt vmcnt(7)
	scratch_store_dwordx4 off, v[50:53], off offset:356 ; 16-byte Folded Spill
	s_waitcnt vmcnt(7)
	scratch_store_dwordx4 off, v[54:57], off offset:372 ; 16-byte Folded Spill
	scratch_store_dwordx4 off, v[26:29], off offset:388 ; 16-byte Folded Spill
	s_nop 0
	scratch_store_dwordx4 off, v[30:33], off offset:404 ; 16-byte Folded Spill
	scratch_store_dwordx4 off, v[34:37], off offset:420 ; 16-byte Folded Spill
	;; [unrolled: 1-line block ×7, first 2 shown]
	v_mov_b32_e32 v143, v82
	v_mov_b32_e32 v144, v83
	;; [unrolled: 1-line block ×8, first 2 shown]
	scratch_store_dwordx4 off, v[26:29], off offset:4 ; 16-byte Folded Spill
	s_nop 0
	scratch_store_dwordx4 off, v[30:33], off offset:20 ; 16-byte Folded Spill
	scratch_store_dwordx4 off, v[34:37], off offset:36 ; 16-byte Folded Spill
	;; [unrolled: 1-line block ×7, first 2 shown]
.LBB48_355:
	s_or_b64 exec, exec, s[0:1]
	v_lshl_add_u32 v25, v253, 2, v252
	s_barrier
	ds_write_b32 v25, v173
	s_waitcnt lgkmcnt(0)
	s_barrier
	ds_read_b32 v25, v252 offset:84
	s_cmp_lt_i32 s22, 23
	v_mov_b32_e32 v48, 21
	s_cbranch_scc1 .LBB48_358
; %bb.356:
	v_add_u32_e32 v47, 0x58, v252
	v_mov_b32_e32 v48, 21
	s_mov_b32 s0, 22
.LBB48_357:                             ; =>This Inner Loop Header: Depth=1
	ds_read_b32 v49, v47
	v_mov_b32_e32 v50, s0
	s_add_i32 s0, s0, 1
	v_add_u32_e32 v47, 4, v47
	s_cmp_lg_u32 s22, s0
	s_waitcnt lgkmcnt(0)
	v_cmp_lt_f32_e64 vcc, |v25|, |v49|
	s_nop 1
	v_cndmask_b32_e32 v25, v25, v49, vcc
	v_cndmask_b32_e32 v48, v48, v50, vcc
	s_cbranch_scc1 .LBB48_357
.LBB48_358:
	s_waitcnt lgkmcnt(0)
	v_cmp_eq_f32_e32 vcc, 0, v25
	s_and_saveexec_b64 s[0:1], vcc
	s_xor_b64 s[0:1], exec, s[0:1]
; %bb.359:
	v_cmp_ne_u32_e32 vcc, 0, v74
	s_nop 1
	v_cndmask_b32_e32 v74, 22, v74, vcc
; %bb.360:
	s_andn2_saveexec_b64 s[0:1], s[0:1]
	s_cbranch_execz .LBB48_362
; %bb.361:
	v_div_scale_f32 v47, s[2:3], v25, v25, 1.0
	v_rcp_f32_e32 v49, v47
	v_div_scale_f32 v50, vcc, 1.0, v25, 1.0
	v_fma_f32 v51, -v47, v49, 1.0
	v_fmac_f32_e32 v49, v51, v49
	v_mul_f32_e32 v51, v50, v49
	v_fma_f32 v52, -v47, v51, v50
	v_fmac_f32_e32 v51, v52, v49
	v_fma_f32 v47, -v47, v51, v50
	v_div_fmas_f32 v47, v47, v49, v51
	v_div_fixup_f32 v25, v47, v25, 1.0
.LBB48_362:
	s_or_b64 exec, exec, s[0:1]
	v_cmp_ne_u32_e32 vcc, v253, v48
	s_and_saveexec_b64 s[0:1], vcc
	s_xor_b64 s[0:1], exec, s[0:1]
	s_cbranch_execz .LBB48_368
; %bb.363:
	v_cmp_eq_u32_e32 vcc, 21, v253
	s_and_saveexec_b64 s[2:3], vcc
	s_cbranch_execz .LBB48_367
; %bb.364:
	v_cmp_ne_u32_e32 vcc, 21, v48
	s_xor_b64 s[18:19], s[16:17], -1
	s_and_b64 s[20:21], s[18:19], vcc
	s_and_saveexec_b64 s[18:19], s[20:21]
	s_cbranch_execz .LBB48_366
; %bb.365:
	scratch_load_dwordx2 v[52:53], off, off offset:3084 ; 8-byte Folded Reload
	v_ashrrev_i32_e32 v49, 31, v48
	s_waitcnt vmcnt(0)
	v_lshl_add_u64 v[50:51], v[48:49], 2, v[52:53]
	global_load_dword v47, v[50:51], off
	global_load_dword v49, v[52:53], off offset:84
	s_waitcnt vmcnt(1)
	global_store_dword v[52:53], v47, off offset:84
	s_waitcnt vmcnt(1)
	global_store_dword v[50:51], v49, off
.LBB48_366:
	s_or_b64 exec, exec, s[18:19]
	v_mov_b32_e32 v47, v48
	v_mov_b32_e32 v253, v48
	scratch_store_dword off, v47, off offset:1160 ; 4-byte Folded Spill
.LBB48_367:
	s_or_b64 exec, exec, s[2:3]
.LBB48_368:
	s_andn2_saveexec_b64 s[0:1], s[0:1]
	s_cbranch_execz .LBB48_370
; %bb.369:
	v_mov_b32_e32 v253, 21
	ds_write2_b32 v252, v22, v23 offset0:22 offset1:23
	ds_write_b32 v252, v255 offset:96
.LBB48_370:
	s_or_b64 exec, exec, s[0:1]
	v_cmp_lt_i32_e32 vcc, 21, v253
	s_waitcnt lgkmcnt(0)
	s_barrier
	s_and_saveexec_b64 s[0:1], vcc
	s_cbranch_execz .LBB48_372
; %bb.371:
	ds_read2_b32 v[0:1], v252 offset0:22 offset1:23
	ds_read_b32 v2, v252 offset:96
	scratch_load_dwordx4 v[90:93], off, off offset:388 ; 16-byte Folded Reload
	scratch_load_dwordx4 v[94:97], off, off offset:404 ; 16-byte Folded Reload
	;; [unrolled: 1-line block ×8, first 2 shown]
	v_mul_f32_e32 v48, v173, v25
	s_waitcnt vmcnt(2)
	v_mov_b32_e32 v111, v48
	s_waitcnt lgkmcnt(1)
	v_pk_fma_f32 v[144:145], v[48:49], v[0:1], v[22:23] op_sel_hi:[0,1,1] neg_lo:[1,0,0] neg_hi:[1,0,0]
	s_waitcnt lgkmcnt(0)
	v_fma_f32 v24, -v48, v2, v255
	v_mov_b32_e32 v21, v48
	v_mov_b32_e32 v22, v144
	;; [unrolled: 1-line block ×48, first 2 shown]
	scratch_store_dwordx4 off, v[90:93], off offset:260 ; 16-byte Folded Spill
	s_nop 0
	scratch_store_dwordx4 off, v[94:97], off offset:276 ; 16-byte Folded Spill
	scratch_store_dwordx4 off, v[98:101], off offset:292 ; 16-byte Folded Spill
	;; [unrolled: 1-line block ×5, first 2 shown]
	s_waitcnt vmcnt(7)
	scratch_store_dwordx4 off, v[114:117], off offset:356 ; 16-byte Folded Spill
	s_waitcnt vmcnt(7)
	scratch_store_dwordx4 off, v[118:121], off offset:372 ; 16-byte Folded Spill
	scratch_store_dwordx4 off, v[4:7], off offset:4 ; 16-byte Folded Spill
	s_nop 0
	scratch_store_dwordx4 off, v[8:11], off offset:20 ; 16-byte Folded Spill
	scratch_store_dwordx4 off, v[12:15], off offset:36 ; 16-byte Folded Spill
	scratch_store_dwordx4 off, v[16:19], off offset:52 ; 16-byte Folded Spill
	scratch_store_dwordx4 off, v[20:23], off offset:68 ; 16-byte Folded Spill
	scratch_store_dwordx4 off, v[24:27], off offset:84 ; 16-byte Folded Spill
	scratch_store_dwordx4 off, v[28:31], off offset:100 ; 16-byte Folded Spill
	scratch_store_dwordx4 off, v[32:35], off offset:116 ; 16-byte Folded Spill
	v_mov_b32_e32 v255, v24
.LBB48_372:
	s_or_b64 exec, exec, s[0:1]
	s_barrier
	scratch_load_dwordx4 v[26:29], off, off offset:4 ; 16-byte Folded Reload
	scratch_load_dwordx4 v[30:33], off, off offset:20 ; 16-byte Folded Reload
	;; [unrolled: 1-line block ×8, first 2 shown]
	v_lshl_add_u32 v25, v253, 2, v252
	s_cmp_lt_i32 s22, 24
	s_waitcnt vmcnt(7)
	v_mov_b32_e32 v26, 22
	s_waitcnt vmcnt(2)
	ds_write_b32 v25, v48
	s_waitcnt lgkmcnt(0)
	s_barrier
	ds_read_b32 v25, v252 offset:88
	s_cbranch_scc1 .LBB48_375
; %bb.373:
	v_add_u32_e32 v27, 0x5c, v252
	v_mov_b32_e32 v26, 22
	s_mov_b32 s0, 23
.LBB48_374:                             ; =>This Inner Loop Header: Depth=1
	ds_read_b32 v28, v27
	v_mov_b32_e32 v29, s0
	s_add_i32 s0, s0, 1
	v_add_u32_e32 v27, 4, v27
	s_cmp_lg_u32 s22, s0
	s_waitcnt lgkmcnt(0)
	v_cmp_lt_f32_e64 vcc, |v25|, |v28|
	s_nop 1
	v_cndmask_b32_e32 v25, v25, v28, vcc
	v_cndmask_b32_e32 v26, v26, v29, vcc
	s_cbranch_scc1 .LBB48_374
.LBB48_375:
	s_waitcnt lgkmcnt(0)
	v_cmp_eq_f32_e32 vcc, 0, v25
	s_and_saveexec_b64 s[0:1], vcc
	s_xor_b64 s[0:1], exec, s[0:1]
; %bb.376:
	v_cmp_ne_u32_e32 vcc, 0, v74
	s_nop 1
	v_cndmask_b32_e32 v74, 23, v74, vcc
; %bb.377:
	s_andn2_saveexec_b64 s[0:1], s[0:1]
	s_cbranch_execz .LBB48_379
; %bb.378:
	v_div_scale_f32 v27, s[2:3], v25, v25, 1.0
	v_rcp_f32_e32 v28, v27
	v_div_scale_f32 v29, vcc, 1.0, v25, 1.0
	v_fma_f32 v30, -v27, v28, 1.0
	v_fmac_f32_e32 v28, v30, v28
	v_mul_f32_e32 v30, v29, v28
	v_fma_f32 v31, -v27, v30, v29
	v_fmac_f32_e32 v30, v31, v28
	v_fma_f32 v27, -v27, v30, v29
	v_div_fmas_f32 v27, v27, v28, v30
	v_div_fixup_f32 v25, v27, v25, 1.0
.LBB48_379:
	s_or_b64 exec, exec, s[0:1]
	v_cmp_ne_u32_e32 vcc, v253, v26
	s_and_saveexec_b64 s[0:1], vcc
	s_xor_b64 s[0:1], exec, s[0:1]
	s_cbranch_execz .LBB48_385
; %bb.380:
	v_cmp_eq_u32_e32 vcc, 22, v253
	s_and_saveexec_b64 s[2:3], vcc
	s_cbranch_execz .LBB48_384
; %bb.381:
	v_cmp_ne_u32_e32 vcc, 22, v26
	s_xor_b64 s[18:19], s[16:17], -1
	s_and_b64 s[20:21], s[18:19], vcc
	s_and_saveexec_b64 s[18:19], s[20:21]
	s_cbranch_execz .LBB48_383
; %bb.382:
	scratch_load_dwordx2 v[32:33], off, off offset:3084 ; 8-byte Folded Reload
	v_ashrrev_i32_e32 v27, 31, v26
	s_waitcnt vmcnt(0)
	v_lshl_add_u64 v[28:29], v[26:27], 2, v[32:33]
	global_load_dword v27, v[28:29], off
	global_load_dword v30, v[32:33], off offset:88
	s_waitcnt vmcnt(1)
	global_store_dword v[32:33], v27, off offset:88
	s_waitcnt vmcnt(1)
	global_store_dword v[28:29], v30, off
.LBB48_383:
	s_or_b64 exec, exec, s[18:19]
	v_mov_b32_e32 v27, v26
	v_mov_b32_e32 v253, v26
	scratch_store_dword off, v27, off offset:1160 ; 4-byte Folded Spill
.LBB48_384:
	s_or_b64 exec, exec, s[2:3]
.LBB48_385:
	s_andn2_saveexec_b64 s[0:1], s[0:1]
; %bb.386:
	v_mov_b32_e32 v253, 22
	ds_write2_b32 v252, v23, v24 offset0:23 offset1:24
; %bb.387:
	s_or_b64 exec, exec, s[0:1]
	v_cmp_lt_i32_e32 vcc, 22, v253
	s_waitcnt lgkmcnt(0)
	s_barrier
	s_and_saveexec_b64 s[0:1], vcc
	s_cbranch_execz .LBB48_389
; %bb.388:
	ds_read2_b32 v[0:1], v252 offset0:23 offset1:24
	scratch_load_dwordx4 v[26:29], off, off offset:4 ; 16-byte Folded Reload
	scratch_load_dwordx4 v[30:33], off, off offset:20 ; 16-byte Folded Reload
	;; [unrolled: 1-line block ×16, first 2 shown]
	v_mov_b32_e32 v2, v23
	v_mov_b32_e32 v3, v24
	s_waitcnt vmcnt(2)
	v_mul_f32_e32 v144, v48, v25
	s_waitcnt lgkmcnt(0)
	v_pk_fma_f32 v[254:255], v[144:145], v[0:1], v[2:3] op_sel_hi:[0,1,1] neg_lo:[1,0,0] neg_hi:[1,0,0]
	v_mov_b32_e32 v145, v254
	s_waitcnt vmcnt(1)
	v_mov_b32_e32 v146, v255
	s_waitcnt vmcnt(0)
	v_mov_b64_e32 v[0:1], v[122:123]
	v_mov_b64_e32 v[2:3], v[124:125]
	;; [unrolled: 1-line block ×16, first 2 shown]
.LBB48_389:
	s_or_b64 exec, exec, s[0:1]
	v_lshl_add_u32 v25, v253, 2, v252
	s_barrier
	ds_write_b32 v25, v254
	s_waitcnt lgkmcnt(0)
	s_barrier
	ds_read_b32 v25, v252 offset:92
	s_cmp_lt_i32 s22, 25
	v_mov_b32_e32 v26, 23
	s_cbranch_scc1 .LBB48_392
; %bb.390:
	v_add_u32_e32 v27, 0x60, v252
	v_mov_b32_e32 v26, 23
	s_mov_b32 s0, 24
.LBB48_391:                             ; =>This Inner Loop Header: Depth=1
	ds_read_b32 v28, v27
	v_mov_b32_e32 v29, s0
	s_add_i32 s0, s0, 1
	v_add_u32_e32 v27, 4, v27
	s_cmp_lg_u32 s22, s0
	s_waitcnt lgkmcnt(0)
	v_cmp_lt_f32_e64 vcc, |v25|, |v28|
	s_nop 1
	v_cndmask_b32_e32 v25, v25, v28, vcc
	v_cndmask_b32_e32 v26, v26, v29, vcc
	s_cbranch_scc1 .LBB48_391
.LBB48_392:
	s_waitcnt lgkmcnt(0)
	v_cmp_eq_f32_e32 vcc, 0, v25
	s_and_saveexec_b64 s[0:1], vcc
	s_xor_b64 s[0:1], exec, s[0:1]
; %bb.393:
	v_cmp_ne_u32_e32 vcc, 0, v74
	s_nop 1
	v_cndmask_b32_e32 v74, 24, v74, vcc
; %bb.394:
	s_andn2_saveexec_b64 s[0:1], s[0:1]
	s_cbranch_execz .LBB48_396
; %bb.395:
	v_div_scale_f32 v27, s[2:3], v25, v25, 1.0
	v_rcp_f32_e32 v28, v27
	v_div_scale_f32 v29, vcc, 1.0, v25, 1.0
	v_fma_f32 v30, -v27, v28, 1.0
	v_fmac_f32_e32 v28, v30, v28
	v_mul_f32_e32 v30, v29, v28
	v_fma_f32 v31, -v27, v30, v29
	v_fmac_f32_e32 v30, v31, v28
	v_fma_f32 v27, -v27, v30, v29
	v_div_fmas_f32 v27, v27, v28, v30
	v_div_fixup_f32 v25, v27, v25, 1.0
.LBB48_396:
	s_or_b64 exec, exec, s[0:1]
	v_cmp_ne_u32_e32 vcc, v253, v26
	s_and_saveexec_b64 s[0:1], vcc
	s_xor_b64 s[0:1], exec, s[0:1]
	s_cbranch_execz .LBB48_402
; %bb.397:
	v_cmp_eq_u32_e32 vcc, 23, v253
	s_and_saveexec_b64 s[2:3], vcc
	s_cbranch_execz .LBB48_401
; %bb.398:
	v_cmp_ne_u32_e32 vcc, 23, v26
	s_xor_b64 s[18:19], s[16:17], -1
	s_and_b64 s[20:21], s[18:19], vcc
	s_and_saveexec_b64 s[18:19], s[20:21]
	s_cbranch_execz .LBB48_400
; %bb.399:
	scratch_load_dwordx2 v[32:33], off, off offset:3084 ; 8-byte Folded Reload
	v_ashrrev_i32_e32 v27, 31, v26
	s_waitcnt vmcnt(0)
	v_lshl_add_u64 v[28:29], v[26:27], 2, v[32:33]
	global_load_dword v27, v[28:29], off
	global_load_dword v30, v[32:33], off offset:92
	s_waitcnt vmcnt(1)
	global_store_dword v[32:33], v27, off offset:92
	s_waitcnt vmcnt(1)
	global_store_dword v[28:29], v30, off
.LBB48_400:
	s_or_b64 exec, exec, s[18:19]
	v_mov_b32_e32 v27, v26
	v_mov_b32_e32 v253, v26
	scratch_store_dword off, v27, off offset:1160 ; 4-byte Folded Spill
.LBB48_401:
	s_or_b64 exec, exec, s[2:3]
.LBB48_402:
	s_andn2_saveexec_b64 s[0:1], s[0:1]
; %bb.403:
	v_mov_b32_e32 v253, 23
	ds_write_b32 v252, v255 offset:96
; %bb.404:
	s_or_b64 exec, exec, s[0:1]
	v_cmp_lt_i32_e32 vcc, 23, v253
	s_waitcnt lgkmcnt(0)
	s_barrier
	s_and_saveexec_b64 s[0:1], vcc
	s_cbranch_execz .LBB48_406
; %bb.405:
	ds_read_b32 v0, v252 offset:96
	v_mul_f32_e32 v145, v254, v25
	s_waitcnt lgkmcnt(0)
	v_fma_f32 v146, -v145, v0, v255
	v_mov_b64_e32 v[0:1], v[122:123]
	v_mov_b64_e32 v[2:3], v[124:125]
	;; [unrolled: 1-line block ×13, first 2 shown]
	v_mov_b32_e32 v255, v146
	v_mov_b64_e32 v[26:27], v[148:149]
	v_mov_b64_e32 v[28:29], v[150:151]
	;; [unrolled: 1-line block ×3, first 2 shown]
.LBB48_406:
	s_or_b64 exec, exec, s[0:1]
	v_lshl_add_u32 v25, v253, 2, v252
	s_barrier
	ds_write_b32 v25, v255
	s_waitcnt lgkmcnt(0)
	s_barrier
	ds_read_b32 v25, v252 offset:96
	s_cmp_lt_i32 s22, 26
	v_mov_b32_e32 v26, 24
	s_cbranch_scc1 .LBB48_409
; %bb.407:
	v_add_u32_e32 v27, 0x64, v252
	v_mov_b32_e32 v26, 24
	s_mov_b32 s0, 25
.LBB48_408:                             ; =>This Inner Loop Header: Depth=1
	ds_read_b32 v28, v27
	v_mov_b32_e32 v29, s0
	s_add_i32 s0, s0, 1
	v_add_u32_e32 v27, 4, v27
	s_cmp_lg_u32 s22, s0
	s_waitcnt lgkmcnt(0)
	v_cmp_lt_f32_e64 vcc, |v25|, |v28|
	s_nop 1
	v_cndmask_b32_e32 v25, v25, v28, vcc
	v_cndmask_b32_e32 v26, v26, v29, vcc
	s_cbranch_scc1 .LBB48_408
.LBB48_409:
	s_waitcnt lgkmcnt(0)
	v_cmp_eq_f32_e32 vcc, 0, v25
	s_and_saveexec_b64 s[0:1], vcc
	s_xor_b64 s[0:1], exec, s[0:1]
; %bb.410:
	v_cmp_ne_u32_e32 vcc, 0, v74
	s_nop 1
	v_cndmask_b32_e32 v74, 25, v74, vcc
; %bb.411:
	s_andn2_saveexec_b64 s[0:1], s[0:1]
	s_cbranch_execz .LBB48_413
; %bb.412:
	v_div_scale_f32 v27, s[2:3], v25, v25, 1.0
	v_rcp_f32_e32 v28, v27
	v_div_scale_f32 v29, vcc, 1.0, v25, 1.0
	v_fma_f32 v30, -v27, v28, 1.0
	v_fmac_f32_e32 v28, v30, v28
	v_mul_f32_e32 v30, v29, v28
	v_fma_f32 v31, -v27, v30, v29
	v_fmac_f32_e32 v30, v31, v28
	v_fma_f32 v27, -v27, v30, v29
	v_div_fmas_f32 v27, v27, v28, v30
	v_div_fixup_f32 v25, v27, v25, 1.0
.LBB48_413:
	s_or_b64 exec, exec, s[0:1]
	v_cmp_ne_u32_e32 vcc, v253, v26
	v_mov_b32_e32 v28, 24
	s_and_saveexec_b64 s[0:1], vcc
	s_cbranch_execz .LBB48_419
; %bb.414:
	v_cmp_eq_u32_e32 vcc, 24, v253
	s_and_saveexec_b64 s[2:3], vcc
	s_cbranch_execz .LBB48_418
; %bb.415:
	v_cmp_ne_u32_e32 vcc, 24, v26
	s_xor_b64 s[16:17], s[16:17], -1
	s_and_b64 s[18:19], s[16:17], vcc
	s_and_saveexec_b64 s[16:17], s[18:19]
	s_cbranch_execz .LBB48_417
; %bb.416:
	scratch_load_dwordx2 v[32:33], off, off offset:3084 ; 8-byte Folded Reload
	v_ashrrev_i32_e32 v27, 31, v26
	s_waitcnt vmcnt(0)
	v_lshl_add_u64 v[28:29], v[26:27], 2, v[32:33]
	global_load_dword v27, v[28:29], off
	global_load_dword v30, v[32:33], off offset:96
	s_waitcnt vmcnt(1)
	global_store_dword v[32:33], v27, off offset:96
	s_waitcnt vmcnt(1)
	global_store_dword v[28:29], v30, off
.LBB48_417:
	s_or_b64 exec, exec, s[16:17]
	v_mov_b32_e32 v27, v26
	v_mov_b32_e32 v253, v26
	scratch_store_dword off, v27, off offset:1160 ; 4-byte Folded Spill
.LBB48_418:
	s_or_b64 exec, exec, s[2:3]
	v_mov_b32_e32 v28, v253
.LBB48_419:
	s_or_b64 exec, exec, s[0:1]
	v_cmp_gt_i32_e32 vcc, 25, v28
	v_ashrrev_i32_e32 v29, 31, v28
	s_barrier
	s_barrier
	s_and_saveexec_b64 s[0:1], vcc
	s_cbranch_execz .LBB48_421
; %bb.420:
	s_movk_i32 s2, 0x1014
	scratch_load_dwordx2 v[30:31], off, s2  ; 8-byte Folded Reload
	v_mov_b32_e32 v26, s6
	v_mov_b32_e32 v27, s7
	s_waitcnt vmcnt(0)
	v_mul_lo_u32 v32, s11, v30
	v_mul_lo_u32 v33, s10, v31
	v_mad_u64_u32 v[30:31], s[2:3], s10, v30, 0
	v_add3_u32 v31, v31, v33, v32
	v_lshl_add_u64 v[26:27], v[30:31], 2, v[26:27]
	scratch_load_dword v30, off, off offset:1160 ; 4-byte Folded Reload
	v_lshl_add_u64 v[26:27], s[8:9], 2, v[26:27]
	v_lshl_add_u64 v[26:27], v[28:29], 2, v[26:27]
	s_waitcnt vmcnt(0)
	v_add3_u32 v30, v30, s15, 1
	global_store_dword v[26:27], v30, off
.LBB48_421:
	s_or_b64 exec, exec, s[0:1]
	v_cmp_eq_u32_e32 vcc, 0, v28
	s_and_saveexec_b64 s[2:3], vcc
	s_cbranch_execz .LBB48_424
; %bb.422:
	s_movk_i32 s0, 0x1014
	scratch_load_dwordx2 v[30:31], off, s0  ; 8-byte Folded Reload
	v_mov_b32_e32 v26, s4
	v_mov_b32_e32 v27, s5
	v_cmp_ne_u32_e64 s[0:1], 0, v74
	s_waitcnt vmcnt(0)
	v_lshl_add_u64 v[26:27], v[30:31], 2, v[26:27]
	global_load_dword v30, v[26:27], off
	s_waitcnt vmcnt(0)
	v_cmp_eq_u32_e32 vcc, 0, v30
	s_and_b64 s[0:1], vcc, s[0:1]
	s_and_b64 exec, exec, s[0:1]
	s_cbranch_execz .LBB48_424
; %bb.423:
	v_add_u32_e32 v30, s15, v74
	global_store_dword v[26:27], v30, off
.LBB48_424:
	s_or_b64 exec, exec, s[2:3]
	v_mul_f32_e32 v25, v255, v25
	v_cmp_lt_i32_e32 vcc, 24, v28
	s_nop 1
	v_cndmask_b32_e32 v26, v24, v25, vcc
	v_lshl_add_u64 v[24:25], v[28:29], 2, v[250:251]
	global_store_dword v[24:25], v0, off
	v_lshl_add_u64 v[24:25], s[12:13], 2, v[24:25]
	v_add_u32_e32 v0, s14, v28
	global_store_dword v[24:25], v1, off
	v_ashrrev_i32_e32 v1, 31, v0
	v_lshl_add_u64 v[24:25], v[0:1], 2, v[250:251]
	v_add_u32_e32 v0, s12, v0
	v_ashrrev_i32_e32 v1, 31, v0
	global_store_dword v[24:25], v2, off
	v_lshl_add_u64 v[24:25], v[0:1], 2, v[250:251]
	v_add_u32_e32 v0, s12, v0
	v_ashrrev_i32_e32 v1, 31, v0
	global_store_dword v[24:25], v3, off
	;; [unrolled: 4-line block ×21, first 2 shown]
	v_lshl_add_u64 v[2:3], v[0:1], 2, v[250:251]
	v_add_u32_e32 v0, s12, v0
	v_ashrrev_i32_e32 v1, 31, v0
	v_lshl_add_u64 v[0:1], v[0:1], 2, v[250:251]
	global_store_dword v[2:3], v23, off
	global_store_dword v[0:1], v26, off
.LBB48_425:
	s_endpgm
.LBB48_426:
	v_mov_b32_e32 v31, v89
	s_waitcnt lgkmcnt(0)
	v_cmp_eq_f32_e32 vcc, 0, v25
	s_and_saveexec_b64 s[0:1], vcc
	s_xor_b64 s[0:1], exec, s[0:1]
	s_cbranch_execnz .LBB48_70
	s_branch .LBB48_71
.LBB48_427:
	v_mov_b32_e32 v31, v89
	v_mov_b32_e32 v30, v116
	;; [unrolled: 1-line block ×6, first 2 shown]
	s_waitcnt lgkmcnt(0)
	v_cmp_eq_f32_e32 vcc, 0, v25
	s_and_saveexec_b64 s[0:1], vcc
	s_xor_b64 s[0:1], exec, s[0:1]
	s_cbranch_execnz .LBB48_104
	s_branch .LBB48_105
.LBB48_428:
	v_mov_b32_e32 v31, v89
	v_mov_b32_e32 v33, v185
	;; [unrolled: 1-line block ×3, first 2 shown]
	s_waitcnt lgkmcnt(0)
	v_cmp_eq_f32_e32 vcc, 0, v25
	s_and_saveexec_b64 s[0:1], vcc
	s_xor_b64 s[0:1], exec, s[0:1]
	s_cbranch_execnz .LBB48_138
	s_branch .LBB48_139
.LBB48_429:
	v_mov_b32_e32 v31, v89
	v_mov_b32_e32 v33, v185
	s_waitcnt lgkmcnt(0)
	v_cmp_eq_f32_e32 vcc, 0, v25
	s_and_saveexec_b64 s[0:1], vcc
	s_xor_b64 s[0:1], exec, s[0:1]
	s_cbranch_execnz .LBB48_172
	s_branch .LBB48_173
.LBB48_430:
	v_mov_b32_e32 v31, v89
	s_waitcnt lgkmcnt(0)
	v_cmp_eq_f32_e32 vcc, 0, v25
	s_and_saveexec_b64 s[0:1], vcc
	s_xor_b64 s[0:1], exec, s[0:1]
	s_cbranch_execnz .LBB48_206
	s_branch .LBB48_207
	.section	.rodata,"a",@progbits
	.p2align	6, 0x0
	.amdhsa_kernel _ZN9rocsolver6v33100L18getf2_small_kernelILi25EfiiPfEEvT1_T3_lS3_lPS3_llPT2_S3_S3_S5_l
		.amdhsa_group_segment_fixed_size 0
		.amdhsa_private_segment_fixed_size 4124
		.amdhsa_kernarg_size 352
		.amdhsa_user_sgpr_count 2
		.amdhsa_user_sgpr_dispatch_ptr 0
		.amdhsa_user_sgpr_queue_ptr 0
		.amdhsa_user_sgpr_kernarg_segment_ptr 1
		.amdhsa_user_sgpr_dispatch_id 0
		.amdhsa_user_sgpr_kernarg_preload_length 0
		.amdhsa_user_sgpr_kernarg_preload_offset 0
		.amdhsa_user_sgpr_private_segment_size 0
		.amdhsa_uses_dynamic_stack 0
		.amdhsa_enable_private_segment 1
		.amdhsa_system_sgpr_workgroup_id_x 1
		.amdhsa_system_sgpr_workgroup_id_y 1
		.amdhsa_system_sgpr_workgroup_id_z 0
		.amdhsa_system_sgpr_workgroup_info 0
		.amdhsa_system_vgpr_workitem_id 1
		.amdhsa_next_free_vgpr 256
		.amdhsa_next_free_sgpr 28
		.amdhsa_accum_offset 256
		.amdhsa_reserve_vcc 1
		.amdhsa_float_round_mode_32 0
		.amdhsa_float_round_mode_16_64 0
		.amdhsa_float_denorm_mode_32 3
		.amdhsa_float_denorm_mode_16_64 3
		.amdhsa_dx10_clamp 1
		.amdhsa_ieee_mode 1
		.amdhsa_fp16_overflow 0
		.amdhsa_tg_split 0
		.amdhsa_exception_fp_ieee_invalid_op 0
		.amdhsa_exception_fp_denorm_src 0
		.amdhsa_exception_fp_ieee_div_zero 0
		.amdhsa_exception_fp_ieee_overflow 0
		.amdhsa_exception_fp_ieee_underflow 0
		.amdhsa_exception_fp_ieee_inexact 0
		.amdhsa_exception_int_div_zero 0
	.end_amdhsa_kernel
	.section	.text._ZN9rocsolver6v33100L18getf2_small_kernelILi25EfiiPfEEvT1_T3_lS3_lPS3_llPT2_S3_S3_S5_l,"axG",@progbits,_ZN9rocsolver6v33100L18getf2_small_kernelILi25EfiiPfEEvT1_T3_lS3_lPS3_llPT2_S3_S3_S5_l,comdat
.Lfunc_end48:
	.size	_ZN9rocsolver6v33100L18getf2_small_kernelILi25EfiiPfEEvT1_T3_lS3_lPS3_llPT2_S3_S3_S5_l, .Lfunc_end48-_ZN9rocsolver6v33100L18getf2_small_kernelILi25EfiiPfEEvT1_T3_lS3_lPS3_llPT2_S3_S3_S5_l
                                        ; -- End function
	.set _ZN9rocsolver6v33100L18getf2_small_kernelILi25EfiiPfEEvT1_T3_lS3_lPS3_llPT2_S3_S3_S5_l.num_vgpr, 256
	.set _ZN9rocsolver6v33100L18getf2_small_kernelILi25EfiiPfEEvT1_T3_lS3_lPS3_llPT2_S3_S3_S5_l.num_agpr, 0
	.set _ZN9rocsolver6v33100L18getf2_small_kernelILi25EfiiPfEEvT1_T3_lS3_lPS3_llPT2_S3_S3_S5_l.numbered_sgpr, 28
	.set _ZN9rocsolver6v33100L18getf2_small_kernelILi25EfiiPfEEvT1_T3_lS3_lPS3_llPT2_S3_S3_S5_l.num_named_barrier, 0
	.set _ZN9rocsolver6v33100L18getf2_small_kernelILi25EfiiPfEEvT1_T3_lS3_lPS3_llPT2_S3_S3_S5_l.private_seg_size, 4124
	.set _ZN9rocsolver6v33100L18getf2_small_kernelILi25EfiiPfEEvT1_T3_lS3_lPS3_llPT2_S3_S3_S5_l.uses_vcc, 1
	.set _ZN9rocsolver6v33100L18getf2_small_kernelILi25EfiiPfEEvT1_T3_lS3_lPS3_llPT2_S3_S3_S5_l.uses_flat_scratch, 0
	.set _ZN9rocsolver6v33100L18getf2_small_kernelILi25EfiiPfEEvT1_T3_lS3_lPS3_llPT2_S3_S3_S5_l.has_dyn_sized_stack, 0
	.set _ZN9rocsolver6v33100L18getf2_small_kernelILi25EfiiPfEEvT1_T3_lS3_lPS3_llPT2_S3_S3_S5_l.has_recursion, 0
	.set _ZN9rocsolver6v33100L18getf2_small_kernelILi25EfiiPfEEvT1_T3_lS3_lPS3_llPT2_S3_S3_S5_l.has_indirect_call, 0
	.section	.AMDGPU.csdata,"",@progbits
; Kernel info:
; codeLenInByte = 55284
; TotalNumSgprs: 34
; NumVgprs: 256
; NumAgprs: 0
; TotalNumVgprs: 256
; ScratchSize: 4124
; MemoryBound: 0
; FloatMode: 240
; IeeeMode: 1
; LDSByteSize: 0 bytes/workgroup (compile time only)
; SGPRBlocks: 4
; VGPRBlocks: 31
; NumSGPRsForWavesPerEU: 34
; NumVGPRsForWavesPerEU: 256
; AccumOffset: 256
; Occupancy: 2
; WaveLimiterHint : 0
; COMPUTE_PGM_RSRC2:SCRATCH_EN: 1
; COMPUTE_PGM_RSRC2:USER_SGPR: 2
; COMPUTE_PGM_RSRC2:TRAP_HANDLER: 0
; COMPUTE_PGM_RSRC2:TGID_X_EN: 1
; COMPUTE_PGM_RSRC2:TGID_Y_EN: 1
; COMPUTE_PGM_RSRC2:TGID_Z_EN: 0
; COMPUTE_PGM_RSRC2:TIDIG_COMP_CNT: 1
; COMPUTE_PGM_RSRC3_GFX90A:ACCUM_OFFSET: 63
; COMPUTE_PGM_RSRC3_GFX90A:TG_SPLIT: 0
	.section	.text._ZN9rocsolver6v33100L23getf2_npvt_small_kernelILi25EfiiPfEEvT1_T3_lS3_lPT2_S3_S3_,"axG",@progbits,_ZN9rocsolver6v33100L23getf2_npvt_small_kernelILi25EfiiPfEEvT1_T3_lS3_lPT2_S3_S3_,comdat
	.globl	_ZN9rocsolver6v33100L23getf2_npvt_small_kernelILi25EfiiPfEEvT1_T3_lS3_lPT2_S3_S3_ ; -- Begin function _ZN9rocsolver6v33100L23getf2_npvt_small_kernelILi25EfiiPfEEvT1_T3_lS3_lPT2_S3_S3_
	.p2align	8
	.type	_ZN9rocsolver6v33100L23getf2_npvt_small_kernelILi25EfiiPfEEvT1_T3_lS3_lPT2_S3_S3_,@function
_ZN9rocsolver6v33100L23getf2_npvt_small_kernelILi25EfiiPfEEvT1_T3_lS3_lPT2_S3_S3_: ; @_ZN9rocsolver6v33100L23getf2_npvt_small_kernelILi25EfiiPfEEvT1_T3_lS3_lPT2_S3_S3_
; %bb.0:
	s_load_dword s2, s[0:1], 0x44
	s_load_dwordx2 s[8:9], s[0:1], 0x30
	v_bfe_u32 v1, v0, 10, 10
	s_waitcnt lgkmcnt(0)
	s_lshr_b32 s10, s2, 16
	s_mul_i32 s3, s3, s10
	v_add_u32_e32 v4, s3, v1
	v_cmp_gt_i32_e32 vcc, s8, v4
	s_and_saveexec_b64 s[2:3], vcc
	s_cbranch_execz .LBB49_130
; %bb.1:
	s_load_dwordx4 s[12:15], s[0:1], 0x8
	s_load_dword s2, s[0:1], 0x18
	s_load_dwordx4 s[4:7], s[0:1], 0x20
	v_ashrrev_i32_e32 v5, 31, v4
	v_and_b32_e32 v250, 0x3ff, v0
	scratch_store_dwordx2 off, v[4:5], off offset:3916 ; 8-byte Folded Spill
	s_waitcnt lgkmcnt(0)
	v_mov_b32_e32 v2, s12
	v_mul_lo_u32 v0, s5, v4
	v_mul_lo_u32 v6, s4, v5
	v_mad_u64_u32 v[4:5], s[0:1], s4, v4, 0
	v_mov_b32_e32 v3, s13
	v_add3_u32 v5, v5, v6, v0
	v_lshl_add_u64 v[2:3], v[4:5], 2, v[2:3]
	v_lshl_add_u64 v[2:3], s[14:15], 2, v[2:3]
	v_lshlrev_b32_e32 v4, 2, v250
	v_mov_b32_e32 v5, 0
	s_add_i32 s0, s2, s2
	v_lshl_add_u64 v[26:27], v[2:3], 0, v[4:5]
	v_add_u32_e32 v4, s0, v250
	v_ashrrev_i32_e32 v5, 31, v4
	v_lshl_add_u64 v[22:23], v[4:5], 2, v[2:3]
	v_add_u32_e32 v4, s2, v4
	v_ashrrev_i32_e32 v5, 31, v4
	v_lshl_add_u64 v[24:25], v[4:5], 2, v[2:3]
	v_add_u32_e32 v4, s2, v4
	v_ashrrev_i32_e32 v5, 31, v4
	v_lshl_add_u64 v[28:29], v[4:5], 2, v[2:3]
	v_add_u32_e32 v4, s2, v4
	v_ashrrev_i32_e32 v5, 31, v4
	v_lshl_add_u64 v[30:31], v[4:5], 2, v[2:3]
	v_add_u32_e32 v4, s2, v4
	v_ashrrev_i32_e32 v5, 31, v4
	v_lshl_add_u64 v[32:33], v[4:5], 2, v[2:3]
	v_add_u32_e32 v4, s2, v4
	v_ashrrev_i32_e32 v5, 31, v4
	v_lshl_add_u64 v[34:35], v[4:5], 2, v[2:3]
	v_add_u32_e32 v4, s2, v4
	v_ashrrev_i32_e32 v5, 31, v4
	v_lshl_add_u64 v[18:19], v[4:5], 2, v[2:3]
	v_add_u32_e32 v4, s2, v4
	v_ashrrev_i32_e32 v5, 31, v4
	v_lshl_add_u64 v[12:13], v[4:5], 2, v[2:3]
	v_add_u32_e32 v4, s2, v4
	v_ashrrev_i32_e32 v5, 31, v4
	v_lshl_add_u64 v[14:15], v[4:5], 2, v[2:3]
	v_add_u32_e32 v4, s2, v4
	v_ashrrev_i32_e32 v5, 31, v4
	v_lshl_add_u64 v[16:17], v[4:5], 2, v[2:3]
	v_add_u32_e32 v4, s2, v4
	v_ashrrev_i32_e32 v5, 31, v4
	v_lshl_add_u64 v[36:37], v[4:5], 2, v[2:3]
	v_add_u32_e32 v4, s2, v4
	v_ashrrev_i32_e32 v5, 31, v4
	v_lshl_add_u64 v[38:39], v[4:5], 2, v[2:3]
	v_add_u32_e32 v4, s2, v4
	v_ashrrev_i32_e32 v5, 31, v4
	v_lshl_add_u64 v[40:41], v[4:5], 2, v[2:3]
	v_add_u32_e32 v4, s2, v4
	v_ashrrev_i32_e32 v5, 31, v4
	v_lshl_add_u64 v[42:43], v[4:5], 2, v[2:3]
	v_add_u32_e32 v4, s2, v4
	v_ashrrev_i32_e32 v5, 31, v4
	v_lshl_add_u64 v[10:11], v[4:5], 2, v[2:3]
	v_add_u32_e32 v4, s2, v4
	v_ashrrev_i32_e32 v5, 31, v4
	v_lshl_add_u64 v[6:7], v[4:5], 2, v[2:3]
	v_add_u32_e32 v4, s2, v4
	v_ashrrev_i32_e32 v5, 31, v4
	v_lshl_add_u64 v[8:9], v[4:5], 2, v[2:3]
	v_add_u32_e32 v4, s2, v4
	v_ashrrev_i32_e32 v5, 31, v4
	v_lshl_add_u64 v[44:45], v[4:5], 2, v[2:3]
	v_add_u32_e32 v4, s2, v4
	v_ashrrev_i32_e32 v5, 31, v4
	v_lshl_add_u64 v[46:47], v[4:5], 2, v[2:3]
	v_add_u32_e32 v4, s2, v4
	v_ashrrev_i32_e32 v5, 31, v4
	v_lshl_add_u64 v[48:49], v[4:5], 2, v[2:3]
	v_add_u32_e32 v4, s2, v4
	v_ashrrev_i32_e32 v5, 31, v4
	v_lshl_add_u64 v[50:51], v[4:5], 2, v[2:3]
	v_add_u32_e32 v4, s2, v4
	v_ashrrev_i32_e32 v5, 31, v4
	v_lshl_add_u64 v[52:53], v[4:5], 2, v[2:3]
	v_add_u32_e32 v4, s2, v4
	s_ashr_i32 s3, s2, 31
	v_ashrrev_i32_e32 v5, 31, v4
	v_lshl_add_u64 v[20:21], s[2:3], 2, v[26:27]
	v_lshl_add_u64 v[2:3], v[4:5], 2, v[2:3]
	global_load_dword v255, v[2:3], off
	global_load_dword v4, v[6:7], off
	;; [unrolled: 1-line block ×4, first 2 shown]
	s_mulk_i32 s10, 0x64
	scratch_store_dwordx2 off, v[6:7], off offset:3720 ; 8-byte Folded Spill
	scratch_store_dwordx2 off, v[8:9], off offset:3728 ; 8-byte Folded Spill
	;; [unrolled: 1-line block ×3, first 2 shown]
	global_load_dword v11, v[10:11], off
	s_movk_i32 s0, 0x64
	scratch_store_dwordx2 off, v[12:13], off offset:3656 ; 8-byte Folded Spill
	global_load_dword v12, v[12:13], off
	s_add_i32 s1, s10, 0
	scratch_store_dwordx2 off, v[14:15], off offset:3664 ; 8-byte Folded Spill
	scratch_store_dwordx2 off, v[16:17], off offset:3672 ; 8-byte Folded Spill
	;; [unrolled: 1-line block ×4, first 2 shown]
	global_load_dword v19, v[18:19], off
	v_mad_u32_u24 v252, v1, s0, 0
	global_load_dword v6, v[44:45], off
	global_load_dword v13, v[14:15], off
	;; [unrolled: 1-line block ×7, first 2 shown]
	v_lshl_add_u32 v251, v1, 2, s1
	scratch_store_dwordx2 off, v[20:21], off offset:3592 ; 8-byte Folded Spill
	global_load_dword v20, v[20:21], off
	v_cmp_ne_u32_e64 s[2:3], 0, v250
	scratch_store_dwordx2 off, v[22:23], off offset:3600 ; 8-byte Folded Spill
	scratch_store_dwordx2 off, v[24:25], off offset:3608 ; 8-byte Folded Spill
	global_load_dword v42, v[26:27], off
	global_load_dword v14, v[16:17], off
	;; [unrolled: 1-line block ×4, first 2 shown]
	v_cmp_eq_u32_e64 s[0:1], 0, v250
	global_load_dword v16, v[38:39], off
	global_load_dword v17, v[40:41], off
	;; [unrolled: 1-line block ×4, first 2 shown]
	s_nop 0
	global_load_dword v24, v[30:31], off
	global_load_dword v25, v[32:33], off
	s_nop 0
	scratch_store_dwordx2 off, v[2:3], off offset:3776 ; 8-byte Folded Spill
	scratch_store_dwordx2 off, v[44:45], off offset:3736 ; 8-byte Folded Spill
	;; [unrolled: 1-line block ×14, first 2 shown]
	s_and_saveexec_b64 s[4:5], s[0:1]
	s_cbranch_execz .LBB49_4
; %bb.2:
	s_waitcnt vmcnt(23)
	ds_write_b32 v251, v42
	s_waitcnt vmcnt(21)
	ds_write2_b32 v252, v20, v21 offset0:1 offset1:2
	s_waitcnt vmcnt(16)
	ds_write2_b32 v252, v22, v23 offset0:3 offset1:4
	;; [unrolled: 2-line block ×3, first 2 shown]
	ds_write2_b32 v252, v18, v19 offset0:7 offset1:8
	ds_write2_b32 v252, v12, v13 offset0:9 offset1:10
	;; [unrolled: 1-line block ×9, first 2 shown]
	ds_read_b32 v1, v251
	s_waitcnt lgkmcnt(0)
	v_cmp_neq_f32_e32 vcc, 0, v1
	s_and_b64 exec, exec, vcc
	s_cbranch_execz .LBB49_4
; %bb.3:
	v_div_scale_f32 v2, s[10:11], v1, v1, 1.0
	v_rcp_f32_e32 v3, v2
	v_div_scale_f32 v26, vcc, 1.0, v1, 1.0
	v_fma_f32 v27, -v2, v3, 1.0
	v_fmac_f32_e32 v3, v27, v3
	v_mul_f32_e32 v27, v26, v3
	v_fma_f32 v28, -v2, v27, v26
	v_fmac_f32_e32 v27, v28, v3
	v_fma_f32 v2, -v2, v27, v26
	v_div_fmas_f32 v2, v2, v3, v27
	v_div_fixup_f32 v1, v2, v1, 1.0
	ds_write_b32 v251, v1
.LBB49_4:
	s_or_b64 exec, exec, s[4:5]
	s_waitcnt lgkmcnt(0)
	s_barrier
	ds_read_b32 v1, v251
                                        ; implicit-def: $vgpr166
                                        ; implicit-def: $vgpr47
                                        ; implicit-def: $vgpr174
                                        ; implicit-def: $vgpr26
                                        ; implicit-def: $vgpr115
                                        ; implicit-def: $vgpr204
                                        ; implicit-def: $vgpr59
                                        ; implicit-def: $vgpr138
                                        ; implicit-def: $vgpr165
                                        ; implicit-def: $vgpr40
                                        ; implicit-def: $vgpr39
                                        ; implicit-def: $vgpr68
                                        ; implicit-def: $vgpr49
                                        ; implicit-def: $vgpr160
                                        ; implicit-def: $vgpr27
                                        ; implicit-def: $vgpr34
                                        ; implicit-def: $vgpr33
                                        ; implicit-def: $vgpr32
                                        ; implicit-def: $vgpr31
                                        ; implicit-def: $vgpr30
                                        ; implicit-def: $vgpr3
	s_waitcnt lgkmcnt(0)
	scratch_store_dword off, v1, off offset:3784 ; 4-byte Folded Spill
	s_and_saveexec_b64 s[4:5], s[2:3]
	s_xor_b64 s[2:3], exec, s[4:5]
	s_cbranch_execz .LBB49_6
; %bb.5:
	ds_read2_b32 v[2:3], v252 offset0:1 offset1:2
	ds_read2_b32 v[28:29], v252 offset0:3 offset1:4
	;; [unrolled: 1-line block ×3, first 2 shown]
	scratch_load_dword v1, off, off offset:3784 ; 4-byte Folded Reload
	ds_read2_b32 v[32:33], v252 offset0:7 offset1:8
	s_waitcnt vmcnt(0)
	v_mul_f32_e32 v42, v42, v1
	s_waitcnt lgkmcnt(3)
	v_pk_fma_f32 v[26:27], v[42:43], v[2:3], v[20:21] op_sel_hi:[0,1,1] neg_lo:[1,0,0] neg_hi:[1,0,0]
	s_waitcnt lgkmcnt(2)
	v_pk_fma_f32 v[28:29], v[42:43], v[28:29], v[22:23] op_sel_hi:[0,1,1] neg_lo:[1,0,0] neg_hi:[1,0,0]
	ds_read2_b32 v[2:3], v252 offset0:9 offset1:10
	ds_read2_b32 v[20:21], v252 offset0:11 offset1:12
	;; [unrolled: 1-line block ×3, first 2 shown]
	s_waitcnt lgkmcnt(3)
	v_pk_fma_f32 v[32:33], v[42:43], v[32:33], v[18:19] op_sel_hi:[0,1,1] neg_lo:[1,0,0] neg_hi:[1,0,0]
	ds_read2_b32 v[18:19], v252 offset0:15 offset1:16
	s_waitcnt lgkmcnt(3)
	v_pk_fma_f32 v[34:35], v[42:43], v[2:3], v[12:13] op_sel_hi:[0,1,1] neg_lo:[1,0,0] neg_hi:[1,0,0]
	s_waitcnt lgkmcnt(2)
	v_pk_fma_f32 v[36:37], v[42:43], v[20:21], v[14:15] op_sel_hi:[0,1,1] neg_lo:[1,0,0] neg_hi:[1,0,0]
	;; [unrolled: 2-line block ×3, first 2 shown]
	ds_read2_b32 v[2:3], v252 offset0:17 offset1:18
	ds_read2_b32 v[12:13], v252 offset0:19 offset1:20
	;; [unrolled: 1-line block ×4, first 2 shown]
	v_pk_fma_f32 v[30:31], v[42:43], v[30:31], v[24:25] op_sel_hi:[0,1,1] neg_lo:[1,0,0] neg_hi:[1,0,0]
	s_waitcnt lgkmcnt(4)
	v_pk_fma_f32 v[0:1], v[42:43], v[18:19], v[10:11] op_sel_hi:[0,1,1] neg_lo:[1,0,0] neg_hi:[1,0,0]
	s_waitcnt lgkmcnt(3)
	v_pk_fma_f32 v[2:3], v[42:43], v[2:3], v[4:5] op_sel_hi:[0,1,1] neg_lo:[1,0,0] neg_hi:[1,0,0]
	s_waitcnt lgkmcnt(2)
	v_pk_fma_f32 v[40:41], v[42:43], v[12:13], v[6:7] op_sel_hi:[0,1,1] neg_lo:[1,0,0] neg_hi:[1,0,0]
	s_waitcnt lgkmcnt(1)
	v_pk_fma_f32 v[46:47], v[42:43], v[14:15], v[8:9] op_sel_hi:[0,1,1] neg_lo:[1,0,0] neg_hi:[1,0,0]
	s_waitcnt lgkmcnt(0)
	v_pk_fma_f32 v[254:255], v[42:43], v[16:17], v[254:255] op_sel_hi:[0,1,1] neg_lo:[1,0,0] neg_hi:[1,0,0]
	v_mov_b32_e32 v166, v47
	v_mov_b32_e32 v44, v27
                                        ; implicit-def: $vgpr20
                                        ; implicit-def: $vgpr22
                                        ; implicit-def: $vgpr24
                                        ; implicit-def: $vgpr18
                                        ; implicit-def: $vgpr12
                                        ; implicit-def: $vgpr14
                                        ; implicit-def: $vgpr16
                                        ; implicit-def: $vgpr10
                                        ; implicit-def: $vgpr4
                                        ; implicit-def: $vgpr6
                                        ; implicit-def: $vgpr8
	v_mov_b32_e32 v47, v46
	v_mov_b32_e32 v174, v41
	;; [unrolled: 1-line block ×19, first 2 shown]
.LBB49_6:
	s_or_saveexec_b64 s[2:3], s[2:3]
	v_mov_b32_e32 v43, v26
	s_xor_b64 exec, exec, s[2:3]
	s_cbranch_execz .LBB49_8
; %bb.7:
	s_waitcnt vmcnt(27)
	v_mov_b32_e32 v43, v20
	s_waitcnt vmcnt(22)
	v_mov_b32_e32 v44, v21
	;; [unrolled: 2-line block ×6, first 2 shown]
	v_mov_b32_e32 v33, v18
	v_mov_b32_e32 v34, v19
	;; [unrolled: 1-line block ×16, first 2 shown]
.LBB49_8:
	s_or_b64 exec, exec, s[2:3]
	v_mov_b32_e32 v45, v3
	s_waitcnt vmcnt(24)
	v_mov_b64_e32 v[220:221], v[44:45]
	v_mov_b32_e32 v41, v3
	v_mov_b64_e32 v[218:219], v[42:43]
	v_mov_b32_e32 v4, v30
	v_mov_b32_e32 v222, v30
	;; [unrolled: 1-line block ×17, first 2 shown]
	s_waitcnt vmcnt(23)
	v_mov_b32_e32 v14, v40
	v_mov_b32_e32 v232, v40
	;; [unrolled: 1-line block ×3, first 2 shown]
	s_waitcnt vmcnt(20)
	v_mov_b32_e32 v16, v138
	v_mov_b32_e32 v234, v138
	v_mov_b32_e32 v235, v59
	v_mov_b32_e32 v236, v204
	v_mov_b32_e32 v237, v115
	v_mov_b32_e32 v238, v174
	v_mov_b32_e32 v239, v47
	v_mov_b32_e32 v240, v166
	v_mov_b32_e32 v241, v254
	v_mov_b32_e32 v242, v255
	v_cmp_eq_u32_e32 vcc, 1, v250
	s_barrier
	s_and_saveexec_b64 s[2:3], vcc
	s_cbranch_execz .LBB49_11
; %bb.9:
	ds_write_b32 v251, v219
	ds_write2_b32 v252, v220, v41 offset0:2 offset1:3
	ds_write2_b32 v252, v4, v5 offset0:4 offset1:5
	;; [unrolled: 1-line block ×11, first 2 shown]
	ds_write_b32 v252, v255 offset:96
	s_waitcnt vmcnt(15)
	ds_read_b32 v25, v251
	s_waitcnt lgkmcnt(0)
	v_cmp_neq_f32_e32 vcc, 0, v25
	s_and_b64 exec, exec, vcc
	s_cbranch_execz .LBB49_11
; %bb.10:
	v_div_scale_f32 v26, s[4:5], v25, v25, 1.0
	v_rcp_f32_e32 v27, v26
	v_div_scale_f32 v28, vcc, 1.0, v25, 1.0
	v_fma_f32 v29, -v26, v27, 1.0
	v_fmac_f32_e32 v27, v29, v27
	v_mul_f32_e32 v29, v28, v27
	v_fma_f32 v30, -v26, v29, v28
	v_fmac_f32_e32 v29, v30, v27
	v_fma_f32 v26, -v26, v29, v28
	v_div_fmas_f32 v26, v26, v27, v29
	v_div_fixup_f32 v25, v26, v25, 1.0
	ds_write_b32 v251, v25
.LBB49_11:
	s_or_b64 exec, exec, s[2:3]
	v_mov_b32_e32 v34, v46
	v_mov_b32_e32 v26, v218
	;; [unrolled: 1-line block ×25, first 2 shown]
	scratch_store_dwordx4 off, v[150:153], off offset:896 ; 16-byte Folded Spill
	s_nop 0
	scratch_store_dwordx4 off, v[154:157], off offset:912 ; 16-byte Folded Spill
	scratch_store_dwordx4 off, v[158:161], off offset:928 ; 16-byte Folded Spill
	;; [unrolled: 1-line block ×7, first 2 shown]
	v_mov_b32_e32 v99, v49
	v_mov_b32_e32 v88, v218
	;; [unrolled: 1-line block ×32, first 2 shown]
	v_mov_b64_e32 v[56:57], v[34:35]
	v_mov_b64_e32 v[156:157], v[146:147]
	v_mov_b32_e32 v114, v34
	v_mov_b64_e32 v[54:55], v[32:33]
	v_mov_b64_e32 v[52:53], v[30:31]
	;; [unrolled: 1-line block ×4, first 2 shown]
	v_mov_b32_e32 v113, v33
	v_mov_b32_e32 v112, v32
	;; [unrolled: 1-line block ×21, first 2 shown]
	s_waitcnt vmcnt(23)
	v_mov_b32_e32 v25, v7
	v_mov_b32_e32 v20, v220
	;; [unrolled: 1-line block ×10, first 2 shown]
	v_mov_b64_e32 v[206:207], v[218:219]
	v_mov_b32_e32 v30, v68
	v_mov_b32_e32 v98, v160
	v_mov_b64_e32 v[132:133], v[98:99]
	v_mov_b32_e32 v144, v160
	v_mov_b32_e32 v145, v133
	v_mov_b64_e32 v[154:155], v[144:145]
	v_mov_b64_e32 v[152:153], v[142:143]
	;; [unrolled: 1-line block ×14, first 2 shown]
	v_mov_b32_e32 v93, v133
	v_mov_b32_e32 v29, v133
	scratch_store_dwordx4 off, v[106:109], off offset:1280 ; 16-byte Folded Spill
	s_nop 0
	scratch_store_dwordx4 off, v[110:113], off offset:1296 ; 16-byte Folded Spill
	scratch_store_dwordx4 off, v[114:117], off offset:1312 ; 16-byte Folded Spill
	;; [unrolled: 1-line block ×7, first 2 shown]
	v_mov_b32_e32 v89, v7
	v_mov_b32_e32 v91, v9
	v_mov_b64_e32 v[6:7], v[18:19]
	v_mov_b32_e32 v94, v68
	v_mov_b64_e32 v[12:13], v[24:25]
	v_mov_b64_e32 v[140:141], v[54:55]
	v_mov_b32_e32 v31, v157
	v_mov_b64_e32 v[208:209], v[220:221]
	v_mov_b32_e32 v196, v32
	v_mov_b64_e32 v[68:69], v[144:145]
	v_mov_b64_e32 v[80:81], v[156:157]
	;; [unrolled: 1-line block ×4, first 2 shown]
	v_mov_b32_e32 v28, v160
	v_mov_b64_e32 v[70:71], v[146:147]
	v_mov_b64_e32 v[72:73], v[148:149]
	;; [unrolled: 1-line block ×5, first 2 shown]
	v_mov_b32_e32 v150, v206
	v_mov_b32_e32 v151, v207
	;; [unrolled: 1-line block ×9, first 2 shown]
	v_mov_b64_e32 v[148:149], v[56:57]
	v_mov_b32_e32 v162, v94
	v_mov_b32_e32 v163, v81
	;; [unrolled: 1-line block ×5, first 2 shown]
	v_mov_b64_e32 v[138:139], v[52:53]
	v_mov_b64_e32 v[210:211], v[222:223]
	;; [unrolled: 1-line block ×7, first 2 shown]
	v_mov_b32_e32 v222, v234
	v_mov_b64_e32 v[146:147], v[54:55]
	v_mov_b64_e32 v[144:145], v[52:53]
	;; [unrolled: 1-line block ×5, first 2 shown]
	v_mov_b32_e32 v189, v13
	v_mov_b64_e32 v[8:9], v[18:19]
	v_mov_b32_e32 v3, v41
	v_mov_b32_e32 v63, v41
	;; [unrolled: 1-line block ×14, first 2 shown]
	v_mov_b64_e32 v[50:51], v[38:39]
	v_mov_b64_e32 v[10:11], v[20:21]
	;; [unrolled: 1-line block ×4, first 2 shown]
	v_mov_b32_e32 v90, v58
	v_mov_b32_e32 v199, v59
	;; [unrolled: 1-line block ×6, first 2 shown]
	v_mov_b64_e32 v[96:97], v[122:123]
	v_mov_b64_e32 v[98:99], v[124:125]
	;; [unrolled: 1-line block ×6, first 2 shown]
	scratch_store_dwordx4 off, v[150:153], off offset:2432 ; 16-byte Folded Spill
	s_nop 0
	scratch_store_dwordx4 off, v[154:157], off offset:2448 ; 16-byte Folded Spill
	scratch_store_dwordx4 off, v[158:161], off offset:2464 ; 16-byte Folded Spill
	;; [unrolled: 1-line block ×7, first 2 shown]
	v_mov_b64_e32 v[126:127], v[28:29]
	v_mov_b32_e32 v130, v32
	v_mov_b64_e32 v[124:125], v[26:27]
	v_mov_b64_e32 v[122:123], v[24:25]
	;; [unrolled: 1-line block ×5, first 2 shown]
	v_mov_b32_e32 v129, v31
	v_mov_b32_e32 v128, v30
	scratch_load_dwordx4 v[18:21], off, off offset:896 ; 16-byte Folded Reload
	scratch_load_dwordx4 v[22:25], off, off offset:912 ; 16-byte Folded Reload
	;; [unrolled: 1-line block ×8, first 2 shown]
	v_mov_b64_e32 v[162:163], v[106:107]
	s_waitcnt vmcnt(4)
	v_mov_b64_e32 v[30:31], v[80:81]
	v_mov_b32_e32 v184, v208
	v_mov_b32_e32 v185, v53
	;; [unrolled: 1-line block ×4, first 2 shown]
	v_mov_b64_e32 v[58:59], v[4:5]
	v_mov_b32_e32 v188, v66
	v_mov_b32_e32 v190, v114
	;; [unrolled: 1-line block ×7, first 2 shown]
	s_waitcnt vmcnt(1)
	v_mov_b64_e32 v[42:43], v[50:51]
	v_mov_b32_e32 v64, v4
	v_mov_b32_e32 v65, v5
	v_mov_b64_e32 v[56:57], v[2:3]
	v_mov_b64_e32 v[54:55], v[0:1]
	;; [unrolled: 1-line block ×3, first 2 shown]
	v_mov_b32_e32 v88, v66
	v_mov_b64_e32 v[160:161], v[104:105]
	v_mov_b64_e32 v[158:159], v[102:103]
	;; [unrolled: 1-line block ×5, first 2 shown]
	v_mov_b32_e32 v151, v115
	v_mov_b32_e32 v86, v4
	;; [unrolled: 1-line block ×4, first 2 shown]
	v_mov_b64_e32 v[98:99], v[92:93]
	v_mov_b64_e32 v[96:97], v[90:91]
	;; [unrolled: 1-line block ×10, first 2 shown]
	v_cmp_lt_u32_e32 vcc, 1, v250
	v_mov_b32_e32 v197, v165
	v_mov_b32_e32 v238, v174
	;; [unrolled: 1-line block ×3, first 2 shown]
	v_mov_b64_e32 v[18:19], v[68:69]
	scratch_store_dwordx4 off, v[182:185], off ; 16-byte Folded Spill
	s_nop 0
	scratch_store_dwordx4 off, v[186:189], off offset:16 ; 16-byte Folded Spill
	scratch_store_dwordx4 off, v[190:193], off offset:32 ; 16-byte Folded Spill
	;; [unrolled: 1-line block ×7, first 2 shown]
	v_mov_b64_e32 v[20:21], v[70:71]
	v_mov_b64_e32 v[22:23], v[72:73]
	;; [unrolled: 1-line block ×5, first 2 shown]
	v_mov_b32_e32 v185, v53
	scratch_store_dwordx4 off, v[42:45], off offset:1792 ; 16-byte Folded Spill
	s_waitcnt vmcnt(9)
	scratch_store_dwordx4 off, v[46:49], off offset:1808 ; 16-byte Folded Spill
	scratch_store_dwordx4 off, v[50:53], off offset:1824 ; 16-byte Folded Spill
	;; [unrolled: 1-line block ×7, first 2 shown]
	v_mov_b32_e32 v191, v149
	v_mov_b32_e32 v186, v4
	;; [unrolled: 1-line block ×7, first 2 shown]
	v_mov_b64_e32 v[36:37], v[54:55]
	v_mov_b64_e32 v[38:39], v[56:57]
	;; [unrolled: 1-line block ×3, first 2 shown]
	scratch_store_dwordx4 off, v[36:39], off offset:1920 ; 16-byte Folded Spill
	s_nop 0
	scratch_store_dwordx4 off, v[40:43], off offset:1936 ; 16-byte Folded Spill
	scratch_store_dwordx4 off, v[44:47], off offset:1952 ; 16-byte Folded Spill
	scratch_store_dwordx4 off, v[48:51], off offset:1968 ; 16-byte Folded Spill
	scratch_store_dwordx4 off, v[52:55], off offset:1984 ; 16-byte Folded Spill
	scratch_store_dwordx4 off, v[56:59], off offset:2000 ; 16-byte Folded Spill
	scratch_store_dwordx4 off, v[60:63], off offset:2016 ; 16-byte Folded Spill
	scratch_store_dwordx4 off, v[64:67], off offset:2032 ; 16-byte Folded Spill
	v_mov_b32_e32 v108, v66
	v_mov_b32_e32 v107, v65
	;; [unrolled: 1-line block ×7, first 2 shown]
	scratch_store_dwordx4 off, v[102:105], off offset:2048 ; 16-byte Folded Spill
	s_nop 0
	scratch_store_dwordx4 off, v[106:109], off offset:2064 ; 16-byte Folded Spill
	scratch_store_dwordx4 off, v[110:113], off offset:2080 ; 16-byte Folded Spill
	;; [unrolled: 1-line block ×7, first 2 shown]
	v_mov_b32_e32 v188, v66
	v_mov_b32_e32 v187, v41
	scratch_store_dwordx4 off, v[80:83], off offset:1664 ; 16-byte Folded Spill
	s_nop 0
	scratch_store_dwordx4 off, v[84:87], off offset:1680 ; 16-byte Folded Spill
	scratch_store_dwordx4 off, v[88:91], off offset:1696 ; 16-byte Folded Spill
	;; [unrolled: 1-line block ×7, first 2 shown]
	scratch_load_dwordx4 v[46:49], off, off offset:1280 ; 16-byte Folded Reload
	scratch_load_dwordx4 v[50:53], off, off offset:1296 ; 16-byte Folded Reload
	scratch_load_dwordx4 v[54:57], off, off offset:1312 ; 16-byte Folded Reload
	scratch_load_dwordx4 v[58:61], off, off offset:1328 ; 16-byte Folded Reload
	scratch_load_dwordx4 v[62:65], off, off offset:1344 ; 16-byte Folded Reload
	scratch_load_dwordx4 v[66:69], off, off offset:1360 ; 16-byte Folded Reload
	scratch_load_dwordx4 v[70:73], off, off offset:1376 ; 16-byte Folded Reload
	scratch_load_dwordx4 v[74:77], off, off offset:1392 ; 16-byte Folded Reload
	s_nop 0
	scratch_store_dwordx4 off, v[140:143], off offset:2176 ; 16-byte Folded Spill
	s_nop 0
	scratch_store_dwordx4 off, v[144:147], off offset:2192 ; 16-byte Folded Spill
	scratch_store_dwordx4 off, v[148:151], off offset:2208 ; 16-byte Folded Spill
	;; [unrolled: 1-line block ×7, first 2 shown]
	v_mov_b64_e32 v[84:85], v[30:31]
	v_mov_b32_e32 v200, v130
	v_mov_b32_e32 v194, v100
	v_mov_b64_e32 v[132:133], v[152:153]
	s_waitcnt vmcnt(13)
	v_mov_b32_e32 v32, v46
	v_mov_b32_e32 v33, v47
	;; [unrolled: 1-line block ×9, first 2 shown]
	scratch_load_dwordx4 v[46:49], off, off offset:896 ; 16-byte Folded Reload
	scratch_load_dwordx4 v[50:53], off, off offset:912 ; 16-byte Folded Reload
	;; [unrolled: 1-line block ×8, first 2 shown]
	v_mov_b64_e32 v[134:135], v[154:155]
	v_mov_b64_e32 v[136:137], v[156:157]
	;; [unrolled: 1-line block ×5, first 2 shown]
	scratch_store_dwordx4 off, v[132:135], off offset:2304 ; 16-byte Folded Spill
	s_nop 0
	scratch_store_dwordx4 off, v[136:139], off offset:2320 ; 16-byte Folded Spill
	scratch_store_dwordx4 off, v[140:143], off offset:2336 ; 16-byte Folded Spill
	;; [unrolled: 1-line block ×7, first 2 shown]
	s_waitcnt vmcnt(8)
	v_mov_b64_e32 v[82:83], v[28:29]
	v_mov_b64_e32 v[80:81], v[26:27]
	;; [unrolled: 1-line block ×6, first 2 shown]
	scratch_load_dwordx4 v[0:3], off, off   ; 16-byte Folded Reload
	scratch_load_dwordx4 v[4:7], off, off offset:16 ; 16-byte Folded Reload
	scratch_load_dwordx4 v[8:11], off, off offset:32 ; 16-byte Folded Reload
	;; [unrolled: 1-line block ×7, first 2 shown]
	v_mov_b32_e32 v190, v40
	s_waitcnt vmcnt(0)
	v_mov_b64_e32 v[18:19], v[116:117]
	v_mov_b64_e32 v[20:21], v[118:119]
	;; [unrolled: 1-line block ×6, first 2 shown]
	v_mov_b32_e32 v201, v165
	v_mov_b32_e32 v132, v206
	;; [unrolled: 1-line block ×15, first 2 shown]
	v_mov_b64_e32 v[0:1], v[182:183]
	v_mov_b64_e32 v[2:3], v[184:185]
	;; [unrolled: 1-line block ×8, first 2 shown]
	v_mov_b32_e32 v189, v45
	v_mov_b32_e32 v191, v41
	;; [unrolled: 1-line block ×4, first 2 shown]
	scratch_load_dwordx4 v[34:37], off, off ; 16-byte Folded Reload
	scratch_load_dwordx4 v[38:41], off, off offset:16 ; 16-byte Folded Reload
	scratch_load_dwordx4 v[42:45], off, off offset:32 ; 16-byte Folded Reload
	;; [unrolled: 1-line block ×7, first 2 shown]
	v_mov_b32_e32 v198, v16
	v_mov_b64_e32 v[16:17], v[198:199]
	v_mov_b32_e32 v192, v108
	v_mov_b32_e32 v198, v100
	scratch_store_dwordx4 off, v[88:91], off offset:1024 ; 16-byte Folded Spill
	s_nop 0
	scratch_store_dwordx4 off, v[92:95], off offset:1040 ; 16-byte Folded Spill
	scratch_store_dwordx4 off, v[96:99], off offset:1056 ; 16-byte Folded Spill
	;; [unrolled: 1-line block ×7, first 2 shown]
	v_mov_b32_e32 v197, v143
	v_mov_b32_e32 v186, v206
	;; [unrolled: 1-line block ×14, first 2 shown]
	s_waitcnt vmcnt(11)
	v_mov_b32_e32 v202, v50
	scratch_load_dwordx4 v[36:39], off, off offset:1792 ; 16-byte Folded Reload
	scratch_load_dwordx4 v[40:43], off, off offset:1808 ; 16-byte Folded Reload
	scratch_load_dwordx4 v[44:47], off, off offset:1824 ; 16-byte Folded Reload
	scratch_load_dwordx4 v[48:51], off, off offset:1840 ; 16-byte Folded Reload
	scratch_load_dwordx4 v[52:55], off, off offset:1856 ; 16-byte Folded Reload
	scratch_load_dwordx4 v[56:59], off, off offset:1872 ; 16-byte Folded Reload
	scratch_load_dwordx4 v[60:63], off, off offset:1888 ; 16-byte Folded Reload
	scratch_load_dwordx4 v[64:67], off, off offset:1904 ; 16-byte Folded Reload
	s_waitcnt vmcnt(7)
	v_mov_b32_e32 v135, v39
	scratch_load_dwordx4 v[36:39], off, off offset:1920 ; 16-byte Folded Reload
	scratch_load_dwordx4 v[40:43], off, off offset:1936 ; 16-byte Folded Reload
	scratch_load_dwordx4 v[44:47], off, off offset:1952 ; 16-byte Folded Reload
	scratch_load_dwordx4 v[48:51], off, off offset:1968 ; 16-byte Folded Reload
	scratch_load_dwordx4 v[52:55], off, off offset:1984 ; 16-byte Folded Reload
	scratch_load_dwordx4 v[56:59], off, off offset:2000 ; 16-byte Folded Reload
	scratch_load_dwordx4 v[60:63], off, off offset:2016 ; 16-byte Folded Reload
	scratch_load_dwordx4 v[64:67], off, off offset:2032 ; 16-byte Folded Reload
	;; [unrolled: 10-line block ×3, first 2 shown]
	scratch_load_dwordx4 v[96:99], off, off offset:1664 ; 16-byte Folded Reload
	scratch_load_dwordx4 v[100:103], off, off offset:1680 ; 16-byte Folded Reload
	;; [unrolled: 1-line block ×8, first 2 shown]
	s_waitcnt vmcnt(3)
	v_mov_b64_e32 v[114:115], v[82:83]
	v_mov_b64_e32 v[112:113], v[80:81]
	;; [unrolled: 1-line block ×6, first 2 shown]
	s_waitcnt vmcnt(2)
	v_mov_b64_e32 v[116:117], v[84:85]
	v_mov_b32_e32 v167, v117
	v_mov_b32_e32 v231, v117
	;; [unrolled: 1-line block ×3, first 2 shown]
	scratch_load_dwordx4 v[36:39], off, off offset:1280 ; 16-byte Folded Reload
	scratch_load_dwordx4 v[40:43], off, off offset:1296 ; 16-byte Folded Reload
	;; [unrolled: 1-line block ×8, first 2 shown]
	v_mov_b32_e32 v139, v103
	s_waitcnt vmcnt(5)
	v_mov_b32_e32 v140, v44
	scratch_load_dwordx4 v[36:39], off, off offset:2176 ; 16-byte Folded Reload
	scratch_load_dwordx4 v[40:43], off, off offset:2192 ; 16-byte Folded Reload
	scratch_load_dwordx4 v[44:47], off, off offset:2208 ; 16-byte Folded Reload
	scratch_load_dwordx4 v[48:51], off, off offset:2224 ; 16-byte Folded Reload
	scratch_load_dwordx4 v[52:55], off, off offset:2240 ; 16-byte Folded Reload
	scratch_load_dwordx4 v[56:59], off, off offset:2256 ; 16-byte Folded Reload
	scratch_load_dwordx4 v[60:63], off, off offset:2272 ; 16-byte Folded Reload
	scratch_load_dwordx4 v[64:67], off, off offset:2288 ; 16-byte Folded Reload
	s_waitcnt vmcnt(5)
	v_mov_b32_e32 v141, v45
	scratch_load_dwordx4 v[36:39], off, off offset:896 ; 16-byte Folded Reload
	scratch_load_dwordx4 v[40:43], off, off offset:912 ; 16-byte Folded Reload
	scratch_load_dwordx4 v[44:47], off, off offset:928 ; 16-byte Folded Reload
	scratch_load_dwordx4 v[48:51], off, off offset:944 ; 16-byte Folded Reload
	scratch_load_dwordx4 v[52:55], off, off offset:960 ; 16-byte Folded Reload
	scratch_load_dwordx4 v[56:59], off, off offset:976 ; 16-byte Folded Reload
	scratch_load_dwordx4 v[60:63], off, off offset:992 ; 16-byte Folded Reload
	scratch_load_dwordx4 v[64:67], off, off offset:1008 ; 16-byte Folded Reload
	;; [unrolled: 10-line block ×5, first 2 shown]
	s_waitcnt vmcnt(4)
	v_mov_b32_e32 v147, v51
	scratch_load_dwordx4 v[34:37], off, off ; 16-byte Folded Reload
	scratch_load_dwordx4 v[38:41], off, off offset:16 ; 16-byte Folded Reload
	scratch_load_dwordx4 v[42:45], off, off offset:32 ; 16-byte Folded Reload
	;; [unrolled: 1-line block ×7, first 2 shown]
	s_nop 0
	scratch_store_dwordx4 off, v[186:189], off ; 16-byte Folded Spill
	s_nop 0
	scratch_store_dwordx4 off, v[190:193], off offset:16 ; 16-byte Folded Spill
	scratch_store_dwordx4 off, v[194:197], off offset:32 ; 16-byte Folded Spill
	;; [unrolled: 1-line block ×7, first 2 shown]
	scratch_load_dwordx4 v[72:75], off, off offset:1792 ; 16-byte Folded Reload
	scratch_load_dwordx4 v[76:79], off, off offset:1808 ; 16-byte Folded Reload
	;; [unrolled: 1-line block ×8, first 2 shown]
	v_mov_b64_e32 v[196:197], v[28:29]
	v_mov_b32_e32 v200, v32
	v_mov_b64_e32 v[194:195], v[26:27]
	v_mov_b64_e32 v[192:193], v[24:25]
	;; [unrolled: 1-line block ×5, first 2 shown]
	v_mov_b32_e32 v199, v31
	v_mov_b32_e32 v198, v30
	s_waitcnt vmcnt(17)
	v_mov_b32_e32 v52, v222
	v_mov_b32_e32 v53, v223
	;; [unrolled: 1-line block ×13, first 2 shown]
	s_waitcnt vmcnt(7)
	v_mov_b32_e32 v157, v75
	scratch_load_dwordx4 v[72:75], off, off offset:1920 ; 16-byte Folded Reload
	scratch_load_dwordx4 v[76:79], off, off offset:1936 ; 16-byte Folded Reload
	;; [unrolled: 1-line block ×8, first 2 shown]
	v_mov_b64_e32 v[18:19], v[34:35]
	v_mov_b32_e32 v148, v50
	v_mov_b32_e32 v170, v50
	v_mov_b64_e32 v[20:21], v[36:37]
	v_mov_b64_e32 v[22:23], v[38:39]
	;; [unrolled: 1-line block ×7, first 2 shown]
	v_mov_b32_e32 v34, v50
	v_mov_b64_e32 v[36:37], v[206:207]
	v_mov_b64_e32 v[38:39], v[208:209]
	v_mov_b64_e32 v[40:41], v[210:211]
	v_mov_b64_e32 v[42:43], v[212:213]
	v_mov_b64_e32 v[44:45], v[214:215]
	v_mov_b64_e32 v[46:47], v[216:217]
	v_mov_b64_e32 v[48:49], v[218:219]
	v_mov_b64_e32 v[50:51], v[220:221]
	v_mov_b32_e32 v218, v36
	v_mov_b32_e32 v219, v37
	;; [unrolled: 1-line block ×6, first 2 shown]
	s_waitcnt vmcnt(6)
	v_mov_b32_e32 v159, v77
	scratch_load_dwordx4 v[72:75], off, off offset:2048 ; 16-byte Folded Reload
	scratch_load_dwordx4 v[76:79], off, off offset:2064 ; 16-byte Folded Reload
	scratch_load_dwordx4 v[80:83], off, off offset:2080 ; 16-byte Folded Reload
	scratch_load_dwordx4 v[84:87], off, off offset:2096 ; 16-byte Folded Reload
	scratch_load_dwordx4 v[88:91], off, off offset:2112 ; 16-byte Folded Reload
	scratch_load_dwordx4 v[92:95], off, off offset:2128 ; 16-byte Folded Reload
	scratch_load_dwordx4 v[96:99], off, off offset:2144 ; 16-byte Folded Reload
	scratch_load_dwordx4 v[100:103], off, off offset:2160 ; 16-byte Folded Reload
	s_waitcnt vmcnt(6)
	v_mov_b32_e32 v160, v78
	scratch_load_dwordx4 v[72:75], off, off offset:1664 ; 16-byte Folded Reload
	scratch_load_dwordx4 v[76:79], off, off offset:1680 ; 16-byte Folded Reload
	scratch_load_dwordx4 v[80:83], off, off offset:1696 ; 16-byte Folded Reload
	scratch_load_dwordx4 v[84:87], off, off offset:1712 ; 16-byte Folded Reload
	scratch_load_dwordx4 v[88:91], off, off offset:1728 ; 16-byte Folded Reload
	scratch_load_dwordx4 v[92:95], off, off offset:1744 ; 16-byte Folded Reload
	scratch_load_dwordx4 v[96:99], off, off offset:1760 ; 16-byte Folded Reload
	scratch_load_dwordx4 v[100:103], off, off offset:1776 ; 16-byte Folded Reload
	;; [unrolled: 10-line block ×8, first 2 shown]
	s_waitcnt vmcnt(4)
	v_mov_b32_e32 v169, v87
	scratch_load_dwordx4 v[72:75], off, off ; 16-byte Folded Reload
	scratch_load_dwordx4 v[76:79], off, off offset:16 ; 16-byte Folded Reload
	scratch_load_dwordx4 v[80:83], off, off offset:32 ; 16-byte Folded Reload
	scratch_load_dwordx4 v[84:87], off, off offset:48 ; 16-byte Folded Reload
	scratch_load_dwordx4 v[88:91], off, off offset:64 ; 16-byte Folded Reload
	scratch_load_dwordx4 v[92:95], off, off offset:80 ; 16-byte Folded Reload
	scratch_load_dwordx4 v[96:99], off, off offset:96 ; 16-byte Folded Reload
	scratch_load_dwordx4 v[100:103], off, off offset:112 ; 16-byte Folded Reload
	s_waitcnt vmcnt(3)
	v_mov_b32_e32 v172, v90
	scratch_load_dwordx4 v[72:75], off, off offset:1792 ; 16-byte Folded Reload
	scratch_load_dwordx4 v[76:79], off, off offset:1808 ; 16-byte Folded Reload
	scratch_load_dwordx4 v[80:83], off, off offset:1824 ; 16-byte Folded Reload
	scratch_load_dwordx4 v[84:87], off, off offset:1840 ; 16-byte Folded Reload
	scratch_load_dwordx4 v[88:91], off, off offset:1856 ; 16-byte Folded Reload
	scratch_load_dwordx4 v[92:95], off, off offset:1872 ; 16-byte Folded Reload
	scratch_load_dwordx4 v[96:99], off, off offset:1888 ; 16-byte Folded Reload
	scratch_load_dwordx4 v[100:103], off, off offset:1904 ; 16-byte Folded Reload
	s_waitcnt vmcnt(7)
	v_mov_b32_e32 v221, v75
	scratch_load_dwordx4 v[72:75], off, off offset:1920 ; 16-byte Folded Reload
	;; [unrolled: 10-line block ×9, first 2 shown]
	scratch_load_dwordx4 v[76:79], off, off offset:1040 ; 16-byte Folded Reload
	scratch_load_dwordx4 v[80:83], off, off offset:1056 ; 16-byte Folded Reload
	;; [unrolled: 1-line block ×7, first 2 shown]
	s_nop 0
	scratch_store_dwordx4 off, v[104:107], off offset:768 ; 16-byte Folded Spill
	s_nop 0
	scratch_store_dwordx4 off, v[108:111], off offset:784 ; 16-byte Folded Spill
	scratch_store_dwordx4 off, v[112:115], off offset:800 ; 16-byte Folded Spill
	;; [unrolled: 1-line block ×7, first 2 shown]
	v_mov_b32_e32 v108, v36
	v_mov_b32_e32 v109, v37
	;; [unrolled: 1-line block ×13, first 2 shown]
	s_waitcnt vmcnt(12)
	v_mov_b32_e32 v230, v84
	scratch_load_dwordx4 v[72:75], off, off offset:2432 ; 16-byte Folded Reload
	scratch_load_dwordx4 v[76:79], off, off offset:2448 ; 16-byte Folded Reload
	;; [unrolled: 1-line block ×8, first 2 shown]
	s_waitcnt vmcnt(4)
	v_mov_b32_e32 v233, v87
	scratch_load_dwordx4 v[72:75], off, off ; 16-byte Folded Reload
	scratch_load_dwordx4 v[76:79], off, off offset:16 ; 16-byte Folded Reload
	scratch_load_dwordx4 v[80:83], off, off offset:32 ; 16-byte Folded Reload
	;; [unrolled: 1-line block ×7, first 2 shown]
	s_nop 0
	scratch_store_dwordx4 off, v[36:39], off offset:3456 ; 16-byte Folded Spill
	s_nop 0
	scratch_store_dwordx4 off, v[40:43], off offset:3472 ; 16-byte Folded Spill
	scratch_store_dwordx4 off, v[44:47], off offset:3488 ; 16-byte Folded Spill
	;; [unrolled: 1-line block ×7, first 2 shown]
	v_mov_b32_e32 v48, v104
	v_mov_b32_e32 v49, v105
	;; [unrolled: 1-line block ×4, first 2 shown]
	s_waitcnt vmcnt(11)
	v_mov_b32_e32 v236, v90
	scratch_load_dwordx4 v[72:75], off, off offset:1792 ; 16-byte Folded Reload
	scratch_load_dwordx4 v[76:79], off, off offset:1808 ; 16-byte Folded Reload
	scratch_load_dwordx4 v[80:83], off, off offset:1824 ; 16-byte Folded Reload
	scratch_load_dwordx4 v[84:87], off, off offset:1840 ; 16-byte Folded Reload
	scratch_load_dwordx4 v[88:91], off, off offset:1856 ; 16-byte Folded Reload
	scratch_load_dwordx4 v[92:95], off, off offset:1872 ; 16-byte Folded Reload
	scratch_load_dwordx4 v[96:99], off, off offset:1888 ; 16-byte Folded Reload
	scratch_load_dwordx4 v[100:103], off, off offset:1904 ; 16-byte Folded Reload
	s_waitcnt vmcnt(7)
	v_mov_b32_e32 v111, v75
	scratch_load_dwordx4 v[72:75], off, off offset:1920 ; 16-byte Folded Reload
	scratch_load_dwordx4 v[76:79], off, off offset:1936 ; 16-byte Folded Reload
	scratch_load_dwordx4 v[80:83], off, off offset:1952 ; 16-byte Folded Reload
	scratch_load_dwordx4 v[84:87], off, off offset:1968 ; 16-byte Folded Reload
	scratch_load_dwordx4 v[88:91], off, off offset:1984 ; 16-byte Folded Reload
	scratch_load_dwordx4 v[92:95], off, off offset:2000 ; 16-byte Folded Reload
	scratch_load_dwordx4 v[96:99], off, off offset:2016 ; 16-byte Folded Reload
	scratch_load_dwordx4 v[100:103], off, off offset:2032 ; 16-byte Folded Reload
	;; [unrolled: 10-line block ×10, first 2 shown]
	s_waitcnt vmcnt(0)
	v_mov_b64_e32 v[92:93], v[186:187]
	v_mov_b64_e32 v[94:95], v[188:189]
	;; [unrolled: 1-line block ×6, first 2 shown]
	scratch_load_dwordx4 v[186:189], off, off offset:2432 ; 16-byte Folded Reload
	scratch_load_dwordx4 v[190:193], off, off offset:2448 ; 16-byte Folded Reload
	scratch_load_dwordx4 v[194:197], off, off offset:2464 ; 16-byte Folded Reload
	scratch_load_dwordx4 v[198:201], off, off offset:2480 ; 16-byte Folded Reload
	scratch_load_dwordx4 v[202:205], off, off offset:2496 ; 16-byte Folded Reload
	scratch_load_dwordx4 v[206:209], off, off offset:2512 ; 16-byte Folded Reload
	scratch_load_dwordx4 v[210:213], off, off offset:2528 ; 16-byte Folded Reload
	scratch_load_dwordx4 v[214:217], off, off offset:2544 ; 16-byte Folded Reload
	v_mov_b32_e32 v86, v130
	v_mov_b32_e32 v91, v239
	;; [unrolled: 1-line block ×3, first 2 shown]
	v_mov_b64_e32 v[36:37], v[92:93]
	v_mov_b64_e32 v[38:39], v[94:95]
	;; [unrolled: 1-line block ×6, first 2 shown]
	v_mov_b32_e32 v121, v85
	s_waitcnt vmcnt(4)
	v_mov_b32_e32 v123, v201
	scratch_load_dwordx4 v[186:189], off, off ; 16-byte Folded Reload
	scratch_load_dwordx4 v[190:193], off, off offset:16 ; 16-byte Folded Reload
	scratch_load_dwordx4 v[194:197], off, off offset:32 ; 16-byte Folded Reload
	;; [unrolled: 1-line block ×7, first 2 shown]
	s_waitcnt lgkmcnt(0)
	s_barrier
	ds_read_b32 v71, v251
	s_waitcnt vmcnt(3)
	v_mov_b32_e32 v126, v204
	s_waitcnt vmcnt(0)
	v_mov_b64_e32 v[186:187], v[218:219]
	scratch_store_dwordx4 off, v[108:111], off offset:3328 ; 16-byte Folded Spill
	s_nop 0
	scratch_store_dwordx4 off, v[112:115], off offset:3344 ; 16-byte Folded Spill
	scratch_store_dwordx4 off, v[116:119], off offset:3360 ; 16-byte Folded Spill
	;; [unrolled: 1-line block ×7, first 2 shown]
	v_mov_b64_e32 v[208:209], v[240:241]
	v_mov_b64_e32 v[210:211], v[242:243]
	;; [unrolled: 1-line block ×15, first 2 shown]
	scratch_load_dwordx4 v[208:211], off, off ; 16-byte Folded Reload
	scratch_load_dwordx4 v[212:215], off, off offset:16 ; 16-byte Folded Reload
	scratch_load_dwordx4 v[216:219], off, off offset:32 ; 16-byte Folded Reload
	;; [unrolled: 1-line block ×7, first 2 shown]
	v_mov_b32_e32 v116, v174
	scratch_store_dwordx4 off, v[154:157], off ; 16-byte Folded Spill
	s_nop 0
	scratch_store_dwordx4 off, v[158:161], off offset:16 ; 16-byte Folded Spill
	scratch_store_dwordx4 off, v[162:165], off offset:32 ; 16-byte Folded Spill
	;; [unrolled: 1-line block ×7, first 2 shown]
	v_mov_b32_e32 v117, v151
	scratch_store_dwordx4 off, v[132:135], off offset:128 ; 16-byte Folded Spill
	s_nop 0
	scratch_store_dwordx4 off, v[136:139], off offset:144 ; 16-byte Folded Spill
	scratch_store_dwordx4 off, v[140:143], off offset:160 ; 16-byte Folded Spill
	;; [unrolled: 1-line block ×7, first 2 shown]
	v_mov_b32_e32 v138, v34
	s_waitcnt vmcnt(19)
	v_mov_b32_e32 v106, v226
	scratch_store_dwordx4 off, v[208:211], off offset:256 ; 16-byte Folded Spill
	s_nop 0
	scratch_store_dwordx4 off, v[212:215], off offset:272 ; 16-byte Folded Spill
	scratch_store_dwordx4 off, v[216:219], off offset:288 ; 16-byte Folded Spill
	;; [unrolled: 1-line block ×4, first 2 shown]
	s_waitcnt vmcnt(23)
	scratch_store_dwordx4 off, v[228:231], off offset:336 ; 16-byte Folded Spill
	s_waitcnt vmcnt(23)
	scratch_store_dwordx4 off, v[232:235], off offset:352 ; 16-byte Folded Spill
	;; [unrolled: 2-line block ×3, first 2 shown]
	scratch_store_dwordx4 off, v[0:3], off offset:384 ; 16-byte Folded Spill
	s_nop 0
	scratch_store_dwordx4 off, v[4:7], off offset:400 ; 16-byte Folded Spill
	scratch_store_dwordx4 off, v[8:11], off offset:416 ; 16-byte Folded Spill
	;; [unrolled: 1-line block ×7, first 2 shown]
	v_mov_b32_e32 v110, v34
	v_mov_b64_e32 v[136:137], v[32:33]
	v_mov_b64_e32 v[134:135], v[30:31]
	v_mov_b64_e32 v[132:133], v[28:29]
	v_mov_b64_e32 v[130:131], v[26:27]
	v_mov_b64_e32 v[128:129], v[24:25]
	v_mov_b64_e32 v[126:127], v[22:23]
	v_mov_b64_e32 v[124:125], v[20:21]
	v_mov_b64_e32 v[122:123], v[18:19]
	scratch_load_dwordx4 v[0:3], off, off offset:2432 ; 16-byte Folded Reload
	scratch_load_dwordx4 v[4:7], off, off offset:2448 ; 16-byte Folded Reload
	scratch_load_dwordx4 v[8:11], off, off offset:2464 ; 16-byte Folded Reload
	scratch_load_dwordx4 v[12:15], off, off offset:2480 ; 16-byte Folded Reload
	scratch_load_dwordx4 v[16:19], off, off offset:2496 ; 16-byte Folded Reload
	scratch_load_dwordx4 v[20:23], off, off offset:2512 ; 16-byte Folded Reload
	scratch_load_dwordx4 v[24:27], off, off offset:2528 ; 16-byte Folded Reload
	scratch_load_dwordx4 v[28:31], off, off offset:2544 ; 16-byte Folded Reload
	s_waitcnt vmcnt(4)
	v_mov_b32_e32 v105, v15
	scratch_store_dwordx4 off, v[0:3], off offset:512 ; 16-byte Folded Spill
	s_nop 0
	scratch_store_dwordx4 off, v[4:7], off offset:528 ; 16-byte Folded Spill
	scratch_store_dwordx4 off, v[8:11], off offset:544 ; 16-byte Folded Spill
	;; [unrolled: 1-line block ×3, first 2 shown]
	s_waitcnt vmcnt(7)
	scratch_store_dwordx4 off, v[16:19], off offset:576 ; 16-byte Folded Spill
	s_waitcnt vmcnt(7)
	scratch_store_dwordx4 off, v[20:23], off offset:592 ; 16-byte Folded Spill
	;; [unrolled: 2-line block ×4, first 2 shown]
	scratch_store_dwordx4 off, v[36:39], off offset:640 ; 16-byte Folded Spill
	s_nop 0
	scratch_store_dwordx4 off, v[40:43], off offset:656 ; 16-byte Folded Spill
	scratch_store_dwordx4 off, v[44:47], off offset:672 ; 16-byte Folded Spill
	;; [unrolled: 1-line block ×7, first 2 shown]
	scratch_load_dwordx4 v[0:3], off, off offset:768 ; 16-byte Folded Reload
	scratch_load_dwordx4 v[4:7], off, off offset:784 ; 16-byte Folded Reload
	;; [unrolled: 1-line block ×8, first 2 shown]
	s_waitcnt vmcnt(4)
	v_mov_b32_e32 v139, v13
	scratch_store_dwordx4 off, v[0:3], off offset:768 ; 16-byte Folded Spill
	s_nop 0
	scratch_store_dwordx4 off, v[4:7], off offset:784 ; 16-byte Folded Spill
	scratch_store_dwordx4 off, v[8:11], off offset:800 ; 16-byte Folded Spill
	;; [unrolled: 1-line block ×3, first 2 shown]
	s_waitcnt vmcnt(7)
	scratch_store_dwordx4 off, v[16:19], off offset:832 ; 16-byte Folded Spill
	s_waitcnt vmcnt(7)
	scratch_store_dwordx4 off, v[20:23], off offset:848 ; 16-byte Folded Spill
	;; [unrolled: 2-line block ×4, first 2 shown]
	scratch_load_dwordx4 v[0:3], off, off offset:1024 ; 16-byte Folded Reload
	s_nop 0
	scratch_load_dwordx4 v[4:7], off, off offset:1040 ; 16-byte Folded Reload
	scratch_load_dwordx4 v[8:11], off, off offset:1056 ; 16-byte Folded Reload
	;; [unrolled: 1-line block ×7, first 2 shown]
	s_waitcnt vmcnt(1)
	v_mov_b32_e32 v24, v12
	scratch_store_dwordx4 off, v[0:3], off offset:1024 ; 16-byte Folded Spill
	s_nop 0
	scratch_store_dwordx4 off, v[4:7], off offset:1040 ; 16-byte Folded Spill
	scratch_store_dwordx4 off, v[8:11], off offset:1056 ; 16-byte Folded Spill
	;; [unrolled: 1-line block ×6, first 2 shown]
	s_waitcnt vmcnt(7)
	scratch_store_dwordx4 off, v[28:31], off offset:1136 ; 16-byte Folded Spill
	scratch_load_dwordx4 v[26:29], off, off offset:2304 ; 16-byte Folded Reload
	s_nop 0
	scratch_load_dwordx4 v[30:33], off, off offset:2320 ; 16-byte Folded Reload
	scratch_load_dwordx4 v[34:37], off, off offset:2336 ; 16-byte Folded Reload
	;; [unrolled: 1-line block ×7, first 2 shown]
	s_waitcnt vmcnt(5)
	v_mov_b64_e32 v[0:1], v[26:27]
	v_mov_b64_e32 v[2:3], v[28:29]
	;; [unrolled: 1-line block ×6, first 2 shown]
	v_mov_b32_e32 v77, v11
	scratch_store_dwordx4 off, v[0:3], off offset:1152 ; 16-byte Folded Spill
	s_nop 0
	scratch_store_dwordx4 off, v[4:7], off offset:1168 ; 16-byte Folded Spill
	scratch_store_dwordx4 off, v[8:11], off offset:1184 ; 16-byte Folded Spill
	;; [unrolled: 1-line block ×7, first 2 shown]
	scratch_load_dwordx4 v[26:29], off, off offset:896 ; 16-byte Folded Reload
	s_nop 0
	scratch_load_dwordx4 v[30:33], off, off offset:912 ; 16-byte Folded Reload
	scratch_load_dwordx4 v[34:37], off, off offset:928 ; 16-byte Folded Reload
	;; [unrolled: 1-line block ×7, first 2 shown]
	s_waitcnt vmcnt(5)
	v_mov_b32_e32 v0, v26
	v_mov_b32_e32 v1, v27
	;; [unrolled: 1-line block ×12, first 2 shown]
	scratch_store_dwordx4 off, v[0:3], off offset:1408 ; 16-byte Folded Spill
	s_nop 0
	scratch_store_dwordx4 off, v[4:7], off offset:1424 ; 16-byte Folded Spill
	scratch_store_dwordx4 off, v[8:11], off offset:1440 ; 16-byte Folded Spill
	;; [unrolled: 1-line block ×7, first 2 shown]
	scratch_load_dwordx4 v[26:29], off, off offset:2176 ; 16-byte Folded Reload
	s_nop 0
	scratch_load_dwordx4 v[30:33], off, off offset:2192 ; 16-byte Folded Reload
	scratch_load_dwordx4 v[34:37], off, off offset:2208 ; 16-byte Folded Reload
	;; [unrolled: 1-line block ×7, first 2 shown]
	s_waitcnt vmcnt(5)
	v_mov_b64_e32 v[0:1], v[26:27]
	v_mov_b64_e32 v[2:3], v[28:29]
	;; [unrolled: 1-line block ×5, first 2 shown]
	scratch_store_dwordx4 off, v[0:3], off offset:1536 ; 16-byte Folded Spill
	s_nop 0
	scratch_store_dwordx4 off, v[4:7], off offset:1552 ; 16-byte Folded Spill
	scratch_store_dwordx4 off, v[8:11], off offset:1568 ; 16-byte Folded Spill
	;; [unrolled: 1-line block ×7, first 2 shown]
	scratch_load_dwordx4 v[26:29], off, off offset:1280 ; 16-byte Folded Reload
	s_nop 0
	scratch_load_dwordx4 v[30:33], off, off offset:1296 ; 16-byte Folded Reload
	scratch_load_dwordx4 v[34:37], off, off offset:1312 ; 16-byte Folded Reload
	;; [unrolled: 1-line block ×7, first 2 shown]
	s_waitcnt vmcnt(5)
	v_mov_b32_e32 v0, v26
	v_mov_b32_e32 v1, v27
	;; [unrolled: 1-line block ×10, first 2 shown]
	scratch_store_dwordx4 off, v[0:3], off offset:2560 ; 16-byte Folded Spill
	s_nop 0
	scratch_store_dwordx4 off, v[4:7], off offset:2576 ; 16-byte Folded Spill
	scratch_store_dwordx4 off, v[8:11], off offset:2592 ; 16-byte Folded Spill
	;; [unrolled: 1-line block ×7, first 2 shown]
	scratch_load_dwordx4 v[26:29], off, off offset:1664 ; 16-byte Folded Reload
	s_nop 0
	scratch_load_dwordx4 v[30:33], off, off offset:1680 ; 16-byte Folded Reload
	scratch_load_dwordx4 v[34:37], off, off offset:1696 ; 16-byte Folded Reload
	;; [unrolled: 1-line block ×7, first 2 shown]
	s_waitcnt vmcnt(6)
	v_mov_b64_e32 v[0:1], v[26:27]
	v_mov_b64_e32 v[2:3], v[28:29]
	;; [unrolled: 1-line block ×4, first 2 shown]
	scratch_store_dwordx4 off, v[0:3], off offset:2688 ; 16-byte Folded Spill
	s_nop 0
	scratch_store_dwordx4 off, v[4:7], off offset:2704 ; 16-byte Folded Spill
	scratch_store_dwordx4 off, v[8:11], off offset:2720 ; 16-byte Folded Spill
	;; [unrolled: 1-line block ×7, first 2 shown]
	scratch_load_dwordx4 v[26:29], off, off offset:2048 ; 16-byte Folded Reload
	s_nop 0
	scratch_load_dwordx4 v[30:33], off, off offset:2064 ; 16-byte Folded Reload
	scratch_load_dwordx4 v[34:37], off, off offset:2080 ; 16-byte Folded Reload
	;; [unrolled: 1-line block ×7, first 2 shown]
	s_waitcnt vmcnt(6)
	v_mov_b32_e32 v0, v26
	v_mov_b32_e32 v1, v27
	;; [unrolled: 1-line block ×7, first 2 shown]
	scratch_store_dwordx4 off, v[0:3], off offset:2816 ; 16-byte Folded Spill
	s_nop 0
	scratch_store_dwordx4 off, v[4:7], off offset:2832 ; 16-byte Folded Spill
	scratch_store_dwordx4 off, v[8:11], off offset:2848 ; 16-byte Folded Spill
	;; [unrolled: 1-line block ×7, first 2 shown]
	scratch_load_dwordx4 v[26:29], off, off offset:1920 ; 16-byte Folded Reload
	s_nop 0
	scratch_load_dwordx4 v[30:33], off, off offset:1936 ; 16-byte Folded Reload
	scratch_load_dwordx4 v[34:37], off, off offset:1952 ; 16-byte Folded Reload
	;; [unrolled: 1-line block ×7, first 2 shown]
	s_waitcnt vmcnt(6)
	v_mov_b64_e32 v[10:11], v[26:27]
	v_mov_b64_e32 v[12:13], v[28:29]
	;; [unrolled: 1-line block ×3, first 2 shown]
	scratch_store_dwordx4 off, v[10:13], off offset:2944 ; 16-byte Folded Spill
	s_nop 0
	scratch_store_dwordx4 off, v[14:17], off offset:2960 ; 16-byte Folded Spill
	scratch_store_dwordx4 off, v[18:21], off offset:2976 ; 16-byte Folded Spill
	;; [unrolled: 1-line block ×5, first 2 shown]
	s_waitcnt vmcnt(11)
	scratch_store_dwordx4 off, v[34:37], off offset:3040 ; 16-byte Folded Spill
	s_waitcnt vmcnt(11)
	scratch_store_dwordx4 off, v[38:41], off offset:3056 ; 16-byte Folded Spill
	scratch_store_dwordx4 off, v[176:179], off offset:3072 ; 16-byte Folded Spill
	s_nop 0
	scratch_store_dwordx4 off, v[180:183], off offset:3088 ; 16-byte Folded Spill
	scratch_store_dwordx4 off, v[184:187], off offset:3104 ; 16-byte Folded Spill
	;; [unrolled: 1-line block ×7, first 2 shown]
	scratch_load_dwordx4 v[26:29], off, off offset:1792 ; 16-byte Folded Reload
	scratch_load_dwordx4 v[30:33], off, off offset:1808 ; 16-byte Folded Reload
	;; [unrolled: 1-line block ×8, first 2 shown]
	s_waitcnt vmcnt(7)
	v_mov_b64_e32 v[2:3], v[26:27]
	v_mov_b64_e32 v[4:5], v[28:29]
	scratch_store_dwordx4 off, v[2:5], off offset:3200 ; 16-byte Folded Spill
	s_nop 0
	scratch_store_dwordx4 off, v[6:9], off offset:3216 ; 16-byte Folded Spill
	scratch_store_dwordx4 off, v[10:13], off offset:3232 ; 16-byte Folded Spill
	;; [unrolled: 1-line block ×6, first 2 shown]
	s_waitcnt vmcnt(13)
	scratch_store_dwordx4 off, v[30:33], off offset:3312 ; 16-byte Folded Spill
	scratch_load_dwordx4 v[218:221], off, off offset:3456 ; 16-byte Folded Reload
	scratch_load_dwordx4 v[222:225], off, off offset:3472 ; 16-byte Folded Reload
	;; [unrolled: 1-line block ×8, first 2 shown]
	s_waitcnt vmcnt(7)
	scratch_store_dwordx4 off, v[218:221], off offset:3788 ; 16-byte Folded Spill
	s_waitcnt vmcnt(7)
	scratch_store_dwordx4 off, v[222:225], off offset:3804 ; 16-byte Folded Spill
	;; [unrolled: 2-line block ×8, first 2 shown]
	s_mov_b64 s[2:3], exec
	s_and_b64 s[4:5], s[2:3], vcc
	v_mov_b32_e32 v26, v6
	v_mov_b32_e32 v29, v9
	;; [unrolled: 1-line block ×5, first 2 shown]
	s_mov_b64 exec, s[4:5]
	s_cbranch_execz .LBB49_13
; %bb.12:
	v_mov_b32_e32 v221, v5
	ds_read2_b32 v[4:5], v252 offset0:2 offset1:3
	ds_read2_b32 v[6:7], v252 offset0:4 offset1:5
	;; [unrolled: 1-line block ×4, first 2 shown]
	v_mov_b32_e32 v16, v90
	v_mov_b32_e32 v17, v29
	;; [unrolled: 1-line block ×3, first 2 shown]
	v_mov_b64_e32 v[18:19], v[94:95]
	s_waitcnt lgkmcnt(4)
	v_mul_f32_e32 v24, v219, v71
	s_waitcnt lgkmcnt(3)
	v_pk_fma_f32 v[220:221], v[24:25], v[4:5], v[220:221] op_sel_hi:[0,1,1] neg_lo:[1,0,0] neg_hi:[1,0,0]
	s_waitcnt lgkmcnt(2)
	v_pk_fma_f32 v[18:19], v[24:25], v[6:7], v[18:19] op_sel_hi:[0,1,1] neg_lo:[1,0,0] neg_hi:[1,0,0]
	;; [unrolled: 2-line block ×4, first 2 shown]
	ds_read2_b32 v[4:5], v252 offset0:10 offset1:11
	ds_read2_b32 v[6:7], v252 offset0:12 offset1:13
	;; [unrolled: 1-line block ×4, first 2 shown]
	v_mov_b32_e32 v14, v76
	v_mov_b32_e32 v15, v77
	;; [unrolled: 1-line block ×6, first 2 shown]
	s_waitcnt lgkmcnt(3)
	v_pk_fma_f32 v[14:15], v[24:25], v[4:5], v[14:15] op_sel_hi:[0,1,1] neg_lo:[1,0,0] neg_hi:[1,0,0]
	s_waitcnt lgkmcnt(2)
	v_pk_fma_f32 v[12:13], v[24:25], v[6:7], v[12:13] op_sel_hi:[0,1,1] neg_lo:[1,0,0] neg_hi:[1,0,0]
	;; [unrolled: 2-line block ×3, first 2 shown]
	ds_read2_b32 v[4:5], v252 offset0:18 offset1:19
	ds_read2_b32 v[6:7], v252 offset0:20 offset1:21
	;; [unrolled: 1-line block ×3, first 2 shown]
	ds_read_b32 v1, v252 offset:96
	scratch_store_dwordx4 off, v[218:221], off offset:3788 ; 16-byte Folded Spill
	s_nop 0
	scratch_store_dwordx4 off, v[222:225], off offset:3804 ; 16-byte Folded Spill
	scratch_store_dwordx4 off, v[226:229], off offset:3820 ; 16-byte Folded Spill
	scratch_store_dwordx4 off, v[230:233], off offset:3836 ; 16-byte Folded Spill
	scratch_store_dwordx4 off, v[234:237], off offset:3852 ; 16-byte Folded Spill
	scratch_store_dwordx4 off, v[238:241], off offset:3868 ; 16-byte Folded Spill
	scratch_store_dwordx4 off, v[242:245], off offset:3884 ; 16-byte Folded Spill
	scratch_store_dwordx4 off, v[246:249], off offset:3900 ; 16-byte Folded Spill
	scratch_store_dwordx4 off, v[218:221], off offset:3456 ; 16-byte Folded Spill
	s_nop 0
	scratch_store_dwordx4 off, v[222:225], off offset:3472 ; 16-byte Folded Spill
	scratch_store_dwordx4 off, v[226:229], off offset:3488 ; 16-byte Folded Spill
	scratch_store_dwordx4 off, v[230:233], off offset:3504 ; 16-byte Folded Spill
	scratch_store_dwordx4 off, v[234:237], off offset:3520 ; 16-byte Folded Spill
	scratch_store_dwordx4 off, v[238:241], off offset:3536 ; 16-byte Folded Spill
	scratch_store_dwordx4 off, v[242:245], off offset:3552 ; 16-byte Folded Spill
	scratch_store_dwordx4 off, v[246:249], off offset:3568 ; 16-byte Folded Spill
	;; [unrolled: 9-line block ×3, first 2 shown]
	v_mov_b32_e32 v222, v18
	v_mov_b32_e32 v74, v110
	s_waitcnt lgkmcnt(4)
	v_pk_fma_f32 v[74:75], v[24:25], v[10:11], v[74:75] op_sel_hi:[0,1,1] neg_lo:[1,0,0] neg_hi:[1,0,0]
	v_mov_b32_e32 v62, v106
	v_mov_b32_e32 v63, v117
	s_waitcnt lgkmcnt(3)
	v_pk_fma_f32 v[62:63], v[24:25], v[4:5], v[62:63] op_sel_hi:[0,1,1] neg_lo:[1,0,0] neg_hi:[1,0,0]
	;; [unrolled: 4-line block ×3, first 2 shown]
	v_mov_b32_e32 v87, v254
	s_waitcnt lgkmcnt(1)
	v_pk_fma_f32 v[86:87], v[24:25], v[8:9], v[86:87] op_sel_hi:[0,1,1] neg_lo:[1,0,0] neg_hi:[1,0,0]
	s_waitcnt lgkmcnt(0)
	v_fma_f32 v255, -v24, v1, v255
	v_mov_b32_e32 v254, v87
	v_mov_b32_e32 v90, v16
	;; [unrolled: 1-line block ×15, first 2 shown]
	scratch_store_dwordx4 off, v[218:221], off offset:3072 ; 16-byte Folded Spill
	s_nop 0
	scratch_store_dwordx4 off, v[222:225], off offset:3088 ; 16-byte Folded Spill
	scratch_store_dwordx4 off, v[226:229], off offset:3104 ; 16-byte Folded Spill
	scratch_store_dwordx4 off, v[230:233], off offset:3120 ; 16-byte Folded Spill
	scratch_store_dwordx4 off, v[234:237], off offset:3136 ; 16-byte Folded Spill
	scratch_store_dwordx4 off, v[238:241], off offset:3152 ; 16-byte Folded Spill
	scratch_store_dwordx4 off, v[242:245], off offset:3168 ; 16-byte Folded Spill
	scratch_store_dwordx4 off, v[246:249], off offset:3184 ; 16-byte Folded Spill
	v_mov_b32_e32 v223, v19
	scratch_store_dwordx4 off, v[218:221], off offset:2944 ; 16-byte Folded Spill
	s_nop 0
	scratch_store_dwordx4 off, v[222:225], off offset:2960 ; 16-byte Folded Spill
	scratch_store_dwordx4 off, v[226:229], off offset:2976 ; 16-byte Folded Spill
	scratch_store_dwordx4 off, v[230:233], off offset:2992 ; 16-byte Folded Spill
	scratch_store_dwordx4 off, v[234:237], off offset:3008 ; 16-byte Folded Spill
	scratch_store_dwordx4 off, v[238:241], off offset:3024 ; 16-byte Folded Spill
	scratch_store_dwordx4 off, v[242:245], off offset:3040 ; 16-byte Folded Spill
	scratch_store_dwordx4 off, v[246:249], off offset:3056 ; 16-byte Folded Spill
	v_mov_b32_e32 v224, v26
	;; [unrolled: 10-line block ×12, first 2 shown]
	v_mov_b64_e32 v[122:123], v[218:219]
	v_mov_b64_e32 v[124:125], v[220:221]
	;; [unrolled: 1-line block ×16, first 2 shown]
	v_mov_b32_e32 v235, v75
	scratch_store_dwordx4 off, v[218:221], off offset:384 ; 16-byte Folded Spill
	s_nop 0
	scratch_store_dwordx4 off, v[222:225], off offset:400 ; 16-byte Folded Spill
	scratch_store_dwordx4 off, v[226:229], off offset:416 ; 16-byte Folded Spill
	;; [unrolled: 1-line block ×7, first 2 shown]
	v_mov_b32_e32 v236, v62
	v_mov_b32_e32 v139, v13
	scratch_store_dwordx4 off, v[218:221], off offset:256 ; 16-byte Folded Spill
	s_nop 0
	scratch_store_dwordx4 off, v[222:225], off offset:272 ; 16-byte Folded Spill
	scratch_store_dwordx4 off, v[226:229], off offset:288 ; 16-byte Folded Spill
	;; [unrolled: 1-line block ×7, first 2 shown]
	v_mov_b32_e32 v237, v63
	scratch_store_dwordx4 off, v[218:221], off offset:128 ; 16-byte Folded Spill
	s_nop 0
	scratch_store_dwordx4 off, v[222:225], off offset:144 ; 16-byte Folded Spill
	scratch_store_dwordx4 off, v[226:229], off offset:160 ; 16-byte Folded Spill
	;; [unrolled: 1-line block ×7, first 2 shown]
	v_mov_b32_e32 v238, v60
	scratch_store_dwordx4 off, v[218:221], off ; 16-byte Folded Spill
	s_nop 0
	scratch_store_dwordx4 off, v[222:225], off offset:16 ; 16-byte Folded Spill
	scratch_store_dwordx4 off, v[226:229], off offset:32 ; 16-byte Folded Spill
	;; [unrolled: 1-line block ×7, first 2 shown]
	v_mov_b32_e32 v239, v61
	v_mov_b64_e32 v[186:187], v[218:219]
	v_mov_b64_e32 v[188:189], v[220:221]
	;; [unrolled: 1-line block ×16, first 2 shown]
	v_mov_b32_e32 v240, v86
	scratch_store_dwordx4 off, v[218:221], off offset:3328 ; 16-byte Folded Spill
	s_nop 0
	scratch_store_dwordx4 off, v[222:225], off offset:3344 ; 16-byte Folded Spill
	scratch_store_dwordx4 off, v[226:229], off offset:3360 ; 16-byte Folded Spill
	;; [unrolled: 1-line block ×7, first 2 shown]
	v_mov_b32_e32 v241, v87
	v_mov_b32_e32 v242, v255
	;; [unrolled: 1-line block ×3, first 2 shown]
.LBB49_13:
	s_or_b64 exec, exec, s[2:3]
	v_cmp_eq_u32_e32 vcc, 2, v250
	s_waitcnt lgkmcnt(0)
	scratch_store_dword off, v71, off offset:2048 ; 4-byte Folded Spill
	s_waitcnt vmcnt(63) expcnt(7) lgkmcnt(15)
	s_barrier
	s_and_saveexec_b64 s[2:3], vcc
	s_cbranch_execz .LBB49_16
; %bb.14:
	ds_write_b32 v251, v220
	ds_write2_b32 v252, v221, v222 offset0:3 offset1:4
	ds_write2_b32 v252, v223, v224 offset0:5 offset1:6
	;; [unrolled: 1-line block ×11, first 2 shown]
	ds_read_b32 v25, v251
	s_waitcnt lgkmcnt(0)
	v_cmp_neq_f32_e32 vcc, 0, v25
	s_and_b64 exec, exec, vcc
	s_cbranch_execz .LBB49_16
; %bb.15:
	v_div_scale_f32 v45, s[4:5], v25, v25, 1.0
	v_rcp_f32_e32 v46, v45
	v_div_scale_f32 v47, vcc, 1.0, v25, 1.0
	v_fma_f32 v48, -v45, v46, 1.0
	v_fmac_f32_e32 v46, v48, v46
	v_mul_f32_e32 v48, v47, v46
	v_fma_f32 v49, -v45, v48, v47
	v_fmac_f32_e32 v48, v49, v46
	v_fma_f32 v45, -v45, v48, v47
	v_div_fmas_f32 v45, v45, v46, v48
	v_div_fixup_f32 v25, v45, v25, 1.0
	ds_write_b32 v251, v25
.LBB49_16:
	s_or_b64 exec, exec, s[2:3]
	s_waitcnt lgkmcnt(0)
	s_barrier
	ds_read_b32 v0, v251
	v_cmp_lt_u32_e32 vcc, 2, v250
	s_waitcnt lgkmcnt(0)
	scratch_store_dword off, v0, off offset:896 ; 4-byte Folded Spill
	s_mov_b64 s[2:3], exec
	scratch_load_dwordx4 v[154:157], off, off offset:3328 ; 16-byte Folded Reload
	scratch_load_dwordx4 v[158:161], off, off offset:3344 ; 16-byte Folded Reload
	;; [unrolled: 1-line block ×8, first 2 shown]
	s_and_b64 s[4:5], s[2:3], vcc
	s_mov_b64 exec, s[4:5]
	s_cbranch_execz .LBB49_18
; %bb.17:
	scratch_load_dword v0, off, off offset:896 ; 4-byte Folded Reload
	scratch_load_dwordx4 v[22:25], off, off offset:3788 ; 16-byte Folded Reload
	scratch_load_dwordx4 v[26:29], off, off offset:3804 ; 16-byte Folded Reload
	;; [unrolled: 1-line block ×8, first 2 shown]
	v_mov_b32_e32 v2, v221
	v_mov_b32_e32 v3, v222
	s_waitcnt vmcnt(7)
	v_mul_f32_e32 v24, v220, v0
	ds_read2_b32 v[0:1], v252 offset0:3 offset1:4
	s_waitcnt vmcnt(6)
	ds_read2_b32 v[26:27], v252 offset0:5 offset1:6
	ds_read2_b32 v[28:29], v252 offset0:7 offset1:8
	s_waitcnt vmcnt(5)
	ds_read2_b32 v[30:31], v252 offset0:9 offset1:10
	s_waitcnt vmcnt(1) lgkmcnt(3)
	v_pk_fma_f32 v[46:47], v[24:25], v[0:1], v[2:3] op_sel_hi:[0,1,1] neg_lo:[1,0,0] neg_hi:[1,0,0]
	v_mov_b32_e32 v0, v223
	v_mov_b32_e32 v1, v224
	s_waitcnt lgkmcnt(2)
	v_pk_fma_f32 v[48:49], v[24:25], v[26:27], v[0:1] op_sel_hi:[0,1,1] neg_lo:[1,0,0] neg_hi:[1,0,0]
	v_mov_b32_e32 v0, v225
	v_mov_b32_e32 v1, v226
	s_waitcnt vmcnt(0) lgkmcnt(1)
	v_pk_fma_f32 v[50:51], v[24:25], v[28:29], v[0:1] op_sel_hi:[0,1,1] neg_lo:[1,0,0] neg_hi:[1,0,0]
	v_mov_b32_e32 v0, v227
	v_mov_b32_e32 v1, v228
	s_waitcnt lgkmcnt(0)
	v_pk_fma_f32 v[52:53], v[24:25], v[30:31], v[0:1] op_sel_hi:[0,1,1] neg_lo:[1,0,0] neg_hi:[1,0,0]
	ds_read2_b32 v[0:1], v252 offset0:11 offset1:12
	ds_read2_b32 v[4:5], v252 offset0:13 offset1:14
	ds_read2_b32 v[6:7], v252 offset0:15 offset1:16
	ds_read2_b32 v[8:9], v252 offset0:17 offset1:18
	v_mov_b32_e32 v2, v229
	v_mov_b32_e32 v3, v230
	;; [unrolled: 1-line block ×3, first 2 shown]
	s_waitcnt lgkmcnt(3)
	v_pk_fma_f32 v[54:55], v[24:25], v[0:1], v[2:3] op_sel_hi:[0,1,1] neg_lo:[1,0,0] neg_hi:[1,0,0]
	v_mov_b32_e32 v0, v231
	v_mov_b32_e32 v1, v232
	s_waitcnt lgkmcnt(2)
	v_pk_fma_f32 v[56:57], v[24:25], v[4:5], v[0:1] op_sel_hi:[0,1,1] neg_lo:[1,0,0] neg_hi:[1,0,0]
	v_mov_b32_e32 v0, v233
	v_mov_b32_e32 v1, v234
	;; [unrolled: 4-line block ×3, first 2 shown]
	s_waitcnt lgkmcnt(0)
	v_pk_fma_f32 v[84:85], v[24:25], v[8:9], v[0:1] op_sel_hi:[0,1,1] neg_lo:[1,0,0] neg_hi:[1,0,0]
	ds_read2_b32 v[0:1], v252 offset0:19 offset1:20
	ds_read2_b32 v[4:5], v252 offset0:21 offset1:22
	;; [unrolled: 1-line block ×3, first 2 shown]
	v_mov_b32_e32 v2, v237
	v_mov_b32_e32 v3, v238
	;; [unrolled: 1-line block ×3, first 2 shown]
	s_waitcnt lgkmcnt(2)
	v_pk_fma_f32 v[86:87], v[24:25], v[0:1], v[2:3] op_sel_hi:[0,1,1] neg_lo:[1,0,0] neg_hi:[1,0,0]
	v_mov_b32_e32 v0, v239
	v_mov_b32_e32 v1, v240
	s_waitcnt lgkmcnt(1)
	v_pk_fma_f32 v[88:89], v[24:25], v[4:5], v[0:1] op_sel_hi:[0,1,1] neg_lo:[1,0,0] neg_hi:[1,0,0]
	v_mov_b32_e32 v0, v241
	v_mov_b32_e32 v1, v242
	;; [unrolled: 4-line block ×3, first 2 shown]
	v_mov_b32_e32 v1, v23
	v_mov_b32_e32 v2, v24
	;; [unrolled: 1-line block ×4, first 2 shown]
	scratch_store_dwordx4 off, v[0:3], off offset:3072 ; 16-byte Folded Spill
	s_nop 0
	scratch_store_dwordx4 off, v[4:7], off offset:3088 ; 16-byte Folded Spill
	scratch_store_dwordx4 off, v[8:11], off offset:3104 ; 16-byte Folded Spill
	;; [unrolled: 1-line block ×7, first 2 shown]
	v_mov_b32_e32 v5, v48
	v_mov_b32_e32 v127, v48
	;; [unrolled: 1-line block ×47, first 2 shown]
	scratch_store_dwordx4 off, v[0:3], off offset:2944 ; 16-byte Folded Spill
	s_nop 0
	scratch_store_dwordx4 off, v[4:7], off offset:2960 ; 16-byte Folded Spill
	scratch_store_dwordx4 off, v[8:11], off offset:2976 ; 16-byte Folded Spill
	;; [unrolled: 1-line block ×7, first 2 shown]
	v_mov_b32_e32 v6, v49
	v_mov_b32_e32 v207, v88
	;; [unrolled: 1-line block ×38, first 2 shown]
	scratch_store_dwordx4 off, v[0:3], off offset:2816 ; 16-byte Folded Spill
	s_nop 0
	scratch_store_dwordx4 off, v[4:7], off offset:2832 ; 16-byte Folded Spill
	scratch_store_dwordx4 off, v[8:11], off offset:2848 ; 16-byte Folded Spill
	scratch_store_dwordx4 off, v[12:15], off offset:2864 ; 16-byte Folded Spill
	scratch_store_dwordx4 off, v[16:19], off offset:2880 ; 16-byte Folded Spill
	scratch_store_dwordx4 off, v[20:23], off offset:2896 ; 16-byte Folded Spill
	scratch_store_dwordx4 off, v[24:27], off offset:2912 ; 16-byte Folded Spill
	scratch_store_dwordx4 off, v[28:31], off offset:2928 ; 16-byte Folded Spill
	v_mov_b32_e32 v7, v50
	scratch_store_dwordx4 off, v[0:3], off offset:2688 ; 16-byte Folded Spill
	s_nop 0
	scratch_store_dwordx4 off, v[4:7], off offset:2704 ; 16-byte Folded Spill
	scratch_store_dwordx4 off, v[8:11], off offset:2720 ; 16-byte Folded Spill
	scratch_store_dwordx4 off, v[12:15], off offset:2736 ; 16-byte Folded Spill
	scratch_store_dwordx4 off, v[16:19], off offset:2752 ; 16-byte Folded Spill
	scratch_store_dwordx4 off, v[20:23], off offset:2768 ; 16-byte Folded Spill
	scratch_store_dwordx4 off, v[24:27], off offset:2784 ; 16-byte Folded Spill
	scratch_store_dwordx4 off, v[28:31], off offset:2800 ; 16-byte Folded Spill
	v_mov_b32_e32 v8, v51
	;; [unrolled: 10-line block ×10, first 2 shown]
	v_mov_b32_e32 v17, v84
	v_mov_b32_e32 v122, v22
	;; [unrolled: 1-line block ×4, first 2 shown]
	scratch_store_dwordx4 off, v[0:3], off offset:384 ; 16-byte Folded Spill
	s_nop 0
	scratch_store_dwordx4 off, v[4:7], off offset:400 ; 16-byte Folded Spill
	scratch_store_dwordx4 off, v[8:11], off offset:416 ; 16-byte Folded Spill
	;; [unrolled: 1-line block ×7, first 2 shown]
	v_mov_b32_e32 v18, v85
	scratch_store_dwordx4 off, v[0:3], off offset:256 ; 16-byte Folded Spill
	s_nop 0
	scratch_store_dwordx4 off, v[4:7], off offset:272 ; 16-byte Folded Spill
	scratch_store_dwordx4 off, v[8:11], off offset:288 ; 16-byte Folded Spill
	;; [unrolled: 1-line block ×7, first 2 shown]
	v_mov_b32_e32 v19, v86
	v_mov_b32_e32 v86, v89
	scratch_store_dwordx4 off, v[0:3], off offset:128 ; 16-byte Folded Spill
	s_nop 0
	scratch_store_dwordx4 off, v[4:7], off offset:144 ; 16-byte Folded Spill
	scratch_store_dwordx4 off, v[8:11], off offset:160 ; 16-byte Folded Spill
	;; [unrolled: 1-line block ×7, first 2 shown]
	v_mov_b32_e32 v20, v87
	scratch_store_dwordx4 off, v[0:3], off  ; 16-byte Folded Spill
	s_nop 0
	scratch_store_dwordx4 off, v[4:7], off offset:16 ; 16-byte Folded Spill
	scratch_store_dwordx4 off, v[8:11], off offset:32 ; 16-byte Folded Spill
	;; [unrolled: 1-line block ×7, first 2 shown]
	v_mov_b32_e32 v186, v22
	v_mov_b32_e32 v187, v23
	;; [unrolled: 1-line block ×9, first 2 shown]
	scratch_store_dwordx4 off, v[22:25], off offset:3200 ; 16-byte Folded Spill
	s_nop 0
	scratch_store_dwordx4 off, v[26:29], off offset:3216 ; 16-byte Folded Spill
	scratch_store_dwordx4 off, v[30:33], off offset:3232 ; 16-byte Folded Spill
	;; [unrolled: 1-line block ×8, first 2 shown]
	s_nop 0
	scratch_store_dwordx4 off, v[26:29], off offset:3472 ; 16-byte Folded Spill
	scratch_store_dwordx4 off, v[30:33], off offset:3488 ; 16-byte Folded Spill
	;; [unrolled: 1-line block ×7, first 2 shown]
	v_mov_b32_e32 v24, v55
	v_mov_b32_e32 v5, v46
	;; [unrolled: 1-line block ×9, first 2 shown]
.LBB49_18:
	s_or_b64 exec, exec, s[2:3]
	v_cmp_eq_u32_e32 vcc, 3, v250
	s_waitcnt vmcnt(63) expcnt(7) lgkmcnt(15)
	s_barrier
	s_and_saveexec_b64 s[2:3], vcc
	s_cbranch_execz .LBB49_21
; %bb.19:
	ds_write_b32 v251, v5
	ds_write2_b32 v252, v222, v223 offset0:4 offset1:5
	ds_write2_b32 v252, v224, v225 offset0:6 offset1:7
	;; [unrolled: 1-line block ×10, first 2 shown]
	ds_write_b32 v252, v255 offset:96
	ds_read_b32 v25, v251
	s_waitcnt lgkmcnt(0)
	v_cmp_neq_f32_e32 vcc, 0, v25
	s_and_b64 exec, exec, vcc
	s_cbranch_execz .LBB49_21
; %bb.20:
	v_div_scale_f32 v45, s[4:5], v25, v25, 1.0
	v_rcp_f32_e32 v46, v45
	v_div_scale_f32 v47, vcc, 1.0, v25, 1.0
	v_fma_f32 v48, -v45, v46, 1.0
	v_fmac_f32_e32 v46, v48, v46
	v_mul_f32_e32 v48, v47, v46
	v_fma_f32 v49, -v45, v48, v47
	v_fmac_f32_e32 v48, v49, v46
	v_fma_f32 v45, -v45, v48, v47
	v_div_fmas_f32 v45, v45, v46, v48
	v_div_fixup_f32 v25, v45, v25, 1.0
	ds_write_b32 v251, v25
.LBB49_21:
	s_or_b64 exec, exec, s[2:3]
	s_waitcnt lgkmcnt(0)
	s_barrier
	ds_read_b32 v0, v251
	v_cmp_lt_u32_e32 vcc, 3, v250
	s_waitcnt lgkmcnt(0)
	scratch_store_dword off, v0, off offset:1280 ; 4-byte Folded Spill
	s_and_saveexec_b64 s[2:3], vcc
	s_cbranch_execz .LBB49_23
; %bb.22:
	ds_read2_b32 v[2:3], v252 offset0:4 offset1:5
	ds_read2_b32 v[24:25], v252 offset0:6 offset1:7
	;; [unrolled: 1-line block ×3, first 2 shown]
	scratch_load_dword v0, off, off offset:1280 ; 4-byte Folded Reload
	ds_read2_b32 v[28:29], v252 offset0:10 offset1:11
	s_waitcnt vmcnt(0)
	v_mul_f32_e32 v0, v5, v0
	s_waitcnt lgkmcnt(3)
	v_pk_fma_f32 v[92:93], v[0:1], v[2:3], v[222:223] op_sel_hi:[0,1,1] neg_lo:[1,0,0] neg_hi:[1,0,0]
	ds_read2_b32 v[2:3], v252 offset0:12 offset1:13
	s_waitcnt lgkmcnt(3)
	v_pk_fma_f32 v[146:147], v[0:1], v[24:25], v[224:225] op_sel_hi:[0,1,1] neg_lo:[1,0,0] neg_hi:[1,0,0]
	s_waitcnt lgkmcnt(2)
	v_pk_fma_f32 v[86:87], v[0:1], v[26:27], v[226:227] op_sel_hi:[0,1,1] neg_lo:[1,0,0] neg_hi:[1,0,0]
	;; [unrolled: 2-line block ×3, first 2 shown]
	ds_read2_b32 v[4:5], v252 offset0:14 offset1:15
	ds_read2_b32 v[6:7], v252 offset0:16 offset1:17
	;; [unrolled: 1-line block ×3, first 2 shown]
	s_waitcnt lgkmcnt(3)
	v_pk_fma_f32 v[138:139], v[0:1], v[2:3], v[230:231] op_sel_hi:[0,1,1] neg_lo:[1,0,0] neg_hi:[1,0,0]
	ds_read2_b32 v[2:3], v252 offset0:20 offset1:21
	ds_read2_b32 v[10:11], v252 offset0:22 offset1:23
	ds_read_b32 v1, v252 offset:96
	scratch_load_dwordx4 v[178:181], off, off offset:3456 ; 16-byte Folded Reload
	scratch_load_dwordx4 v[182:185], off, off offset:3472 ; 16-byte Folded Reload
	;; [unrolled: 1-line block ×8, first 2 shown]
	v_mov_b32_e32 v97, v0
	v_mov_b32_e32 v113, v0
	;; [unrolled: 1-line block ×3, first 2 shown]
	s_waitcnt lgkmcnt(0)
	v_pk_fma_f32 v[124:125], v[0:1], v[4:5], v[232:233] op_sel_hi:[0,1,1] neg_lo:[1,0,0] neg_hi:[1,0,0]
	v_pk_fma_f32 v[62:63], v[0:1], v[6:7], v[234:235] op_sel_hi:[0,1,1] neg_lo:[1,0,0] neg_hi:[1,0,0]
	;; [unrolled: 1-line block ×3, first 2 shown]
	v_mov_b32_e32 v5, v0
	v_mov_b32_e32 v6, v92
	;; [unrolled: 1-line block ×3, first 2 shown]
	v_pk_fma_f32 v[44:45], v[0:1], v[8:9], v[236:237] op_sel_hi:[0,1,1] neg_lo:[1,0,0] neg_hi:[1,0,0]
	v_pk_fma_f32 v[176:177], v[0:1], v[10:11], v[240:241] op_sel_hi:[0,1,1] neg_lo:[1,0,0] neg_hi:[1,0,0]
	v_mov_b32_e32 v115, v93
	v_mov_b32_e32 v116, v146
	;; [unrolled: 1-line block ×13, first 2 shown]
	s_waitcnt vmcnt(2)
	v_mov_b32_e32 v200, v124
	v_mov_b32_e32 v201, v125
	v_mov_b32_e32 v168, v124
	v_mov_b32_e32 v169, v125
	v_mov_b32_e32 v232, v124
	v_mov_b32_e32 v233, v125
	v_mov_b32_e32 v91, v0
	v_mov_b32_e32 v144, v92
	v_mov_b32_e32 v145, v93
	v_mov_b32_e32 v82, v92
	v_mov_b32_e32 v83, v93
	v_mov_b32_e32 v68, v92
	v_mov_b32_e32 v69, v93
	v_mov_b32_e32 v130, v92
	v_mov_b32_e32 v131, v93
	v_mov_b32_e32 v50, v92
	v_mov_b32_e32 v51, v93
	v_mov_b32_e32 v190, v92
	v_mov_b32_e32 v191, v93
	v_mov_b32_e32 v158, v92
	v_mov_b32_e32 v159, v93
	v_mov_b32_e32 v222, v92
	v_mov_b32_e32 v223, v93
	v_mov_b32_e32 v143, v0
	v_mov_b32_e32 v81, v0
	v_mov_b32_e32 v84, v146
	v_mov_b32_e32 v85, v147
	v_mov_b32_e32 v157, v0
	v_mov_b32_e32 v160, v146
	v_mov_b32_e32 v161, v147
	v_mov_b32_e32 v162, v86
	v_mov_b32_e32 v163, v87
	v_mov_b32_e32 v164, v74
	v_mov_b32_e32 v165, v75
	v_mov_b32_e32 v166, v138
	v_mov_b32_e32 v167, v139
	v_mov_b32_e32 v170, v62
	v_mov_b32_e32 v171, v63
	v_mov_b32_e32 v70, v146
	v_mov_b32_e32 v71, v147
	v_mov_b32_e32 v72, v86
	v_mov_b32_e32 v73, v87
	v_mov_b32_e32 v132, v146
	v_mov_b32_e32 v133, v147
	v_mov_b32_e32 v134, v86
	v_mov_b32_e32 v135, v87
	v_mov_b32_e32 v52, v146
	v_mov_b32_e32 v53, v147
	v_mov_b32_e32 v94, v178
	v_mov_b32_e32 v95, v179
	v_mov_b32_e32 v96, v180
	v_mov_b32_e32 v2, v94
	v_mov_b32_e32 v3, v95
	v_mov_b32_e32 v4, v96
	scratch_store_dwordx4 off, v[2:5], off offset:2944 ; 16-byte Folded Spill
	s_nop 0
	scratch_store_dwordx4 off, v[6:9], off offset:2960 ; 16-byte Folded Spill
	scratch_store_dwordx4 off, v[10:13], off offset:2976 ; 16-byte Folded Spill
	;; [unrolled: 1-line block ×7, first 2 shown]
	v_mov_b32_e32 v8, v146
	v_mov_b32_e32 v9, v147
	;; [unrolled: 1-line block ×65, first 2 shown]
	scratch_store_dwordx4 off, v[2:5], off offset:2688 ; 16-byte Folded Spill
	s_nop 0
	scratch_store_dwordx4 off, v[6:9], off offset:2704 ; 16-byte Folded Spill
	scratch_store_dwordx4 off, v[10:13], off offset:2720 ; 16-byte Folded Spill
	;; [unrolled: 1-line block ×7, first 2 shown]
	v_mov_b32_e32 v10, v86
	v_mov_b32_e32 v11, v87
	;; [unrolled: 1-line block ×5, first 2 shown]
	s_waitcnt vmcnt(17)
	v_mov_b32_e32 v204, v44
	v_mov_b32_e32 v205, v45
	;; [unrolled: 1-line block ×6, first 2 shown]
	v_fma_f32 v242, -v0, v1, v255
	v_mov_b32_e32 v221, v0
	v_mov_b32_e32 v189, v0
	;; [unrolled: 1-line block ×10, first 2 shown]
	scratch_store_dwordx4 off, v[2:5], off offset:1536 ; 16-byte Folded Spill
	s_nop 0
	scratch_store_dwordx4 off, v[6:9], off offset:1552 ; 16-byte Folded Spill
	scratch_store_dwordx4 off, v[10:13], off offset:1568 ; 16-byte Folded Spill
	scratch_store_dwordx4 off, v[14:17], off offset:1584 ; 16-byte Folded Spill
	scratch_store_dwordx4 off, v[18:21], off offset:1600 ; 16-byte Folded Spill
	scratch_store_dwordx4 off, v[22:25], off offset:1616 ; 16-byte Folded Spill
	scratch_store_dwordx4 off, v[26:29], off offset:1632 ; 16-byte Folded Spill
	scratch_store_dwordx4 off, v[30:33], off offset:1648 ; 16-byte Folded Spill
	v_mov_b32_e32 v12, v74
	v_mov_b32_e32 v13, v75
	scratch_store_dwordx4 off, v[2:5], off offset:1152 ; 16-byte Folded Spill
	s_nop 0
	scratch_store_dwordx4 off, v[6:9], off offset:1168 ; 16-byte Folded Spill
	scratch_store_dwordx4 off, v[10:13], off offset:1184 ; 16-byte Folded Spill
	scratch_store_dwordx4 off, v[14:17], off offset:1200 ; 16-byte Folded Spill
	scratch_store_dwordx4 off, v[18:21], off offset:1216 ; 16-byte Folded Spill
	scratch_store_dwordx4 off, v[22:25], off offset:1232 ; 16-byte Folded Spill
	scratch_store_dwordx4 off, v[26:29], off offset:1248 ; 16-byte Folded Spill
	scratch_store_dwordx4 off, v[30:33], off offset:1264 ; 16-byte Folded Spill
	v_mov_b32_e32 v14, v138
	v_mov_b32_e32 v15, v139
	;; [unrolled: 11-line block ×4, first 2 shown]
	scratch_store_dwordx4 off, v[2:5], off offset:384 ; 16-byte Folded Spill
	s_nop 0
	scratch_store_dwordx4 off, v[6:9], off offset:400 ; 16-byte Folded Spill
	scratch_store_dwordx4 off, v[10:13], off offset:416 ; 16-byte Folded Spill
	;; [unrolled: 1-line block ×7, first 2 shown]
	s_nop 0
	v_mov_b32_e32 v26, v94
	v_mov_b32_e32 v27, v95
	;; [unrolled: 1-line block ×10, first 2 shown]
	scratch_store_dwordx4 off, v[2:5], off offset:128 ; 16-byte Folded Spill
	s_nop 0
	scratch_store_dwordx4 off, v[6:9], off offset:144 ; 16-byte Folded Spill
	scratch_store_dwordx4 off, v[10:13], off offset:160 ; 16-byte Folded Spill
	;; [unrolled: 1-line block ×8, first 2 shown]
	s_nop 0
	scratch_store_dwordx4 off, v[98:101], off offset:3216 ; 16-byte Folded Spill
	scratch_store_dwordx4 off, v[102:105], off offset:3232 ; 16-byte Folded Spill
	;; [unrolled: 1-line block ×7, first 2 shown]
	v_mov_b32_e32 v94, v92
	v_mov_b32_e32 v24, v138
	scratch_store_dwordx4 off, v[88:91], off offset:3072 ; 16-byte Folded Spill
	s_nop 0
	scratch_store_dwordx4 off, v[92:95], off offset:3088 ; 16-byte Folded Spill
	scratch_store_dwordx4 off, v[96:99], off offset:3104 ; 16-byte Folded Spill
	;; [unrolled: 1-line block ×7, first 2 shown]
	v_mov_b32_e32 v88, v146
	v_mov_b32_e32 v90, v86
	scratch_store_dwordx4 off, v[140:143], off offset:2816 ; 16-byte Folded Spill
	s_nop 0
	scratch_store_dwordx4 off, v[144:147], off offset:2832 ; 16-byte Folded Spill
	scratch_store_dwordx4 off, v[148:151], off offset:2848 ; 16-byte Folded Spill
	;; [unrolled: 1-line block ×7, first 2 shown]
	s_waitcnt vmcnt(62)
	v_mov_b32_e32 v206, v22
	v_mov_b32_e32 v207, v23
	v_mov_b32_e32 v174, v22
	v_mov_b32_e32 v175, v23
	v_mov_b32_e32 v238, v22
	v_mov_b32_e32 v239, v23
	scratch_store_dwordx4 off, v[78:81], off offset:2560 ; 16-byte Folded Spill
	s_nop 0
	scratch_store_dwordx4 off, v[82:85], off offset:2576 ; 16-byte Folded Spill
	scratch_store_dwordx4 off, v[86:89], off offset:2592 ; 16-byte Folded Spill
	;; [unrolled: 1-line block ×7, first 2 shown]
	s_nop 0
	v_mov_b32_e32 v104, v124
	v_mov_b32_e32 v106, v44
	scratch_store_dwordx4 off, v[64:67], off offset:1408 ; 16-byte Folded Spill
	s_nop 0
	scratch_store_dwordx4 off, v[68:71], off offset:1424 ; 16-byte Folded Spill
	scratch_store_dwordx4 off, v[72:75], off offset:1440 ; 16-byte Folded Spill
	;; [unrolled: 1-line block ×8, first 2 shown]
	s_nop 0
	scratch_store_dwordx4 off, v[130:133], off offset:1040 ; 16-byte Folded Spill
	scratch_store_dwordx4 off, v[134:137], off offset:1056 ; 16-byte Folded Spill
	;; [unrolled: 1-line block ×7, first 2 shown]
	v_mov_b32_e32 v86, v176
	scratch_store_dwordx4 off, v[110:113], off offset:640 ; 16-byte Folded Spill
	s_nop 0
	scratch_store_dwordx4 off, v[114:117], off offset:656 ; 16-byte Folded Spill
	scratch_store_dwordx4 off, v[118:121], off offset:672 ; 16-byte Folded Spill
	;; [unrolled: 1-line block ×7, first 2 shown]
	v_mov_b32_e32 v116, v22
	v_mov_b32_e32 v77, v75
	;; [unrolled: 1-line block ×7, first 2 shown]
	v_mov_b64_e32 v[136:137], v[60:61]
	v_mov_b64_e32 v[134:135], v[58:59]
	;; [unrolled: 1-line block ×8, first 2 shown]
	scratch_store_dwordx4 off, v[26:29], off offset:256 ; 16-byte Folded Spill
	s_nop 0
	scratch_store_dwordx4 off, v[30:33], off offset:272 ; 16-byte Folded Spill
	scratch_store_dwordx4 off, v[34:37], off offset:288 ; 16-byte Folded Spill
	;; [unrolled: 1-line block ×7, first 2 shown]
	v_mov_b32_e32 v27, v147
	v_mov_b32_e32 v29, v87
	;; [unrolled: 1-line block ×3, first 2 shown]
	scratch_store_dwordx4 off, v[2:5], off  ; 16-byte Folded Spill
	s_nop 0
	scratch_store_dwordx4 off, v[6:9], off offset:16 ; 16-byte Folded Spill
	scratch_store_dwordx4 off, v[10:13], off offset:32 ; 16-byte Folded Spill
	scratch_store_dwordx4 off, v[14:17], off offset:48 ; 16-byte Folded Spill
	scratch_store_dwordx4 off, v[18:21], off offset:64 ; 16-byte Folded Spill
	scratch_store_dwordx4 off, v[22:25], off offset:80 ; 16-byte Folded Spill
	scratch_store_dwordx4 off, v[26:29], off offset:96 ; 16-byte Folded Spill
	scratch_store_dwordx4 off, v[30:33], off offset:112 ; 16-byte Folded Spill
	v_mov_b32_e32 v117, v45
	v_mov_b32_e32 v91, v23
.LBB49_23:
	s_or_b64 exec, exec, s[2:3]
	v_cmp_eq_u32_e32 vcc, 4, v250
	s_waitcnt vmcnt(63) expcnt(7) lgkmcnt(15)
	s_barrier
	s_and_saveexec_b64 s[2:3], vcc
	s_cbranch_execz .LBB49_26
; %bb.24:
	ds_write_b32 v251, v94
	ds_write2_b32 v252, v223, v224 offset0:5 offset1:6
	ds_write2_b32 v252, v225, v226 offset0:7 offset1:8
	;; [unrolled: 1-line block ×10, first 2 shown]
	ds_read_b32 v25, v251
	s_waitcnt lgkmcnt(0)
	v_cmp_neq_f32_e32 vcc, 0, v25
	s_and_b64 exec, exec, vcc
	s_cbranch_execz .LBB49_26
; %bb.25:
	v_div_scale_f32 v45, s[4:5], v25, v25, 1.0
	v_rcp_f32_e32 v46, v45
	v_div_scale_f32 v47, vcc, 1.0, v25, 1.0
	v_fma_f32 v48, -v45, v46, 1.0
	v_fmac_f32_e32 v46, v48, v46
	v_mul_f32_e32 v48, v47, v46
	v_fma_f32 v49, -v45, v48, v47
	v_fmac_f32_e32 v48, v49, v46
	v_fma_f32 v45, -v45, v48, v47
	v_div_fmas_f32 v45, v45, v46, v48
	v_div_fixup_f32 v25, v45, v25, 1.0
	ds_write_b32 v251, v25
.LBB49_26:
	s_or_b64 exec, exec, s[2:3]
	s_waitcnt lgkmcnt(0)
	s_barrier
	ds_read_b32 v0, v251
	v_cmp_lt_u32_e32 vcc, 4, v250
	s_waitcnt lgkmcnt(0)
	scratch_store_dword off, v0, off offset:1664 ; 4-byte Folded Spill
	s_and_saveexec_b64 s[2:3], vcc
	s_cbranch_execz .LBB49_28
; %bb.27:
	scratch_load_dword v0, off, off offset:1664 ; 4-byte Folded Reload
	scratch_load_dwordx4 v[30:33], off, off offset:3200 ; 16-byte Folded Reload
	scratch_load_dwordx4 v[34:37], off, off offset:3216 ; 16-byte Folded Reload
	;; [unrolled: 1-line block ×8, first 2 shown]
	v_mov_b32_e32 v2, v223
	v_mov_b32_e32 v3, v224
	s_waitcnt vmcnt(6)
	v_mul_f32_e32 v34, v94, v0
	ds_read2_b32 v[0:1], v252 offset0:5 offset1:6
	ds_read2_b32 v[4:5], v252 offset0:7 offset1:8
	;; [unrolled: 1-line block ×4, first 2 shown]
	v_mov_b32_e32 v124, v32
	v_mov_b32_e32 v125, v33
	;; [unrolled: 1-line block ×3, first 2 shown]
	s_waitcnt vmcnt(3) lgkmcnt(3)
	v_pk_fma_f32 v[46:47], v[34:35], v[0:1], v[2:3] op_sel_hi:[0,1,1] neg_lo:[1,0,0] neg_hi:[1,0,0]
	v_mov_b32_e32 v0, v225
	v_mov_b32_e32 v1, v226
	s_waitcnt lgkmcnt(2)
	v_pk_fma_f32 v[48:49], v[34:35], v[4:5], v[0:1] op_sel_hi:[0,1,1] neg_lo:[1,0,0] neg_hi:[1,0,0]
	v_mov_b32_e32 v0, v227
	v_mov_b32_e32 v1, v228
	s_waitcnt vmcnt(2) lgkmcnt(1)
	v_pk_fma_f32 v[50:51], v[34:35], v[26:27], v[0:1] op_sel_hi:[0,1,1] neg_lo:[1,0,0] neg_hi:[1,0,0]
	v_mov_b32_e32 v0, v229
	v_mov_b32_e32 v1, v230
	s_waitcnt lgkmcnt(0)
	v_pk_fma_f32 v[52:53], v[34:35], v[28:29], v[0:1] op_sel_hi:[0,1,1] neg_lo:[1,0,0] neg_hi:[1,0,0]
	ds_read2_b32 v[0:1], v252 offset0:13 offset1:14
	ds_read2_b32 v[4:5], v252 offset0:15 offset1:16
	;; [unrolled: 1-line block ×4, first 2 shown]
	v_mov_b32_e32 v2, v231
	v_mov_b32_e32 v3, v232
	;; [unrolled: 1-line block ×3, first 2 shown]
	s_waitcnt vmcnt(1) lgkmcnt(3)
	v_pk_fma_f32 v[54:55], v[34:35], v[0:1], v[2:3] op_sel_hi:[0,1,1] neg_lo:[1,0,0] neg_hi:[1,0,0]
	v_mov_b32_e32 v0, v233
	v_mov_b32_e32 v1, v234
	ds_read2_b32 v[2:3], v252 offset0:21 offset1:22
	s_waitcnt lgkmcnt(3)
	v_pk_fma_f32 v[56:57], v[34:35], v[4:5], v[0:1] op_sel_hi:[0,1,1] neg_lo:[1,0,0] neg_hi:[1,0,0]
	ds_read2_b32 v[4:5], v252 offset0:23 offset1:24
	v_mov_b32_e32 v0, v235
	v_mov_b32_e32 v1, v236
	s_waitcnt lgkmcnt(3)
	v_pk_fma_f32 v[82:83], v[34:35], v[6:7], v[0:1] op_sel_hi:[0,1,1] neg_lo:[1,0,0] neg_hi:[1,0,0]
	v_mov_b32_e32 v0, v237
	v_mov_b32_e32 v1, v238
	s_waitcnt lgkmcnt(2)
	v_pk_fma_f32 v[84:85], v[34:35], v[8:9], v[0:1] op_sel_hi:[0,1,1] neg_lo:[1,0,0] neg_hi:[1,0,0]
	;; [unrolled: 4-line block ×4, first 2 shown]
	v_mov_b32_e32 v0, v30
	v_mov_b32_e32 v1, v31
	;; [unrolled: 1-line block ×7, first 2 shown]
	scratch_store_dwordx4 off, v[0:3], off offset:2816 ; 16-byte Folded Spill
	s_nop 0
	scratch_store_dwordx4 off, v[4:7], off offset:2832 ; 16-byte Folded Spill
	scratch_store_dwordx4 off, v[8:11], off offset:2848 ; 16-byte Folded Spill
	scratch_store_dwordx4 off, v[12:15], off offset:2864 ; 16-byte Folded Spill
	scratch_store_dwordx4 off, v[16:19], off offset:2880 ; 16-byte Folded Spill
	scratch_store_dwordx4 off, v[20:23], off offset:2896 ; 16-byte Folded Spill
	scratch_store_dwordx4 off, v[24:27], off offset:2912 ; 16-byte Folded Spill
	scratch_store_dwordx4 off, v[28:31], off offset:2928 ; 16-byte Folded Spill
	v_mov_b32_e32 v7, v48
	v_mov_b32_e32 v35, v46
	;; [unrolled: 1-line block ×46, first 2 shown]
	scratch_store_dwordx4 off, v[0:3], off offset:2688 ; 16-byte Folded Spill
	s_nop 0
	scratch_store_dwordx4 off, v[4:7], off offset:2704 ; 16-byte Folded Spill
	scratch_store_dwordx4 off, v[8:11], off offset:2720 ; 16-byte Folded Spill
	;; [unrolled: 1-line block ×7, first 2 shown]
	v_mov_b32_e32 v8, v49
	v_mov_b32_e32 v223, v46
	;; [unrolled: 1-line block ×38, first 2 shown]
	scratch_store_dwordx4 off, v[0:3], off offset:2560 ; 16-byte Folded Spill
	s_nop 0
	scratch_store_dwordx4 off, v[4:7], off offset:2576 ; 16-byte Folded Spill
	scratch_store_dwordx4 off, v[8:11], off offset:2592 ; 16-byte Folded Spill
	scratch_store_dwordx4 off, v[12:15], off offset:2608 ; 16-byte Folded Spill
	scratch_store_dwordx4 off, v[16:19], off offset:2624 ; 16-byte Folded Spill
	scratch_store_dwordx4 off, v[20:23], off offset:2640 ; 16-byte Folded Spill
	scratch_store_dwordx4 off, v[24:27], off offset:2656 ; 16-byte Folded Spill
	scratch_store_dwordx4 off, v[28:31], off offset:2672 ; 16-byte Folded Spill
	v_mov_b32_e32 v9, v50
	scratch_store_dwordx4 off, v[0:3], off offset:1536 ; 16-byte Folded Spill
	s_nop 0
	scratch_store_dwordx4 off, v[4:7], off offset:1552 ; 16-byte Folded Spill
	scratch_store_dwordx4 off, v[8:11], off offset:1568 ; 16-byte Folded Spill
	scratch_store_dwordx4 off, v[12:15], off offset:1584 ; 16-byte Folded Spill
	scratch_store_dwordx4 off, v[16:19], off offset:1600 ; 16-byte Folded Spill
	scratch_store_dwordx4 off, v[20:23], off offset:1616 ; 16-byte Folded Spill
	scratch_store_dwordx4 off, v[24:27], off offset:1632 ; 16-byte Folded Spill
	scratch_store_dwordx4 off, v[28:31], off offset:1648 ; 16-byte Folded Spill
	v_mov_b32_e32 v10, v51
	;; [unrolled: 10-line block ×8, first 2 shown]
	v_mov_b32_e32 v17, v82
	v_mov_b32_e32 v122, v30
	;; [unrolled: 1-line block ×3, first 2 shown]
	scratch_store_dwordx4 off, v[0:3], off offset:384 ; 16-byte Folded Spill
	s_nop 0
	scratch_store_dwordx4 off, v[4:7], off offset:400 ; 16-byte Folded Spill
	scratch_store_dwordx4 off, v[8:11], off offset:416 ; 16-byte Folded Spill
	scratch_store_dwordx4 off, v[12:15], off offset:432 ; 16-byte Folded Spill
	scratch_store_dwordx4 off, v[16:19], off offset:448 ; 16-byte Folded Spill
	scratch_store_dwordx4 off, v[20:23], off offset:464 ; 16-byte Folded Spill
	scratch_store_dwordx4 off, v[24:27], off offset:480 ; 16-byte Folded Spill
	scratch_store_dwordx4 off, v[28:31], off offset:496 ; 16-byte Folded Spill
	v_mov_b32_e32 v18, v83
	scratch_store_dwordx4 off, v[0:3], off offset:256 ; 16-byte Folded Spill
	s_nop 0
	scratch_store_dwordx4 off, v[4:7], off offset:272 ; 16-byte Folded Spill
	scratch_store_dwordx4 off, v[8:11], off offset:288 ; 16-byte Folded Spill
	scratch_store_dwordx4 off, v[12:15], off offset:304 ; 16-byte Folded Spill
	scratch_store_dwordx4 off, v[16:19], off offset:320 ; 16-byte Folded Spill
	scratch_store_dwordx4 off, v[20:23], off offset:336 ; 16-byte Folded Spill
	scratch_store_dwordx4 off, v[24:27], off offset:352 ; 16-byte Folded Spill
	scratch_store_dwordx4 off, v[28:31], off offset:368 ; 16-byte Folded Spill
	v_mov_b32_e32 v19, v84
	;; [unrolled: 10-line block ×3, first 2 shown]
	scratch_store_dwordx4 off, v[0:3], off  ; 16-byte Folded Spill
	s_nop 0
	scratch_store_dwordx4 off, v[4:7], off offset:16 ; 16-byte Folded Spill
	scratch_store_dwordx4 off, v[8:11], off offset:32 ; 16-byte Folded Spill
	;; [unrolled: 1-line block ×7, first 2 shown]
	v_mov_b32_e32 v186, v30
	v_mov_b32_e32 v187, v31
	;; [unrolled: 1-line block ×6, first 2 shown]
	scratch_store_dwordx4 off, v[30:33], off offset:2944 ; 16-byte Folded Spill
	s_nop 0
	scratch_store_dwordx4 off, v[34:37], off offset:2960 ; 16-byte Folded Spill
	scratch_store_dwordx4 off, v[38:41], off offset:2976 ; 16-byte Folded Spill
	;; [unrolled: 1-line block ×6, first 2 shown]
	s_waitcnt vmcnt(62)
	scratch_store_dwordx4 off, v[58:61], off offset:3056 ; 16-byte Folded Spill
	scratch_store_dwordx4 off, v[30:33], off offset:3072 ; 16-byte Folded Spill
	s_nop 0
	scratch_store_dwordx4 off, v[34:37], off offset:3088 ; 16-byte Folded Spill
	scratch_store_dwordx4 off, v[38:41], off offset:3104 ; 16-byte Folded Spill
	;; [unrolled: 1-line block ×7, first 2 shown]
	v_mov_b32_e32 v95, v46
	v_mov_b32_e32 v26, v47
	;; [unrolled: 1-line block ×12, first 2 shown]
.LBB49_28:
	s_or_b64 exec, exec, s[2:3]
	v_cmp_eq_u32_e32 vcc, 5, v250
	s_waitcnt vmcnt(63) expcnt(7) lgkmcnt(15)
	s_barrier
	s_and_saveexec_b64 s[2:3], vcc
	s_cbranch_execz .LBB49_31
; %bb.29:
	ds_write_b32 v251, v95
	ds_write2_b32 v252, v224, v225 offset0:6 offset1:7
	ds_write2_b32 v252, v226, v227 offset0:8 offset1:9
	;; [unrolled: 1-line block ×9, first 2 shown]
	ds_write_b32 v252, v255 offset:96
	ds_read_b32 v25, v251
	s_waitcnt lgkmcnt(0)
	v_cmp_neq_f32_e32 vcc, 0, v25
	s_and_b64 exec, exec, vcc
	s_cbranch_execz .LBB49_31
; %bb.30:
	v_div_scale_f32 v45, s[4:5], v25, v25, 1.0
	v_rcp_f32_e32 v46, v45
	v_div_scale_f32 v47, vcc, 1.0, v25, 1.0
	v_fma_f32 v48, -v45, v46, 1.0
	v_fmac_f32_e32 v46, v48, v46
	v_mul_f32_e32 v48, v47, v46
	v_fma_f32 v49, -v45, v48, v47
	v_fmac_f32_e32 v48, v49, v46
	v_fma_f32 v45, -v45, v48, v47
	v_div_fmas_f32 v45, v45, v46, v48
	v_div_fixup_f32 v25, v45, v25, 1.0
	ds_write_b32 v251, v25
.LBB49_31:
	s_or_b64 exec, exec, s[2:3]
	s_waitcnt lgkmcnt(0)
	s_barrier
	ds_read_b32 v0, v251
	v_cmp_lt_u32_e32 vcc, 5, v250
	s_waitcnt lgkmcnt(0)
	scratch_store_dword off, v0, off offset:1792 ; 4-byte Folded Spill
	s_and_saveexec_b64 s[2:3], vcc
	s_cbranch_execz .LBB49_33
; %bb.32:
	ds_read2_b32 v[2:3], v252 offset0:6 offset1:7
	ds_read2_b32 v[4:5], v252 offset0:8 offset1:9
	;; [unrolled: 1-line block ×3, first 2 shown]
	scratch_load_dword v0, off, off offset:1792 ; 4-byte Folded Reload
	ds_read2_b32 v[26:27], v252 offset0:12 offset1:13
	s_waitcnt vmcnt(0)
	v_mul_f32_e32 v0, v95, v0
	s_waitcnt lgkmcnt(3)
	v_pk_fma_f32 v[146:147], v[0:1], v[2:3], v[224:225] op_sel_hi:[0,1,1] neg_lo:[1,0,0] neg_hi:[1,0,0]
	ds_read2_b32 v[2:3], v252 offset0:14 offset1:15
	s_waitcnt lgkmcnt(3)
	v_pk_fma_f32 v[88:89], v[0:1], v[4:5], v[226:227] op_sel_hi:[0,1,1] neg_lo:[1,0,0] neg_hi:[1,0,0]
	s_waitcnt lgkmcnt(2)
	v_pk_fma_f32 v[74:75], v[0:1], v[24:25], v[228:229] op_sel_hi:[0,1,1] neg_lo:[1,0,0] neg_hi:[1,0,0]
	;; [unrolled: 2-line block ×3, first 2 shown]
	ds_read2_b32 v[4:5], v252 offset0:16 offset1:17
	ds_read2_b32 v[6:7], v252 offset0:18 offset1:19
	;; [unrolled: 1-line block ×3, first 2 shown]
	s_waitcnt lgkmcnt(3)
	v_pk_fma_f32 v[124:125], v[0:1], v[2:3], v[232:233] op_sel_hi:[0,1,1] neg_lo:[1,0,0] neg_hi:[1,0,0]
	ds_read2_b32 v[2:3], v252 offset0:22 offset1:23
	ds_read_b32 v1, v252 offset:96
	scratch_load_dwordx4 v[90:93], off, off offset:3072 ; 16-byte Folded Reload
	scratch_load_dwordx4 v[94:97], off, off offset:3088 ; 16-byte Folded Reload
	;; [unrolled: 1-line block ×8, first 2 shown]
	s_waitcnt vmcnt(6)
	v_mov_b32_e32 v95, v0
	s_waitcnt vmcnt(1)
	v_mov_b32_e32 v115, v0
	v_mov_b32_e32 v116, v146
	s_waitcnt lgkmcnt(0)
	v_pk_fma_f32 v[62:63], v[0:1], v[4:5], v[234:235] op_sel_hi:[0,1,1] neg_lo:[1,0,0] neg_hi:[1,0,0]
	v_pk_fma_f32 v[44:45], v[0:1], v[6:7], v[236:237] op_sel_hi:[0,1,1] neg_lo:[1,0,0] neg_hi:[1,0,0]
	;; [unrolled: 1-line block ×4, first 2 shown]
	v_mov_b32_e32 v7, v0
	v_mov_b32_e32 v8, v146
	;; [unrolled: 1-line block ×4, first 2 shown]
	s_waitcnt vmcnt(0)
	v_mov_b32_e32 v118, v88
	v_mov_b32_e32 v119, v89
	v_mov_b32_e32 v120, v74
	v_mov_b32_e32 v121, v75
	v_mov_b32_e32 v145, v0
	v_mov_b32_e32 v85, v0
	v_mov_b32_e32 v86, v146
	v_mov_b32_e32 v87, v147
	v_mov_b32_e32 v159, v0
	v_mov_b32_e32 v160, v146
	v_mov_b32_e32 v161, v147
	v_mov_b32_e32 v162, v88
	v_mov_b32_e32 v163, v89
	v_mov_b32_e32 v164, v74
	v_mov_b32_e32 v165, v75
	v_mov_b32_e32 v166, v138
	v_mov_b32_e32 v167, v139
	v_mov_b32_e32 v168, v124
	v_mov_b32_e32 v169, v125
	v_mov_b32_e32 v170, v62
	v_mov_b32_e32 v171, v63
	v_mov_b32_e32 v70, v146
	v_mov_b32_e32 v71, v147
	v_mov_b32_e32 v72, v88
	v_mov_b32_e32 v73, v89
	v_mov_b32_e32 v132, v146
	v_mov_b32_e32 v133, v147
	v_mov_b32_e32 v134, v88
	v_mov_b32_e32 v135, v89
	v_mov_b32_e32 v52, v146
	v_mov_b32_e32 v53, v147
	v_mov_b32_e32 v54, v88
	v_mov_b32_e32 v55, v89
	v_mov_b32_e32 v34, v88
	v_mov_b32_e32 v35, v89
	v_mov_b32_e32 v192, v146
	v_mov_b32_e32 v193, v147
	v_mov_b32_e32 v194, v88
	v_mov_b32_e32 v195, v89
	v_mov_b32_e32 v224, v146
	v_mov_b32_e32 v225, v147
	v_mov_b32_e32 v226, v88
	v_mov_b32_e32 v227, v89
	v_mov_b32_e32 v78, v146
	v_mov_b32_e32 v69, v0
	v_mov_b32_e32 v131, v0
	v_mov_b32_e32 v136, v74
	v_mov_b32_e32 v137, v75
	v_mov_b32_e32 v76, v74
	v_mov_b32_e32 v122, v138
	v_mov_b32_e32 v123, v139
	v_mov_b32_e32 v56, v74
	v_mov_b32_e32 v57, v75
	v_mov_b32_e32 v58, v138
	v_mov_b32_e32 v59, v139
	v_mov_b32_e32 v36, v74
	v_mov_b32_e32 v37, v75
	v_mov_b32_e32 v38, v138
	v_mov_b32_e32 v39, v139
	v_mov_b32_e32 v196, v74
	v_mov_b32_e32 v197, v75
	v_mov_b32_e32 v2, v90
	v_mov_b32_e32 v3, v91
	v_mov_b32_e32 v4, v92
	v_mov_b32_e32 v5, v93
	v_mov_b32_e32 v6, v94
	scratch_store_dwordx4 off, v[2:5], off offset:2688 ; 16-byte Folded Spill
	s_nop 0
	scratch_store_dwordx4 off, v[6:9], off offset:2704 ; 16-byte Folded Spill
	scratch_store_dwordx4 off, v[10:13], off offset:2720 ; 16-byte Folded Spill
	;; [unrolled: 1-line block ×7, first 2 shown]
	v_mov_b32_e32 v10, v88
	v_mov_b32_e32 v11, v89
	;; [unrolled: 1-line block ×65, first 2 shown]
	scratch_store_dwordx4 off, v[2:5], off offset:1536 ; 16-byte Folded Spill
	s_nop 0
	scratch_store_dwordx4 off, v[6:9], off offset:1552 ; 16-byte Folded Spill
	scratch_store_dwordx4 off, v[10:13], off offset:1568 ; 16-byte Folded Spill
	;; [unrolled: 1-line block ×7, first 2 shown]
	v_mov_b32_e32 v12, v74
	v_mov_b32_e32 v13, v75
	;; [unrolled: 1-line block ×7, first 2 shown]
	v_fma_f32 v242, -v0, v1, v255
	v_mov_b32_e32 v223, v0
	v_mov_b32_e32 v191, v0
	;; [unrolled: 1-line block ×10, first 2 shown]
	scratch_store_dwordx4 off, v[2:5], off offset:1152 ; 16-byte Folded Spill
	s_nop 0
	scratch_store_dwordx4 off, v[6:9], off offset:1168 ; 16-byte Folded Spill
	scratch_store_dwordx4 off, v[10:13], off offset:1184 ; 16-byte Folded Spill
	scratch_store_dwordx4 off, v[14:17], off offset:1200 ; 16-byte Folded Spill
	scratch_store_dwordx4 off, v[18:21], off offset:1216 ; 16-byte Folded Spill
	scratch_store_dwordx4 off, v[22:25], off offset:1232 ; 16-byte Folded Spill
	scratch_store_dwordx4 off, v[26:29], off offset:1248 ; 16-byte Folded Spill
	scratch_store_dwordx4 off, v[30:33], off offset:1264 ; 16-byte Folded Spill
	v_mov_b32_e32 v14, v138
	v_mov_b32_e32 v15, v139
	scratch_store_dwordx4 off, v[2:5], off offset:768 ; 16-byte Folded Spill
	s_nop 0
	scratch_store_dwordx4 off, v[6:9], off offset:784 ; 16-byte Folded Spill
	scratch_store_dwordx4 off, v[10:13], off offset:800 ; 16-byte Folded Spill
	scratch_store_dwordx4 off, v[14:17], off offset:816 ; 16-byte Folded Spill
	scratch_store_dwordx4 off, v[18:21], off offset:832 ; 16-byte Folded Spill
	scratch_store_dwordx4 off, v[22:25], off offset:848 ; 16-byte Folded Spill
	scratch_store_dwordx4 off, v[26:29], off offset:864 ; 16-byte Folded Spill
	scratch_store_dwordx4 off, v[30:33], off offset:880 ; 16-byte Folded Spill
	v_mov_b32_e32 v16, v124
	v_mov_b32_e32 v17, v125
	scratch_store_dwordx4 off, v[2:5], off offset:512 ; 16-byte Folded Spill
	s_nop 0
	scratch_store_dwordx4 off, v[6:9], off offset:528 ; 16-byte Folded Spill
	scratch_store_dwordx4 off, v[10:13], off offset:544 ; 16-byte Folded Spill
	scratch_store_dwordx4 off, v[14:17], off offset:560 ; 16-byte Folded Spill
	scratch_store_dwordx4 off, v[18:21], off offset:576 ; 16-byte Folded Spill
	scratch_store_dwordx4 off, v[22:25], off offset:592 ; 16-byte Folded Spill
	scratch_store_dwordx4 off, v[26:29], off offset:608 ; 16-byte Folded Spill
	scratch_store_dwordx4 off, v[30:33], off offset:624 ; 16-byte Folded Spill
	v_mov_b32_e32 v18, v62
	v_mov_b32_e32 v19, v63
	scratch_store_dwordx4 off, v[2:5], off offset:384 ; 16-byte Folded Spill
	s_nop 0
	scratch_store_dwordx4 off, v[6:9], off offset:400 ; 16-byte Folded Spill
	scratch_store_dwordx4 off, v[10:13], off offset:416 ; 16-byte Folded Spill
	;; [unrolled: 1-line block ×7, first 2 shown]
	s_nop 0
	v_mov_b32_e32 v26, v90
	v_mov_b32_e32 v27, v91
	;; [unrolled: 1-line block ×10, first 2 shown]
	scratch_store_dwordx4 off, v[2:5], off offset:128 ; 16-byte Folded Spill
	s_nop 0
	scratch_store_dwordx4 off, v[6:9], off offset:144 ; 16-byte Folded Spill
	scratch_store_dwordx4 off, v[10:13], off offset:160 ; 16-byte Folded Spill
	;; [unrolled: 1-line block ×8, first 2 shown]
	s_nop 0
	scratch_store_dwordx4 off, v[94:97], off offset:2960 ; 16-byte Folded Spill
	scratch_store_dwordx4 off, v[98:101], off offset:2976 ; 16-byte Folded Spill
	;; [unrolled: 1-line block ×7, first 2 shown]
	v_mov_b32_e32 v90, v88
	scratch_store_dwordx4 off, v[140:143], off offset:2816 ; 16-byte Folded Spill
	s_nop 0
	scratch_store_dwordx4 off, v[144:147], off offset:2832 ; 16-byte Folded Spill
	scratch_store_dwordx4 off, v[148:151], off offset:2848 ; 16-byte Folded Spill
	;; [unrolled: 1-line block ×7, first 2 shown]
	v_mov_b32_e32 v24, v138
	scratch_store_dwordx4 off, v[80:83], off offset:2560 ; 16-byte Folded Spill
	s_nop 0
	scratch_store_dwordx4 off, v[84:87], off offset:2576 ; 16-byte Folded Spill
	scratch_store_dwordx4 off, v[88:91], off offset:2592 ; 16-byte Folded Spill
	;; [unrolled: 1-line block ×7, first 2 shown]
	s_nop 0
	v_mov_b32_e32 v104, v124
	v_mov_b32_e32 v106, v44
	;; [unrolled: 1-line block ×8, first 2 shown]
	scratch_store_dwordx4 off, v[64:67], off offset:1408 ; 16-byte Folded Spill
	s_nop 0
	scratch_store_dwordx4 off, v[68:71], off offset:1424 ; 16-byte Folded Spill
	scratch_store_dwordx4 off, v[72:75], off offset:1440 ; 16-byte Folded Spill
	;; [unrolled: 1-line block ×8, first 2 shown]
	s_nop 0
	scratch_store_dwordx4 off, v[130:133], off offset:1040 ; 16-byte Folded Spill
	scratch_store_dwordx4 off, v[134:137], off offset:1056 ; 16-byte Folded Spill
	;; [unrolled: 1-line block ×7, first 2 shown]
	v_mov_b32_e32 v86, v176
	scratch_store_dwordx4 off, v[110:113], off offset:640 ; 16-byte Folded Spill
	s_nop 0
	scratch_store_dwordx4 off, v[114:117], off offset:656 ; 16-byte Folded Spill
	scratch_store_dwordx4 off, v[118:121], off offset:672 ; 16-byte Folded Spill
	;; [unrolled: 1-line block ×7, first 2 shown]
	v_mov_b32_e32 v116, v22
	v_mov_b32_e32 v77, v75
	;; [unrolled: 1-line block ×6, first 2 shown]
	v_mov_b64_e32 v[136:137], v[60:61]
	v_mov_b64_e32 v[134:135], v[58:59]
	;; [unrolled: 1-line block ×8, first 2 shown]
	scratch_store_dwordx4 off, v[26:29], off offset:256 ; 16-byte Folded Spill
	s_nop 0
	scratch_store_dwordx4 off, v[30:33], off offset:272 ; 16-byte Folded Spill
	scratch_store_dwordx4 off, v[34:37], off offset:288 ; 16-byte Folded Spill
	;; [unrolled: 1-line block ×7, first 2 shown]
	v_mov_b32_e32 v27, v147
	v_mov_b32_e32 v29, v89
	;; [unrolled: 1-line block ×3, first 2 shown]
	scratch_store_dwordx4 off, v[2:5], off  ; 16-byte Folded Spill
	s_nop 0
	scratch_store_dwordx4 off, v[6:9], off offset:16 ; 16-byte Folded Spill
	scratch_store_dwordx4 off, v[10:13], off offset:32 ; 16-byte Folded Spill
	;; [unrolled: 1-line block ×7, first 2 shown]
	v_mov_b32_e32 v117, v45
	v_mov_b32_e32 v91, v23
.LBB49_33:
	s_or_b64 exec, exec, s[2:3]
	v_cmp_eq_u32_e32 vcc, 6, v250
	s_waitcnt vmcnt(63) expcnt(7) lgkmcnt(15)
	s_barrier
	s_and_saveexec_b64 s[2:3], vcc
	s_cbranch_execz .LBB49_36
; %bb.34:
	ds_write_b32 v251, v26
	ds_write2_b32 v252, v225, v226 offset0:7 offset1:8
	ds_write2_b32 v252, v227, v228 offset0:9 offset1:10
	;; [unrolled: 1-line block ×9, first 2 shown]
	ds_read_b32 v25, v251
	s_waitcnt lgkmcnt(0)
	v_cmp_neq_f32_e32 vcc, 0, v25
	s_and_b64 exec, exec, vcc
	s_cbranch_execz .LBB49_36
; %bb.35:
	v_div_scale_f32 v45, s[4:5], v25, v25, 1.0
	v_rcp_f32_e32 v46, v45
	v_div_scale_f32 v47, vcc, 1.0, v25, 1.0
	v_fma_f32 v48, -v45, v46, 1.0
	v_fmac_f32_e32 v46, v48, v46
	v_mul_f32_e32 v48, v47, v46
	v_fma_f32 v49, -v45, v48, v47
	v_fmac_f32_e32 v48, v49, v46
	v_fma_f32 v45, -v45, v48, v47
	v_div_fmas_f32 v45, v45, v46, v48
	v_div_fixup_f32 v25, v45, v25, 1.0
	ds_write_b32 v251, v25
.LBB49_36:
	s_or_b64 exec, exec, s[2:3]
	s_waitcnt lgkmcnt(0)
	s_barrier
	ds_read_b32 v0, v251
	v_cmp_lt_u32_e32 vcc, 6, v250
	s_waitcnt lgkmcnt(0)
	scratch_store_dword off, v0, off offset:1920 ; 4-byte Folded Spill
	s_and_saveexec_b64 s[2:3], vcc
	s_cbranch_execz .LBB49_38
; %bb.37:
	scratch_load_dword v0, off, off offset:1920 ; 4-byte Folded Reload
	scratch_load_dwordx4 v[58:61], off, off offset:2944 ; 16-byte Folded Reload
	scratch_load_dwordx4 v[62:65], off, off offset:2960 ; 16-byte Folded Reload
	;; [unrolled: 1-line block ×8, first 2 shown]
	v_mov_b32_e32 v2, v225
	v_mov_b32_e32 v3, v226
	s_waitcnt vmcnt(6)
	v_mul_f32_e32 v64, v26, v0
	ds_read2_b32 v[0:1], v252 offset0:7 offset1:8
	ds_read2_b32 v[4:5], v252 offset0:9 offset1:10
	;; [unrolled: 1-line block ×4, first 2 shown]
	v_mov_b32_e32 v122, v58
	v_mov_b32_e32 v123, v59
	;; [unrolled: 1-line block ×3, first 2 shown]
	s_waitcnt lgkmcnt(3)
	v_pk_fma_f32 v[46:47], v[64:65], v[0:1], v[2:3] op_sel_hi:[0,1,1] neg_lo:[1,0,0] neg_hi:[1,0,0]
	v_mov_b32_e32 v0, v227
	v_mov_b32_e32 v1, v228
	s_waitcnt lgkmcnt(2)
	v_pk_fma_f32 v[48:49], v[64:65], v[4:5], v[0:1] op_sel_hi:[0,1,1] neg_lo:[1,0,0] neg_hi:[1,0,0]
	v_mov_b32_e32 v0, v229
	v_mov_b32_e32 v1, v230
	;; [unrolled: 4-line block ×3, first 2 shown]
	s_waitcnt lgkmcnt(0)
	v_pk_fma_f32 v[52:53], v[64:65], v[26:27], v[0:1] op_sel_hi:[0,1,1] neg_lo:[1,0,0] neg_hi:[1,0,0]
	ds_read2_b32 v[0:1], v252 offset0:15 offset1:16
	v_mov_b32_e32 v2, v233
	v_mov_b32_e32 v3, v234
	ds_read2_b32 v[4:5], v252 offset0:17 offset1:18
	ds_read2_b32 v[6:7], v252 offset0:19 offset1:20
	;; [unrolled: 1-line block ×3, first 2 shown]
	v_mov_b32_e32 v125, v61
	s_waitcnt lgkmcnt(3)
	v_pk_fma_f32 v[54:55], v[64:65], v[0:1], v[2:3] op_sel_hi:[0,1,1] neg_lo:[1,0,0] neg_hi:[1,0,0]
	ds_read2_b32 v[2:3], v252 offset0:23 offset1:24
	v_mov_b32_e32 v0, v235
	v_mov_b32_e32 v1, v236
	s_waitcnt lgkmcnt(3)
	v_pk_fma_f32 v[56:57], v[64:65], v[4:5], v[0:1] op_sel_hi:[0,1,1] neg_lo:[1,0,0] neg_hi:[1,0,0]
	v_mov_b32_e32 v0, v237
	v_mov_b32_e32 v1, v238
	s_waitcnt vmcnt(1) lgkmcnt(2)
	v_pk_fma_f32 v[82:83], v[64:65], v[6:7], v[0:1] op_sel_hi:[0,1,1] neg_lo:[1,0,0] neg_hi:[1,0,0]
	v_mov_b32_e32 v0, v239
	v_mov_b32_e32 v1, v240
	s_waitcnt lgkmcnt(1)
	v_pk_fma_f32 v[84:85], v[64:65], v[8:9], v[0:1] op_sel_hi:[0,1,1] neg_lo:[1,0,0] neg_hi:[1,0,0]
	v_mov_b32_e32 v0, v241
	v_mov_b32_e32 v1, v242
	s_waitcnt lgkmcnt(0)
	v_pk_fma_f32 v[254:255], v[64:65], v[2:3], v[0:1] op_sel_hi:[0,1,1] neg_lo:[1,0,0] neg_hi:[1,0,0]
	v_mov_b32_e32 v0, v58
	v_mov_b32_e32 v1, v59
	;; [unrolled: 1-line block ×9, first 2 shown]
	scratch_store_dwordx4 off, v[0:3], off offset:2560 ; 16-byte Folded Spill
	s_nop 0
	scratch_store_dwordx4 off, v[4:7], off offset:2576 ; 16-byte Folded Spill
	scratch_store_dwordx4 off, v[8:11], off offset:2592 ; 16-byte Folded Spill
	;; [unrolled: 1-line block ×7, first 2 shown]
	v_mov_b32_e32 v9, v48
	v_mov_b32_e32 v65, v46
	;; [unrolled: 1-line block ×47, first 2 shown]
	scratch_store_dwordx4 off, v[0:3], off offset:1536 ; 16-byte Folded Spill
	s_nop 0
	scratch_store_dwordx4 off, v[4:7], off offset:1552 ; 16-byte Folded Spill
	scratch_store_dwordx4 off, v[8:11], off offset:1568 ; 16-byte Folded Spill
	;; [unrolled: 1-line block ×7, first 2 shown]
	v_mov_b32_e32 v10, v49
	v_mov_b32_e32 v193, v46
	;; [unrolled: 1-line block ×45, first 2 shown]
	scratch_store_dwordx4 off, v[0:3], off offset:1408 ; 16-byte Folded Spill
	s_nop 0
	scratch_store_dwordx4 off, v[4:7], off offset:1424 ; 16-byte Folded Spill
	scratch_store_dwordx4 off, v[8:11], off offset:1440 ; 16-byte Folded Spill
	scratch_store_dwordx4 off, v[12:15], off offset:1456 ; 16-byte Folded Spill
	scratch_store_dwordx4 off, v[16:19], off offset:1472 ; 16-byte Folded Spill
	scratch_store_dwordx4 off, v[20:23], off offset:1488 ; 16-byte Folded Spill
	scratch_store_dwordx4 off, v[24:27], off offset:1504 ; 16-byte Folded Spill
	scratch_store_dwordx4 off, v[28:31], off offset:1520 ; 16-byte Folded Spill
	v_mov_b32_e32 v11, v50
	scratch_store_dwordx4 off, v[0:3], off offset:1152 ; 16-byte Folded Spill
	s_nop 0
	scratch_store_dwordx4 off, v[4:7], off offset:1168 ; 16-byte Folded Spill
	scratch_store_dwordx4 off, v[8:11], off offset:1184 ; 16-byte Folded Spill
	scratch_store_dwordx4 off, v[12:15], off offset:1200 ; 16-byte Folded Spill
	scratch_store_dwordx4 off, v[16:19], off offset:1216 ; 16-byte Folded Spill
	scratch_store_dwordx4 off, v[20:23], off offset:1232 ; 16-byte Folded Spill
	scratch_store_dwordx4 off, v[24:27], off offset:1248 ; 16-byte Folded Spill
	scratch_store_dwordx4 off, v[28:31], off offset:1264 ; 16-byte Folded Spill
	v_mov_b32_e32 v12, v51
	;; [unrolled: 10-line block ×6, first 2 shown]
	v_mov_b32_e32 v17, v56
	scratch_store_dwordx4 off, v[0:3], off offset:384 ; 16-byte Folded Spill
	s_nop 0
	scratch_store_dwordx4 off, v[4:7], off offset:400 ; 16-byte Folded Spill
	scratch_store_dwordx4 off, v[8:11], off offset:416 ; 16-byte Folded Spill
	scratch_store_dwordx4 off, v[12:15], off offset:432 ; 16-byte Folded Spill
	scratch_store_dwordx4 off, v[16:19], off offset:448 ; 16-byte Folded Spill
	scratch_store_dwordx4 off, v[20:23], off offset:464 ; 16-byte Folded Spill
	scratch_store_dwordx4 off, v[24:27], off offset:480 ; 16-byte Folded Spill
	scratch_store_dwordx4 off, v[28:31], off offset:496 ; 16-byte Folded Spill
	v_mov_b32_e32 v18, v57
	scratch_store_dwordx4 off, v[0:3], off offset:256 ; 16-byte Folded Spill
	s_nop 0
	scratch_store_dwordx4 off, v[4:7], off offset:272 ; 16-byte Folded Spill
	scratch_store_dwordx4 off, v[8:11], off offset:288 ; 16-byte Folded Spill
	scratch_store_dwordx4 off, v[12:15], off offset:304 ; 16-byte Folded Spill
	scratch_store_dwordx4 off, v[16:19], off offset:320 ; 16-byte Folded Spill
	scratch_store_dwordx4 off, v[20:23], off offset:336 ; 16-byte Folded Spill
	scratch_store_dwordx4 off, v[24:27], off offset:352 ; 16-byte Folded Spill
	scratch_store_dwordx4 off, v[28:31], off offset:368 ; 16-byte Folded Spill
	;; [unrolled: 10-line block ×3, first 2 shown]
	v_mov_b32_e32 v20, v83
	scratch_store_dwordx4 off, v[0:3], off  ; 16-byte Folded Spill
	s_nop 0
	scratch_store_dwordx4 off, v[4:7], off offset:16 ; 16-byte Folded Spill
	scratch_store_dwordx4 off, v[8:11], off offset:32 ; 16-byte Folded Spill
	;; [unrolled: 1-line block ×8, first 2 shown]
	s_nop 0
	scratch_store_dwordx4 off, v[62:65], off offset:2704 ; 16-byte Folded Spill
	scratch_store_dwordx4 off, v[66:69], off offset:2720 ; 16-byte Folded Spill
	;; [unrolled: 1-line block ×6, first 2 shown]
	s_waitcnt vmcnt(62)
	scratch_store_dwordx4 off, v[86:89], off offset:2800 ; 16-byte Folded Spill
	scratch_store_dwordx4 off, v[58:61], off offset:2816 ; 16-byte Folded Spill
	s_nop 0
	scratch_store_dwordx4 off, v[62:65], off offset:2832 ; 16-byte Folded Spill
	scratch_store_dwordx4 off, v[66:69], off offset:2848 ; 16-byte Folded Spill
	;; [unrolled: 1-line block ×7, first 2 shown]
	v_mov_b32_e32 v27, v46
	v_mov_b32_e32 v29, v48
	;; [unrolled: 1-line block ×10, first 2 shown]
.LBB49_38:
	s_or_b64 exec, exec, s[2:3]
	v_cmp_eq_u32_e32 vcc, 7, v250
	s_waitcnt vmcnt(63) expcnt(7) lgkmcnt(15)
	s_barrier
	s_and_saveexec_b64 s[2:3], vcc
	s_cbranch_execz .LBB49_41
; %bb.39:
	ds_write_b32 v251, v27
	ds_write2_b32 v252, v226, v227 offset0:8 offset1:9
	ds_write2_b32 v252, v228, v229 offset0:10 offset1:11
	;; [unrolled: 1-line block ×8, first 2 shown]
	ds_write_b32 v252, v255 offset:96
	ds_read_b32 v25, v251
	s_waitcnt lgkmcnt(0)
	v_cmp_neq_f32_e32 vcc, 0, v25
	s_and_b64 exec, exec, vcc
	s_cbranch_execz .LBB49_41
; %bb.40:
	v_div_scale_f32 v45, s[4:5], v25, v25, 1.0
	v_rcp_f32_e32 v46, v45
	v_div_scale_f32 v47, vcc, 1.0, v25, 1.0
	v_fma_f32 v48, -v45, v46, 1.0
	v_fmac_f32_e32 v46, v48, v46
	v_mul_f32_e32 v48, v47, v46
	v_fma_f32 v49, -v45, v48, v47
	v_fmac_f32_e32 v48, v49, v46
	v_fma_f32 v45, -v45, v48, v47
	v_div_fmas_f32 v45, v45, v46, v48
	v_div_fixup_f32 v25, v45, v25, 1.0
	ds_write_b32 v251, v25
.LBB49_41:
	s_or_b64 exec, exec, s[2:3]
	s_waitcnt lgkmcnt(0)
	s_barrier
	ds_read_b32 v98, v251
	v_cmp_lt_u32_e32 vcc, 7, v250
	s_and_saveexec_b64 s[2:3], vcc
	s_cbranch_execz .LBB49_43
; %bb.42:
	ds_read2_b32 v[2:3], v252 offset0:8 offset1:9
	ds_read2_b32 v[4:5], v252 offset0:10 offset1:11
	;; [unrolled: 1-line block ×3, first 2 shown]
	s_waitcnt lgkmcnt(3)
	v_mul_f32_e32 v0, v27, v98
	ds_read2_b32 v[24:25], v252 offset0:14 offset1:15
	s_waitcnt lgkmcnt(3)
	v_pk_fma_f32 v[148:149], v[0:1], v[2:3], v[226:227] op_sel_hi:[0,1,1] neg_lo:[1,0,0] neg_hi:[1,0,0]
	s_waitcnt lgkmcnt(2)
	v_pk_fma_f32 v[74:75], v[0:1], v[4:5], v[228:229] op_sel_hi:[0,1,1] neg_lo:[1,0,0] neg_hi:[1,0,0]
	;; [unrolled: 2-line block ×3, first 2 shown]
	ds_read2_b32 v[2:3], v252 offset0:16 offset1:17
	ds_read2_b32 v[4:5], v252 offset0:18 offset1:19
	;; [unrolled: 1-line block ×4, first 2 shown]
	s_waitcnt lgkmcnt(4)
	v_pk_fma_f32 v[124:125], v[0:1], v[24:25], v[232:233] op_sel_hi:[0,1,1] neg_lo:[1,0,0] neg_hi:[1,0,0]
	s_waitcnt lgkmcnt(3)
	v_pk_fma_f32 v[62:63], v[0:1], v[2:3], v[234:235] op_sel_hi:[0,1,1] neg_lo:[1,0,0] neg_hi:[1,0,0]
	;; [unrolled: 2-line block ×4, first 2 shown]
	s_waitcnt vmcnt(6) lgkmcnt(0)
	v_pk_fma_f32 v[176:177], v[0:1], v[8:9], v[240:241] op_sel_hi:[0,1,1] neg_lo:[1,0,0] neg_hi:[1,0,0]
	v_mov_b32_e32 v1, v98
	scratch_load_dwordx4 v[82:85], off, off offset:2816 ; 16-byte Folded Reload
	scratch_load_dwordx4 v[86:89], off, off offset:2832 ; 16-byte Folded Reload
	;; [unrolled: 1-line block ×8, first 2 shown]
	v_mov_b32_e32 v9, v0
	v_mov_b32_e32 v10, v148
	;; [unrolled: 1-line block ×3, first 2 shown]
	s_waitcnt vmcnt(3)
	v_mov_b32_e32 v98, v1
	v_mov_b32_e32 v89, v0
	;; [unrolled: 1-line block ×76, first 2 shown]
	scratch_store_dwordx4 off, v[2:5], off offset:1536 ; 16-byte Folded Spill
	s_nop 0
	scratch_store_dwordx4 off, v[6:9], off offset:1552 ; 16-byte Folded Spill
	scratch_store_dwordx4 off, v[10:13], off offset:1568 ; 16-byte Folded Spill
	;; [unrolled: 1-line block ×7, first 2 shown]
	v_mov_b32_e32 v12, v74
	v_mov_b32_e32 v13, v75
	s_waitcnt vmcnt(8)
	v_mov_b32_e32 v110, v82
	v_mov_b32_e32 v111, v83
	;; [unrolled: 1-line block ×62, first 2 shown]
	scratch_store_dwordx4 off, v[2:5], off offset:1152 ; 16-byte Folded Spill
	s_nop 0
	scratch_store_dwordx4 off, v[6:9], off offset:1168 ; 16-byte Folded Spill
	scratch_store_dwordx4 off, v[10:13], off offset:1184 ; 16-byte Folded Spill
	;; [unrolled: 1-line block ×7, first 2 shown]
	v_mov_b32_e32 v14, v138
	v_mov_b32_e32 v15, v139
	;; [unrolled: 1-line block ×7, first 2 shown]
	scratch_store_dwordx4 off, v[2:5], off offset:768 ; 16-byte Folded Spill
	s_nop 0
	scratch_store_dwordx4 off, v[6:9], off offset:784 ; 16-byte Folded Spill
	scratch_store_dwordx4 off, v[10:13], off offset:800 ; 16-byte Folded Spill
	scratch_store_dwordx4 off, v[14:17], off offset:816 ; 16-byte Folded Spill
	scratch_store_dwordx4 off, v[18:21], off offset:832 ; 16-byte Folded Spill
	scratch_store_dwordx4 off, v[22:25], off offset:848 ; 16-byte Folded Spill
	scratch_store_dwordx4 off, v[26:29], off offset:864 ; 16-byte Folded Spill
	scratch_store_dwordx4 off, v[30:33], off offset:880 ; 16-byte Folded Spill
	v_mov_b32_e32 v16, v124
	v_mov_b32_e32 v17, v125
	scratch_store_dwordx4 off, v[2:5], off offset:512 ; 16-byte Folded Spill
	s_nop 0
	scratch_store_dwordx4 off, v[6:9], off offset:528 ; 16-byte Folded Spill
	scratch_store_dwordx4 off, v[10:13], off offset:544 ; 16-byte Folded Spill
	;; [unrolled: 1-line block ×7, first 2 shown]
	v_mov_b32_e32 v18, v62
	v_mov_b32_e32 v19, v63
	scratch_store_dwordx4 off, v[2:5], off offset:384 ; 16-byte Folded Spill
	s_nop 0
	scratch_store_dwordx4 off, v[6:9], off offset:400 ; 16-byte Folded Spill
	scratch_store_dwordx4 off, v[10:13], off offset:416 ; 16-byte Folded Spill
	;; [unrolled: 1-line block ×7, first 2 shown]
	s_nop 0
	v_mov_b32_e32 v26, v82
	v_mov_b32_e32 v27, v83
	;; [unrolled: 1-line block ×10, first 2 shown]
	scratch_store_dwordx4 off, v[2:5], off offset:128 ; 16-byte Folded Spill
	s_nop 0
	scratch_store_dwordx4 off, v[6:9], off offset:144 ; 16-byte Folded Spill
	scratch_store_dwordx4 off, v[10:13], off offset:160 ; 16-byte Folded Spill
	;; [unrolled: 1-line block ×7, first 2 shown]
	ds_read_b32 v1, v252 offset:96
	scratch_store_dwordx4 off, v[82:85], off offset:2688 ; 16-byte Folded Spill
	s_nop 0
	scratch_store_dwordx4 off, v[86:89], off offset:2704 ; 16-byte Folded Spill
	scratch_store_dwordx4 off, v[90:93], off offset:2720 ; 16-byte Folded Spill
	;; [unrolled: 1-line block ×7, first 2 shown]
	v_mov_b32_e32 v90, v148
	scratch_store_dwordx4 off, v[140:143], off offset:2560 ; 16-byte Folded Spill
	s_nop 0
	scratch_store_dwordx4 off, v[144:147], off offset:2576 ; 16-byte Folded Spill
	scratch_store_dwordx4 off, v[148:151], off offset:2592 ; 16-byte Folded Spill
	;; [unrolled: 1-line block ×7, first 2 shown]
	v_mov_b32_e32 v24, v138
	v_mov_b32_e32 v104, v124
	;; [unrolled: 1-line block ×3, first 2 shown]
	s_waitcnt lgkmcnt(0)
	v_fma_f32 v242, -v0, v1, v255
	v_mov_b32_e32 v255, v242
	scratch_store_dwordx4 off, v[64:67], off offset:1408 ; 16-byte Folded Spill
	s_nop 0
	scratch_store_dwordx4 off, v[68:71], off offset:1424 ; 16-byte Folded Spill
	scratch_store_dwordx4 off, v[72:75], off offset:1440 ; 16-byte Folded Spill
	;; [unrolled: 1-line block ×8, first 2 shown]
	s_nop 0
	scratch_store_dwordx4 off, v[130:133], off offset:1040 ; 16-byte Folded Spill
	scratch_store_dwordx4 off, v[134:137], off offset:1056 ; 16-byte Folded Spill
	;; [unrolled: 1-line block ×7, first 2 shown]
	v_mov_b32_e32 v206, v22
	v_mov_b32_e32 v207, v23
	;; [unrolled: 1-line block ×7, first 2 shown]
	scratch_store_dwordx4 off, v[110:113], off offset:640 ; 16-byte Folded Spill
	s_nop 0
	scratch_store_dwordx4 off, v[114:117], off offset:656 ; 16-byte Folded Spill
	scratch_store_dwordx4 off, v[118:121], off offset:672 ; 16-byte Folded Spill
	;; [unrolled: 1-line block ×7, first 2 shown]
	v_mov_b32_e32 v116, v22
	v_mov_b32_e32 v77, v75
	;; [unrolled: 1-line block ×6, first 2 shown]
	v_mov_b64_e32 v[136:137], v[60:61]
	v_mov_b64_e32 v[134:135], v[58:59]
	v_mov_b64_e32 v[132:133], v[56:57]
	v_mov_b64_e32 v[130:131], v[54:55]
	v_mov_b64_e32 v[128:129], v[52:53]
	v_mov_b64_e32 v[126:127], v[50:51]
	v_mov_b64_e32 v[124:125], v[48:49]
	v_mov_b64_e32 v[122:123], v[46:47]
	scratch_store_dwordx4 off, v[26:29], off offset:256 ; 16-byte Folded Spill
	s_nop 0
	scratch_store_dwordx4 off, v[30:33], off offset:272 ; 16-byte Folded Spill
	scratch_store_dwordx4 off, v[34:37], off offset:288 ; 16-byte Folded Spill
	;; [unrolled: 1-line block ×7, first 2 shown]
	v_mov_b32_e32 v29, v149
	scratch_store_dwordx4 off, v[2:5], off  ; 16-byte Folded Spill
	s_nop 0
	scratch_store_dwordx4 off, v[6:9], off offset:16 ; 16-byte Folded Spill
	scratch_store_dwordx4 off, v[10:13], off offset:32 ; 16-byte Folded Spill
	;; [unrolled: 1-line block ×7, first 2 shown]
	v_mov_b32_e32 v117, v45
	v_mov_b32_e32 v91, v23
.LBB49_43:
	s_or_b64 exec, exec, s[2:3]
	v_cmp_eq_u32_e32 vcc, 8, v250
	s_waitcnt lgkmcnt(0)
	s_barrier
	s_and_saveexec_b64 s[2:3], vcc
	s_cbranch_execz .LBB49_46
; %bb.44:
	ds_write_b32 v251, v90
	ds_write2_b32 v252, v227, v228 offset0:9 offset1:10
	ds_write2_b32 v252, v229, v230 offset0:11 offset1:12
	;; [unrolled: 1-line block ×8, first 2 shown]
	ds_read_b32 v25, v251
	s_waitcnt lgkmcnt(0)
	v_cmp_neq_f32_e32 vcc, 0, v25
	s_and_b64 exec, exec, vcc
	s_cbranch_execz .LBB49_46
; %bb.45:
	v_div_scale_f32 v45, s[4:5], v25, v25, 1.0
	v_rcp_f32_e32 v46, v45
	v_div_scale_f32 v47, vcc, 1.0, v25, 1.0
	v_fma_f32 v48, -v45, v46, 1.0
	v_fmac_f32_e32 v46, v48, v46
	v_mul_f32_e32 v48, v47, v46
	v_fma_f32 v49, -v45, v48, v47
	v_fmac_f32_e32 v48, v49, v46
	v_fma_f32 v45, -v45, v48, v47
	v_div_fmas_f32 v45, v45, v46, v48
	v_div_fixup_f32 v25, v45, v25, 1.0
	ds_write_b32 v251, v25
.LBB49_46:
	s_or_b64 exec, exec, s[2:3]
	s_waitcnt lgkmcnt(0)
	s_barrier
	ds_read_b32 v99, v251
	v_cmp_lt_u32_e32 vcc, 8, v250
	s_and_saveexec_b64 s[2:3], vcc
	s_cbranch_execz .LBB49_48
; %bb.47:
	scratch_load_dwordx4 v[26:29], off, off offset:2688 ; 16-byte Folded Reload
	scratch_load_dwordx4 v[30:33], off, off offset:2704 ; 16-byte Folded Reload
	;; [unrolled: 1-line block ×8, first 2 shown]
	ds_read2_b32 v[0:1], v252 offset0:9 offset1:10
	ds_read2_b32 v[4:5], v252 offset0:11 offset1:12
	;; [unrolled: 1-line block ×4, first 2 shown]
	s_waitcnt lgkmcnt(4)
	v_mul_f32_e32 v66, v90, v99
	v_mov_b32_e32 v2, v227
	v_mov_b32_e32 v3, v228
	s_waitcnt vmcnt(2) lgkmcnt(3)
	v_pk_fma_f32 v[46:47], v[66:67], v[0:1], v[2:3] op_sel_hi:[0,1,1] neg_lo:[1,0,0] neg_hi:[1,0,0]
	v_mov_b32_e32 v0, v229
	v_mov_b32_e32 v1, v230
	s_waitcnt lgkmcnt(2)
	v_pk_fma_f32 v[48:49], v[66:67], v[4:5], v[0:1] op_sel_hi:[0,1,1] neg_lo:[1,0,0] neg_hi:[1,0,0]
	v_mov_b32_e32 v0, v231
	v_mov_b32_e32 v1, v232
	s_waitcnt vmcnt(1) lgkmcnt(1)
	v_pk_fma_f32 v[50:51], v[66:67], v[6:7], v[0:1] op_sel_hi:[0,1,1] neg_lo:[1,0,0] neg_hi:[1,0,0]
	v_mov_b32_e32 v0, v233
	v_mov_b32_e32 v1, v234
	s_waitcnt lgkmcnt(0)
	v_pk_fma_f32 v[52:53], v[66:67], v[8:9], v[0:1] op_sel_hi:[0,1,1] neg_lo:[1,0,0] neg_hi:[1,0,0]
	ds_read2_b32 v[0:1], v252 offset0:17 offset1:18
	ds_read2_b32 v[4:5], v252 offset0:19 offset1:20
	;; [unrolled: 1-line block ×4, first 2 shown]
	v_mov_b32_e32 v2, v235
	v_mov_b32_e32 v3, v236
	;; [unrolled: 1-line block ×3, first 2 shown]
	s_waitcnt vmcnt(0) lgkmcnt(3)
	v_pk_fma_f32 v[54:55], v[66:67], v[0:1], v[2:3] op_sel_hi:[0,1,1] neg_lo:[1,0,0] neg_hi:[1,0,0]
	v_mov_b32_e32 v0, v237
	v_mov_b32_e32 v1, v238
	s_waitcnt lgkmcnt(2)
	v_pk_fma_f32 v[56:57], v[66:67], v[4:5], v[0:1] op_sel_hi:[0,1,1] neg_lo:[1,0,0] neg_hi:[1,0,0]
	v_mov_b32_e32 v0, v239
	v_mov_b32_e32 v1, v240
	s_waitcnt lgkmcnt(1)
	;; [unrolled: 4-line block ×3, first 2 shown]
	v_pk_fma_f32 v[254:255], v[66:67], v[8:9], v[0:1] op_sel_hi:[0,1,1] neg_lo:[1,0,0] neg_hi:[1,0,0]
	v_mov_b32_e32 v8, v66
	v_mov_b32_e32 v9, v46
	v_mov_b32_e32 v67, v46
	v_mov_b32_e32 v130, v66
	v_mov_b32_e32 v194, v66
	v_mov_b32_e32 v207, v82
	v_mov_b32_e32 v162, v66
	v_mov_b32_e32 v175, v82
	v_mov_b32_e32 v176, v83
	v_mov_b32_e32 v226, v66
	v_mov_b32_e32 v239, v82
	v_mov_b32_e32 v240, v83
	v_mov_b32_e32 v131, v46
	v_mov_b32_e32 v132, v47
	v_mov_b32_e32 v133, v48
	v_mov_b32_e32 v134, v49
	v_mov_b32_e32 v135, v50
	v_mov_b32_e32 v136, v51
	v_mov_b32_e32 v137, v52
	v_mov_b32_e32 v138, v53
	v_mov_b32_e32 v195, v46
	v_mov_b32_e32 v196, v47
	v_mov_b32_e32 v197, v48
	v_mov_b32_e32 v198, v49
	v_mov_b32_e32 v199, v50
	v_mov_b32_e32 v200, v51
	v_mov_b32_e32 v201, v52
	v_mov_b32_e32 v202, v53
	v_mov_b32_e32 v203, v54
	v_mov_b32_e32 v204, v55
	v_mov_b32_e32 v205, v56
	v_mov_b32_e32 v206, v57
	v_mov_b32_e32 v163, v46
	v_mov_b32_e32 v164, v47
	v_mov_b32_e32 v165, v48
	v_mov_b32_e32 v166, v49
	v_mov_b32_e32 v167, v50
	v_mov_b32_e32 v168, v51
	v_mov_b32_e32 v169, v52
	v_mov_b32_e32 v170, v53
	v_mov_b32_e32 v171, v54
	v_mov_b32_e32 v172, v55
	v_mov_b32_e32 v173, v56
	v_mov_b64_e32 v[64:65], v[32:33]
	v_mov_b64_e32 v[62:63], v[30:31]
	v_mov_b64_e32 v[60:61], v[28:29]
	v_mov_b64_e32 v[58:59], v[26:27]
	v_mov_b32_e32 v0, v58
	v_mov_b32_e32 v1, v59
	;; [unrolled: 1-line block ×8, first 2 shown]
	scratch_store_dwordx4 off, v[0:3], off offset:1408 ; 16-byte Folded Spill
	s_nop 0
	scratch_store_dwordx4 off, v[4:7], off offset:1424 ; 16-byte Folded Spill
	scratch_store_dwordx4 off, v[8:11], off offset:1440 ; 16-byte Folded Spill
	scratch_store_dwordx4 off, v[12:15], off offset:1456 ; 16-byte Folded Spill
	scratch_store_dwordx4 off, v[16:19], off offset:1472 ; 16-byte Folded Spill
	scratch_store_dwordx4 off, v[20:23], off offset:1488 ; 16-byte Folded Spill
	scratch_store_dwordx4 off, v[24:27], off offset:1504 ; 16-byte Folded Spill
	scratch_store_dwordx4 off, v[28:31], off offset:1520 ; 16-byte Folded Spill
	v_mov_b32_e32 v11, v48
	v_mov_b32_e32 v122, v58
	;; [unrolled: 1-line block ×55, first 2 shown]
	scratch_store_dwordx4 off, v[0:3], off offset:1152 ; 16-byte Folded Spill
	s_nop 0
	scratch_store_dwordx4 off, v[4:7], off offset:1168 ; 16-byte Folded Spill
	scratch_store_dwordx4 off, v[8:11], off offset:1184 ; 16-byte Folded Spill
	scratch_store_dwordx4 off, v[12:15], off offset:1200 ; 16-byte Folded Spill
	scratch_store_dwordx4 off, v[16:19], off offset:1216 ; 16-byte Folded Spill
	scratch_store_dwordx4 off, v[20:23], off offset:1232 ; 16-byte Folded Spill
	scratch_store_dwordx4 off, v[24:27], off offset:1248 ; 16-byte Folded Spill
	scratch_store_dwordx4 off, v[28:31], off offset:1264 ; 16-byte Folded Spill
	v_mov_b32_e32 v12, v49
	scratch_store_dwordx4 off, v[0:3], off offset:1024 ; 16-byte Folded Spill
	s_nop 0
	scratch_store_dwordx4 off, v[4:7], off offset:1040 ; 16-byte Folded Spill
	scratch_store_dwordx4 off, v[8:11], off offset:1056 ; 16-byte Folded Spill
	scratch_store_dwordx4 off, v[12:15], off offset:1072 ; 16-byte Folded Spill
	scratch_store_dwordx4 off, v[16:19], off offset:1088 ; 16-byte Folded Spill
	scratch_store_dwordx4 off, v[20:23], off offset:1104 ; 16-byte Folded Spill
	scratch_store_dwordx4 off, v[24:27], off offset:1120 ; 16-byte Folded Spill
	scratch_store_dwordx4 off, v[28:31], off offset:1136 ; 16-byte Folded Spill
	v_mov_b32_e32 v13, v50
	;; [unrolled: 10-line block ×5, first 2 shown]
	v_mov_b32_e32 v17, v54
	scratch_store_dwordx4 off, v[0:3], off offset:384 ; 16-byte Folded Spill
	s_nop 0
	scratch_store_dwordx4 off, v[4:7], off offset:400 ; 16-byte Folded Spill
	scratch_store_dwordx4 off, v[8:11], off offset:416 ; 16-byte Folded Spill
	scratch_store_dwordx4 off, v[12:15], off offset:432 ; 16-byte Folded Spill
	scratch_store_dwordx4 off, v[16:19], off offset:448 ; 16-byte Folded Spill
	scratch_store_dwordx4 off, v[20:23], off offset:464 ; 16-byte Folded Spill
	scratch_store_dwordx4 off, v[24:27], off offset:480 ; 16-byte Folded Spill
	scratch_store_dwordx4 off, v[28:31], off offset:496 ; 16-byte Folded Spill
	v_mov_b32_e32 v18, v55
	scratch_store_dwordx4 off, v[0:3], off offset:256 ; 16-byte Folded Spill
	s_nop 0
	scratch_store_dwordx4 off, v[4:7], off offset:272 ; 16-byte Folded Spill
	scratch_store_dwordx4 off, v[8:11], off offset:288 ; 16-byte Folded Spill
	scratch_store_dwordx4 off, v[12:15], off offset:304 ; 16-byte Folded Spill
	scratch_store_dwordx4 off, v[16:19], off offset:320 ; 16-byte Folded Spill
	scratch_store_dwordx4 off, v[20:23], off offset:336 ; 16-byte Folded Spill
	scratch_store_dwordx4 off, v[24:27], off offset:352 ; 16-byte Folded Spill
	scratch_store_dwordx4 off, v[28:31], off offset:368 ; 16-byte Folded Spill
	;; [unrolled: 10-line block ×3, first 2 shown]
	v_mov_b32_e32 v20, v57
	scratch_store_dwordx4 off, v[0:3], off  ; 16-byte Folded Spill
	s_nop 0
	scratch_store_dwordx4 off, v[4:7], off offset:16 ; 16-byte Folded Spill
	scratch_store_dwordx4 off, v[8:11], off offset:32 ; 16-byte Folded Spill
	;; [unrolled: 1-line block ×8, first 2 shown]
	s_nop 0
	scratch_store_dwordx4 off, v[62:65], off offset:1552 ; 16-byte Folded Spill
	scratch_store_dwordx4 off, v[66:69], off offset:1568 ; 16-byte Folded Spill
	;; [unrolled: 1-line block ×8, first 2 shown]
	s_nop 0
	scratch_store_dwordx4 off, v[62:65], off offset:2576 ; 16-byte Folded Spill
	scratch_store_dwordx4 off, v[66:69], off offset:2592 ; 16-byte Folded Spill
	scratch_store_dwordx4 off, v[70:73], off offset:2608 ; 16-byte Folded Spill
	scratch_store_dwordx4 off, v[74:77], off offset:2624 ; 16-byte Folded Spill
	scratch_store_dwordx4 off, v[78:81], off offset:2640 ; 16-byte Folded Spill
	scratch_store_dwordx4 off, v[82:85], off offset:2656 ; 16-byte Folded Spill
	scratch_store_dwordx4 off, v[86:89], off offset:2672 ; 16-byte Folded Spill
	v_mov_b32_e32 v29, v46
	v_mov_b32_e32 v76, v47
	;; [unrolled: 1-line block ×7, first 2 shown]
.LBB49_48:
	s_or_b64 exec, exec, s[2:3]
	v_cmp_eq_u32_e32 vcc, 9, v250
	s_waitcnt lgkmcnt(0)
	s_barrier
	s_and_saveexec_b64 s[2:3], vcc
	s_cbranch_execz .LBB49_51
; %bb.49:
	ds_write_b32 v251, v29
	ds_write2_b32 v252, v228, v229 offset0:10 offset1:11
	ds_write2_b32 v252, v230, v231 offset0:12 offset1:13
	;; [unrolled: 1-line block ×7, first 2 shown]
	ds_write_b32 v252, v255 offset:96
	ds_read_b32 v25, v251
	s_waitcnt lgkmcnt(0)
	v_cmp_neq_f32_e32 vcc, 0, v25
	s_and_b64 exec, exec, vcc
	s_cbranch_execz .LBB49_51
; %bb.50:
	v_div_scale_f32 v45, s[4:5], v25, v25, 1.0
	v_rcp_f32_e32 v46, v45
	v_div_scale_f32 v47, vcc, 1.0, v25, 1.0
	v_fma_f32 v48, -v45, v46, 1.0
	v_fmac_f32_e32 v46, v48, v46
	v_mul_f32_e32 v48, v47, v46
	v_fma_f32 v49, -v45, v48, v47
	v_fmac_f32_e32 v48, v49, v46
	v_fma_f32 v45, -v45, v48, v47
	v_div_fmas_f32 v45, v45, v46, v48
	v_div_fixup_f32 v25, v45, v25, 1.0
	ds_write_b32 v251, v25
.LBB49_51:
	s_or_b64 exec, exec, s[2:3]
	s_waitcnt lgkmcnt(0)
	s_barrier
	ds_read_b32 v100, v251
	v_cmp_lt_u32_e32 vcc, 9, v250
	s_and_saveexec_b64 s[2:3], vcc
	s_cbranch_execz .LBB49_53
; %bb.52:
	ds_read2_b32 v[2:3], v252 offset0:10 offset1:11
	ds_read2_b32 v[4:5], v252 offset0:12 offset1:13
	ds_read2_b32 v[6:7], v252 offset0:14 offset1:15
	ds_read2_b32 v[8:9], v252 offset0:16 offset1:17
	s_waitcnt lgkmcnt(4)
	v_mul_f32_e32 v0, v29, v100
	s_waitcnt lgkmcnt(3)
	v_pk_fma_f32 v[74:75], v[0:1], v[2:3], v[228:229] op_sel_hi:[0,1,1] neg_lo:[1,0,0] neg_hi:[1,0,0]
	s_waitcnt lgkmcnt(2)
	v_pk_fma_f32 v[138:139], v[0:1], v[4:5], v[230:231] op_sel_hi:[0,1,1] neg_lo:[1,0,0] neg_hi:[1,0,0]
	;; [unrolled: 2-line block ×3, first 2 shown]
	ds_read2_b32 v[2:3], v252 offset0:18 offset1:19
	ds_read2_b32 v[4:5], v252 offset0:20 offset1:21
	;; [unrolled: 1-line block ×3, first 2 shown]
	s_waitcnt lgkmcnt(3)
	v_pk_fma_f32 v[62:63], v[0:1], v[8:9], v[234:235] op_sel_hi:[0,1,1] neg_lo:[1,0,0] neg_hi:[1,0,0]
	ds_read_b32 v1, v252 offset:96
	scratch_load_dwordx4 v[140:143], off, off offset:2560 ; 16-byte Folded Reload
	scratch_load_dwordx4 v[144:147], off, off offset:2576 ; 16-byte Folded Reload
	scratch_load_dwordx4 v[148:151], off, off offset:2592 ; 16-byte Folded Reload
	scratch_load_dwordx4 v[152:155], off, off offset:2608 ; 16-byte Folded Reload
	scratch_load_dwordx4 v[156:159], off, off offset:2624 ; 16-byte Folded Reload
	scratch_load_dwordx4 v[160:163], off, off offset:2640 ; 16-byte Folded Reload
	scratch_load_dwordx4 v[164:167], off, off offset:2656 ; 16-byte Folded Reload
	scratch_load_dwordx4 v[168:171], off, off offset:2672 ; 16-byte Folded Reload
	v_mov_b32_e32 v11, v0
	v_mov_b32_e32 v12, v74
	;; [unrolled: 1-line block ×3, first 2 shown]
	s_waitcnt lgkmcnt(0)
	v_pk_fma_f32 v[44:45], v[0:1], v[2:3], v[236:237] op_sel_hi:[0,1,1] neg_lo:[1,0,0] neg_hi:[1,0,0]
	v_pk_fma_f32 v[22:23], v[0:1], v[4:5], v[238:239] op_sel_hi:[0,1,1] neg_lo:[1,0,0] neg_hi:[1,0,0]
	s_waitcnt vmcnt(14)
	v_pk_fma_f32 v[176:177], v[0:1], v[6:7], v[240:241] op_sel_hi:[0,1,1] neg_lo:[1,0,0] neg_hi:[1,0,0]
	s_waitcnt vmcnt(5)
	v_mov_b32_e32 v149, v0
	s_waitcnt vmcnt(2)
	v_mov_b32_e32 v163, v0
	;; [unrolled: 2-line block ×3, first 2 shown]
	v_mov_b32_e32 v165, v75
	v_mov_b32_e32 v166, v138
	;; [unrolled: 1-line block ×3, first 2 shown]
	s_waitcnt vmcnt(0)
	v_mov_b32_e32 v168, v124
	v_mov_b32_e32 v169, v125
	;; [unrolled: 1-line block ×50, first 2 shown]
	v_fma_f32 v242, -v0, v1, v255
	v_mov_b32_e32 v227, v0
	v_mov_b32_e32 v195, v0
	;; [unrolled: 1-line block ×18, first 2 shown]
	scratch_store_dwordx4 off, v[2:5], off offset:1152 ; 16-byte Folded Spill
	s_nop 0
	scratch_store_dwordx4 off, v[6:9], off offset:1168 ; 16-byte Folded Spill
	scratch_store_dwordx4 off, v[10:13], off offset:1184 ; 16-byte Folded Spill
	;; [unrolled: 1-line block ×7, first 2 shown]
	v_mov_b32_e32 v14, v138
	v_mov_b32_e32 v15, v139
	;; [unrolled: 1-line block ×62, first 2 shown]
	scratch_store_dwordx4 off, v[2:5], off offset:768 ; 16-byte Folded Spill
	s_nop 0
	scratch_store_dwordx4 off, v[6:9], off offset:784 ; 16-byte Folded Spill
	scratch_store_dwordx4 off, v[10:13], off offset:800 ; 16-byte Folded Spill
	;; [unrolled: 1-line block ×7, first 2 shown]
	v_mov_b32_e32 v16, v124
	v_mov_b32_e32 v17, v125
	;; [unrolled: 1-line block ×7, first 2 shown]
	scratch_store_dwordx4 off, v[2:5], off offset:512 ; 16-byte Folded Spill
	s_nop 0
	scratch_store_dwordx4 off, v[6:9], off offset:528 ; 16-byte Folded Spill
	scratch_store_dwordx4 off, v[10:13], off offset:544 ; 16-byte Folded Spill
	;; [unrolled: 1-line block ×7, first 2 shown]
	v_mov_b32_e32 v18, v62
	v_mov_b32_e32 v19, v63
	scratch_store_dwordx4 off, v[2:5], off offset:384 ; 16-byte Folded Spill
	s_nop 0
	scratch_store_dwordx4 off, v[6:9], off offset:400 ; 16-byte Folded Spill
	scratch_store_dwordx4 off, v[10:13], off offset:416 ; 16-byte Folded Spill
	;; [unrolled: 1-line block ×7, first 2 shown]
	s_nop 0
	v_mov_b32_e32 v26, v140
	v_mov_b32_e32 v27, v141
	;; [unrolled: 1-line block ×10, first 2 shown]
	scratch_store_dwordx4 off, v[2:5], off offset:128 ; 16-byte Folded Spill
	s_nop 0
	scratch_store_dwordx4 off, v[6:9], off offset:144 ; 16-byte Folded Spill
	scratch_store_dwordx4 off, v[10:13], off offset:160 ; 16-byte Folded Spill
	scratch_store_dwordx4 off, v[14:17], off offset:176 ; 16-byte Folded Spill
	scratch_store_dwordx4 off, v[18:21], off offset:192 ; 16-byte Folded Spill
	scratch_store_dwordx4 off, v[22:25], off offset:208 ; 16-byte Folded Spill
	scratch_store_dwordx4 off, v[26:29], off offset:224 ; 16-byte Folded Spill
	scratch_store_dwordx4 off, v[30:33], off offset:240 ; 16-byte Folded Spill
	scratch_store_dwordx4 off, v[140:143], off offset:1536 ; 16-byte Folded Spill
	s_nop 0
	scratch_store_dwordx4 off, v[144:147], off offset:1552 ; 16-byte Folded Spill
	scratch_store_dwordx4 off, v[148:151], off offset:1568 ; 16-byte Folded Spill
	scratch_store_dwordx4 off, v[152:155], off offset:1584 ; 16-byte Folded Spill
	scratch_store_dwordx4 off, v[156:159], off offset:1600 ; 16-byte Folded Spill
	scratch_store_dwordx4 off, v[160:163], off offset:1616 ; 16-byte Folded Spill
	scratch_store_dwordx4 off, v[164:167], off offset:1632 ; 16-byte Folded Spill
	scratch_store_dwordx4 off, v[168:171], off offset:1648 ; 16-byte Folded Spill
	scratch_store_dwordx4 off, v[64:67], off offset:1408 ; 16-byte Folded Spill
	s_nop 0
	scratch_store_dwordx4 off, v[68:71], off offset:1424 ; 16-byte Folded Spill
	scratch_store_dwordx4 off, v[72:75], off offset:1440 ; 16-byte Folded Spill
	scratch_store_dwordx4 off, v[76:79], off offset:1456 ; 16-byte Folded Spill
	scratch_store_dwordx4 off, v[80:83], off offset:1472 ; 16-byte Folded Spill
	scratch_store_dwordx4 off, v[84:87], off offset:1488 ; 16-byte Folded Spill
	scratch_store_dwordx4 off, v[88:91], off offset:1504 ; 16-byte Folded Spill
	scratch_store_dwordx4 off, v[92:95], off offset:1520 ; 16-byte Folded Spill
	v_mov_b32_e32 v24, v138
	v_mov_b32_e32 v86, v176
	scratch_store_dwordx4 off, v[126:129], off offset:1024 ; 16-byte Folded Spill
	s_nop 0
	scratch_store_dwordx4 off, v[130:133], off offset:1040 ; 16-byte Folded Spill
	scratch_store_dwordx4 off, v[134:137], off offset:1056 ; 16-byte Folded Spill
	;; [unrolled: 1-line block ×7, first 2 shown]
	v_mov_b32_e32 v206, v22
	v_mov_b32_e32 v207, v23
	;; [unrolled: 1-line block ×8, first 2 shown]
	scratch_store_dwordx4 off, v[110:113], off offset:640 ; 16-byte Folded Spill
	s_nop 0
	scratch_store_dwordx4 off, v[114:117], off offset:656 ; 16-byte Folded Spill
	scratch_store_dwordx4 off, v[118:121], off offset:672 ; 16-byte Folded Spill
	;; [unrolled: 1-line block ×7, first 2 shown]
	v_mov_b32_e32 v116, v22
	v_mov_b32_e32 v110, v62
	;; [unrolled: 1-line block ×4, first 2 shown]
	v_mov_b64_e32 v[136:137], v[60:61]
	v_mov_b64_e32 v[134:135], v[58:59]
	;; [unrolled: 1-line block ×8, first 2 shown]
	scratch_store_dwordx4 off, v[26:29], off offset:256 ; 16-byte Folded Spill
	s_nop 0
	scratch_store_dwordx4 off, v[30:33], off offset:272 ; 16-byte Folded Spill
	scratch_store_dwordx4 off, v[34:37], off offset:288 ; 16-byte Folded Spill
	;; [unrolled: 1-line block ×7, first 2 shown]
	scratch_store_dwordx4 off, v[2:5], off  ; 16-byte Folded Spill
	s_nop 0
	scratch_store_dwordx4 off, v[6:9], off offset:16 ; 16-byte Folded Spill
	scratch_store_dwordx4 off, v[10:13], off offset:32 ; 16-byte Folded Spill
	;; [unrolled: 1-line block ×7, first 2 shown]
	v_mov_b32_e32 v117, v45
	v_mov_b32_e32 v91, v23
.LBB49_53:
	s_or_b64 exec, exec, s[2:3]
	v_cmp_eq_u32_e32 vcc, 10, v250
	s_waitcnt lgkmcnt(0)
	s_barrier
	s_and_saveexec_b64 s[2:3], vcc
	s_cbranch_execz .LBB49_56
; %bb.54:
	ds_write_b32 v251, v76
	ds_write2_b32 v252, v229, v230 offset0:11 offset1:12
	ds_write2_b32 v252, v231, v232 offset0:13 offset1:14
	;; [unrolled: 1-line block ×7, first 2 shown]
	ds_read_b32 v25, v251
	s_waitcnt lgkmcnt(0)
	v_cmp_neq_f32_e32 vcc, 0, v25
	s_and_b64 exec, exec, vcc
	s_cbranch_execz .LBB49_56
; %bb.55:
	v_div_scale_f32 v45, s[4:5], v25, v25, 1.0
	v_rcp_f32_e32 v46, v45
	v_div_scale_f32 v47, vcc, 1.0, v25, 1.0
	v_fma_f32 v48, -v45, v46, 1.0
	v_fmac_f32_e32 v46, v48, v46
	v_mul_f32_e32 v48, v47, v46
	v_fma_f32 v49, -v45, v48, v47
	v_fmac_f32_e32 v48, v49, v46
	v_fma_f32 v45, -v45, v48, v47
	v_div_fmas_f32 v45, v45, v46, v48
	v_div_fixup_f32 v25, v45, v25, 1.0
	ds_write_b32 v251, v25
.LBB49_56:
	s_or_b64 exec, exec, s[2:3]
	s_waitcnt lgkmcnt(0)
	s_barrier
	ds_read_b32 v101, v251
	v_cmp_lt_u32_e32 vcc, 10, v250
	s_and_saveexec_b64 s[2:3], vcc
	s_cbranch_execz .LBB49_58
; %bb.57:
	scratch_load_dwordx4 v[26:29], off, off offset:1536 ; 16-byte Folded Reload
	scratch_load_dwordx4 v[30:33], off, off offset:1552 ; 16-byte Folded Reload
	;; [unrolled: 1-line block ×8, first 2 shown]
	ds_read2_b32 v[0:1], v252 offset0:11 offset1:12
	ds_read2_b32 v[4:5], v252 offset0:13 offset1:14
	;; [unrolled: 1-line block ×4, first 2 shown]
	s_waitcnt lgkmcnt(4)
	v_mul_f32_e32 v68, v76, v101
	v_mov_b32_e32 v2, v229
	v_mov_b32_e32 v3, v230
	s_waitcnt vmcnt(2) lgkmcnt(3)
	v_pk_fma_f32 v[46:47], v[68:69], v[0:1], v[2:3] op_sel_hi:[0,1,1] neg_lo:[1,0,0] neg_hi:[1,0,0]
	v_mov_b32_e32 v0, v231
	v_mov_b32_e32 v1, v232
	s_waitcnt lgkmcnt(2)
	v_pk_fma_f32 v[48:49], v[68:69], v[4:5], v[0:1] op_sel_hi:[0,1,1] neg_lo:[1,0,0] neg_hi:[1,0,0]
	v_mov_b32_e32 v0, v233
	v_mov_b32_e32 v1, v234
	s_waitcnt vmcnt(1) lgkmcnt(1)
	v_pk_fma_f32 v[50:51], v[68:69], v[6:7], v[0:1] op_sel_hi:[0,1,1] neg_lo:[1,0,0] neg_hi:[1,0,0]
	v_mov_b32_e32 v0, v235
	v_mov_b32_e32 v1, v236
	s_waitcnt lgkmcnt(0)
	v_pk_fma_f32 v[52:53], v[68:69], v[8:9], v[0:1] op_sel_hi:[0,1,1] neg_lo:[1,0,0] neg_hi:[1,0,0]
	ds_read2_b32 v[0:1], v252 offset0:19 offset1:20
	ds_read2_b32 v[4:5], v252 offset0:21 offset1:22
	;; [unrolled: 1-line block ×3, first 2 shown]
	v_mov_b32_e32 v2, v237
	v_mov_b32_e32 v3, v238
	;; [unrolled: 1-line block ×3, first 2 shown]
	s_waitcnt vmcnt(0) lgkmcnt(2)
	v_pk_fma_f32 v[54:55], v[68:69], v[0:1], v[2:3] op_sel_hi:[0,1,1] neg_lo:[1,0,0] neg_hi:[1,0,0]
	v_mov_b32_e32 v0, v239
	v_mov_b32_e32 v1, v240
	s_waitcnt lgkmcnt(1)
	v_pk_fma_f32 v[56:57], v[68:69], v[4:5], v[0:1] op_sel_hi:[0,1,1] neg_lo:[1,0,0] neg_hi:[1,0,0]
	v_mov_b32_e32 v0, v241
	v_mov_b32_e32 v1, v242
	s_waitcnt lgkmcnt(0)
	v_pk_fma_f32 v[254:255], v[68:69], v[6:7], v[0:1] op_sel_hi:[0,1,1] neg_lo:[1,0,0] neg_hi:[1,0,0]
	v_mov_b32_e32 v11, v46
	v_mov_b32_e32 v12, v47
	;; [unrolled: 1-line block ×47, first 2 shown]
	v_mov_b64_e32 v[66:67], v[34:35]
	v_mov_b64_e32 v[64:65], v[32:33]
	;; [unrolled: 1-line block ×5, first 2 shown]
	v_mov_b32_e32 v0, v58
	v_mov_b32_e32 v1, v59
	;; [unrolled: 1-line block ×10, first 2 shown]
	scratch_store_dwordx4 off, v[0:3], off offset:1024 ; 16-byte Folded Spill
	s_nop 0
	scratch_store_dwordx4 off, v[4:7], off offset:1040 ; 16-byte Folded Spill
	scratch_store_dwordx4 off, v[8:11], off offset:1056 ; 16-byte Folded Spill
	;; [unrolled: 1-line block ×7, first 2 shown]
	v_mov_b32_e32 v13, v48
	v_mov_b32_e32 v122, v58
	;; [unrolled: 1-line block ×52, first 2 shown]
	scratch_store_dwordx4 off, v[0:3], off offset:768 ; 16-byte Folded Spill
	s_nop 0
	scratch_store_dwordx4 off, v[4:7], off offset:784 ; 16-byte Folded Spill
	scratch_store_dwordx4 off, v[8:11], off offset:800 ; 16-byte Folded Spill
	scratch_store_dwordx4 off, v[12:15], off offset:816 ; 16-byte Folded Spill
	scratch_store_dwordx4 off, v[16:19], off offset:832 ; 16-byte Folded Spill
	scratch_store_dwordx4 off, v[20:23], off offset:848 ; 16-byte Folded Spill
	scratch_store_dwordx4 off, v[24:27], off offset:864 ; 16-byte Folded Spill
	scratch_store_dwordx4 off, v[28:31], off offset:880 ; 16-byte Folded Spill
	v_mov_b32_e32 v14, v49
	scratch_store_dwordx4 off, v[0:3], off offset:640 ; 16-byte Folded Spill
	s_nop 0
	scratch_store_dwordx4 off, v[4:7], off offset:656 ; 16-byte Folded Spill
	scratch_store_dwordx4 off, v[8:11], off offset:672 ; 16-byte Folded Spill
	scratch_store_dwordx4 off, v[12:15], off offset:688 ; 16-byte Folded Spill
	scratch_store_dwordx4 off, v[16:19], off offset:704 ; 16-byte Folded Spill
	scratch_store_dwordx4 off, v[20:23], off offset:720 ; 16-byte Folded Spill
	scratch_store_dwordx4 off, v[24:27], off offset:736 ; 16-byte Folded Spill
	scratch_store_dwordx4 off, v[28:31], off offset:752 ; 16-byte Folded Spill
	v_mov_b32_e32 v15, v50
	scratch_store_dwordx4 off, v[0:3], off offset:512 ; 16-byte Folded Spill
	s_nop 0
	scratch_store_dwordx4 off, v[4:7], off offset:528 ; 16-byte Folded Spill
	scratch_store_dwordx4 off, v[8:11], off offset:544 ; 16-byte Folded Spill
	scratch_store_dwordx4 off, v[12:15], off offset:560 ; 16-byte Folded Spill
	scratch_store_dwordx4 off, v[16:19], off offset:576 ; 16-byte Folded Spill
	scratch_store_dwordx4 off, v[20:23], off offset:592 ; 16-byte Folded Spill
	scratch_store_dwordx4 off, v[24:27], off offset:608 ; 16-byte Folded Spill
	scratch_store_dwordx4 off, v[28:31], off offset:624 ; 16-byte Folded Spill
	v_mov_b32_e32 v16, v51
	v_mov_b32_e32 v17, v52
	scratch_store_dwordx4 off, v[0:3], off offset:384 ; 16-byte Folded Spill
	s_nop 0
	scratch_store_dwordx4 off, v[4:7], off offset:400 ; 16-byte Folded Spill
	scratch_store_dwordx4 off, v[8:11], off offset:416 ; 16-byte Folded Spill
	scratch_store_dwordx4 off, v[12:15], off offset:432 ; 16-byte Folded Spill
	scratch_store_dwordx4 off, v[16:19], off offset:448 ; 16-byte Folded Spill
	scratch_store_dwordx4 off, v[20:23], off offset:464 ; 16-byte Folded Spill
	scratch_store_dwordx4 off, v[24:27], off offset:480 ; 16-byte Folded Spill
	scratch_store_dwordx4 off, v[28:31], off offset:496 ; 16-byte Folded Spill
	v_mov_b32_e32 v18, v53
	scratch_store_dwordx4 off, v[0:3], off offset:256 ; 16-byte Folded Spill
	s_nop 0
	scratch_store_dwordx4 off, v[4:7], off offset:272 ; 16-byte Folded Spill
	scratch_store_dwordx4 off, v[8:11], off offset:288 ; 16-byte Folded Spill
	scratch_store_dwordx4 off, v[12:15], off offset:304 ; 16-byte Folded Spill
	scratch_store_dwordx4 off, v[16:19], off offset:320 ; 16-byte Folded Spill
	scratch_store_dwordx4 off, v[20:23], off offset:336 ; 16-byte Folded Spill
	scratch_store_dwordx4 off, v[24:27], off offset:352 ; 16-byte Folded Spill
	scratch_store_dwordx4 off, v[28:31], off offset:368 ; 16-byte Folded Spill
	;; [unrolled: 10-line block ×3, first 2 shown]
	v_mov_b32_e32 v20, v55
	scratch_store_dwordx4 off, v[0:3], off  ; 16-byte Folded Spill
	s_nop 0
	scratch_store_dwordx4 off, v[4:7], off offset:16 ; 16-byte Folded Spill
	scratch_store_dwordx4 off, v[8:11], off offset:32 ; 16-byte Folded Spill
	scratch_store_dwordx4 off, v[12:15], off offset:48 ; 16-byte Folded Spill
	scratch_store_dwordx4 off, v[16:19], off offset:64 ; 16-byte Folded Spill
	scratch_store_dwordx4 off, v[20:23], off offset:80 ; 16-byte Folded Spill
	scratch_store_dwordx4 off, v[24:27], off offset:96 ; 16-byte Folded Spill
	scratch_store_dwordx4 off, v[28:31], off offset:112 ; 16-byte Folded Spill
	scratch_store_dwordx4 off, v[58:61], off offset:1152 ; 16-byte Folded Spill
	s_nop 0
	scratch_store_dwordx4 off, v[62:65], off offset:1168 ; 16-byte Folded Spill
	scratch_store_dwordx4 off, v[66:69], off offset:1184 ; 16-byte Folded Spill
	;; [unrolled: 1-line block ×8, first 2 shown]
	s_nop 0
	scratch_store_dwordx4 off, v[62:65], off offset:1424 ; 16-byte Folded Spill
	scratch_store_dwordx4 off, v[66:69], off offset:1440 ; 16-byte Folded Spill
	;; [unrolled: 1-line block ×7, first 2 shown]
	v_mov_b32_e32 v77, v46
	v_mov_b32_e32 v24, v47
	;; [unrolled: 1-line block ×4, first 2 shown]
.LBB49_58:
	s_or_b64 exec, exec, s[2:3]
	v_cmp_eq_u32_e32 vcc, 11, v250
	s_waitcnt lgkmcnt(0)
	s_barrier
	s_and_saveexec_b64 s[2:3], vcc
	s_cbranch_execz .LBB49_61
; %bb.59:
	ds_write_b32 v251, v77
	ds_write2_b32 v252, v230, v231 offset0:12 offset1:13
	ds_write2_b32 v252, v232, v233 offset0:14 offset1:15
	ds_write2_b32 v252, v234, v235 offset0:16 offset1:17
	ds_write2_b32 v252, v236, v237 offset0:18 offset1:19
	ds_write2_b32 v252, v238, v239 offset0:20 offset1:21
	ds_write2_b32 v252, v240, v241 offset0:22 offset1:23
	ds_write_b32 v252, v255 offset:96
	ds_read_b32 v25, v251
	s_waitcnt lgkmcnt(0)
	v_cmp_neq_f32_e32 vcc, 0, v25
	s_and_b64 exec, exec, vcc
	s_cbranch_execz .LBB49_61
; %bb.60:
	v_div_scale_f32 v45, s[4:5], v25, v25, 1.0
	v_rcp_f32_e32 v46, v45
	v_div_scale_f32 v47, vcc, 1.0, v25, 1.0
	v_fma_f32 v48, -v45, v46, 1.0
	v_fmac_f32_e32 v46, v48, v46
	v_mul_f32_e32 v48, v47, v46
	v_fma_f32 v49, -v45, v48, v47
	v_fmac_f32_e32 v48, v49, v46
	v_fma_f32 v45, -v45, v48, v47
	v_div_fmas_f32 v45, v45, v46, v48
	v_div_fixup_f32 v25, v45, v25, 1.0
	ds_write_b32 v251, v25
.LBB49_61:
	s_or_b64 exec, exec, s[2:3]
	s_waitcnt lgkmcnt(0)
	s_barrier
	ds_read_b32 v102, v251
	v_cmp_lt_u32_e32 vcc, 11, v250
	s_and_saveexec_b64 s[2:3], vcc
	s_cbranch_execz .LBB49_63
; %bb.62:
	ds_read2_b32 v[2:3], v252 offset0:12 offset1:13
	ds_read2_b32 v[4:5], v252 offset0:14 offset1:15
	ds_read2_b32 v[6:7], v252 offset0:16 offset1:17
	ds_read2_b32 v[8:9], v252 offset0:18 offset1:19
	s_waitcnt lgkmcnt(4)
	v_mul_f32_e32 v0, v77, v102
	v_mov_b32_e32 v75, v0
	s_waitcnt lgkmcnt(3)
	v_pk_fma_f32 v[138:139], v[0:1], v[2:3], v[230:231] op_sel_hi:[0,1,1] neg_lo:[1,0,0] neg_hi:[1,0,0]
	s_waitcnt lgkmcnt(2)
	v_pk_fma_f32 v[124:125], v[0:1], v[4:5], v[232:233] op_sel_hi:[0,1,1] neg_lo:[1,0,0] neg_hi:[1,0,0]
	ds_read2_b32 v[2:3], v252 offset0:20 offset1:21
	ds_read2_b32 v[4:5], v252 offset0:22 offset1:23
	s_waitcnt lgkmcnt(3)
	v_pk_fma_f32 v[62:63], v[0:1], v[6:7], v[234:235] op_sel_hi:[0,1,1] neg_lo:[1,0,0] neg_hi:[1,0,0]
	s_waitcnt lgkmcnt(2)
	v_pk_fma_f32 v[44:45], v[0:1], v[8:9], v[236:237] op_sel_hi:[0,1,1] neg_lo:[1,0,0] neg_hi:[1,0,0]
	ds_read_b32 v1, v252 offset:96
	v_mov_b32_e32 v137, v0
	v_mov_b32_e32 v87, v0
	;; [unrolled: 1-line block ×4, first 2 shown]
	s_waitcnt lgkmcnt(0)
	v_pk_fma_f32 v[96:97], v[0:1], v[2:3], v[238:239] op_sel_hi:[0,1,1] neg_lo:[1,0,0] neg_hi:[1,0,0]
	s_waitcnt vmcnt(6)
	v_pk_fma_f32 v[176:177], v[0:1], v[4:5], v[240:241] op_sel_hi:[0,1,1] neg_lo:[1,0,0] neg_hi:[1,0,0]
	scratch_load_dwordx4 v[2:5], off, off offset:1408 ; 16-byte Folded Reload
	scratch_load_dwordx4 v[6:9], off, off offset:1424 ; 16-byte Folded Reload
	;; [unrolled: 1-line block ×8, first 2 shown]
	s_waitcnt vmcnt(5)
	v_mov_b32_e32 v13, v0
	s_waitcnt vmcnt(4)
	v_mov_b32_e32 v14, v138
	v_mov_b32_e32 v15, v139
	;; [unrolled: 1-line block ×49, first 2 shown]
	v_fma_f32 v242, -v0, v1, v255
	v_mov_b32_e32 v165, v0
	v_mov_b32_e32 v229, v0
	;; [unrolled: 1-line block ×24, first 2 shown]
	scratch_store_dwordx4 off, v[2:5], off offset:768 ; 16-byte Folded Spill
	s_nop 0
	scratch_store_dwordx4 off, v[6:9], off offset:784 ; 16-byte Folded Spill
	scratch_store_dwordx4 off, v[10:13], off offset:800 ; 16-byte Folded Spill
	;; [unrolled: 1-line block ×3, first 2 shown]
	s_waitcnt vmcnt(7)
	scratch_store_dwordx4 off, v[18:21], off offset:832 ; 16-byte Folded Spill
	s_waitcnt vmcnt(7)
	scratch_store_dwordx4 off, v[22:25], off offset:848 ; 16-byte Folded Spill
	;; [unrolled: 2-line block ×4, first 2 shown]
	v_mov_b32_e32 v16, v124
	v_mov_b32_e32 v17, v125
	;; [unrolled: 1-line block ×60, first 2 shown]
	scratch_store_dwordx4 off, v[2:5], off offset:512 ; 16-byte Folded Spill
	s_nop 0
	scratch_store_dwordx4 off, v[6:9], off offset:528 ; 16-byte Folded Spill
	scratch_store_dwordx4 off, v[10:13], off offset:544 ; 16-byte Folded Spill
	;; [unrolled: 1-line block ×7, first 2 shown]
	v_mov_b32_e32 v18, v62
	v_mov_b32_e32 v19, v63
	;; [unrolled: 1-line block ×24, first 2 shown]
	scratch_store_dwordx4 off, v[2:5], off offset:384 ; 16-byte Folded Spill
	s_nop 0
	scratch_store_dwordx4 off, v[6:9], off offset:400 ; 16-byte Folded Spill
	scratch_store_dwordx4 off, v[10:13], off offset:416 ; 16-byte Folded Spill
	;; [unrolled: 1-line block ×7, first 2 shown]
	s_nop 0
	v_mov_b32_e32 v26, v64
	v_mov_b32_e32 v27, v65
	;; [unrolled: 1-line block ×10, first 2 shown]
	scratch_store_dwordx4 off, v[2:5], off offset:128 ; 16-byte Folded Spill
	s_nop 0
	scratch_store_dwordx4 off, v[6:9], off offset:144 ; 16-byte Folded Spill
	scratch_store_dwordx4 off, v[10:13], off offset:160 ; 16-byte Folded Spill
	;; [unrolled: 1-line block ×8, first 2 shown]
	s_nop 0
	scratch_store_dwordx4 off, v[68:71], off offset:1168 ; 16-byte Folded Spill
	scratch_store_dwordx4 off, v[72:75], off offset:1184 ; 16-byte Folded Spill
	;; [unrolled: 1-line block ×7, first 2 shown]
	v_mov_b32_e32 v24, v138
	scratch_store_dwordx4 off, v[126:129], off offset:1024 ; 16-byte Folded Spill
	s_nop 0
	scratch_store_dwordx4 off, v[130:133], off offset:1040 ; 16-byte Folded Spill
	scratch_store_dwordx4 off, v[134:137], off offset:1056 ; 16-byte Folded Spill
	scratch_store_dwordx4 off, v[138:141], off offset:1072 ; 16-byte Folded Spill
	scratch_store_dwordx4 off, v[142:145], off offset:1088 ; 16-byte Folded Spill
	scratch_store_dwordx4 off, v[146:149], off offset:1104 ; 16-byte Folded Spill
	scratch_store_dwordx4 off, v[150:153], off offset:1120 ; 16-byte Folded Spill
	scratch_store_dwordx4 off, v[154:157], off offset:1136 ; 16-byte Folded Spill
	v_mov_b32_e32 v75, v63
	scratch_store_dwordx4 off, v[110:113], off offset:640 ; 16-byte Folded Spill
	s_nop 0
	scratch_store_dwordx4 off, v[114:117], off offset:656 ; 16-byte Folded Spill
	scratch_store_dwordx4 off, v[118:121], off offset:672 ; 16-byte Folded Spill
	;; [unrolled: 1-line block ×7, first 2 shown]
	v_mov_b32_e32 v116, v96
	v_mov_b32_e32 v110, v62
	;; [unrolled: 1-line block ×4, first 2 shown]
	v_mov_b64_e32 v[136:137], v[60:61]
	v_mov_b64_e32 v[134:135], v[58:59]
	v_mov_b64_e32 v[132:133], v[56:57]
	v_mov_b64_e32 v[130:131], v[54:55]
	v_mov_b64_e32 v[128:129], v[52:53]
	v_mov_b64_e32 v[126:127], v[50:51]
	v_mov_b64_e32 v[124:125], v[48:49]
	v_mov_b64_e32 v[122:123], v[46:47]
	scratch_store_dwordx4 off, v[26:29], off offset:256 ; 16-byte Folded Spill
	s_nop 0
	scratch_store_dwordx4 off, v[30:33], off offset:272 ; 16-byte Folded Spill
	scratch_store_dwordx4 off, v[34:37], off offset:288 ; 16-byte Folded Spill
	;; [unrolled: 1-line block ×7, first 2 shown]
	scratch_store_dwordx4 off, v[76:79], off ; 16-byte Folded Spill
	s_nop 0
	scratch_store_dwordx4 off, v[80:83], off offset:16 ; 16-byte Folded Spill
	scratch_store_dwordx4 off, v[84:87], off offset:32 ; 16-byte Folded Spill
	;; [unrolled: 1-line block ×7, first 2 shown]
	v_mov_b32_e32 v86, v176
	v_mov_b32_e32 v117, v45
	;; [unrolled: 1-line block ×3, first 2 shown]
.LBB49_63:
	s_or_b64 exec, exec, s[2:3]
	v_cmp_eq_u32_e32 vcc, 12, v250
	s_waitcnt lgkmcnt(0)
	s_barrier
	s_and_saveexec_b64 s[2:3], vcc
	s_cbranch_execz .LBB49_66
; %bb.64:
	ds_write_b32 v251, v24
	ds_write2_b32 v252, v231, v232 offset0:13 offset1:14
	ds_write2_b32 v252, v233, v234 offset0:15 offset1:16
	;; [unrolled: 1-line block ×6, first 2 shown]
	ds_read_b32 v25, v251
	s_waitcnt lgkmcnt(0)
	v_cmp_neq_f32_e32 vcc, 0, v25
	s_and_b64 exec, exec, vcc
	s_cbranch_execz .LBB49_66
; %bb.65:
	v_div_scale_f32 v45, s[4:5], v25, v25, 1.0
	v_rcp_f32_e32 v46, v45
	v_div_scale_f32 v47, vcc, 1.0, v25, 1.0
	v_fma_f32 v48, -v45, v46, 1.0
	v_fmac_f32_e32 v46, v48, v46
	v_mul_f32_e32 v48, v47, v46
	v_fma_f32 v49, -v45, v48, v47
	v_fmac_f32_e32 v48, v49, v46
	v_fma_f32 v45, -v45, v48, v47
	v_div_fmas_f32 v45, v45, v46, v48
	v_div_fixup_f32 v25, v45, v25, 1.0
	ds_write_b32 v251, v25
.LBB49_66:
	s_or_b64 exec, exec, s[2:3]
	s_waitcnt lgkmcnt(0)
	s_barrier
	ds_read_b32 v70, v251
	v_cmp_lt_u32_e32 vcc, 12, v250
	s_and_saveexec_b64 s[2:3], vcc
	s_cbranch_execz .LBB49_68
; %bb.67:
	scratch_load_dwordx4 v[26:29], off, off offset:1152 ; 16-byte Folded Reload
	scratch_load_dwordx4 v[30:33], off, off offset:1168 ; 16-byte Folded Reload
	;; [unrolled: 1-line block ×8, first 2 shown]
	ds_read2_b32 v[0:1], v252 offset0:13 offset1:14
	ds_read2_b32 v[4:5], v252 offset0:15 offset1:16
	ds_read2_b32 v[6:7], v252 offset0:17 offset1:18
	ds_read2_b32 v[8:9], v252 offset0:19 offset1:20
	s_waitcnt lgkmcnt(4)
	v_mul_f32_e32 v68, v24, v70
	v_mov_b32_e32 v2, v231
	v_mov_b32_e32 v3, v232
	s_waitcnt vmcnt(2) lgkmcnt(3)
	v_pk_fma_f32 v[46:47], v[68:69], v[0:1], v[2:3] op_sel_hi:[0,1,1] neg_lo:[1,0,0] neg_hi:[1,0,0]
	v_mov_b32_e32 v0, v233
	v_mov_b32_e32 v1, v234
	ds_read2_b32 v[2:3], v252 offset0:21 offset1:22
	s_waitcnt lgkmcnt(3)
	v_pk_fma_f32 v[48:49], v[68:69], v[4:5], v[0:1] op_sel_hi:[0,1,1] neg_lo:[1,0,0] neg_hi:[1,0,0]
	ds_read2_b32 v[4:5], v252 offset0:23 offset1:24
	v_mov_b32_e32 v0, v235
	v_mov_b32_e32 v1, v236
	s_waitcnt vmcnt(1) lgkmcnt(3)
	v_pk_fma_f32 v[50:51], v[68:69], v[6:7], v[0:1] op_sel_hi:[0,1,1] neg_lo:[1,0,0] neg_hi:[1,0,0]
	v_mov_b32_e32 v0, v237
	v_mov_b32_e32 v1, v238
	s_waitcnt lgkmcnt(2)
	v_pk_fma_f32 v[52:53], v[68:69], v[8:9], v[0:1] op_sel_hi:[0,1,1] neg_lo:[1,0,0] neg_hi:[1,0,0]
	v_mov_b32_e32 v0, v239
	v_mov_b32_e32 v1, v240
	s_waitcnt vmcnt(0) lgkmcnt(1)
	v_pk_fma_f32 v[54:55], v[68:69], v[2:3], v[0:1] op_sel_hi:[0,1,1] neg_lo:[1,0,0] neg_hi:[1,0,0]
	v_mov_b32_e32 v0, v241
	v_mov_b32_e32 v1, v242
	s_waitcnt lgkmcnt(0)
	v_pk_fma_f32 v[254:255], v[68:69], v[4:5], v[0:1] op_sel_hi:[0,1,1] neg_lo:[1,0,0] neg_hi:[1,0,0]
	v_mov_b32_e32 v12, v68
	v_mov_b32_e32 v13, v46
	;; [unrolled: 1-line block ×51, first 2 shown]
	v_mov_b64_e32 v[66:67], v[36:37]
	v_mov_b64_e32 v[64:65], v[34:35]
	v_mov_b64_e32 v[62:63], v[32:33]
	v_mov_b64_e32 v[60:61], v[30:31]
	v_mov_b64_e32 v[58:59], v[28:29]
	v_mov_b64_e32 v[56:57], v[26:27]
	v_mov_b32_e32 v0, v56
	v_mov_b32_e32 v1, v57
	;; [unrolled: 1-line block ×12, first 2 shown]
	scratch_store_dwordx4 off, v[0:3], off offset:640 ; 16-byte Folded Spill
	s_nop 0
	scratch_store_dwordx4 off, v[4:7], off offset:656 ; 16-byte Folded Spill
	scratch_store_dwordx4 off, v[8:11], off offset:672 ; 16-byte Folded Spill
	;; [unrolled: 1-line block ×7, first 2 shown]
	v_mov_b32_e32 v15, v48
	v_mov_b32_e32 v122, v56
	;; [unrolled: 1-line block ×49, first 2 shown]
	scratch_store_dwordx4 off, v[0:3], off offset:512 ; 16-byte Folded Spill
	s_nop 0
	scratch_store_dwordx4 off, v[4:7], off offset:528 ; 16-byte Folded Spill
	scratch_store_dwordx4 off, v[8:11], off offset:544 ; 16-byte Folded Spill
	;; [unrolled: 1-line block ×7, first 2 shown]
	v_mov_b32_e32 v16, v49
	v_mov_b32_e32 v17, v50
	scratch_store_dwordx4 off, v[0:3], off offset:384 ; 16-byte Folded Spill
	s_nop 0
	scratch_store_dwordx4 off, v[4:7], off offset:400 ; 16-byte Folded Spill
	scratch_store_dwordx4 off, v[8:11], off offset:416 ; 16-byte Folded Spill
	scratch_store_dwordx4 off, v[12:15], off offset:432 ; 16-byte Folded Spill
	scratch_store_dwordx4 off, v[16:19], off offset:448 ; 16-byte Folded Spill
	scratch_store_dwordx4 off, v[20:23], off offset:464 ; 16-byte Folded Spill
	scratch_store_dwordx4 off, v[24:27], off offset:480 ; 16-byte Folded Spill
	scratch_store_dwordx4 off, v[28:31], off offset:496 ; 16-byte Folded Spill
	v_mov_b32_e32 v18, v51
	scratch_store_dwordx4 off, v[0:3], off offset:256 ; 16-byte Folded Spill
	s_nop 0
	scratch_store_dwordx4 off, v[4:7], off offset:272 ; 16-byte Folded Spill
	scratch_store_dwordx4 off, v[8:11], off offset:288 ; 16-byte Folded Spill
	scratch_store_dwordx4 off, v[12:15], off offset:304 ; 16-byte Folded Spill
	scratch_store_dwordx4 off, v[16:19], off offset:320 ; 16-byte Folded Spill
	scratch_store_dwordx4 off, v[20:23], off offset:336 ; 16-byte Folded Spill
	scratch_store_dwordx4 off, v[24:27], off offset:352 ; 16-byte Folded Spill
	scratch_store_dwordx4 off, v[28:31], off offset:368 ; 16-byte Folded Spill
	;; [unrolled: 10-line block ×3, first 2 shown]
	v_mov_b32_e32 v20, v53
	scratch_store_dwordx4 off, v[0:3], off  ; 16-byte Folded Spill
	s_nop 0
	scratch_store_dwordx4 off, v[4:7], off offset:16 ; 16-byte Folded Spill
	scratch_store_dwordx4 off, v[8:11], off offset:32 ; 16-byte Folded Spill
	;; [unrolled: 1-line block ×8, first 2 shown]
	s_nop 0
	scratch_store_dwordx4 off, v[60:63], off offset:784 ; 16-byte Folded Spill
	scratch_store_dwordx4 off, v[64:67], off offset:800 ; 16-byte Folded Spill
	;; [unrolled: 1-line block ×8, first 2 shown]
	s_nop 0
	scratch_store_dwordx4 off, v[60:63], off offset:1040 ; 16-byte Folded Spill
	scratch_store_dwordx4 off, v[64:67], off offset:1056 ; 16-byte Folded Spill
	;; [unrolled: 1-line block ×7, first 2 shown]
	v_mov_b32_e32 v75, v50
	s_nop 0
	v_mov_b32_e32 v86, v55
.LBB49_68:
	s_or_b64 exec, exec, s[2:3]
	v_cmp_eq_u32_e32 vcc, 13, v250
	s_waitcnt lgkmcnt(0)
	s_barrier
	s_and_saveexec_b64 s[2:3], vcc
	s_cbranch_execz .LBB49_71
; %bb.69:
	ds_write_b32 v251, v139
	ds_write2_b32 v252, v232, v233 offset0:14 offset1:15
	ds_write2_b32 v252, v234, v235 offset0:16 offset1:17
	;; [unrolled: 1-line block ×5, first 2 shown]
	ds_write_b32 v252, v255 offset:96
	ds_read_b32 v25, v251
	s_waitcnt lgkmcnt(0)
	v_cmp_neq_f32_e32 vcc, 0, v25
	s_and_b64 exec, exec, vcc
	s_cbranch_execz .LBB49_71
; %bb.70:
	v_div_scale_f32 v45, s[4:5], v25, v25, 1.0
	v_rcp_f32_e32 v46, v45
	v_div_scale_f32 v47, vcc, 1.0, v25, 1.0
	v_fma_f32 v48, -v45, v46, 1.0
	v_fmac_f32_e32 v46, v48, v46
	v_mul_f32_e32 v48, v47, v46
	v_fma_f32 v49, -v45, v48, v47
	v_fmac_f32_e32 v48, v49, v46
	v_fma_f32 v45, -v45, v48, v47
	v_div_fmas_f32 v45, v45, v46, v48
	v_div_fixup_f32 v25, v45, v25, 1.0
	ds_write_b32 v251, v25
.LBB49_71:
	s_or_b64 exec, exec, s[2:3]
	s_waitcnt lgkmcnt(0)
	s_barrier
	ds_read_b32 v71, v251
	v_cmp_lt_u32_e32 vcc, 13, v250
	s_and_saveexec_b64 s[2:3], vcc
	s_cbranch_execz .LBB49_73
; %bb.72:
	ds_read2_b32 v[0:1], v252 offset0:14 offset1:15
	ds_read2_b32 v[4:5], v252 offset0:16 offset1:17
	;; [unrolled: 1-line block ×4, first 2 shown]
	s_waitcnt lgkmcnt(4)
	v_mul_f32_e32 v2, v139, v71
	v_mov_b32_e32 v17, v2
	s_waitcnt lgkmcnt(2)
	v_pk_fma_f32 v[62:63], v[2:3], v[4:5], v[234:235] op_sel_hi:[0,1,1] neg_lo:[1,0,0] neg_hi:[1,0,0]
	v_pk_fma_f32 v[124:125], v[2:3], v[0:1], v[232:233] op_sel_hi:[0,1,1] neg_lo:[1,0,0] neg_hi:[1,0,0]
	ds_read2_b32 v[0:1], v252 offset0:22 offset1:23
	s_waitcnt lgkmcnt(2)
	v_pk_fma_f32 v[44:45], v[2:3], v[6:7], v[236:237] op_sel_hi:[0,1,1] neg_lo:[1,0,0] neg_hi:[1,0,0]
	s_waitcnt lgkmcnt(1)
	v_pk_fma_f32 v[24:25], v[2:3], v[8:9], v[238:239] op_sel_hi:[0,1,1] neg_lo:[1,0,0] neg_hi:[1,0,0]
	ds_read_b32 v3, v252 offset:96
	scratch_load_dwordx4 v[126:129], off, off offset:1024 ; 16-byte Folded Reload
	scratch_load_dwordx4 v[130:133], off, off offset:1040 ; 16-byte Folded Reload
	scratch_load_dwordx4 v[134:137], off, off offset:1056 ; 16-byte Folded Reload
	scratch_load_dwordx4 v[138:141], off, off offset:1072 ; 16-byte Folded Reload
	scratch_load_dwordx4 v[142:145], off, off offset:1088 ; 16-byte Folded Reload
	scratch_load_dwordx4 v[146:149], off, off offset:1104 ; 16-byte Folded Reload
	scratch_load_dwordx4 v[150:153], off, off offset:1120 ; 16-byte Folded Reload
	scratch_load_dwordx4 v[154:157], off, off offset:1136 ; 16-byte Folded Reload
	v_mov_b32_e32 v18, v124
	v_mov_b32_e32 v19, v125
	s_waitcnt vmcnt(4)
	v_mov_b32_e32 v139, v2
	v_mov_b32_e32 v123, v2
	;; [unrolled: 1-line block ×24, first 2 shown]
	s_waitcnt lgkmcnt(0)
	v_pk_fma_f32 v[176:177], v[2:3], v[0:1], v[240:241] op_sel_hi:[0,1,1] neg_lo:[1,0,0] neg_hi:[1,0,0]
	v_fma_f32 v242, -v2, v3, v255
	v_mov_b32_e32 v167, v2
	v_mov_b32_e32 v231, v2
	;; [unrolled: 1-line block ×28, first 2 shown]
	scratch_store_dwordx4 off, v[4:7], off offset:512 ; 16-byte Folded Spill
	s_nop 0
	scratch_store_dwordx4 off, v[8:11], off offset:528 ; 16-byte Folded Spill
	scratch_store_dwordx4 off, v[12:15], off offset:544 ; 16-byte Folded Spill
	;; [unrolled: 1-line block ×7, first 2 shown]
	v_mov_b32_e32 v20, v62
	v_mov_b32_e32 v21, v63
	s_waitcnt vmcnt(8)
	v_mov_b32_e32 v154, v126
	v_mov_b32_e32 v155, v127
	;; [unrolled: 1-line block ×56, first 2 shown]
	scratch_store_dwordx4 off, v[4:7], off offset:384 ; 16-byte Folded Spill
	s_nop 0
	scratch_store_dwordx4 off, v[8:11], off offset:400 ; 16-byte Folded Spill
	scratch_store_dwordx4 off, v[12:15], off offset:416 ; 16-byte Folded Spill
	;; [unrolled: 1-line block ×7, first 2 shown]
	v_mov_b32_e32 v26, v126
	v_mov_b32_e32 v27, v127
	;; [unrolled: 1-line block ×24, first 2 shown]
	scratch_store_dwordx4 off, v[4:7], off offset:128 ; 16-byte Folded Spill
	s_nop 0
	scratch_store_dwordx4 off, v[8:11], off offset:144 ; 16-byte Folded Spill
	scratch_store_dwordx4 off, v[12:15], off offset:160 ; 16-byte Folded Spill
	scratch_store_dwordx4 off, v[16:19], off offset:176 ; 16-byte Folded Spill
	scratch_store_dwordx4 off, v[20:23], off offset:192 ; 16-byte Folded Spill
	scratch_store_dwordx4 off, v[24:27], off offset:208 ; 16-byte Folded Spill
	scratch_store_dwordx4 off, v[28:31], off offset:224 ; 16-byte Folded Spill
	scratch_store_dwordx4 off, v[32:35], off offset:240 ; 16-byte Folded Spill
	scratch_store_dwordx4 off, v[126:129], off offset:768 ; 16-byte Folded Spill
	s_nop 0
	scratch_store_dwordx4 off, v[130:133], off offset:784 ; 16-byte Folded Spill
	scratch_store_dwordx4 off, v[134:137], off offset:800 ; 16-byte Folded Spill
	scratch_store_dwordx4 off, v[138:141], off offset:816 ; 16-byte Folded Spill
	scratch_store_dwordx4 off, v[142:145], off offset:832 ; 16-byte Folded Spill
	scratch_store_dwordx4 off, v[146:149], off offset:848 ; 16-byte Folded Spill
	scratch_store_dwordx4 off, v[150:153], off offset:864 ; 16-byte Folded Spill
	scratch_store_dwordx4 off, v[154:157], off offset:880 ; 16-byte Folded Spill
	;; [unrolled: 9-line block ×3, first 2 shown]
	v_mov_b32_e32 v206, v24
	v_mov_b32_e32 v207, v25
	;; [unrolled: 1-line block ×10, first 2 shown]
	v_mov_b64_e32 v[136:137], v[60:61]
	v_mov_b64_e32 v[134:135], v[58:59]
	;; [unrolled: 1-line block ×8, first 2 shown]
	scratch_store_dwordx4 off, v[26:29], off offset:256 ; 16-byte Folded Spill
	s_nop 0
	scratch_store_dwordx4 off, v[30:33], off offset:272 ; 16-byte Folded Spill
	scratch_store_dwordx4 off, v[34:37], off offset:288 ; 16-byte Folded Spill
	;; [unrolled: 1-line block ×7, first 2 shown]
	scratch_store_dwordx4 off, v[4:7], off  ; 16-byte Folded Spill
	s_nop 0
	scratch_store_dwordx4 off, v[8:11], off offset:16 ; 16-byte Folded Spill
	scratch_store_dwordx4 off, v[12:15], off offset:32 ; 16-byte Folded Spill
	;; [unrolled: 1-line block ×7, first 2 shown]
	v_mov_b32_e32 v117, v45
	v_mov_b32_e32 v91, v25
.LBB49_73:
	s_or_b64 exec, exec, s[2:3]
	v_cmp_eq_u32_e32 vcc, 14, v250
	s_waitcnt lgkmcnt(0)
	s_barrier
	s_and_saveexec_b64 s[2:3], vcc
	s_cbranch_execz .LBB49_76
; %bb.74:
	ds_write_b32 v251, v104
	ds_write2_b32 v252, v233, v234 offset0:15 offset1:16
	ds_write2_b32 v252, v235, v236 offset0:17 offset1:18
	ds_write2_b32 v252, v237, v238 offset0:19 offset1:20
	ds_write2_b32 v252, v239, v240 offset0:21 offset1:22
	ds_write2_b32 v252, v241, v242 offset0:23 offset1:24
	ds_read_b32 v25, v251
	s_waitcnt lgkmcnt(0)
	v_cmp_neq_f32_e32 vcc, 0, v25
	s_and_b64 exec, exec, vcc
	s_cbranch_execz .LBB49_76
; %bb.75:
	v_div_scale_f32 v45, s[4:5], v25, v25, 1.0
	v_rcp_f32_e32 v46, v45
	v_div_scale_f32 v47, vcc, 1.0, v25, 1.0
	v_fma_f32 v48, -v45, v46, 1.0
	v_fmac_f32_e32 v46, v48, v46
	v_mul_f32_e32 v48, v47, v46
	v_fma_f32 v49, -v45, v48, v47
	v_fmac_f32_e32 v48, v49, v46
	v_fma_f32 v45, -v45, v48, v47
	v_div_fmas_f32 v45, v45, v46, v48
	v_div_fixup_f32 v25, v45, v25, 1.0
	ds_write_b32 v251, v25
.LBB49_76:
	s_or_b64 exec, exec, s[2:3]
	s_waitcnt lgkmcnt(0)
	s_barrier
	ds_read_b32 v103, v251
	v_cmp_lt_u32_e32 vcc, 14, v250
	s_and_saveexec_b64 s[2:3], vcc
	s_cbranch_execz .LBB49_78
; %bb.77:
	scratch_load_dwordx4 v[26:29], off, off offset:768 ; 16-byte Folded Reload
	scratch_load_dwordx4 v[30:33], off, off offset:784 ; 16-byte Folded Reload
	;; [unrolled: 1-line block ×8, first 2 shown]
	ds_read2_b32 v[0:1], v252 offset0:15 offset1:16
	s_waitcnt lgkmcnt(1)
	v_mul_f32_e32 v68, v104, v103
	v_mov_b32_e32 v2, v233
	v_mov_b32_e32 v3, v234
	ds_read2_b32 v[4:5], v252 offset0:17 offset1:18
	ds_read2_b32 v[6:7], v252 offset0:19 offset1:20
	;; [unrolled: 1-line block ×3, first 2 shown]
	s_waitcnt vmcnt(2) lgkmcnt(3)
	v_pk_fma_f32 v[46:47], v[68:69], v[0:1], v[2:3] op_sel_hi:[0,1,1] neg_lo:[1,0,0] neg_hi:[1,0,0]
	ds_read2_b32 v[2:3], v252 offset0:23 offset1:24
	v_mov_b32_e32 v0, v235
	v_mov_b32_e32 v1, v236
	s_waitcnt lgkmcnt(3)
	v_pk_fma_f32 v[48:49], v[68:69], v[4:5], v[0:1] op_sel_hi:[0,1,1] neg_lo:[1,0,0] neg_hi:[1,0,0]
	v_mov_b32_e32 v0, v237
	v_mov_b32_e32 v1, v238
	s_waitcnt vmcnt(1) lgkmcnt(2)
	v_pk_fma_f32 v[50:51], v[68:69], v[6:7], v[0:1] op_sel_hi:[0,1,1] neg_lo:[1,0,0] neg_hi:[1,0,0]
	v_mov_b32_e32 v0, v239
	v_mov_b32_e32 v1, v240
	s_waitcnt lgkmcnt(1)
	v_pk_fma_f32 v[52:53], v[68:69], v[8:9], v[0:1] op_sel_hi:[0,1,1] neg_lo:[1,0,0] neg_hi:[1,0,0]
	v_mov_b32_e32 v0, v241
	v_mov_b32_e32 v1, v242
	s_waitcnt lgkmcnt(0)
	v_pk_fma_f32 v[254:255], v[68:69], v[2:3], v[0:1] op_sel_hi:[0,1,1] neg_lo:[1,0,0] neg_hi:[1,0,0]
	v_mov_b32_e32 v14, v68
	v_mov_b32_e32 v15, v46
	;; [unrolled: 1-line block ×43, first 2 shown]
	s_waitcnt vmcnt(0)
	v_mov_b64_e32 v[64:65], v[36:37]
	v_mov_b64_e32 v[62:63], v[34:35]
	;; [unrolled: 1-line block ×7, first 2 shown]
	v_mov_b32_e32 v0, v54
	v_mov_b32_e32 v1, v55
	;; [unrolled: 1-line block ×14, first 2 shown]
	scratch_store_dwordx4 off, v[0:3], off offset:384 ; 16-byte Folded Spill
	s_nop 0
	scratch_store_dwordx4 off, v[4:7], off offset:400 ; 16-byte Folded Spill
	scratch_store_dwordx4 off, v[8:11], off offset:416 ; 16-byte Folded Spill
	;; [unrolled: 1-line block ×7, first 2 shown]
	v_mov_b32_e32 v18, v49
	v_mov_b32_e32 v122, v54
	;; [unrolled: 1-line block ×54, first 2 shown]
	scratch_store_dwordx4 off, v[0:3], off offset:256 ; 16-byte Folded Spill
	s_nop 0
	scratch_store_dwordx4 off, v[4:7], off offset:272 ; 16-byte Folded Spill
	scratch_store_dwordx4 off, v[8:11], off offset:288 ; 16-byte Folded Spill
	;; [unrolled: 1-line block ×7, first 2 shown]
	v_mov_b32_e32 v19, v50
	v_mov_b32_e32 v229, v65
	;; [unrolled: 1-line block ×4, first 2 shown]
	scratch_store_dwordx4 off, v[0:3], off offset:128 ; 16-byte Folded Spill
	s_nop 0
	scratch_store_dwordx4 off, v[4:7], off offset:144 ; 16-byte Folded Spill
	scratch_store_dwordx4 off, v[8:11], off offset:160 ; 16-byte Folded Spill
	;; [unrolled: 1-line block ×7, first 2 shown]
	v_mov_b32_e32 v20, v51
	scratch_store_dwordx4 off, v[0:3], off  ; 16-byte Folded Spill
	s_nop 0
	scratch_store_dwordx4 off, v[4:7], off offset:16 ; 16-byte Folded Spill
	scratch_store_dwordx4 off, v[8:11], off offset:32 ; 16-byte Folded Spill
	;; [unrolled: 1-line block ×8, first 2 shown]
	s_nop 0
	scratch_store_dwordx4 off, v[58:61], off offset:528 ; 16-byte Folded Spill
	scratch_store_dwordx4 off, v[62:65], off offset:544 ; 16-byte Folded Spill
	;; [unrolled: 1-line block ×8, first 2 shown]
	s_nop 0
	scratch_store_dwordx4 off, v[58:61], off offset:656 ; 16-byte Folded Spill
	scratch_store_dwordx4 off, v[62:65], off offset:672 ; 16-byte Folded Spill
	;; [unrolled: 1-line block ×7, first 2 shown]
	v_mov_b32_e32 v75, v48
.LBB49_78:
	s_or_b64 exec, exec, s[2:3]
	v_cmp_eq_u32_e32 vcc, 15, v250
	s_waitcnt lgkmcnt(0)
	s_barrier
	s_and_saveexec_b64 s[2:3], vcc
	s_cbranch_execz .LBB49_81
; %bb.79:
	ds_write_b32 v251, v105
	ds_write2_b32 v252, v234, v235 offset0:16 offset1:17
	ds_write2_b32 v252, v236, v237 offset0:18 offset1:19
	;; [unrolled: 1-line block ×4, first 2 shown]
	ds_write_b32 v252, v255 offset:96
	ds_read_b32 v25, v251
	s_waitcnt lgkmcnt(0)
	v_cmp_neq_f32_e32 vcc, 0, v25
	s_and_b64 exec, exec, vcc
	s_cbranch_execz .LBB49_81
; %bb.80:
	v_div_scale_f32 v45, s[4:5], v25, v25, 1.0
	v_rcp_f32_e32 v46, v45
	v_div_scale_f32 v47, vcc, 1.0, v25, 1.0
	v_fma_f32 v48, -v45, v46, 1.0
	v_fmac_f32_e32 v46, v48, v46
	v_mul_f32_e32 v48, v47, v46
	v_fma_f32 v49, -v45, v48, v47
	v_fmac_f32_e32 v48, v49, v46
	v_fma_f32 v45, -v45, v48, v47
	v_div_fmas_f32 v45, v45, v46, v48
	v_div_fixup_f32 v25, v45, v25, 1.0
	ds_write_b32 v251, v25
.LBB49_81:
	s_or_b64 exec, exec, s[2:3]
	s_waitcnt lgkmcnt(0)
	s_barrier
	ds_read_b32 v104, v251
	v_cmp_lt_u32_e32 vcc, 15, v250
	s_and_saveexec_b64 s[2:3], vcc
	s_cbranch_execz .LBB49_83
; %bb.82:
	ds_read2_b32 v[0:1], v252 offset0:16 offset1:17
	ds_read2_b32 v[2:3], v252 offset0:18 offset1:19
	;; [unrolled: 1-line block ×4, first 2 shown]
	s_waitcnt lgkmcnt(4)
	v_mul_f32_e32 v8, v105, v104
	s_waitcnt lgkmcnt(3)
	v_pk_fma_f32 v[74:75], v[8:9], v[0:1], v[234:235] op_sel_hi:[0,1,1] neg_lo:[1,0,0] neg_hi:[1,0,0]
	ds_read_b32 v0, v252 offset:96
	scratch_load_dwordx4 v[122:125], off, off offset:640 ; 16-byte Folded Reload
	scratch_load_dwordx4 v[126:129], off, off offset:656 ; 16-byte Folded Reload
	;; [unrolled: 1-line block ×8, first 2 shown]
	s_waitcnt lgkmcnt(3)
	v_pk_fma_f32 v[42:43], v[8:9], v[2:3], v[236:237] op_sel_hi:[0,1,1] neg_lo:[1,0,0] neg_hi:[1,0,0]
	s_waitcnt lgkmcnt(2)
	v_pk_fma_f32 v[96:97], v[8:9], v[4:5], v[238:239] op_sel_hi:[0,1,1] neg_lo:[1,0,0] neg_hi:[1,0,0]
	v_mov_b32_e32 v25, v8
	v_mov_b32_e32 v26, v74
	;; [unrolled: 1-line block ×8, first 2 shown]
	s_waitcnt vmcnt(4)
	v_mov_b32_e32 v137, v8
	v_mov_b32_e32 v46, v70
	;; [unrolled: 1-line block ×10, first 2 shown]
	s_waitcnt lgkmcnt(1)
	v_pk_fma_f32 v[176:177], v[8:9], v[6:7], v[240:241] op_sel_hi:[0,1,1] neg_lo:[1,0,0] neg_hi:[1,0,0]
	s_waitcnt lgkmcnt(0)
	v_fma_f32 v242, -v8, v0, v255
	v_mov_b32_e32 v169, v8
	v_mov_b32_e32 v233, v8
	;; [unrolled: 1-line block ×44, first 2 shown]
	scratch_store_dwordx4 off, v[10:13], off offset:384 ; 16-byte Folded Spill
	s_nop 0
	scratch_store_dwordx4 off, v[14:17], off offset:400 ; 16-byte Folded Spill
	scratch_store_dwordx4 off, v[18:21], off offset:416 ; 16-byte Folded Spill
	;; [unrolled: 1-line block ×8, first 2 shown]
	s_nop 0
	scratch_store_dwordx4 off, v[80:83], off offset:144 ; 16-byte Folded Spill
	scratch_store_dwordx4 off, v[84:87], off offset:160 ; 16-byte Folded Spill
	;; [unrolled: 1-line block ×7, first 2 shown]
	v_mov_b32_e32 v58, v122
	v_mov_b32_e32 v59, v123
	;; [unrolled: 1-line block ×75, first 2 shown]
	scratch_store_dwordx4 off, v[122:125], off offset:512 ; 16-byte Folded Spill
	s_nop 0
	scratch_store_dwordx4 off, v[126:129], off offset:528 ; 16-byte Folded Spill
	scratch_store_dwordx4 off, v[130:133], off offset:544 ; 16-byte Folded Spill
	;; [unrolled: 1-line block ×3, first 2 shown]
	s_waitcnt vmcnt(23)
	scratch_store_dwordx4 off, v[138:141], off offset:576 ; 16-byte Folded Spill
	s_waitcnt vmcnt(23)
	scratch_store_dwordx4 off, v[142:145], off offset:592 ; 16-byte Folded Spill
	;; [unrolled: 2-line block ×4, first 2 shown]
	v_mov_b32_e32 v39, v8
	v_mov_b32_e32 v40, v74
	;; [unrolled: 1-line block ×3, first 2 shown]
	v_mov_b64_e32 v[136:137], v[72:73]
	v_mov_b32_e32 v106, v42
	v_mov_b32_e32 v206, v96
	;; [unrolled: 1-line block ×7, first 2 shown]
	v_mov_b64_e32 v[134:135], v[70:71]
	v_mov_b64_e32 v[132:133], v[68:69]
	;; [unrolled: 1-line block ×7, first 2 shown]
	v_mov_b32_e32 v71, v47
	v_mov_b32_e32 v70, v46
	scratch_store_dwordx4 off, v[24:27], off offset:256 ; 16-byte Folded Spill
	s_nop 0
	scratch_store_dwordx4 off, v[28:31], off offset:272 ; 16-byte Folded Spill
	scratch_store_dwordx4 off, v[32:35], off offset:288 ; 16-byte Folded Spill
	;; [unrolled: 1-line block ×7, first 2 shown]
	v_mov_b32_e32 v116, v96
	scratch_store_dwordx4 off, v[76:79], off ; 16-byte Folded Spill
	s_nop 0
	scratch_store_dwordx4 off, v[80:83], off offset:16 ; 16-byte Folded Spill
	scratch_store_dwordx4 off, v[84:87], off offset:32 ; 16-byte Folded Spill
	;; [unrolled: 1-line block ×7, first 2 shown]
	v_mov_b32_e32 v138, v74
	v_mov_b32_e32 v86, v176
	;; [unrolled: 1-line block ×4, first 2 shown]
.LBB49_83:
	s_or_b64 exec, exec, s[2:3]
	v_cmp_eq_u32_e32 vcc, 16, v250
	s_waitcnt lgkmcnt(0)
	s_barrier
	s_and_saveexec_b64 s[2:3], vcc
	s_cbranch_execz .LBB49_86
; %bb.84:
	ds_write_b32 v251, v110
	ds_write2_b32 v252, v235, v236 offset0:17 offset1:18
	ds_write2_b32 v252, v237, v238 offset0:19 offset1:20
	;; [unrolled: 1-line block ×4, first 2 shown]
	ds_read_b32 v25, v251
	s_waitcnt lgkmcnt(0)
	v_cmp_neq_f32_e32 vcc, 0, v25
	s_and_b64 exec, exec, vcc
	s_cbranch_execz .LBB49_86
; %bb.85:
	v_div_scale_f32 v45, s[4:5], v25, v25, 1.0
	v_rcp_f32_e32 v46, v45
	v_div_scale_f32 v47, vcc, 1.0, v25, 1.0
	v_fma_f32 v48, -v45, v46, 1.0
	v_fmac_f32_e32 v46, v48, v46
	v_mul_f32_e32 v48, v47, v46
	v_fma_f32 v49, -v45, v48, v47
	v_fmac_f32_e32 v48, v49, v46
	v_fma_f32 v45, -v45, v48, v47
	v_div_fmas_f32 v45, v45, v46, v48
	v_div_fixup_f32 v25, v45, v25, 1.0
	ds_write_b32 v251, v25
.LBB49_86:
	s_or_b64 exec, exec, s[2:3]
	s_waitcnt lgkmcnt(0)
	s_barrier
	ds_read_b32 v253, v251
	v_cmp_lt_u32_e32 vcc, 16, v250
	s_and_saveexec_b64 s[2:3], vcc
	s_cbranch_execz .LBB49_88
; %bb.87:
	scratch_load_dwordx4 v[122:125], off, off offset:512 ; 16-byte Folded Reload
	scratch_load_dwordx4 v[126:129], off, off offset:528 ; 16-byte Folded Reload
	;; [unrolled: 1-line block ×8, first 2 shown]
	ds_read2_b32 v[0:1], v252 offset0:17 offset1:18
	ds_read2_b32 v[4:5], v252 offset0:19 offset1:20
	;; [unrolled: 1-line block ×4, first 2 shown]
	s_waitcnt vmcnt(3) lgkmcnt(4)
	v_mul_f32_e32 v138, v110, v253
	v_mov_b32_e32 v2, v235
	v_mov_b32_e32 v3, v236
	;; [unrolled: 1-line block ×10, first 2 shown]
	s_waitcnt lgkmcnt(3)
	v_pk_fma_f32 v[46:47], v[138:139], v[0:1], v[2:3] op_sel_hi:[0,1,1] neg_lo:[1,0,0] neg_hi:[1,0,0]
	v_mov_b32_e32 v0, v237
	v_mov_b32_e32 v1, v238
	s_waitcnt lgkmcnt(2)
	v_pk_fma_f32 v[48:49], v[138:139], v[4:5], v[0:1] op_sel_hi:[0,1,1] neg_lo:[1,0,0] neg_hi:[1,0,0]
	v_mov_b32_e32 v0, v239
	v_mov_b32_e32 v1, v240
	;; [unrolled: 4-line block ×4, first 2 shown]
	v_mov_b32_e32 v2, v124
	v_mov_b32_e32 v3, v125
	;; [unrolled: 1-line block ×14, first 2 shown]
	scratch_store_dwordx4 off, v[0:3], off offset:256 ; 16-byte Folded Spill
	s_nop 0
	scratch_store_dwordx4 off, v[4:7], off offset:272 ; 16-byte Folded Spill
	scratch_store_dwordx4 off, v[8:11], off offset:288 ; 16-byte Folded Spill
	;; [unrolled: 1-line block ×7, first 2 shown]
	v_mov_b32_e32 v19, v48
	v_mov_b32_e32 v139, v46
	v_mov_b32_e32 v188, v124
	v_mov_b32_e32 v189, v125
	v_mov_b32_e32 v190, v126
	v_mov_b32_e32 v191, v127
	v_mov_b32_e32 v192, v128
	v_mov_b32_e32 v193, v129
	v_mov_b32_e32 v194, v130
	v_mov_b32_e32 v195, v131
	v_mov_b32_e32 v196, v132
	v_mov_b32_e32 v197, v133
	v_mov_b32_e32 v198, v134
	v_mov_b32_e32 v199, v135
	v_mov_b32_e32 v200, v136
	v_mov_b32_e32 v201, v137
	v_mov_b32_e32 v203, v46
	v_mov_b32_e32 v204, v47
	v_mov_b32_e32 v205, v48
	v_mov_b32_e32 v206, v49
	v_mov_b32_e32 v207, v50
	v_mov_b32_e32 v154, v122
	v_mov_b32_e32 v155, v123
	v_mov_b32_e32 v156, v124
	v_mov_b32_e32 v157, v125
	v_mov_b32_e32 v158, v126
	v_mov_b32_e32 v159, v127
	v_mov_b32_e32 v160, v128
	v_mov_b32_e32 v161, v129
	v_mov_b32_e32 v162, v130
	v_mov_b32_e32 v163, v131
	v_mov_b32_e32 v164, v132
	v_mov_b32_e32 v165, v133
	v_mov_b32_e32 v166, v134
	v_mov_b32_e32 v167, v135
	v_mov_b32_e32 v168, v136
	v_mov_b32_e32 v169, v137
	v_mov_b32_e32 v171, v46
	v_mov_b32_e32 v172, v47
	v_mov_b32_e32 v173, v48
	v_mov_b32_e32 v174, v49
	v_mov_b32_e32 v175, v50
	v_mov_b32_e32 v176, v51
	v_mov_b32_e32 v218, v122
	v_mov_b32_e32 v219, v123
	v_mov_b32_e32 v220, v124
	v_mov_b32_e32 v221, v125
	v_mov_b32_e32 v222, v126
	v_mov_b32_e32 v223, v127
	v_mov_b32_e32 v224, v128
	scratch_store_dwordx4 off, v[0:3], off offset:128 ; 16-byte Folded Spill
	s_nop 0
	scratch_store_dwordx4 off, v[4:7], off offset:144 ; 16-byte Folded Spill
	scratch_store_dwordx4 off, v[8:11], off offset:160 ; 16-byte Folded Spill
	;; [unrolled: 1-line block ×7, first 2 shown]
	v_mov_b32_e32 v20, v49
	v_mov_b32_e32 v225, v129
	;; [unrolled: 1-line block ×24, first 2 shown]
	scratch_store_dwordx4 off, v[0:3], off  ; 16-byte Folded Spill
	s_nop 0
	scratch_store_dwordx4 off, v[4:7], off offset:16 ; 16-byte Folded Spill
	scratch_store_dwordx4 off, v[8:11], off offset:32 ; 16-byte Folded Spill
	;; [unrolled: 1-line block ×8, first 2 shown]
	s_nop 0
	scratch_store_dwordx4 off, v[126:129], off offset:400 ; 16-byte Folded Spill
	scratch_store_dwordx4 off, v[130:133], off offset:416 ; 16-byte Folded Spill
	;; [unrolled: 1-line block ×4, first 2 shown]
	s_waitcnt vmcnt(31)
	scratch_store_dwordx4 off, v[142:145], off offset:464 ; 16-byte Folded Spill
	s_waitcnt vmcnt(31)
	scratch_store_dwordx4 off, v[146:149], off offset:480 ; 16-byte Folded Spill
	;; [unrolled: 2-line block ×3, first 2 shown]
.LBB49_88:
	s_or_b64 exec, exec, s[2:3]
	v_cmp_eq_u32_e32 vcc, 17, v250
	s_waitcnt lgkmcnt(0)
	s_barrier
	s_and_saveexec_b64 s[2:3], vcc
	s_cbranch_execz .LBB49_91
; %bb.89:
	ds_write_b32 v251, v75
	ds_write2_b32 v252, v236, v237 offset0:18 offset1:19
	ds_write2_b32 v252, v238, v239 offset0:20 offset1:21
	;; [unrolled: 1-line block ×3, first 2 shown]
	ds_write_b32 v252, v255 offset:96
	ds_read_b32 v25, v251
	s_waitcnt lgkmcnt(0)
	v_cmp_neq_f32_e32 vcc, 0, v25
	s_and_b64 exec, exec, vcc
	s_cbranch_execz .LBB49_91
; %bb.90:
	v_div_scale_f32 v45, s[4:5], v25, v25, 1.0
	v_rcp_f32_e32 v46, v45
	v_div_scale_f32 v47, vcc, 1.0, v25, 1.0
	v_fma_f32 v48, -v45, v46, 1.0
	v_fmac_f32_e32 v46, v48, v46
	v_mul_f32_e32 v48, v47, v46
	v_fma_f32 v49, -v45, v48, v47
	v_fmac_f32_e32 v48, v49, v46
	v_fma_f32 v45, -v45, v48, v47
	v_div_fmas_f32 v45, v45, v46, v48
	v_div_fixup_f32 v25, v45, v25, 1.0
	ds_write_b32 v251, v25
.LBB49_91:
	s_or_b64 exec, exec, s[2:3]
	s_waitcnt lgkmcnt(0)
	s_barrier
	ds_read_b32 v66, v251
	v_cmp_lt_u32_e32 vcc, 17, v250
	s_and_saveexec_b64 s[2:3], vcc
	s_cbranch_execz .LBB49_93
; %bb.92:
	ds_read2_b32 v[0:1], v252 offset0:18 offset1:19
	ds_read2_b32 v[2:3], v252 offset0:20 offset1:21
	;; [unrolled: 1-line block ×3, first 2 shown]
	ds_read_b32 v6, v252 offset:96
	s_waitcnt lgkmcnt(4)
	v_mul_f32_e32 v46, v75, v66
	s_waitcnt lgkmcnt(3)
	v_pk_fma_f32 v[40:41], v[46:47], v[0:1], v[236:237] op_sel_hi:[0,1,1] neg_lo:[1,0,0] neg_hi:[1,0,0]
	s_waitcnt lgkmcnt(2)
	v_pk_fma_f32 v[20:21], v[46:47], v[2:3], v[238:239] op_sel_hi:[0,1,1] neg_lo:[1,0,0] neg_hi:[1,0,0]
	s_waitcnt vmcnt(6) lgkmcnt(1)
	v_pk_fma_f32 v[176:177], v[46:47], v[4:5], v[240:241] op_sel_hi:[0,1,1] neg_lo:[1,0,0] neg_hi:[1,0,0]
	s_waitcnt lgkmcnt(0)
	v_fma_f32 v242, -v46, v6, v255
	v_mov_b32_e32 v22, v122
	v_mov_b32_e32 v23, v123
	;; [unrolled: 1-line block ×30, first 2 shown]
	scratch_store_dwordx4 off, v[0:3], off offset:128 ; 16-byte Folded Spill
	s_nop 0
	scratch_store_dwordx4 off, v[4:7], off offset:144 ; 16-byte Folded Spill
	scratch_store_dwordx4 off, v[8:11], off offset:160 ; 16-byte Folded Spill
	;; [unrolled: 1-line block ×7, first 2 shown]
	v_mov_b32_e32 v139, v46
	v_mov_b32_e32 v32, v132
	;; [unrolled: 1-line block ×69, first 2 shown]
	scratch_store_dwordx4 off, v[122:125], off offset:384 ; 16-byte Folded Spill
	s_nop 0
	scratch_store_dwordx4 off, v[126:129], off offset:400 ; 16-byte Folded Spill
	scratch_store_dwordx4 off, v[130:133], off offset:416 ; 16-byte Folded Spill
	;; [unrolled: 1-line block ×7, first 2 shown]
	v_mov_b32_e32 v106, v40
	scratch_store_dwordx4 off, v[22:25], off offset:256 ; 16-byte Folded Spill
	s_nop 0
	scratch_store_dwordx4 off, v[26:29], off offset:272 ; 16-byte Folded Spill
	scratch_store_dwordx4 off, v[30:33], off offset:288 ; 16-byte Folded Spill
	;; [unrolled: 1-line block ×7, first 2 shown]
	v_mov_b32_e32 v206, v20
	v_mov_b32_e32 v207, v21
	v_mov_b32_e32 v174, v20
	v_mov_b32_e32 v175, v21
	v_mov_b32_e32 v238, v20
	v_mov_b32_e32 v239, v21
	v_mov_b32_e32 v116, v20
	v_mov_b32_e32 v240, v176
	v_mov_b32_e32 v241, v177
	v_mov_b32_e32 v254, v177
	v_mov_b32_e32 v255, v242
	v_mov_b32_e32 v86, v176
	scratch_store_dwordx4 off, v[0:3], off  ; 16-byte Folded Spill
	s_nop 0
	scratch_store_dwordx4 off, v[4:7], off offset:16 ; 16-byte Folded Spill
	scratch_store_dwordx4 off, v[8:11], off offset:32 ; 16-byte Folded Spill
	;; [unrolled: 1-line block ×7, first 2 shown]
	v_mov_b32_e32 v117, v41
	v_mov_b32_e32 v91, v21
.LBB49_93:
	s_or_b64 exec, exec, s[2:3]
	v_cmp_eq_u32_e32 vcc, 18, v250
	s_waitcnt lgkmcnt(0)
	s_barrier
	s_and_saveexec_b64 s[2:3], vcc
	s_cbranch_execz .LBB49_96
; %bb.94:
	ds_write_b32 v251, v106
	ds_write2_b32 v252, v237, v238 offset0:19 offset1:20
	ds_write2_b32 v252, v239, v240 offset0:21 offset1:22
	;; [unrolled: 1-line block ×3, first 2 shown]
	ds_read_b32 v25, v251
	s_waitcnt lgkmcnt(0)
	v_cmp_neq_f32_e32 vcc, 0, v25
	s_and_b64 exec, exec, vcc
	s_cbranch_execz .LBB49_96
; %bb.95:
	v_div_scale_f32 v45, s[4:5], v25, v25, 1.0
	v_rcp_f32_e32 v46, v45
	v_div_scale_f32 v47, vcc, 1.0, v25, 1.0
	v_fma_f32 v48, -v45, v46, 1.0
	v_fmac_f32_e32 v46, v48, v46
	v_mul_f32_e32 v48, v47, v46
	v_fma_f32 v49, -v45, v48, v47
	v_fmac_f32_e32 v48, v49, v46
	v_fma_f32 v45, -v45, v48, v47
	v_div_fmas_f32 v45, v45, v46, v48
	v_div_fixup_f32 v25, v45, v25, 1.0
	ds_write_b32 v251, v25
.LBB49_96:
	s_or_b64 exec, exec, s[2:3]
	s_waitcnt lgkmcnt(0)
	s_barrier
	ds_read_b32 v123, v251
	v_cmp_lt_u32_e32 vcc, 18, v250
	s_and_saveexec_b64 s[2:3], vcc
	s_cbranch_execz .LBB49_98
; %bb.97:
	scratch_load_dwordx4 v[26:29], off, off offset:384 ; 16-byte Folded Reload
	scratch_load_dwordx4 v[30:33], off, off offset:400 ; 16-byte Folded Reload
	;; [unrolled: 1-line block ×8, first 2 shown]
	ds_read2_b32 v[0:1], v252 offset0:19 offset1:20
	ds_read2_b32 v[4:5], v252 offset0:21 offset1:22
	;; [unrolled: 1-line block ×3, first 2 shown]
	s_waitcnt vmcnt(3) lgkmcnt(3)
	v_mul_f32_e32 v44, v106, v123
	v_mov_b32_e32 v2, v237
	v_mov_b32_e32 v3, v238
	;; [unrolled: 1-line block ×9, first 2 shown]
	s_waitcnt lgkmcnt(2)
	v_pk_fma_f32 v[82:83], v[44:45], v[0:1], v[2:3] op_sel_hi:[0,1,1] neg_lo:[1,0,0] neg_hi:[1,0,0]
	v_mov_b32_e32 v0, v239
	v_mov_b32_e32 v1, v240
	s_waitcnt lgkmcnt(1)
	v_pk_fma_f32 v[84:85], v[44:45], v[4:5], v[0:1] op_sel_hi:[0,1,1] neg_lo:[1,0,0] neg_hi:[1,0,0]
	v_mov_b32_e32 v0, v241
	v_mov_b32_e32 v1, v242
	s_waitcnt lgkmcnt(0)
	v_pk_fma_f32 v[254:255], v[44:45], v[6:7], v[0:1] op_sel_hi:[0,1,1] neg_lo:[1,0,0] neg_hi:[1,0,0]
	v_mov_b32_e32 v0, v26
	v_mov_b32_e32 v1, v27
	v_mov_b32_e32 v2, v28
	v_mov_b32_e32 v3, v29
	;; [unrolled: 1-line block ×16, first 2 shown]
	scratch_store_dwordx4 off, v[0:3], off  ; 16-byte Folded Spill
	s_nop 0
	scratch_store_dwordx4 off, v[4:7], off offset:16 ; 16-byte Folded Spill
	scratch_store_dwordx4 off, v[8:11], off offset:32 ; 16-byte Folded Spill
	;; [unrolled: 1-line block ×7, first 2 shown]
	v_mov_b32_e32 v45, v82
	v_mov_b32_e32 v193, v33
	;; [unrolled: 1-line block ×71, first 2 shown]
	scratch_store_dwordx4 off, v[26:29], off offset:128 ; 16-byte Folded Spill
	s_nop 0
	scratch_store_dwordx4 off, v[30:33], off offset:144 ; 16-byte Folded Spill
	scratch_store_dwordx4 off, v[34:37], off offset:160 ; 16-byte Folded Spill
	scratch_store_dwordx4 off, v[38:41], off offset:176 ; 16-byte Folded Spill
	scratch_store_dwordx4 off, v[42:45], off offset:192 ; 16-byte Folded Spill
	s_waitcnt vmcnt(15)
	scratch_store_dwordx4 off, v[46:49], off offset:208 ; 16-byte Folded Spill
	s_waitcnt vmcnt(15)
	scratch_store_dwordx4 off, v[50:53], off offset:224 ; 16-byte Folded Spill
	;; [unrolled: 2-line block ×3, first 2 shown]
	scratch_store_dwordx4 off, v[26:29], off offset:256 ; 16-byte Folded Spill
	s_nop 0
	scratch_store_dwordx4 off, v[30:33], off offset:272 ; 16-byte Folded Spill
	scratch_store_dwordx4 off, v[34:37], off offset:288 ; 16-byte Folded Spill
	;; [unrolled: 1-line block ×7, first 2 shown]
.LBB49_98:
	s_or_b64 exec, exec, s[2:3]
	v_cmp_eq_u32_e32 vcc, 19, v250
	s_waitcnt lgkmcnt(0)
	s_barrier
	s_and_saveexec_b64 s[2:3], vcc
	s_cbranch_execz .LBB49_101
; %bb.99:
	ds_write_b32 v251, v117
	ds_write2_b32 v252, v238, v239 offset0:20 offset1:21
	ds_write2_b32 v252, v240, v241 offset0:22 offset1:23
	ds_write_b32 v252, v255 offset:96
	ds_read_b32 v25, v251
	s_waitcnt lgkmcnt(0)
	v_cmp_neq_f32_e32 vcc, 0, v25
	s_and_b64 exec, exec, vcc
	s_cbranch_execz .LBB49_101
; %bb.100:
	v_div_scale_f32 v45, s[4:5], v25, v25, 1.0
	v_rcp_f32_e32 v46, v45
	v_div_scale_f32 v47, vcc, 1.0, v25, 1.0
	v_fma_f32 v48, -v45, v46, 1.0
	v_fmac_f32_e32 v46, v48, v46
	v_mul_f32_e32 v48, v47, v46
	v_fma_f32 v49, -v45, v48, v47
	v_fmac_f32_e32 v48, v49, v46
	v_fma_f32 v45, -v45, v48, v47
	v_div_fmas_f32 v45, v45, v46, v48
	v_div_fixup_f32 v25, v45, v25, 1.0
	ds_write_b32 v251, v25
.LBB49_101:
	s_or_b64 exec, exec, s[2:3]
	s_waitcnt lgkmcnt(0)
	s_barrier
	ds_read_b32 v46, v251
	v_cmp_lt_u32_e32 vcc, 19, v250
	s_and_saveexec_b64 s[2:3], vcc
	s_cbranch_execz .LBB49_103
; %bb.102:
	ds_read2_b32 v[0:1], v252 offset0:20 offset1:21
	ds_read2_b32 v[2:3], v252 offset0:22 offset1:23
	ds_read_b32 v4, v252 offset:96
	scratch_load_dwordx4 v[124:127], off, off offset:256 ; 16-byte Folded Reload
	scratch_load_dwordx4 v[128:131], off, off offset:272 ; 16-byte Folded Reload
	;; [unrolled: 1-line block ×8, first 2 shown]
	s_waitcnt lgkmcnt(3)
	v_mul_f32_e32 v48, v117, v46
	v_mov_b32_e32 v41, v48
	s_waitcnt lgkmcnt(2)
	v_pk_fma_f32 v[20:21], v[48:49], v[0:1], v[238:239] op_sel_hi:[0,1,1] neg_lo:[1,0,0] neg_hi:[1,0,0]
	s_waitcnt vmcnt(14) lgkmcnt(1)
	v_pk_fma_f32 v[176:177], v[48:49], v[2:3], v[240:241] op_sel_hi:[0,1,1] neg_lo:[1,0,0] neg_hi:[1,0,0]
	s_waitcnt lgkmcnt(0)
	v_fma_f32 v242, -v48, v4, v255
	v_mov_b32_e32 v19, v48
	v_mov_b32_e32 v205, v48
	;; [unrolled: 1-line block ×16, first 2 shown]
	s_waitcnt vmcnt(4)
	v_mov_b64_e32 v[22:23], v[124:125]
	s_waitcnt vmcnt(3)
	v_mov_b32_e32 v38, v140
	v_mov_b64_e32 v[24:25], v[126:127]
	v_mov_b64_e32 v[26:27], v[128:129]
	;; [unrolled: 1-line block ×7, first 2 shown]
	v_mov_b32_e32 v39, v141
	v_mov_b32_e32 v40, v142
	;; [unrolled: 1-line block ×40, first 2 shown]
	s_waitcnt vmcnt(0)
	v_mov_b32_e32 v154, v22
	v_mov_b32_e32 v155, v23
	v_mov_b32_e32 v156, v24
	v_mov_b32_e32 v157, v25
	v_mov_b32_e32 v158, v26
	v_mov_b32_e32 v159, v27
	v_mov_b32_e32 v160, v28
	v_mov_b32_e32 v161, v29
	v_mov_b32_e32 v162, v30
	v_mov_b32_e32 v163, v31
	v_mov_b32_e32 v164, v32
	v_mov_b32_e32 v165, v33
	v_mov_b32_e32 v166, v34
	v_mov_b32_e32 v167, v35
	v_mov_b32_e32 v168, v36
	v_mov_b32_e32 v169, v37
	v_mov_b32_e32 v170, v38
	v_mov_b32_e32 v171, v39
	v_mov_b32_e32 v172, v40
	v_mov_b32_e32 v218, v22
	v_mov_b32_e32 v219, v23
	v_mov_b32_e32 v220, v24
	v_mov_b32_e32 v221, v25
	v_mov_b32_e32 v222, v26
	v_mov_b32_e32 v223, v27
	v_mov_b32_e32 v224, v28
	v_mov_b32_e32 v225, v29
	v_mov_b32_e32 v226, v30
	v_mov_b32_e32 v227, v31
	v_mov_b32_e32 v228, v32
	v_mov_b32_e32 v229, v33
	v_mov_b32_e32 v230, v34
	v_mov_b32_e32 v231, v35
	v_mov_b32_e32 v232, v36
	v_mov_b32_e32 v233, v37
	v_mov_b32_e32 v234, v38
	v_mov_b32_e32 v235, v39
	v_mov_b32_e32 v236, v40
	scratch_store_dwordx4 off, v[22:25], off offset:128 ; 16-byte Folded Spill
	s_nop 0
	scratch_store_dwordx4 off, v[26:29], off offset:144 ; 16-byte Folded Spill
	scratch_store_dwordx4 off, v[30:33], off offset:160 ; 16-byte Folded Spill
	;; [unrolled: 1-line block ×7, first 2 shown]
	scratch_store_dwordx4 off, v[0:3], off  ; 16-byte Folded Spill
	s_nop 0
	scratch_store_dwordx4 off, v[4:7], off offset:16 ; 16-byte Folded Spill
	scratch_store_dwordx4 off, v[8:11], off offset:32 ; 16-byte Folded Spill
	;; [unrolled: 1-line block ×7, first 2 shown]
	v_mov_b32_e32 v91, v21
.LBB49_103:
	s_or_b64 exec, exec, s[2:3]
	v_cmp_eq_u32_e32 vcc, 20, v250
	s_waitcnt lgkmcnt(0)
	s_barrier
	s_and_saveexec_b64 s[2:3], vcc
	s_cbranch_execz .LBB49_106
; %bb.104:
	ds_write_b32 v251, v116
	ds_write2_b32 v252, v239, v240 offset0:21 offset1:22
	ds_write2_b32 v252, v241, v242 offset0:23 offset1:24
	ds_read_b32 v25, v251
	s_waitcnt lgkmcnt(0)
	v_cmp_neq_f32_e32 vcc, 0, v25
	s_and_b64 exec, exec, vcc
	s_cbranch_execz .LBB49_106
; %bb.105:
	v_div_scale_f32 v26, s[4:5], v25, v25, 1.0
	v_rcp_f32_e32 v27, v26
	v_div_scale_f32 v28, vcc, 1.0, v25, 1.0
	v_fma_f32 v29, -v26, v27, 1.0
	v_fmac_f32_e32 v27, v29, v27
	v_mul_f32_e32 v29, v28, v27
	v_fma_f32 v30, -v26, v29, v28
	v_fmac_f32_e32 v29, v30, v27
	v_fma_f32 v26, -v26, v29, v28
	v_div_fmas_f32 v26, v26, v27, v29
	v_div_fixup_f32 v25, v26, v25, 1.0
	ds_write_b32 v251, v25
.LBB49_106:
	s_or_b64 exec, exec, s[2:3]
	s_waitcnt lgkmcnt(0)
	s_barrier
	ds_read_b32 v32, v251
	v_cmp_lt_u32_e32 vcc, 20, v250
	s_and_saveexec_b64 s[2:3], vcc
	s_cbranch_execz .LBB49_108
; %bb.107:
	ds_read2_b32 v[0:1], v252 offset0:21 offset1:22
	scratch_load_dwordx4 v[124:127], off, off offset:128 ; 16-byte Folded Reload
	scratch_load_dwordx4 v[128:131], off, off offset:144 ; 16-byte Folded Reload
	;; [unrolled: 1-line block ×8, first 2 shown]
	ds_read2_b32 v[4:5], v252 offset0:23 offset1:24
	s_waitcnt lgkmcnt(2)
	v_mul_f32_e32 v92, v116, v32
	v_mov_b32_e32 v2, v239
	v_mov_b32_e32 v3, v240
	s_waitcnt lgkmcnt(1)
	v_pk_fma_f32 v[26:27], v[92:93], v[0:1], v[2:3] op_sel_hi:[0,1,1] neg_lo:[1,0,0] neg_hi:[1,0,0]
	v_mov_b32_e32 v0, v241
	v_mov_b32_e32 v1, v242
	s_waitcnt lgkmcnt(0)
	v_pk_fma_f32 v[254:255], v[92:93], v[4:5], v[0:1] op_sel_hi:[0,1,1] neg_lo:[1,0,0] neg_hi:[1,0,0]
	v_mov_b32_e32 v93, v26
	s_waitcnt vmcnt(14)
	v_mov_b32_e32 v174, v92
	v_mov_b32_e32 v238, v92
	;; [unrolled: 1-line block ×8, first 2 shown]
	s_waitcnt vmcnt(4)
	v_mov_b64_e32 v[72:73], v[124:125]
	s_waitcnt vmcnt(3)
	v_mov_b64_e32 v[88:89], v[140:141]
	v_mov_b64_e32 v[74:75], v[126:127]
	;; [unrolled: 1-line block ×10, first 2 shown]
	s_waitcnt vmcnt(0)
	v_mov_b32_e32 v154, v72
	v_mov_b32_e32 v155, v73
	;; [unrolled: 1-line block ×40, first 2 shown]
	v_mov_b64_e32 v[214:215], v[100:101]
	v_mov_b64_e32 v[212:213], v[98:99]
	;; [unrolled: 1-line block ×15, first 2 shown]
	scratch_store_dwordx4 off, v[72:75], off ; 16-byte Folded Spill
	s_nop 0
	scratch_store_dwordx4 off, v[76:79], off offset:16 ; 16-byte Folded Spill
	scratch_store_dwordx4 off, v[80:83], off offset:32 ; 16-byte Folded Spill
	;; [unrolled: 1-line block ×7, first 2 shown]
	v_mov_b32_e32 v91, v26
	v_mov_b32_e32 v86, v27
.LBB49_108:
	s_or_b64 exec, exec, s[2:3]
	v_cmp_eq_u32_e32 vcc, 21, v250
	s_waitcnt lgkmcnt(0)
	s_barrier
	s_and_saveexec_b64 s[2:3], vcc
	s_cbranch_execz .LBB49_111
; %bb.109:
	ds_write_b32 v251, v91
	ds_write2_b32 v252, v240, v241 offset0:22 offset1:23
	ds_write_b32 v252, v255 offset:96
	ds_read_b32 v25, v251
	s_waitcnt lgkmcnt(0)
	v_cmp_neq_f32_e32 vcc, 0, v25
	s_and_b64 exec, exec, vcc
	s_cbranch_execz .LBB49_111
; %bb.110:
	v_div_scale_f32 v26, s[4:5], v25, v25, 1.0
	v_rcp_f32_e32 v27, v26
	v_div_scale_f32 v28, vcc, 1.0, v25, 1.0
	v_fma_f32 v29, -v26, v27, 1.0
	v_fmac_f32_e32 v27, v29, v27
	v_mul_f32_e32 v29, v28, v27
	v_fma_f32 v30, -v26, v29, v28
	v_fmac_f32_e32 v29, v30, v27
	v_fma_f32 v26, -v26, v29, v28
	v_div_fmas_f32 v26, v26, v27, v29
	v_div_fixup_f32 v25, v26, v25, 1.0
	ds_write_b32 v251, v25
.LBB49_111:
	s_or_b64 exec, exec, s[2:3]
	s_waitcnt lgkmcnt(0)
	s_barrier
	ds_read_b32 v33, v251
	v_cmp_lt_u32_e32 vcc, 21, v250
	s_and_saveexec_b64 s[2:3], vcc
	s_cbranch_execz .LBB49_113
; %bb.112:
	ds_read2_b32 v[0:1], v252 offset0:22 offset1:23
	ds_read_b32 v2, v252 offset:96
	scratch_load_dwordx4 v[154:157], off, off ; 16-byte Folded Reload
	scratch_load_dwordx4 v[158:161], off, off offset:16 ; 16-byte Folded Reload
	scratch_load_dwordx4 v[162:165], off, off offset:32 ; 16-byte Folded Reload
	;; [unrolled: 1-line block ×7, first 2 shown]
	s_waitcnt lgkmcnt(2)
	v_mul_f32_e32 v26, v91, v33
	s_waitcnt vmcnt(2)
	v_mov_b32_e32 v175, v26
	s_waitcnt lgkmcnt(1)
	v_pk_fma_f32 v[22:23], v[26:27], v[0:1], v[240:241] op_sel_hi:[0,1,1] neg_lo:[1,0,0] neg_hi:[1,0,0]
	s_waitcnt lgkmcnt(0)
	v_fma_f32 v242, -v26, v2, v255
	v_mov_b32_e32 v21, v26
	v_mov_b32_e32 v239, v26
	v_mov_b32_e32 v240, v22
	v_mov_b32_e32 v241, v23
	v_mov_b32_e32 v255, v242
	v_mov_b32_e32 v0, v154
	v_mov_b32_e32 v1, v155
	v_mov_b32_e32 v2, v156
	v_mov_b32_e32 v14, v168
	v_mov_b32_e32 v15, v169
	v_mov_b32_e32 v3, v157
	v_mov_b32_e32 v4, v158
	s_waitcnt vmcnt(0)
	v_mov_b64_e32 v[216:217], v[184:185]
	v_mov_b32_e32 v5, v159
	v_mov_b32_e32 v6, v160
	;; [unrolled: 1-line block ×35, first 2 shown]
	v_mov_b64_e32 v[214:215], v[182:183]
	v_mov_b64_e32 v[212:213], v[180:181]
	;; [unrolled: 1-line block ×27, first 2 shown]
	v_mov_b32_e32 v86, v176
	v_mov_b32_e32 v254, v177
.LBB49_113:
	s_or_b64 exec, exec, s[2:3]
	v_cmp_eq_u32_e32 vcc, 22, v250
	s_waitcnt lgkmcnt(0)
	s_barrier
	s_and_saveexec_b64 s[2:3], vcc
	s_cbranch_execz .LBB49_116
; %bb.114:
	ds_write_b32 v251, v86
	ds_write2_b32 v252, v241, v242 offset0:23 offset1:24
	ds_read_b32 v25, v251
	s_waitcnt lgkmcnt(0)
	v_cmp_neq_f32_e32 vcc, 0, v25
	s_and_b64 exec, exec, vcc
	s_cbranch_execz .LBB49_116
; %bb.115:
	v_div_scale_f32 v26, s[4:5], v25, v25, 1.0
	v_rcp_f32_e32 v27, v26
	v_div_scale_f32 v28, vcc, 1.0, v25, 1.0
	v_fma_f32 v29, -v26, v27, 1.0
	v_fmac_f32_e32 v27, v29, v27
	v_mul_f32_e32 v29, v28, v27
	v_fma_f32 v30, -v26, v29, v28
	v_fmac_f32_e32 v29, v30, v27
	v_fma_f32 v26, -v26, v29, v28
	v_div_fmas_f32 v26, v26, v27, v29
	v_div_fixup_f32 v25, v26, v25, 1.0
	ds_write_b32 v251, v25
.LBB49_116:
	s_or_b64 exec, exec, s[2:3]
	s_waitcnt lgkmcnt(0)
	s_barrier
	ds_read_b32 v34, v251
	v_cmp_lt_u32_e32 vcc, 22, v250
	s_and_saveexec_b64 s[2:3], vcc
	s_cbranch_execz .LBB49_118
; %bb.117:
	ds_read2_b32 v[0:1], v252 offset0:23 offset1:24
	s_waitcnt lgkmcnt(1)
	v_mul_f32_e32 v208, v86, v34
	v_mov_b32_e32 v2, v241
	v_mov_b32_e32 v3, v242
	s_waitcnt lgkmcnt(0)
	v_pk_fma_f32 v[254:255], v[208:209], v[0:1], v[2:3] op_sel_hi:[0,1,1] neg_lo:[1,0,0] neg_hi:[1,0,0]
	v_mov_b32_e32 v209, v254
	v_mov_b32_e32 v210, v255
	v_mov_b64_e32 v[248:249], v[216:217]
	s_waitcnt vmcnt(4)
	v_mov_b64_e32 v[154:155], v[186:187]
	v_mov_b64_e32 v[242:243], v[210:211]
	;; [unrolled: 1-line block ×31, first 2 shown]
.LBB49_118:
	s_or_b64 exec, exec, s[2:3]
	v_cmp_eq_u32_e32 vcc, 23, v250
	s_waitcnt lgkmcnt(0)
	s_barrier
	s_and_saveexec_b64 s[2:3], vcc
	s_cbranch_execz .LBB49_121
; %bb.119:
	ds_write_b32 v251, v254
	ds_write_b32 v252, v255 offset:96
	ds_read_b32 v25, v251
	s_waitcnt lgkmcnt(0)
	v_cmp_neq_f32_e32 vcc, 0, v25
	s_and_b64 exec, exec, vcc
	s_cbranch_execz .LBB49_121
; %bb.120:
	v_div_scale_f32 v26, s[4:5], v25, v25, 1.0
	v_rcp_f32_e32 v27, v26
	v_div_scale_f32 v28, vcc, 1.0, v25, 1.0
	v_fma_f32 v29, -v26, v27, 1.0
	v_fmac_f32_e32 v27, v29, v27
	v_mul_f32_e32 v29, v28, v27
	v_fma_f32 v30, -v26, v29, v28
	v_fmac_f32_e32 v29, v30, v27
	v_fma_f32 v26, -v26, v29, v28
	v_div_fmas_f32 v26, v26, v27, v29
	v_div_fixup_f32 v25, v26, v25, 1.0
	ds_write_b32 v251, v25
.LBB49_121:
	s_or_b64 exec, exec, s[2:3]
	s_waitcnt lgkmcnt(0)
	s_barrier
	ds_read_b32 v35, v251
	v_cmp_lt_u32_e32 vcc, 23, v250
	s_and_saveexec_b64 s[2:3], vcc
	s_cbranch_execz .LBB49_123
; %bb.122:
	ds_read_b32 v0, v252 offset:96
	s_waitcnt vmcnt(6) lgkmcnt(1)
	v_mul_f32_e32 v177, v254, v35
	s_waitcnt vmcnt(5) lgkmcnt(0)
	v_fma_f32 v178, -v177, v0, v255
	s_waitcnt vmcnt(4)
	v_mov_b64_e32 v[248:249], v[184:185]
	v_mov_b64_e32 v[242:243], v[178:179]
	;; [unrolled: 1-line block ×14, first 2 shown]
	v_mov_b32_e32 v255, v178
	v_mov_b64_e32 v[246:247], v[182:183]
	v_mov_b64_e32 v[244:245], v[180:181]
.LBB49_123:
	s_or_b64 exec, exec, s[2:3]
	v_cmp_eq_u32_e32 vcc, 24, v250
	s_waitcnt lgkmcnt(0)
	s_barrier
	s_and_saveexec_b64 s[2:3], vcc
	s_cbranch_execz .LBB49_126
; %bb.124:
	v_cmp_neq_f32_e32 vcc, 0, v255
	ds_write_b32 v251, v255
	s_and_b64 exec, exec, vcc
	s_cbranch_execz .LBB49_126
; %bb.125:
	v_div_scale_f32 v25, s[4:5], v255, v255, 1.0
	v_rcp_f32_e32 v26, v25
	v_div_scale_f32 v27, vcc, 1.0, v255, 1.0
	v_fma_f32 v28, -v25, v26, 1.0
	v_fmac_f32_e32 v26, v28, v26
	v_mul_f32_e32 v28, v27, v26
	v_fma_f32 v29, -v25, v28, v27
	v_fmac_f32_e32 v28, v29, v26
	v_fma_f32 v25, -v25, v28, v27
	v_div_fmas_f32 v25, v25, v26, v28
	v_div_fixup_f32 v25, v25, v255, 1.0
	ds_write_b32 v251, v25
.LBB49_126:
	s_or_b64 exec, exec, s[2:3]
	s_waitcnt lgkmcnt(0)
	s_barrier
	ds_read_b32 v25, v251
	s_waitcnt lgkmcnt(0)
	s_barrier
	s_and_saveexec_b64 s[2:3], s[0:1]
	s_cbranch_execz .LBB49_129
; %bb.127:
	scratch_load_dword v26, off, off offset:3784 ; 4-byte Folded Reload
	scratch_load_dword v27, off, off offset:2048 ; 4-byte Folded Reload
	;; [unrolled: 1-line block ×3, first 2 shown]
	scratch_load_dwordx2 v[30:31], off, off offset:3916 ; 8-byte Folded Reload
	s_waitcnt vmcnt(3)
	v_cmp_eq_f32_e32 vcc, 0, v26
	s_waitcnt vmcnt(2)
	v_cmp_neq_f32_e64 s[0:1], 0, v27
	v_cndmask_b32_e64 v26, 0, 1, vcc
	s_or_b64 vcc, s[0:1], vcc
	v_cndmask_b32_e32 v26, 2, v26, vcc
	s_waitcnt vmcnt(1)
	v_cmp_eq_f32_e32 vcc, 0, v0
	scratch_load_dword v0, off, off offset:1280 ; 4-byte Folded Reload
	v_cmp_eq_u32_e64 s[0:1], 0, v26
	s_and_b64 s[0:1], vcc, s[0:1]
	v_mov_b32_e32 v27, s7
	v_cndmask_b32_e64 v26, v26, 3, s[0:1]
	v_cmp_eq_u32_e64 s[0:1], 0, v26
	s_waitcnt vmcnt(0)
	v_cmp_eq_f32_e32 vcc, 0, v0
	scratch_load_dword v0, off, off offset:1664 ; 4-byte Folded Reload
	s_and_b64 s[0:1], vcc, s[0:1]
	v_cndmask_b32_e64 v26, v26, 4, s[0:1]
	v_cmp_eq_u32_e64 s[0:1], 0, v26
	s_waitcnt vmcnt(0)
	v_cmp_eq_f32_e32 vcc, 0, v0
	scratch_load_dword v0, off, off offset:1792 ; 4-byte Folded Reload
	s_and_b64 s[0:1], vcc, s[0:1]
	v_cndmask_b32_e64 v28, v26, 5, s[0:1]
	v_mov_b32_e32 v26, s6
	v_lshl_add_u64 v[26:27], v[30:31], 2, v[26:27]
	global_load_dword v29, v[26:27], off
	v_cmp_eq_u32_e64 s[0:1], 0, v28
	s_waitcnt vmcnt(1)
	v_cmp_eq_f32_e32 vcc, 0, v0
	scratch_load_dword v0, off, off offset:1920 ; 4-byte Folded Reload
	s_and_b64 s[0:1], vcc, s[0:1]
	v_cndmask_b32_e64 v28, v28, 6, s[0:1]
	v_cmp_eq_u32_e64 s[0:1], 0, v28
	s_waitcnt vmcnt(0)
	v_cmp_eq_f32_e32 vcc, 0, v0
	s_and_b64 s[0:1], vcc, s[0:1]
	v_cndmask_b32_e64 v28, v28, 7, s[0:1]
	v_cmp_eq_f32_e32 vcc, 0, v98
	v_cmp_eq_u32_e64 s[0:1], 0, v28
	s_and_b64 s[0:1], vcc, s[0:1]
	v_cmp_eq_f32_e32 vcc, 0, v99
	v_cndmask_b32_e64 v28, v28, 8, s[0:1]
	v_cmp_eq_u32_e64 s[0:1], 0, v28
	s_and_b64 s[0:1], vcc, s[0:1]
	v_cmp_eq_f32_e32 vcc, 0, v100
	v_cndmask_b32_e64 v28, v28, 9, s[0:1]
	;; [unrolled: 4-line block ×17, first 2 shown]
	v_cmp_eq_u32_e64 s[0:1], 0, v28
	s_and_b64 s[0:1], vcc, s[0:1]
	v_cmp_eq_u32_e32 vcc, 0, v29
	v_cndmask_b32_e64 v28, v28, 25, s[0:1]
	v_cmp_ne_u32_e64 s[0:1], 0, v28
	s_and_b64 s[0:1], vcc, s[0:1]
	s_and_b64 exec, exec, s[0:1]
	s_cbranch_execz .LBB49_129
; %bb.128:
	v_add_u32_e32 v28, s9, v28
	global_store_dword v[26:27], v28, off
.LBB49_129:
	s_or_b64 exec, exec, s[2:3]
	scratch_load_dwordx2 v[26:27], off, off offset:3584 ; 8-byte Folded Reload
	scratch_load_dwordx2 v[0:1], off, off offset:3600 ; 8-byte Folded Reload
	v_mul_f32_e32 v25, v255, v25
	v_cmp_lt_u32_e32 vcc, 24, v250
	s_waitcnt vmcnt(1)
	global_store_dword v[26:27], v218, off
	scratch_load_dwordx2 v[26:27], off, off offset:3592 ; 8-byte Folded Reload
	v_cndmask_b32_e32 v24, v242, v25, vcc
	s_waitcnt vmcnt(0)
	global_store_dword v[26:27], v219, off
	global_store_dword v[0:1], v220, off
	scratch_load_dwordx2 v[0:1], off, off offset:3608 ; 8-byte Folded Reload
	s_waitcnt vmcnt(0)
	global_store_dword v[0:1], v221, off
	scratch_load_dwordx2 v[0:1], off, off offset:3616 ; 8-byte Folded Reload
	s_waitcnt vmcnt(0)
	;; [unrolled: 3-line block ×22, first 2 shown]
	global_store_dword v[0:1], v24, off
.LBB49_130:
	s_endpgm
	.section	.rodata,"a",@progbits
	.p2align	6, 0x0
	.amdhsa_kernel _ZN9rocsolver6v33100L23getf2_npvt_small_kernelILi25EfiiPfEEvT1_T3_lS3_lPT2_S3_S3_
		.amdhsa_group_segment_fixed_size 0
		.amdhsa_private_segment_fixed_size 3928
		.amdhsa_kernarg_size 312
		.amdhsa_user_sgpr_count 2
		.amdhsa_user_sgpr_dispatch_ptr 0
		.amdhsa_user_sgpr_queue_ptr 0
		.amdhsa_user_sgpr_kernarg_segment_ptr 1
		.amdhsa_user_sgpr_dispatch_id 0
		.amdhsa_user_sgpr_kernarg_preload_length 0
		.amdhsa_user_sgpr_kernarg_preload_offset 0
		.amdhsa_user_sgpr_private_segment_size 0
		.amdhsa_uses_dynamic_stack 0
		.amdhsa_enable_private_segment 1
		.amdhsa_system_sgpr_workgroup_id_x 1
		.amdhsa_system_sgpr_workgroup_id_y 1
		.amdhsa_system_sgpr_workgroup_id_z 0
		.amdhsa_system_sgpr_workgroup_info 0
		.amdhsa_system_vgpr_workitem_id 1
		.amdhsa_next_free_vgpr 256
		.amdhsa_next_free_sgpr 16
		.amdhsa_accum_offset 256
		.amdhsa_reserve_vcc 1
		.amdhsa_float_round_mode_32 0
		.amdhsa_float_round_mode_16_64 0
		.amdhsa_float_denorm_mode_32 3
		.amdhsa_float_denorm_mode_16_64 3
		.amdhsa_dx10_clamp 1
		.amdhsa_ieee_mode 1
		.amdhsa_fp16_overflow 0
		.amdhsa_tg_split 0
		.amdhsa_exception_fp_ieee_invalid_op 0
		.amdhsa_exception_fp_denorm_src 0
		.amdhsa_exception_fp_ieee_div_zero 0
		.amdhsa_exception_fp_ieee_overflow 0
		.amdhsa_exception_fp_ieee_underflow 0
		.amdhsa_exception_fp_ieee_inexact 0
		.amdhsa_exception_int_div_zero 0
	.end_amdhsa_kernel
	.section	.text._ZN9rocsolver6v33100L23getf2_npvt_small_kernelILi25EfiiPfEEvT1_T3_lS3_lPT2_S3_S3_,"axG",@progbits,_ZN9rocsolver6v33100L23getf2_npvt_small_kernelILi25EfiiPfEEvT1_T3_lS3_lPT2_S3_S3_,comdat
.Lfunc_end49:
	.size	_ZN9rocsolver6v33100L23getf2_npvt_small_kernelILi25EfiiPfEEvT1_T3_lS3_lPT2_S3_S3_, .Lfunc_end49-_ZN9rocsolver6v33100L23getf2_npvt_small_kernelILi25EfiiPfEEvT1_T3_lS3_lPT2_S3_S3_
                                        ; -- End function
	.set _ZN9rocsolver6v33100L23getf2_npvt_small_kernelILi25EfiiPfEEvT1_T3_lS3_lPT2_S3_S3_.num_vgpr, 256
	.set _ZN9rocsolver6v33100L23getf2_npvt_small_kernelILi25EfiiPfEEvT1_T3_lS3_lPT2_S3_S3_.num_agpr, 0
	.set _ZN9rocsolver6v33100L23getf2_npvt_small_kernelILi25EfiiPfEEvT1_T3_lS3_lPT2_S3_S3_.numbered_sgpr, 16
	.set _ZN9rocsolver6v33100L23getf2_npvt_small_kernelILi25EfiiPfEEvT1_T3_lS3_lPT2_S3_S3_.num_named_barrier, 0
	.set _ZN9rocsolver6v33100L23getf2_npvt_small_kernelILi25EfiiPfEEvT1_T3_lS3_lPT2_S3_S3_.private_seg_size, 3928
	.set _ZN9rocsolver6v33100L23getf2_npvt_small_kernelILi25EfiiPfEEvT1_T3_lS3_lPT2_S3_S3_.uses_vcc, 1
	.set _ZN9rocsolver6v33100L23getf2_npvt_small_kernelILi25EfiiPfEEvT1_T3_lS3_lPT2_S3_S3_.uses_flat_scratch, 0
	.set _ZN9rocsolver6v33100L23getf2_npvt_small_kernelILi25EfiiPfEEvT1_T3_lS3_lPT2_S3_S3_.has_dyn_sized_stack, 0
	.set _ZN9rocsolver6v33100L23getf2_npvt_small_kernelILi25EfiiPfEEvT1_T3_lS3_lPT2_S3_S3_.has_recursion, 0
	.set _ZN9rocsolver6v33100L23getf2_npvt_small_kernelILi25EfiiPfEEvT1_T3_lS3_lPT2_S3_S3_.has_indirect_call, 0
	.section	.AMDGPU.csdata,"",@progbits
; Kernel info:
; codeLenInByte = 47236
; TotalNumSgprs: 22
; NumVgprs: 256
; NumAgprs: 0
; TotalNumVgprs: 256
; ScratchSize: 3928
; MemoryBound: 0
; FloatMode: 240
; IeeeMode: 1
; LDSByteSize: 0 bytes/workgroup (compile time only)
; SGPRBlocks: 2
; VGPRBlocks: 31
; NumSGPRsForWavesPerEU: 22
; NumVGPRsForWavesPerEU: 256
; AccumOffset: 256
; Occupancy: 2
; WaveLimiterHint : 0
; COMPUTE_PGM_RSRC2:SCRATCH_EN: 1
; COMPUTE_PGM_RSRC2:USER_SGPR: 2
; COMPUTE_PGM_RSRC2:TRAP_HANDLER: 0
; COMPUTE_PGM_RSRC2:TGID_X_EN: 1
; COMPUTE_PGM_RSRC2:TGID_Y_EN: 1
; COMPUTE_PGM_RSRC2:TGID_Z_EN: 0
; COMPUTE_PGM_RSRC2:TIDIG_COMP_CNT: 1
; COMPUTE_PGM_RSRC3_GFX90A:ACCUM_OFFSET: 63
; COMPUTE_PGM_RSRC3_GFX90A:TG_SPLIT: 0
	.section	.text._ZN9rocsolver6v33100L18getf2_small_kernelILi26EfiiPfEEvT1_T3_lS3_lPS3_llPT2_S3_S3_S5_l,"axG",@progbits,_ZN9rocsolver6v33100L18getf2_small_kernelILi26EfiiPfEEvT1_T3_lS3_lPS3_llPT2_S3_S3_S5_l,comdat
	.globl	_ZN9rocsolver6v33100L18getf2_small_kernelILi26EfiiPfEEvT1_T3_lS3_lPS3_llPT2_S3_S3_S5_l ; -- Begin function _ZN9rocsolver6v33100L18getf2_small_kernelILi26EfiiPfEEvT1_T3_lS3_lPS3_llPT2_S3_S3_S5_l
	.p2align	8
	.type	_ZN9rocsolver6v33100L18getf2_small_kernelILi26EfiiPfEEvT1_T3_lS3_lPS3_llPT2_S3_S3_S5_l,@function
_ZN9rocsolver6v33100L18getf2_small_kernelILi26EfiiPfEEvT1_T3_lS3_lPS3_llPT2_S3_S3_S5_l: ; @_ZN9rocsolver6v33100L18getf2_small_kernelILi26EfiiPfEEvT1_T3_lS3_lPS3_llPT2_S3_S3_S5_l
; %bb.0:
	s_load_dword s2, s[0:1], 0x6c
	s_load_dwordx2 s[14:15], s[0:1], 0x48
	v_bfe_u32 v4, v0, 10, 10
	s_waitcnt lgkmcnt(0)
	s_lshr_b32 s2, s2, 16
	s_mul_i32 s3, s3, s2
	v_add_u32_e32 v6, s3, v4
	v_cmp_gt_i32_e32 vcc, s14, v6
	s_and_saveexec_b64 s[2:3], vcc
	s_cbranch_execz .LBB50_442
; %bb.1:
	s_load_dwordx4 s[4:7], s[0:1], 0x50
	v_ashrrev_i32_e32 v7, 31, v6
	v_mov_b64_e32 v[2:3], 0
	scratch_store_dwordx2 off, v[2:3], off offset:2952 ; 8-byte Folded Spill
	s_waitcnt lgkmcnt(0)
	s_cmp_eq_u64 s[4:5], 0
	s_cselect_b64 s[16:17], -1, 0
	s_and_b64 vcc, exec, s[16:17]
	s_cbranch_vccnz .LBB50_3
; %bb.2:
	v_mul_lo_u32 v1, s7, v6
	v_mul_lo_u32 v5, s6, v7
	v_mad_u64_u32 v[2:3], s[2:3], s6, v6, 0
	v_add3_u32 v3, v3, v5, v1
	v_lshl_add_u64 v[2:3], v[2:3], 2, s[4:5]
	scratch_store_dwordx2 off, v[2:3], off offset:2952 ; 8-byte Folded Spill
.LBB50_3:
	s_load_dwordx4 s[24:27], s[0:1], 0x8
	s_load_dwordx8 s[4:11], s[0:1], 0x20
	s_load_dword s12, s[0:1], 0x18
	s_load_dword s22, s[0:1], 0x0
	scratch_store_dwordx2 off, v[6:7], off offset:3856 ; 8-byte Folded Spill
	s_waitcnt lgkmcnt(0)
	v_mov_b32_e32 v2, s24
	v_mul_lo_u32 v1, s5, v6
	v_mul_lo_u32 v5, s4, v7
	v_mad_u64_u32 v[6:7], s[2:3], s4, v6, 0
	v_mov_b32_e32 v3, s25
	v_add3_u32 v7, v7, v5, v1
	v_lshl_add_u64 v[2:3], v[6:7], 2, v[2:3]
	v_and_b32_e32 v1, 0x3ff, v0
	v_lshl_add_u64 v[250:251], s[26:27], 2, v[2:3]
	v_lshlrev_b32_e32 v2, 2, v1
	v_mov_b32_e32 v3, 0
	v_lshl_add_u64 v[6:7], v[250:251], 0, v[2:3]
	global_load_dword v0, v[6:7], off
	s_max_i32 s2, s22, 26
	s_add_i32 s14, s12, s12
	v_mul_lo_u32 v40, s2, v4
	v_add_u32_e32 v4, s14, v1
	v_add_u32_e32 v8, s12, v4
	;; [unrolled: 1-line block ×5, first 2 shown]
	s_ashr_i32 s13, s12, 31
	v_ashrrev_i32_e32 v5, 31, v4
	v_add_u32_e32 v16, s12, v14
	v_ashrrev_i32_e32 v9, 31, v8
	v_lshl_add_u64 v[4:5], v[4:5], 2, v[250:251]
	v_ashrrev_i32_e32 v11, 31, v10
	v_lshl_add_u64 v[6:7], s[12:13], 2, v[6:7]
	v_ashrrev_i32_e32 v13, 31, v12
	v_ashrrev_i32_e32 v15, 31, v14
	;; [unrolled: 1-line block ×3, first 2 shown]
	v_lshl_add_u64 v[8:9], v[8:9], 2, v[250:251]
	v_lshl_add_u64 v[10:11], v[10:11], 2, v[250:251]
	;; [unrolled: 1-line block ×5, first 2 shown]
	global_load_dword v215, v[6:7], off
	global_load_dword v54, v[4:5], off
	;; [unrolled: 1-line block ×7, first 2 shown]
	v_add_u32_e32 v4, s12, v16
	v_add_u32_e32 v6, s12, v4
	;; [unrolled: 1-line block ×13, first 2 shown]
	v_ashrrev_i32_e32 v29, 31, v28
	v_lshl_add_u64 v[30:31], v[28:29], 2, v[250:251]
	v_add_u32_e32 v28, s12, v28
	v_ashrrev_i32_e32 v29, 31, v28
	v_lshl_add_u64 v[32:33], v[28:29], 2, v[250:251]
	v_add_u32_e32 v28, s12, v28
	;; [unrolled: 3-line block ×4, first 2 shown]
	v_lshl_add_u32 v252, v40, 2, 0
	v_ashrrev_i32_e32 v29, 31, v28
	v_add_u32_e32 v2, v252, v2
	v_ashrrev_i32_e32 v5, 31, v4
	v_ashrrev_i32_e32 v25, 31, v24
	v_lshl_add_u64 v[38:39], v[28:29], 2, v[250:251]
	v_add_u32_e32 v28, s12, v28
	v_lshl_add_u64 v[4:5], v[4:5], 2, v[250:251]
	v_ashrrev_i32_e32 v7, 31, v6
	v_ashrrev_i32_e32 v9, 31, v8
	;; [unrolled: 1-line block ×9, first 2 shown]
	v_lshl_add_u64 v[24:25], v[24:25], 2, v[250:251]
	v_ashrrev_i32_e32 v27, 31, v26
	v_ashrrev_i32_e32 v29, 31, v28
	v_lshl_add_u64 v[6:7], v[6:7], 2, v[250:251]
	v_lshl_add_u64 v[8:9], v[8:9], 2, v[250:251]
	;; [unrolled: 1-line block ×10, first 2 shown]
	s_waitcnt vmcnt(7)
	ds_write_b32 v2, v0
	global_load_dword v255, v[38:39], off
	v_lshl_add_u64 v[28:29], v[28:29], 2, v[250:251]
	global_load_dword v48, v[4:5], off
	global_load_dword v41, v[6:7], off
	global_load_dword v44, v[8:9], off
	global_load_dword v39, v[10:11], off
	global_load_dword v42, v[12:13], off
	global_load_dword v227, v[14:15], off
	global_load_dword v228, v[16:17], off
	global_load_dword v229, v[18:19], off
	global_load_dword v230, v[20:21], off
	global_load_dword v231, v[22:23], off
	global_load_dword v46, v[24:25], off
	global_load_dword v233, v[26:27], off
	global_load_dword v56, v[30:31], off
	global_load_dword v235, v[32:33], off
	global_load_dword v236, v[34:35], off
                                        ; kill: killed $vgpr16_vgpr17
                                        ; kill: killed $vgpr18_vgpr19
                                        ; kill: killed $vgpr20_vgpr21
                                        ; kill: killed $vgpr22_vgpr23
                                        ; kill: killed $vgpr4_vgpr5
                                        ; kill: killed $vgpr24_vgpr25
                                        ; kill: killed $vgpr6_vgpr7
                                        ; kill: killed $vgpr26_vgpr27
                                        ; kill: killed $vgpr8_vgpr9
                                        ; kill: killed $vgpr30_vgpr31
                                        ; kill: killed $vgpr10_vgpr11
                                        ; kill: killed $vgpr32_vgpr33
                                        ; kill: killed $vgpr12_vgpr13
                                        ; kill: killed $vgpr34_vgpr35
                                        ; kill: killed $vgpr14_vgpr15
	global_load_dword v55, v[36:37], off
	global_load_dword v25, v[28:29], off
	v_mov_b32_e32 v214, v0
	s_load_dwordx2 s[4:5], s[0:1], 0x40
	s_cmp_lt_i32 s22, 2
                                        ; kill: killed $vgpr36_vgpr37
	scratch_store_dwordx4 off, v[0:3], off  ; 16-byte Folded Spill
	s_nop 0
	scratch_store_dwordx4 off, v[4:7], off offset:16 ; 16-byte Folded Spill
	scratch_store_dwordx4 off, v[8:11], off offset:32 ; 16-byte Folded Spill
	;; [unrolled: 1-line block ×5, first 2 shown]
	s_waitcnt vmcnt(6)
	scratch_store_dwordx4 off, v[24:27], off offset:96 ; 16-byte Folded Spill
	scratch_store_dwordx4 off, v[28:31], off offset:112 ; 16-byte Folded Spill
	s_waitcnt lgkmcnt(0)
	s_barrier
	ds_read_b32 v2, v252
	v_lshlrev_b32_e32 v7, 2, v40
                                        ; kill: killed $vgpr28_vgpr29
	s_cbranch_scc1 .LBB50_6
; %bb.4:
	v_add3_u32 v4, v7, 0, 4
	v_mov_b32_e32 v3, 0
	s_mov_b32 s0, 1
.LBB50_5:                               ; =>This Inner Loop Header: Depth=1
	ds_read_b32 v5, v4
	v_mov_b32_e32 v6, s0
	s_add_i32 s0, s0, 1
	v_add_u32_e32 v4, 4, v4
	s_cmp_eq_u32 s22, s0
	s_waitcnt lgkmcnt(0)
	v_cmp_lt_f32_e64 vcc, |v2|, |v5|
	s_nop 1
	v_cndmask_b32_e32 v2, v2, v5, vcc
	v_cndmask_b32_e32 v3, v3, v6, vcc
	s_cbranch_scc0 .LBB50_5
.LBB50_6:
	v_mov_b32_e32 v19, v233
	v_cmp_ne_u32_e32 vcc, v1, v3
	scratch_store_dword off, v7, off offset:1024 ; 4-byte Folded Spill
                                        ; implicit-def: $vgpr253
	s_and_saveexec_b64 s[0:1], vcc
	s_xor_b64 s[0:1], exec, s[0:1]
	s_cbranch_execz .LBB50_12
; %bb.7:
	v_cmp_eq_u32_e32 vcc, 0, v1
	s_and_saveexec_b64 s[2:3], vcc
	s_cbranch_execz .LBB50_11
; %bb.8:
	v_cmp_ne_u32_e32 vcc, 0, v3
	s_xor_b64 s[18:19], s[16:17], -1
	s_and_b64 s[20:21], s[18:19], vcc
	s_and_saveexec_b64 s[18:19], s[20:21]
	s_cbranch_execz .LBB50_10
; %bb.9:
	scratch_load_dwordx2 v[8:9], off, off offset:2952 ; 8-byte Folded Reload
	v_ashrrev_i32_e32 v5, 31, v3
	v_mov_b32_e32 v4, v3
	s_waitcnt vmcnt(0)
	v_lshl_add_u64 v[4:5], v[4:5], 2, v[8:9]
	global_load_dword v1, v[4:5], off
	global_load_dword v6, v[8:9], off
	s_waitcnt vmcnt(1)
	global_store_dword v[8:9], v1, off
	s_waitcnt vmcnt(1)
	global_store_dword v[4:5], v6, off
.LBB50_10:
	s_or_b64 exec, exec, s[18:19]
	v_mov_b32_e32 v1, v3
.LBB50_11:
	s_or_b64 exec, exec, s[2:3]
	v_mov_b32_e32 v253, v1
                                        ; implicit-def: $vgpr1
.LBB50_12:
	s_or_saveexec_b64 s[0:1], s[0:1]
	scratch_store_dword off, v253, off offset:1156 ; 4-byte Folded Spill
	s_xor_b64 exec, exec, s[0:1]
	s_cbranch_execz .LBB50_14
; %bb.13:
	ds_write2_b32 v252, v215, v54 offset0:1 offset1:2
	ds_write2_b32 v252, v53, v78 offset0:3 offset1:4
	;; [unrolled: 1-line block ×12, first 2 shown]
	scratch_load_dwordx4 v[4:7], off, off   ; 16-byte Folded Reload
	scratch_load_dwordx4 v[8:11], off, off offset:16 ; 16-byte Folded Reload
	scratch_load_dwordx4 v[12:15], off, off offset:32 ; 16-byte Folded Reload
	;; [unrolled: 1-line block ×7, first 2 shown]
	v_mov_b32_e32 v253, 0
	scratch_store_dword off, v1, off offset:1156 ; 4-byte Folded Spill
	s_waitcnt vmcnt(2)
	ds_write_b32 v252, v29 offset:100
.LBB50_14:
	s_or_b64 exec, exec, s[0:1]
	s_waitcnt lgkmcnt(0)
	v_cmp_eq_f32_e64 s[0:1], 0, v2
	v_cmp_gt_i32_e32 vcc, 1, v253
	s_barrier
	s_and_saveexec_b64 s[2:3], vcc
	s_xor_b64 s[2:3], exec, s[2:3]
; %bb.15:
                                        ; implicit-def: $vgpr2
; %bb.16:
	s_andn2_saveexec_b64 s[2:3], s[2:3]
	s_cbranch_execz .LBB50_18
; %bb.17:
	v_div_scale_f32 v1, s[18:19], v2, v2, 1.0
	v_rcp_f32_e32 v3, v1
	v_mov_b32_e32 v0, v214
	v_mov_b32_e32 v4, v215
	;; [unrolled: 1-line block ×3, first 2 shown]
	v_fma_f32 v26, -v1, v3, 1.0
	v_fmac_f32_e32 v3, v26, v3
	v_div_scale_f32 v26, vcc, 1.0, v2, 1.0
	v_mul_f32_e32 v27, v26, v3
	v_fma_f32 v28, -v1, v27, v26
	v_fmac_f32_e32 v27, v28, v3
	v_fma_f32 v1, -v1, v27, v26
	v_div_fmas_f32 v1, v1, v3, v27
	v_div_fixup_f32 v1, v1, v2, 1.0
	v_cndmask_b32_e64 v1, v1, v2, s[0:1]
	ds_read2_b32 v[2:3], v252 offset0:1 offset1:2
	ds_read2_b32 v[26:27], v252 offset0:3 offset1:4
	;; [unrolled: 1-line block ×3, first 2 shown]
	v_mov_b32_e32 v6, v53
	v_mov_b32_e32 v7, v78
	;; [unrolled: 1-line block ×4, first 2 shown]
	v_mul_f32_e32 v0, v0, v1
	ds_read2_b32 v[30:31], v252 offset0:7 offset1:8
	s_waitcnt lgkmcnt(3)
	v_pk_fma_f32 v[2:3], v[0:1], v[2:3], v[4:5] op_sel_hi:[0,1,1] neg_lo:[1,0,0] neg_hi:[1,0,0]
	s_waitcnt lgkmcnt(2)
	v_pk_fma_f32 v[4:5], v[0:1], v[26:27], v[6:7] op_sel_hi:[0,1,1] neg_lo:[1,0,0] neg_hi:[1,0,0]
	;; [unrolled: 2-line block ×3, first 2 shown]
	ds_read2_b32 v[8:9], v252 offset0:9 offset1:10
	ds_read2_b32 v[26:27], v252 offset0:11 offset1:12
	;; [unrolled: 1-line block ×3, first 2 shown]
	s_waitcnt vmcnt(1)
	ds_read2_b32 v[32:33], v252 offset0:15 offset1:16
	v_mov_b32_e32 v10, v43
	v_mov_b32_e32 v11, v48
	;; [unrolled: 1-line block ×10, first 2 shown]
	s_waitcnt lgkmcnt(4)
	v_pk_fma_f32 v[10:11], v[0:1], v[30:31], v[10:11] op_sel_hi:[0,1,1] neg_lo:[1,0,0] neg_hi:[1,0,0]
	s_waitcnt lgkmcnt(3)
	v_pk_fma_f32 v[8:9], v[0:1], v[8:9], v[12:13] op_sel_hi:[0,1,1] neg_lo:[1,0,0] neg_hi:[1,0,0]
	;; [unrolled: 2-line block ×5, first 2 shown]
	ds_read2_b32 v[18:19], v252 offset0:17 offset1:18
	ds_read2_b32 v[26:27], v252 offset0:19 offset1:20
	;; [unrolled: 1-line block ×4, first 2 shown]
	ds_read_b32 v1, v252 offset:100
	v_mov_b32_e32 v20, v231
	v_mov_b32_e32 v21, v46
	;; [unrolled: 1-line block ×7, first 2 shown]
	s_waitcnt lgkmcnt(0)
	v_pk_fma_f32 v[18:19], v[0:1], v[18:19], v[20:21] op_sel_hi:[0,1,1] neg_lo:[1,0,0] neg_hi:[1,0,0]
	v_pk_fma_f32 v[20:21], v[0:1], v[26:27], v[22:23] op_sel_hi:[0,1,1] neg_lo:[1,0,0] neg_hi:[1,0,0]
	;; [unrolled: 1-line block ×4, first 2 shown]
	scratch_load_dwordx4 v[24:27], off, off ; 16-byte Folded Reload
	scratch_load_dwordx4 v[28:31], off, off offset:16 ; 16-byte Folded Reload
	scratch_load_dwordx4 v[32:35], off, off offset:32 ; 16-byte Folded Reload
	;; [unrolled: 1-line block ×7, first 2 shown]
	v_mov_b32_e32 v214, v0
	v_mov_b32_e32 v215, v2
	v_mov_b32_e32 v78, v5
	v_mov_b32_e32 v85, v6
	v_mov_b32_e32 v227, v14
	v_mov_b32_e32 v228, v15
	v_mov_b32_e32 v229, v16
	v_mov_b32_e32 v230, v17
	v_mov_b32_e32 v231, v18
	v_mov_b32_e32 v233, v20
	v_mov_b32_e32 v56, v21
	v_mov_b32_e32 v235, v22
	v_mov_b32_e32 v236, v23
	s_waitcnt vmcnt(1)
	v_fma_f32 v49, -v0, v1, v49
	scratch_store_dwordx4 off, v[24:27], off ; 16-byte Folded Spill
	s_nop 0
	scratch_store_dwordx4 off, v[28:31], off offset:16 ; 16-byte Folded Spill
	scratch_store_dwordx4 off, v[32:35], off offset:32 ; 16-byte Folded Spill
	;; [unrolled: 1-line block ×6, first 2 shown]
	s_waitcnt vmcnt(7)
	scratch_store_dwordx4 off, v[52:55], off offset:112 ; 16-byte Folded Spill
	v_mov_b32_e32 v43, v10
	v_mov_b32_e32 v50, v7
	;; [unrolled: 1-line block ×11, first 2 shown]
.LBB50_18:
	s_or_b64 exec, exec, s[2:3]
	v_lshl_add_u32 v1, v253, 2, v252
	s_barrier
	ds_write_b32 v1, v215
	s_waitcnt lgkmcnt(0)
	s_barrier
	ds_read_b32 v254, v252 offset:4
	s_mov_b32 s2, 2
	s_cmp_lt_i32 s22, 3
	v_mov_b32_e32 v2, 1
	s_cbranch_scc1 .LBB50_21
; %bb.19:
	scratch_load_dword v1, off, off offset:1024 ; 4-byte Folded Reload
	v_mov_b32_e32 v2, 1
	s_waitcnt vmcnt(0)
	v_add3_u32 v1, v1, 0, 8
.LBB50_20:                              ; =>This Inner Loop Header: Depth=1
	ds_read_b32 v3, v1
	v_mov_b32_e32 v4, s2
	s_add_i32 s2, s2, 1
	v_add_u32_e32 v1, 4, v1
	s_cmp_lg_u32 s22, s2
	s_waitcnt lgkmcnt(0)
	v_cmp_lt_f32_e64 vcc, |v254|, |v3|
	s_nop 1
	v_cndmask_b32_e32 v254, v254, v3, vcc
	v_cndmask_b32_e32 v2, v2, v4, vcc
	s_cbranch_scc1 .LBB50_20
.LBB50_21:
	v_cmp_ne_u32_e32 vcc, v253, v2
	s_and_saveexec_b64 s[2:3], vcc
	s_xor_b64 s[2:3], exec, s[2:3]
	s_cbranch_execz .LBB50_27
; %bb.22:
	v_cmp_eq_u32_e32 vcc, 1, v253
	s_and_saveexec_b64 s[18:19], vcc
	s_cbranch_execz .LBB50_26
; %bb.23:
	v_cmp_ne_u32_e32 vcc, 1, v2
	s_xor_b64 s[20:21], s[16:17], -1
	s_and_b64 s[24:25], s[20:21], vcc
	s_and_saveexec_b64 s[20:21], s[24:25]
	s_cbranch_execz .LBB50_25
; %bb.24:
	scratch_load_dwordx2 v[6:7], off, off offset:2952 ; 8-byte Folded Reload
	v_ashrrev_i32_e32 v3, 31, v2
	s_waitcnt vmcnt(0)
	v_lshl_add_u64 v[4:5], v[2:3], 2, v[6:7]
	global_load_dword v1, v[4:5], off
	global_load_dword v3, v[6:7], off offset:4
	s_waitcnt vmcnt(1)
	global_store_dword v[6:7], v1, off offset:4
	s_waitcnt vmcnt(1)
	global_store_dword v[4:5], v3, off
.LBB50_25:
	s_or_b64 exec, exec, s[20:21]
	v_mov_b32_e32 v1, v2
	v_mov_b32_e32 v253, v2
	scratch_store_dword off, v1, off offset:1156 ; 4-byte Folded Spill
.LBB50_26:
	s_or_b64 exec, exec, s[18:19]
.LBB50_27:
	s_or_saveexec_b64 s[2:3], s[2:3]
	scratch_load_dwordx4 v[116:119], off, off ; 16-byte Folded Reload
	scratch_load_dwordx4 v[120:123], off, off offset:16 ; 16-byte Folded Reload
	scratch_load_dwordx4 v[124:127], off, off offset:32 ; 16-byte Folded Reload
	;; [unrolled: 1-line block ×7, first 2 shown]
	v_mov_b32_e32 v87, v215
	v_mov_b32_e32 v216, v54
	;; [unrolled: 1-line block ×28, first 2 shown]
	s_waitcnt vmcnt(1)
	v_mov_b32_e32 v239, v141
	scratch_store_dwordx4 off, v[214:217], off offset:3088 ; 16-byte Folded Spill
	s_nop 0
	scratch_store_dwordx4 off, v[218:221], off offset:3104 ; 16-byte Folded Spill
	scratch_store_dwordx4 off, v[222:225], off offset:3120 ; 16-byte Folded Spill
	;; [unrolled: 1-line block ×7, first 2 shown]
	s_xor_b64 exec, exec, s[2:3]
	s_cbranch_execz .LBB50_29
; %bb.28:
	ds_write2_b32 v252, v54, v73 offset0:2 offset1:3
	ds_write2_b32 v252, v78, v85 offset0:4 offset1:5
	ds_write2_b32 v252, v50, v43 offset0:6 offset1:7
	ds_write2_b32 v252, v48, v41 offset0:8 offset1:9
	ds_write2_b32 v252, v44, v39 offset0:10 offset1:11
	ds_write2_b32 v252, v42, v13 offset0:12 offset1:13
	ds_write2_b32 v252, v190, v109 offset0:14 offset1:15
	ds_write2_b32 v252, v16, v209 offset0:16 offset1:17
	ds_write2_b32 v252, v18, v153 offset0:18 offset1:19
	ds_write2_b32 v252, v20, v175 offset0:20 offset1:21
	ds_write2_b32 v252, v22, v23 offset0:22 offset1:23
	scratch_load_dwordx4 v[110:113], off, off ; 16-byte Folded Reload
	scratch_load_dwordx4 v[114:117], off, off offset:16 ; 16-byte Folded Reload
	scratch_load_dwordx4 v[118:121], off, off offset:32 ; 16-byte Folded Reload
	;; [unrolled: 1-line block ×7, first 2 shown]
	v_mov_b32_e32 v253, 1
	s_waitcnt vmcnt(1)
	ds_write2_b32 v252, v255, v135 offset0:24 offset1:25
.LBB50_29:
	s_or_b64 exec, exec, s[2:3]
	scratch_load_dwordx4 v[110:113], off, off offset:3088 ; 16-byte Folded Reload
	scratch_load_dwordx4 v[114:117], off, off offset:3104 ; 16-byte Folded Reload
	;; [unrolled: 1-line block ×8, first 2 shown]
	v_mov_b32_e32 v2, v54
	v_mov_b32_e32 v72, v54
	;; [unrolled: 1-line block ×55, first 2 shown]
	s_waitcnt lgkmcnt(0)
	v_cmp_neq_f32_e64 s[2:3], 0, v254
	v_cmp_lt_i32_e32 vcc, 1, v253
	s_waitcnt vmcnt(0)
	v_mov_b64_e32 v[138:139], v[124:125]
	v_mov_b64_e32 v[136:137], v[122:123]
	;; [unrolled: 1-line block ×8, first 2 shown]
	v_mov_b32_e32 v0, v124
	v_mov_b32_e32 v10, v2
	v_mov_b32_e32 v56, v124
	v_mov_b32_e32 v58, v10
	v_mov_b64_e32 v[98:99], v[66:67]
	v_mov_b32_e32 v24, v124
	v_mov_b32_e32 v26, v10
	;; [unrolled: 1-line block ×3, first 2 shown]
	v_mov_b64_e32 v[96:97], v[64:65]
	v_mov_b64_e32 v[94:95], v[62:63]
	;; [unrolled: 1-line block ×5, first 2 shown]
	v_mov_b32_e32 v64, v32
	v_mov_b32_e32 v122, v48
	;; [unrolled: 1-line block ×29, first 2 shown]
	v_mov_b64_e32 v[148:149], v[136:137]
	v_mov_b64_e32 v[146:147], v[134:135]
	;; [unrolled: 1-line block ×7, first 2 shown]
	v_mov_b32_e32 v121, v43
	v_mov_b64_e32 v[42:43], v[6:7]
	v_mov_b32_e32 v25, v45
	v_mov_b32_e32 v26, v46
	;; [unrolled: 1-line block ×10, first 2 shown]
	v_mov_b64_e32 v[134:135], v[96:97]
	v_mov_b64_e32 v[132:133], v[94:95]
	;; [unrolled: 1-line block ×7, first 2 shown]
	v_mov_b32_e32 v11, v99
	v_mov_b32_e32 v12, v150
	;; [unrolled: 1-line block ×15, first 2 shown]
	v_mov_b64_e32 v[200:201], v[134:135]
	v_mov_b64_e32 v[198:199], v[132:133]
	v_mov_b64_e32 v[196:197], v[130:131]
	v_mov_b64_e32 v[194:195], v[128:129]
	v_mov_b64_e32 v[192:193], v[126:127]
	v_mov_b32_e32 v106, v150
	v_mov_b64_e32 v[218:219], v[146:147]
	v_mov_b64_e32 v[216:217], v[144:145]
	;; [unrolled: 1-line block ×5, first 2 shown]
	v_mov_b32_e32 v222, v150
	v_mov_b64_e32 v[140:141], v[108:109]
	v_mov_b32_e32 v88, v124
	v_mov_b32_e32 v89, v87
	;; [unrolled: 1-line block ×5, first 2 shown]
	v_mov_b64_e32 v[138:139], v[106:107]
	v_mov_b64_e32 v[136:137], v[104:105]
	;; [unrolled: 1-line block ×7, first 2 shown]
	v_mov_b32_e32 v90, v46
	v_mov_b32_e32 v91, v73
	;; [unrolled: 1-line block ×22, first 2 shown]
	v_mov_b64_e32 v[48:49], v[88:89]
	v_mov_b32_e32 v70, v124
	v_mov_b32_e32 v74, v124
	;; [unrolled: 1-line block ×6, first 2 shown]
	v_mov_b64_e32 v[50:51], v[90:91]
	v_mov_b64_e32 v[52:53], v[92:93]
	;; [unrolled: 1-line block ×7, first 2 shown]
	v_mov_b32_e32 v64, v16
	v_mov_b32_e32 v117, v73
	;; [unrolled: 1-line block ×4, first 2 shown]
	scratch_store_dwordx4 off, v[44:47], off offset:1800 ; 16-byte Folded Spill
	s_nop 0
	scratch_store_dwordx4 off, v[48:51], off offset:1816 ; 16-byte Folded Spill
	scratch_store_dwordx4 off, v[52:55], off offset:1832 ; 16-byte Folded Spill
	;; [unrolled: 1-line block ×7, first 2 shown]
	v_mov_b64_e32 v[40:41], v[4:5]
	v_mov_b64_e32 v[38:39], v[2:3]
	;; [unrolled: 1-line block ×3, first 2 shown]
	v_mov_b32_e32 v183, v43
	scratch_store_dwordx4 off, v[36:39], off offset:1672 ; 16-byte Folded Spill
	s_nop 0
	scratch_store_dwordx4 off, v[40:43], off offset:1688 ; 16-byte Folded Spill
	scratch_store_dwordx4 off, v[44:47], off offset:1704 ; 16-byte Folded Spill
	;; [unrolled: 1-line block ×7, first 2 shown]
	v_mov_b32_e32 v116, v10
	v_mov_b32_e32 v10, v34
	;; [unrolled: 1-line block ×18, first 2 shown]
	scratch_store_dwordx4 off, v[142:145], off offset:1928 ; 16-byte Folded Spill
	s_nop 0
	scratch_store_dwordx4 off, v[146:149], off offset:1944 ; 16-byte Folded Spill
	scratch_store_dwordx4 off, v[150:153], off offset:1960 ; 16-byte Folded Spill
	scratch_store_dwordx4 off, v[154:157], off offset:1976 ; 16-byte Folded Spill
	scratch_store_dwordx4 off, v[158:161], off offset:1992 ; 16-byte Folded Spill
	scratch_store_dwordx4 off, v[162:165], off offset:2008 ; 16-byte Folded Spill
	scratch_store_dwordx4 off, v[166:169], off offset:2024 ; 16-byte Folded Spill
	scratch_store_dwordx4 off, v[170:173], off offset:2040 ; 16-byte Folded Spill
	scratch_store_dwordx4 off, v[28:31], off offset:2056 ; 16-byte Folded Spill
	s_nop 0
	scratch_store_dwordx4 off, v[32:35], off offset:2072 ; 16-byte Folded Spill
	scratch_store_dwordx4 off, v[36:39], off offset:2088 ; 16-byte Folded Spill
	scratch_store_dwordx4 off, v[40:43], off offset:2104 ; 16-byte Folded Spill
	scratch_store_dwordx4 off, v[44:47], off offset:2120 ; 16-byte Folded Spill
	scratch_store_dwordx4 off, v[48:51], off offset:2136 ; 16-byte Folded Spill
	scratch_store_dwordx4 off, v[52:55], off offset:2152 ; 16-byte Folded Spill
	scratch_store_dwordx4 off, v[56:59], off offset:2168 ; 16-byte Folded Spill
	scratch_store_dwordx4 off, v[192:195], off offset:2184 ; 16-byte Folded Spill
	s_nop 0
	scratch_store_dwordx4 off, v[196:199], off offset:2200 ; 16-byte Folded Spill
	scratch_store_dwordx4 off, v[200:203], off offset:2216 ; 16-byte Folded Spill
	scratch_store_dwordx4 off, v[204:207], off offset:2232 ; 16-byte Folded Spill
	scratch_store_dwordx4 off, v[208:211], off offset:2248 ; 16-byte Folded Spill
	scratch_store_dwordx4 off, v[212:215], off offset:2264 ; 16-byte Folded Spill
	scratch_store_dwordx4 off, v[216:219], off offset:2280 ; 16-byte Folded Spill
	scratch_store_dwordx4 off, v[220:223], off offset:2296 ; 16-byte Folded Spill
	v_mov_b64_e32 v[238:239], v[140:141]
	v_mov_b32_e32 v9, v1
	v_mov_b64_e32 v[236:237], v[138:139]
	v_mov_b64_e32 v[234:235], v[136:137]
	;; [unrolled: 1-line block ×7, first 2 shown]
	v_mov_b32_e32 v118, v78
	v_mov_b32_e32 v9, v123
	;; [unrolled: 1-line block ×6, first 2 shown]
	v_mov_b64_e32 v[34:35], v[10:11]
	v_mov_b64_e32 v[36:37], v[12:13]
	scratch_store_dwordx4 off, v[48:51], off offset:128 ; 16-byte Folded Spill
	s_nop 0
	scratch_store_dwordx4 off, v[52:55], off offset:144 ; 16-byte Folded Spill
	scratch_store_dwordx4 off, v[56:59], off offset:160 ; 16-byte Folded Spill
	;; [unrolled: 1-line block ×7, first 2 shown]
	v_mov_b64_e32 v[32:33], v[8:9]
	v_mov_b64_e32 v[30:31], v[6:7]
	;; [unrolled: 1-line block ×5, first 2 shown]
	v_mov_b32_e32 v10, v38
	scratch_load_dwordx4 v[38:41], off, off offset:128 ; 16-byte Folded Reload
	scratch_load_dwordx4 v[42:45], off, off offset:144 ; 16-byte Folded Reload
	;; [unrolled: 1-line block ×8, first 2 shown]
	v_mov_b64_e32 v[126:127], v[210:211]
	v_mov_b64_e32 v[128:129], v[212:213]
	;; [unrolled: 1-line block ×6, first 2 shown]
	v_mov_b32_e32 v138, v222
	v_mov_b32_e32 v12, v222
	v_mov_b64_e32 v[218:219], v[186:187]
	v_mov_b32_e32 v222, v190
	v_mov_b32_e32 v11, v203
	v_mov_b64_e32 v[216:217], v[184:185]
	v_mov_b64_e32 v[214:215], v[182:183]
	;; [unrolled: 1-line block ×5, first 2 shown]
	v_mov_b32_e32 v221, v189
	v_mov_b32_e32 v220, v188
	scratch_load_dwordx4 v[176:179], off, off offset:1800 ; 16-byte Folded Reload
	scratch_load_dwordx4 v[180:183], off, off offset:1816 ; 16-byte Folded Reload
	;; [unrolled: 1-line block ×8, first 2 shown]
	v_mov_b32_e32 v14, v222
	v_mov_b32_e32 v15, v239
	s_waitcnt vmcnt(9)
	v_mov_b32_e32 v62, v222
	v_mov_b32_e32 v8, v150
	s_waitcnt vmcnt(8)
	v_mov_b32_e32 v67, v153
	v_mov_b64_e32 v[154:155], v[136:137]
	v_mov_b64_e32 v[152:153], v[134:135]
	;; [unrolled: 1-line block ×7, first 2 shown]
	v_mov_b32_e32 v13, v37
	v_mov_b32_e32 v60, v138
	;; [unrolled: 1-line block ×4, first 2 shown]
	v_mov_b64_e32 v[134:135], v[32:33]
	v_mov_b64_e32 v[132:133], v[30:31]
	;; [unrolled: 1-line block ×6, first 2 shown]
	v_mov_b32_e32 v104, v16
	v_mov_b32_e32 v48, v124
	v_mov_b32_e32 v49, v87
	v_mov_b32_e32 v53, v85
	v_mov_b32_e32 v57, v123
	v_mov_b32_e32 v6, v170
	v_mov_b32_e32 v9, v123
	v_mov_b32_e32 v17, v105
	v_mov_b32_e32 v66, v18
	v_mov_b32_e32 v88, v124
	v_mov_b32_e32 v89, v87
	v_mov_b32_e32 v114, v124
	v_mov_b32_e32 v115, v87
	v_mov_b32_e32 v119, v85
	v_mov_b32_e32 v65, v105
	v_mov_b32_e32 v86, v124
	v_mov_b32_e32 v80, v124
	v_mov_b32_e32 v51, v73
	v_mov_b32_e32 v52, v78
	v_mov_b32_e32 v16, v54
	v_mov_b32_e32 v54, v170
	s_waitcnt vmcnt(7)
	v_mov_b32_e32 v50, v178
	scratch_load_dwordx4 v[176:179], off, off offset:1672 ; 16-byte Folded Reload
	scratch_load_dwordx4 v[180:183], off, off offset:1688 ; 16-byte Folded Reload
	scratch_load_dwordx4 v[184:187], off, off offset:1704 ; 16-byte Folded Reload
	scratch_load_dwordx4 v[188:191], off, off offset:1720 ; 16-byte Folded Reload
	scratch_load_dwordx4 v[192:195], off, off offset:1736 ; 16-byte Folded Reload
	scratch_load_dwordx4 v[196:199], off, off offset:1752 ; 16-byte Folded Reload
	scratch_load_dwordx4 v[200:203], off, off offset:1768 ; 16-byte Folded Reload
	scratch_load_dwordx4 v[204:207], off, off offset:1784 ; 16-byte Folded Reload
	s_waitcnt vmcnt(6)
	v_mov_b32_e32 v55, v183
	scratch_load_dwordx4 v[176:179], off, off offset:1928 ; 16-byte Folded Reload
	scratch_load_dwordx4 v[180:183], off, off offset:1944 ; 16-byte Folded Reload
	scratch_load_dwordx4 v[184:187], off, off offset:1960 ; 16-byte Folded Reload
	scratch_load_dwordx4 v[188:191], off, off offset:1976 ; 16-byte Folded Reload
	scratch_load_dwordx4 v[192:195], off, off offset:1992 ; 16-byte Folded Reload
	scratch_load_dwordx4 v[196:199], off, off offset:2008 ; 16-byte Folded Reload
	scratch_load_dwordx4 v[200:203], off, off offset:2024 ; 16-byte Folded Reload
	scratch_load_dwordx4 v[204:207], off, off offset:2040 ; 16-byte Folded Reload
	;; [unrolled: 10-line block ×4, first 2 shown]
	s_nop 0
	scratch_store_dwordx4 off, v[208:211], off offset:1028 ; 16-byte Folded Spill
	s_nop 0
	scratch_store_dwordx4 off, v[212:215], off offset:1044 ; 16-byte Folded Spill
	scratch_store_dwordx4 off, v[216:219], off offset:1060 ; 16-byte Folded Spill
	;; [unrolled: 1-line block ×7, first 2 shown]
	v_mov_b32_e32 v210, v124
	v_mov_b32_e32 v211, v87
	;; [unrolled: 1-line block ×7, first 2 shown]
	v_mov_b64_e32 v[26:27], v[224:225]
	v_mov_b64_e32 v[28:29], v[226:227]
	;; [unrolled: 1-line block ×8, first 2 shown]
	scratch_store_dwordx4 off, v[26:29], off offset:2824 ; 16-byte Folded Spill
	s_nop 0
	scratch_store_dwordx4 off, v[30:33], off offset:2840 ; 16-byte Folded Spill
	scratch_store_dwordx4 off, v[34:37], off offset:2856 ; 16-byte Folded Spill
	;; [unrolled: 1-line block ×7, first 2 shown]
	s_waitcnt vmcnt(21)
	v_mov_b32_e32 v59, v187
	scratch_load_dwordx4 v[176:179], off, off offset:128 ; 16-byte Folded Reload
	scratch_load_dwordx4 v[180:183], off, off offset:144 ; 16-byte Folded Reload
	;; [unrolled: 1-line block ×8, first 2 shown]
	v_mov_b32_e32 v38, v156
	v_mov_b32_e32 v39, v139
	;; [unrolled: 1-line block ×18, first 2 shown]
	s_waitcnt vmcnt(3)
	v_mov_b32_e32 v64, v192
	scratch_load_dwordx4 v[176:179], off, off offset:1800 ; 16-byte Folded Reload
	scratch_load_dwordx4 v[180:183], off, off offset:1816 ; 16-byte Folded Reload
	scratch_load_dwordx4 v[184:187], off, off offset:1832 ; 16-byte Folded Reload
	scratch_load_dwordx4 v[188:191], off, off offset:1848 ; 16-byte Folded Reload
	scratch_load_dwordx4 v[192:195], off, off offset:1864 ; 16-byte Folded Reload
	scratch_load_dwordx4 v[196:199], off, off offset:1880 ; 16-byte Folded Reload
	scratch_load_dwordx4 v[200:203], off, off offset:1896 ; 16-byte Folded Reload
	scratch_load_dwordx4 v[204:207], off, off offset:1912 ; 16-byte Folded Reload
	s_waitcnt vmcnt(7)
	v_mov_b32_e32 v28, v178
	scratch_load_dwordx4 v[176:179], off, off offset:1672 ; 16-byte Folded Reload
	scratch_load_dwordx4 v[180:183], off, off offset:1688 ; 16-byte Folded Reload
	scratch_load_dwordx4 v[184:187], off, off offset:1704 ; 16-byte Folded Reload
	scratch_load_dwordx4 v[188:191], off, off offset:1720 ; 16-byte Folded Reload
	scratch_load_dwordx4 v[192:195], off, off offset:1736 ; 16-byte Folded Reload
	scratch_load_dwordx4 v[196:199], off, off offset:1752 ; 16-byte Folded Reload
	scratch_load_dwordx4 v[200:203], off, off offset:1768 ; 16-byte Folded Reload
	scratch_load_dwordx4 v[204:207], off, off offset:1784 ; 16-byte Folded Reload
	;; [unrolled: 10-line block ×5, first 2 shown]
	s_nop 0
	scratch_store_dwordx4 off, v[126:129], off offset:1160 ; 16-byte Folded Spill
	s_nop 0
	scratch_store_dwordx4 off, v[130:133], off offset:1176 ; 16-byte Folded Spill
	scratch_store_dwordx4 off, v[134:137], off offset:1192 ; 16-byte Folded Spill
	;; [unrolled: 1-line block ×7, first 2 shown]
	v_mov_b64_e32 v[140:141], v[102:103]
	v_mov_b64_e32 v[138:139], v[100:101]
	;; [unrolled: 1-line block ×9, first 2 shown]
	v_mov_b32_e32 v227, v143
	v_mov_b64_e32 v[88:89], v[144:145]
	s_waitcnt vmcnt(13)
	v_mov_b32_e32 v37, v187
	scratch_load_dwordx4 v[176:179], off, off offset:1028 ; 16-byte Folded Reload
	scratch_load_dwordx4 v[180:183], off, off offset:1044 ; 16-byte Folded Reload
	;; [unrolled: 1-line block ×8, first 2 shown]
	v_mov_b64_e32 v[90:91], v[146:147]
	v_mov_b64_e32 v[92:93], v[148:149]
	;; [unrolled: 1-line block ×5, first 2 shown]
	v_mov_b32_e32 v100, v156
	v_mov_b32_e32 v222, v156
	s_waitcnt vmcnt(4)
	v_mov_b32_e32 v40, v190
	scratch_load_dwordx4 v[176:179], off, off offset:128 ; 16-byte Folded Reload
	scratch_load_dwordx4 v[180:183], off, off offset:144 ; 16-byte Folded Reload
	scratch_load_dwordx4 v[184:187], off, off offset:160 ; 16-byte Folded Reload
	scratch_load_dwordx4 v[188:191], off, off offset:176 ; 16-byte Folded Reload
	scratch_load_dwordx4 v[192:195], off, off offset:192 ; 16-byte Folded Reload
	scratch_load_dwordx4 v[196:199], off, off offset:208 ; 16-byte Folded Reload
	scratch_load_dwordx4 v[200:203], off, off offset:224 ; 16-byte Folded Reload
	scratch_load_dwordx4 v[204:207], off, off offset:240 ; 16-byte Folded Reload
	s_waitcnt vmcnt(3)
	v_mov_b32_e32 v42, v192
	scratch_load_dwordx4 v[172:175], off, off offset:1800 ; 16-byte Folded Reload
	scratch_load_dwordx4 v[176:179], off, off offset:1816 ; 16-byte Folded Reload
	scratch_load_dwordx4 v[180:183], off, off offset:1832 ; 16-byte Folded Reload
	scratch_load_dwordx4 v[184:187], off, off offset:1848 ; 16-byte Folded Reload
	scratch_load_dwordx4 v[188:191], off, off offset:1864 ; 16-byte Folded Reload
	scratch_load_dwordx4 v[192:195], off, off offset:1880 ; 16-byte Folded Reload
	scratch_load_dwordx4 v[196:199], off, off offset:1896 ; 16-byte Folded Reload
	scratch_load_dwordx4 v[200:203], off, off offset:1912 ; 16-byte Folded Reload
	;; [unrolled: 10-line block ×10, first 2 shown]
	s_nop 0
	scratch_store_dwordx4 off, v[0:3], off offset:512 ; 16-byte Folded Spill
	s_nop 0
	scratch_store_dwordx4 off, v[4:7], off offset:528 ; 16-byte Folded Spill
	scratch_store_dwordx4 off, v[8:11], off offset:544 ; 16-byte Folded Spill
	;; [unrolled: 1-line block ×7, first 2 shown]
	v_mov_b32_e32 v12, v156
	v_mov_b32_e32 v17, v143
	;; [unrolled: 1-line block ×4, first 2 shown]
	s_waitcnt vmcnt(11)
	v_mov_b32_e32 v226, v188
	scratch_load_dwordx4 v[172:175], off, off offset:1800 ; 16-byte Folded Reload
	scratch_load_dwordx4 v[176:179], off, off offset:1816 ; 16-byte Folded Reload
	scratch_load_dwordx4 v[180:183], off, off offset:1832 ; 16-byte Folded Reload
	scratch_load_dwordx4 v[184:187], off, off offset:1848 ; 16-byte Folded Reload
	scratch_load_dwordx4 v[188:191], off, off offset:1864 ; 16-byte Folded Reload
	scratch_load_dwordx4 v[192:195], off, off offset:1880 ; 16-byte Folded Reload
	scratch_load_dwordx4 v[196:199], off, off offset:1896 ; 16-byte Folded Reload
	scratch_load_dwordx4 v[200:203], off, off offset:1912 ; 16-byte Folded Reload
	s_waitcnt vmcnt(7)
	v_mov_b32_e32 v2, v174
	scratch_load_dwordx4 v[172:175], off, off offset:1672 ; 16-byte Folded Reload
	scratch_load_dwordx4 v[176:179], off, off offset:1688 ; 16-byte Folded Reload
	scratch_load_dwordx4 v[180:183], off, off offset:1704 ; 16-byte Folded Reload
	scratch_load_dwordx4 v[184:187], off, off offset:1720 ; 16-byte Folded Reload
	scratch_load_dwordx4 v[188:191], off, off offset:1736 ; 16-byte Folded Reload
	scratch_load_dwordx4 v[192:195], off, off offset:1752 ; 16-byte Folded Reload
	scratch_load_dwordx4 v[196:199], off, off offset:1768 ; 16-byte Folded Reload
	scratch_load_dwordx4 v[200:203], off, off offset:1784 ; 16-byte Folded Reload
	;; [unrolled: 10-line block ×5, first 2 shown]
	s_nop 0
	scratch_store_dwordx4 off, v[88:91], off offset:1288 ; 16-byte Folded Spill
	s_nop 0
	scratch_store_dwordx4 off, v[92:95], off offset:1304 ; 16-byte Folded Spill
	scratch_store_dwordx4 off, v[96:99], off offset:1320 ; 16-byte Folded Spill
	;; [unrolled: 1-line block ×7, first 2 shown]
	v_mov_b32_e32 v90, v124
	v_mov_b32_e32 v113, v23
	v_mov_b64_e32 v[88:89], v[86:87]
	v_mov_b32_e32 v86, v22
	s_waitcnt vmcnt(13)
	v_mov_b32_e32 v11, v183
	scratch_load_dwordx4 v[172:175], off, off offset:1160 ; 16-byte Folded Reload
	scratch_load_dwordx4 v[176:179], off, off offset:1176 ; 16-byte Folded Reload
	scratch_load_dwordx4 v[180:183], off, off offset:1192 ; 16-byte Folded Reload
	scratch_load_dwordx4 v[184:187], off, off offset:1208 ; 16-byte Folded Reload
	scratch_load_dwordx4 v[188:191], off, off offset:1224 ; 16-byte Folded Reload
	scratch_load_dwordx4 v[192:195], off, off offset:1240 ; 16-byte Folded Reload
	scratch_load_dwordx4 v[196:199], off, off offset:1256 ; 16-byte Folded Reload
	scratch_load_dwordx4 v[200:203], off, off offset:1272 ; 16-byte Folded Reload
	s_waitcnt vmcnt(4)
	v_mov_b32_e32 v13, v185
	scratch_load_dwordx4 v[172:175], off, off offset:1028 ; 16-byte Folded Reload
	scratch_load_dwordx4 v[176:179], off, off offset:1044 ; 16-byte Folded Reload
	scratch_load_dwordx4 v[180:183], off, off offset:1060 ; 16-byte Folded Reload
	scratch_load_dwordx4 v[184:187], off, off offset:1076 ; 16-byte Folded Reload
	scratch_load_dwordx4 v[188:191], off, off offset:1092 ; 16-byte Folded Reload
	scratch_load_dwordx4 v[192:195], off, off offset:1108 ; 16-byte Folded Reload
	scratch_load_dwordx4 v[196:199], off, off offset:1124 ; 16-byte Folded Reload
	scratch_load_dwordx4 v[200:203], off, off offset:1140 ; 16-byte Folded Reload
	;; [unrolled: 10-line block ×4, first 2 shown]
	s_nop 0
	scratch_store_dwordx4 off, v[126:129], off offset:640 ; 16-byte Folded Spill
	s_nop 0
	scratch_store_dwordx4 off, v[130:133], off offset:656 ; 16-byte Folded Spill
	scratch_store_dwordx4 off, v[134:137], off offset:672 ; 16-byte Folded Spill
	;; [unrolled: 1-line block ×7, first 2 shown]
	s_waitcnt vmcnt(11)
	v_mov_b32_e32 v16, v188
	scratch_load_dwordx4 v[172:175], off, off offset:512 ; 16-byte Folded Reload
	scratch_load_dwordx4 v[176:179], off, off offset:528 ; 16-byte Folded Reload
	;; [unrolled: 1-line block ×8, first 2 shown]
	s_nop 0
	scratch_store_dwordx4 off, v[88:91], off offset:3600 ; 16-byte Folded Spill
	s_nop 0
	scratch_store_dwordx4 off, v[92:95], off offset:3616 ; 16-byte Folded Spill
	scratch_store_dwordx4 off, v[96:99], off offset:3632 ; 16-byte Folded Spill
	;; [unrolled: 1-line block ×7, first 2 shown]
	v_mov_b32_e32 v91, v87
	v_mov_b32_e32 v93, v73
	;; [unrolled: 1-line block ×11, first 2 shown]
	s_waitcnt vmcnt(11)
	v_mov_b32_e32 v18, v190
	scratch_load_dwordx4 v[172:175], off, off offset:1800 ; 16-byte Folded Reload
	scratch_load_dwordx4 v[176:179], off, off offset:1816 ; 16-byte Folded Reload
	scratch_load_dwordx4 v[180:183], off, off offset:1832 ; 16-byte Folded Reload
	scratch_load_dwordx4 v[184:187], off, off offset:1848 ; 16-byte Folded Reload
	scratch_load_dwordx4 v[188:191], off, off offset:1864 ; 16-byte Folded Reload
	scratch_load_dwordx4 v[192:195], off, off offset:1880 ; 16-byte Folded Reload
	scratch_load_dwordx4 v[196:199], off, off offset:1896 ; 16-byte Folded Reload
	scratch_load_dwordx4 v[200:203], off, off offset:1912 ; 16-byte Folded Reload
	s_waitcnt vmcnt(7)
	v_mov_b32_e32 v92, v174
	scratch_load_dwordx4 v[172:175], off, off offset:1672 ; 16-byte Folded Reload
	scratch_load_dwordx4 v[176:179], off, off offset:1688 ; 16-byte Folded Reload
	scratch_load_dwordx4 v[180:183], off, off offset:1704 ; 16-byte Folded Reload
	scratch_load_dwordx4 v[184:187], off, off offset:1720 ; 16-byte Folded Reload
	scratch_load_dwordx4 v[188:191], off, off offset:1736 ; 16-byte Folded Reload
	scratch_load_dwordx4 v[192:195], off, off offset:1752 ; 16-byte Folded Reload
	scratch_load_dwordx4 v[196:199], off, off offset:1768 ; 16-byte Folded Reload
	scratch_load_dwordx4 v[200:203], off, off offset:1784 ; 16-byte Folded Reload
	;; [unrolled: 10-line block ×5, first 2 shown]
	scratch_load_dwordx4 v[124:127], off, off offset:1288 ; 16-byte Folded Reload
	scratch_load_dwordx4 v[128:131], off, off offset:1304 ; 16-byte Folded Reload
	;; [unrolled: 1-line block ×8, first 2 shown]
	s_waitcnt vmcnt(13)
	v_mov_b32_e32 v101, v183
	scratch_load_dwordx4 v[172:175], off, off offset:1160 ; 16-byte Folded Reload
	scratch_load_dwordx4 v[176:179], off, off offset:1176 ; 16-byte Folded Reload
	;; [unrolled: 1-line block ×8, first 2 shown]
	s_waitcnt vmcnt(12)
	v_mov_b32_e32 v102, v136
	s_waitcnt vmcnt(4)
	v_mov_b32_e32 v103, v185
	scratch_load_dwordx4 v[172:175], off, off offset:1028 ; 16-byte Folded Reload
	scratch_load_dwordx4 v[176:179], off, off offset:1044 ; 16-byte Folded Reload
	scratch_load_dwordx4 v[180:183], off, off offset:1060 ; 16-byte Folded Reload
	scratch_load_dwordx4 v[184:187], off, off offset:1076 ; 16-byte Folded Reload
	scratch_load_dwordx4 v[188:191], off, off offset:1092 ; 16-byte Folded Reload
	scratch_load_dwordx4 v[192:195], off, off offset:1108 ; 16-byte Folded Reload
	scratch_load_dwordx4 v[196:199], off, off offset:1124 ; 16-byte Folded Reload
	scratch_load_dwordx4 v[200:203], off, off offset:1140 ; 16-byte Folded Reload
	s_waitcnt vmcnt(4)
	v_mov_b32_e32 v104, v186
	scratch_load_dwordx4 v[172:175], off, off offset:2824 ; 16-byte Folded Reload
	scratch_load_dwordx4 v[176:179], off, off offset:2840 ; 16-byte Folded Reload
	scratch_load_dwordx4 v[180:183], off, off offset:2856 ; 16-byte Folded Reload
	scratch_load_dwordx4 v[184:187], off, off offset:2872 ; 16-byte Folded Reload
	scratch_load_dwordx4 v[188:191], off, off offset:2888 ; 16-byte Folded Reload
	scratch_load_dwordx4 v[192:195], off, off offset:2904 ; 16-byte Folded Reload
	scratch_load_dwordx4 v[196:199], off, off offset:2920 ; 16-byte Folded Reload
	scratch_load_dwordx4 v[200:203], off, off offset:2936 ; 16-byte Folded Reload
	;; [unrolled: 10-line block ×3, first 2 shown]
	scratch_load_dwordx4 v[124:127], off, off offset:640 ; 16-byte Folded Reload
	scratch_load_dwordx4 v[128:131], off, off offset:656 ; 16-byte Folded Reload
	;; [unrolled: 1-line block ×8, first 2 shown]
	s_waitcnt vmcnt(11)
	v_mov_b32_e32 v106, v188
	s_waitcnt vmcnt(3)
	v_mov_b32_e32 v107, v141
	scratch_load_dwordx4 v[124:127], off, off offset:512 ; 16-byte Folded Reload
	scratch_load_dwordx4 v[128:131], off, off offset:528 ; 16-byte Folded Reload
	;; [unrolled: 1-line block ×8, first 2 shown]
	s_barrier
	s_waitcnt vmcnt(1)
	v_mov_b32_e32 v151, v231
	v_mov_b32_e32 v88, v188
	;; [unrolled: 1-line block ×3, first 2 shown]
	scratch_store_dwordx4 off, v[90:93], off offset:1416 ; 16-byte Folded Spill
	s_nop 0
	scratch_store_dwordx4 off, v[94:97], off offset:1432 ; 16-byte Folded Spill
	scratch_store_dwordx4 off, v[98:101], off offset:1448 ; 16-byte Folded Spill
	scratch_store_dwordx4 off, v[102:105], off offset:1464 ; 16-byte Folded Spill
	scratch_store_dwordx4 off, v[106:109], off offset:1480 ; 16-byte Folded Spill
	scratch_store_dwordx4 off, v[110:113], off offset:1496 ; 16-byte Folded Spill
	scratch_store_dwordx4 off, v[114:117], off offset:1512 ; 16-byte Folded Spill
	scratch_store_dwordx4 off, v[118:121], off offset:1528 ; 16-byte Folded Spill
	scratch_store_dwordx4 off, v[0:3], off offset:128 ; 16-byte Folded Spill
	s_nop 0
	scratch_store_dwordx4 off, v[4:7], off offset:144 ; 16-byte Folded Spill
	scratch_store_dwordx4 off, v[8:11], off offset:160 ; 16-byte Folded Spill
	scratch_store_dwordx4 off, v[12:15], off offset:176 ; 16-byte Folded Spill
	scratch_store_dwordx4 off, v[16:19], off offset:192 ; 16-byte Folded Spill
	scratch_store_dwordx4 off, v[20:23], off offset:208 ; 16-byte Folded Spill
	scratch_store_dwordx4 off, v[24:27], off offset:224 ; 16-byte Folded Spill
	scratch_store_dwordx4 off, v[28:31], off offset:240 ; 16-byte Folded Spill
	scratch_store_dwordx4 off, v[210:213], off offset:896 ; 16-byte Folded Spill
	s_nop 0
	scratch_store_dwordx4 off, v[214:217], off offset:912 ; 16-byte Folded Spill
	scratch_store_dwordx4 off, v[218:221], off offset:928 ; 16-byte Folded Spill
	scratch_store_dwordx4 off, v[222:225], off offset:944 ; 16-byte Folded Spill
	scratch_store_dwordx4 off, v[226:229], off offset:960 ; 16-byte Folded Spill
	scratch_store_dwordx4 off, v[230:233], off offset:976 ; 16-byte Folded Spill
	scratch_store_dwordx4 off, v[234:237], off offset:992 ; 16-byte Folded Spill
	scratch_store_dwordx4 off, v[238:241], off offset:1008 ; 16-byte Folded Spill
	v_mov_b64_e32 v[226:227], v[186:187]
	v_mov_b64_e32 v[224:225], v[184:185]
	;; [unrolled: 1-line block ×8, first 2 shown]
	v_mov_b32_e32 v228, v188
	v_mov_b32_e32 v210, v170
	;; [unrolled: 1-line block ×3, first 2 shown]
	scratch_store_dwordx4 off, v[26:29], off offset:3472 ; 16-byte Folded Spill
	s_nop 0
	scratch_store_dwordx4 off, v[30:33], off offset:3488 ; 16-byte Folded Spill
	scratch_store_dwordx4 off, v[34:37], off offset:3504 ; 16-byte Folded Spill
	scratch_store_dwordx4 off, v[38:41], off offset:3520 ; 16-byte Folded Spill
	scratch_store_dwordx4 off, v[42:45], off offset:3536 ; 16-byte Folded Spill
	scratch_store_dwordx4 off, v[46:49], off offset:3552 ; 16-byte Folded Spill
	scratch_store_dwordx4 off, v[50:53], off offset:3568 ; 16-byte Folded Spill
	scratch_store_dwordx4 off, v[54:57], off offset:3584 ; 16-byte Folded Spill
	scratch_store_dwordx4 off, v[0:3], off offset:256 ; 16-byte Folded Spill
	s_nop 0
	scratch_store_dwordx4 off, v[4:7], off offset:272 ; 16-byte Folded Spill
	scratch_store_dwordx4 off, v[8:11], off offset:288 ; 16-byte Folded Spill
	scratch_store_dwordx4 off, v[12:15], off offset:304 ; 16-byte Folded Spill
	scratch_store_dwordx4 off, v[16:19], off offset:320 ; 16-byte Folded Spill
	scratch_store_dwordx4 off, v[20:23], off offset:336 ; 16-byte Folded Spill
	scratch_store_dwordx4 off, v[24:27], off offset:352 ; 16-byte Folded Spill
	scratch_store_dwordx4 off, v[28:31], off offset:368 ; 16-byte Folded Spill
	;; [unrolled: 9-line block ×3, first 2 shown]
	scratch_load_dwordx4 v[0:3], off, off offset:512 ; 16-byte Folded Reload
	scratch_load_dwordx4 v[4:7], off, off offset:528 ; 16-byte Folded Reload
	;; [unrolled: 1-line block ×8, first 2 shown]
	s_waitcnt vmcnt(3)
	v_mov_b32_e32 v152, v18
	scratch_store_dwordx4 off, v[0:3], off offset:512 ; 16-byte Folded Spill
	s_nop 0
	scratch_store_dwordx4 off, v[4:7], off offset:528 ; 16-byte Folded Spill
	scratch_store_dwordx4 off, v[8:11], off offset:544 ; 16-byte Folded Spill
	;; [unrolled: 1-line block ×4, first 2 shown]
	s_waitcnt vmcnt(7)
	scratch_store_dwordx4 off, v[20:23], off offset:592 ; 16-byte Folded Spill
	s_waitcnt vmcnt(7)
	scratch_store_dwordx4 off, v[24:27], off offset:608 ; 16-byte Folded Spill
	;; [unrolled: 2-line block ×3, first 2 shown]
	scratch_load_dwordx4 v[0:3], off, off offset:640 ; 16-byte Folded Reload
	s_nop 0
	scratch_load_dwordx4 v[4:7], off, off offset:656 ; 16-byte Folded Reload
	scratch_load_dwordx4 v[8:11], off, off offset:672 ; 16-byte Folded Reload
	;; [unrolled: 1-line block ×7, first 2 shown]
	s_waitcnt vmcnt(3)
	v_mov_b32_e32 v89, v17
	scratch_store_dwordx4 off, v[0:3], off offset:640 ; 16-byte Folded Spill
	s_nop 0
	scratch_store_dwordx4 off, v[4:7], off offset:656 ; 16-byte Folded Spill
	scratch_store_dwordx4 off, v[8:11], off offset:672 ; 16-byte Folded Spill
	;; [unrolled: 1-line block ×4, first 2 shown]
	s_waitcnt vmcnt(7)
	scratch_store_dwordx4 off, v[20:23], off offset:720 ; 16-byte Folded Spill
	s_waitcnt vmcnt(7)
	scratch_store_dwordx4 off, v[24:27], off offset:736 ; 16-byte Folded Spill
	;; [unrolled: 2-line block ×3, first 2 shown]
	scratch_load_dwordx4 v[0:3], off, off offset:2824 ; 16-byte Folded Reload
	s_nop 0
	scratch_load_dwordx4 v[4:7], off, off offset:2840 ; 16-byte Folded Reload
	scratch_load_dwordx4 v[8:11], off, off offset:2856 ; 16-byte Folded Reload
	;; [unrolled: 1-line block ×7, first 2 shown]
	s_waitcnt vmcnt(4)
	v_mov_b32_e32 v91, v15
	scratch_store_dwordx4 off, v[0:3], off offset:768 ; 16-byte Folded Spill
	s_nop 0
	scratch_store_dwordx4 off, v[4:7], off offset:784 ; 16-byte Folded Spill
	scratch_store_dwordx4 off, v[8:11], off offset:800 ; 16-byte Folded Spill
	scratch_store_dwordx4 off, v[12:15], off offset:816 ; 16-byte Folded Spill
	s_waitcnt vmcnt(7)
	scratch_store_dwordx4 off, v[16:19], off offset:832 ; 16-byte Folded Spill
	s_waitcnt vmcnt(7)
	scratch_store_dwordx4 off, v[20:23], off offset:848 ; 16-byte Folded Spill
	;; [unrolled: 2-line block ×4, first 2 shown]
	scratch_load_dwordx4 v[0:3], off, off offset:1028 ; 16-byte Folded Reload
	s_nop 0
	scratch_load_dwordx4 v[4:7], off, off offset:1044 ; 16-byte Folded Reload
	scratch_load_dwordx4 v[8:11], off, off offset:1060 ; 16-byte Folded Reload
	scratch_load_dwordx4 v[12:15], off, off offset:1076 ; 16-byte Folded Reload
	scratch_load_dwordx4 v[16:19], off, off offset:1092 ; 16-byte Folded Reload
	scratch_load_dwordx4 v[20:23], off, off offset:1108 ; 16-byte Folded Reload
	scratch_load_dwordx4 v[24:27], off, off offset:1124 ; 16-byte Folded Reload
	scratch_load_dwordx4 v[28:31], off, off offset:1140 ; 16-byte Folded Reload
	s_waitcnt vmcnt(1)
	v_mov_b32_e32 v26, v14
	scratch_store_dwordx4 off, v[0:3], off offset:1028 ; 16-byte Folded Spill
	s_nop 0
	scratch_store_dwordx4 off, v[4:7], off offset:1044 ; 16-byte Folded Spill
	scratch_store_dwordx4 off, v[8:11], off offset:1060 ; 16-byte Folded Spill
	;; [unrolled: 1-line block ×6, first 2 shown]
	s_waitcnt vmcnt(7)
	scratch_store_dwordx4 off, v[28:31], off offset:1140 ; 16-byte Folded Spill
	scratch_load_dwordx4 v[28:31], off, off offset:1160 ; 16-byte Folded Reload
	s_nop 0
	scratch_load_dwordx4 v[32:35], off, off offset:1176 ; 16-byte Folded Reload
	scratch_load_dwordx4 v[36:39], off, off offset:1192 ; 16-byte Folded Reload
	;; [unrolled: 1-line block ×7, first 2 shown]
	s_waitcnt vmcnt(0)
	v_mov_b64_e32 v[60:61], v[38:39]
	v_mov_b64_e32 v[58:59], v[36:37]
	;; [unrolled: 1-line block ×7, first 2 shown]
	scratch_store_dwordx4 off, v[50:53], off offset:1160 ; 16-byte Folded Spill
	s_nop 0
	scratch_store_dwordx4 off, v[54:57], off offset:1176 ; 16-byte Folded Spill
	scratch_store_dwordx4 off, v[58:61], off offset:1192 ; 16-byte Folded Spill
	;; [unrolled: 1-line block ×7, first 2 shown]
	scratch_load_dwordx4 v[28:31], off, off offset:1288 ; 16-byte Folded Reload
	s_nop 0
	scratch_load_dwordx4 v[32:35], off, off offset:1304 ; 16-byte Folded Reload
	scratch_load_dwordx4 v[36:39], off, off offset:1320 ; 16-byte Folded Reload
	;; [unrolled: 1-line block ×7, first 2 shown]
	s_waitcnt vmcnt(5)
	v_mov_b64_e32 v[0:1], v[28:29]
	v_mov_b64_e32 v[2:3], v[30:31]
	v_mov_b64_e32 v[4:5], v[32:33]
	v_mov_b64_e32 v[6:7], v[34:35]
	v_mov_b64_e32 v[8:9], v[36:37]
	v_mov_b64_e32 v[10:11], v[38:39]
	s_waitcnt vmcnt(4)
	v_mov_b32_e32 v12, v40
	scratch_store_dwordx4 off, v[0:3], off offset:1288 ; 16-byte Folded Spill
	s_nop 0
	scratch_store_dwordx4 off, v[4:7], off offset:1304 ; 16-byte Folded Spill
	scratch_store_dwordx4 off, v[8:11], off offset:1320 ; 16-byte Folded Spill
	;; [unrolled: 1-line block ×7, first 2 shown]
	v_mov_b32_e32 v96, v40
	scratch_load_dwordx4 v[28:31], off, off offset:2184 ; 16-byte Folded Reload
	scratch_load_dwordx4 v[32:35], off, off offset:2200 ; 16-byte Folded Reload
	;; [unrolled: 1-line block ×8, first 2 shown]
	s_waitcnt vmcnt(5)
	v_mov_b64_e32 v[0:1], v[28:29]
	v_mov_b64_e32 v[2:3], v[30:31]
	;; [unrolled: 1-line block ×6, first 2 shown]
	v_mov_b32_e32 v65, v11
	scratch_store_dwordx4 off, v[0:3], off offset:1544 ; 16-byte Folded Spill
	s_nop 0
	scratch_store_dwordx4 off, v[4:7], off offset:1560 ; 16-byte Folded Spill
	scratch_store_dwordx4 off, v[8:11], off offset:1576 ; 16-byte Folded Spill
	;; [unrolled: 1-line block ×7, first 2 shown]
	scratch_load_dwordx4 v[28:31], off, off offset:2056 ; 16-byte Folded Reload
	s_nop 0
	scratch_load_dwordx4 v[32:35], off, off offset:2072 ; 16-byte Folded Reload
	scratch_load_dwordx4 v[36:39], off, off offset:2088 ; 16-byte Folded Reload
	;; [unrolled: 1-line block ×7, first 2 shown]
	s_waitcnt vmcnt(5)
	v_mov_b32_e32 v0, v28
	v_mov_b32_e32 v1, v29
	;; [unrolled: 1-line block ×12, first 2 shown]
	scratch_store_dwordx4 off, v[0:3], off offset:2312 ; 16-byte Folded Spill
	s_nop 0
	scratch_store_dwordx4 off, v[4:7], off offset:2328 ; 16-byte Folded Spill
	scratch_store_dwordx4 off, v[8:11], off offset:2344 ; 16-byte Folded Spill
	;; [unrolled: 1-line block ×7, first 2 shown]
	s_nop 0
	v_mov_b32_e32 v27, v123
	scratch_store_dwordx4 off, v[114:117], off offset:2440 ; 16-byte Folded Spill
	s_nop 0
	scratch_store_dwordx4 off, v[118:121], off offset:2456 ; 16-byte Folded Spill
	scratch_store_dwordx4 off, v[122:125], off offset:2472 ; 16-byte Folded Spill
	;; [unrolled: 1-line block ×7, first 2 shown]
	scratch_load_dwordx4 v[28:31], off, off offset:1928 ; 16-byte Folded Reload
	scratch_load_dwordx4 v[32:35], off, off offset:1944 ; 16-byte Folded Reload
	;; [unrolled: 1-line block ×8, first 2 shown]
	v_mov_b64_e32 v[100:101], v[164:165]
	v_mov_b64_e32 v[102:103], v[166:167]
	;; [unrolled: 1-line block ×16, first 2 shown]
	s_waitcnt vmcnt(5)
	v_mov_b32_e32 v0, v28
	v_mov_b32_e32 v1, v29
	;; [unrolled: 1-line block ×10, first 2 shown]
	scratch_store_dwordx4 off, v[0:3], off offset:2568 ; 16-byte Folded Spill
	s_nop 0
	scratch_store_dwordx4 off, v[4:7], off offset:2584 ; 16-byte Folded Spill
	scratch_store_dwordx4 off, v[8:11], off offset:2600 ; 16-byte Folded Spill
	;; [unrolled: 1-line block ×7, first 2 shown]
	scratch_load_dwordx4 v[28:31], off, off offset:1672 ; 16-byte Folded Reload
	s_nop 0
	scratch_load_dwordx4 v[32:35], off, off offset:1688 ; 16-byte Folded Reload
	scratch_load_dwordx4 v[36:39], off, off offset:1704 ; 16-byte Folded Reload
	;; [unrolled: 1-line block ×7, first 2 shown]
	s_waitcnt vmcnt(6)
	v_mov_b64_e32 v[0:1], v[28:29]
	v_mov_b64_e32 v[2:3], v[30:31]
	;; [unrolled: 1-line block ×4, first 2 shown]
	v_mov_b32_e32 v69, v7
	scratch_store_dwordx4 off, v[0:3], off offset:2696 ; 16-byte Folded Spill
	s_nop 0
	scratch_store_dwordx4 off, v[4:7], off offset:2712 ; 16-byte Folded Spill
	scratch_store_dwordx4 off, v[8:11], off offset:2728 ; 16-byte Folded Spill
	scratch_store_dwordx4 off, v[12:15], off offset:2744 ; 16-byte Folded Spill
	scratch_store_dwordx4 off, v[16:19], off offset:2760 ; 16-byte Folded Spill
	scratch_store_dwordx4 off, v[20:23], off offset:2776 ; 16-byte Folded Spill
	scratch_store_dwordx4 off, v[24:27], off offset:2792 ; 16-byte Folded Spill
	scratch_store_dwordx4 off, v[28:31], off offset:2808 ; 16-byte Folded Spill
	s_nop 1
	v_mov_b32_e32 v29, v85
	scratch_store_dwordx4 off, v[80:83], off offset:2960 ; 16-byte Folded Spill
	s_nop 0
	scratch_store_dwordx4 off, v[84:87], off offset:2976 ; 16-byte Folded Spill
	scratch_store_dwordx4 off, v[88:91], off offset:2992 ; 16-byte Folded Spill
	scratch_store_dwordx4 off, v[92:95], off offset:3008 ; 16-byte Folded Spill
	scratch_store_dwordx4 off, v[96:99], off offset:3024 ; 16-byte Folded Spill
	scratch_store_dwordx4 off, v[100:103], off offset:3040 ; 16-byte Folded Spill
	scratch_store_dwordx4 off, v[104:107], off offset:3056 ; 16-byte Folded Spill
	scratch_store_dwordx4 off, v[108:111], off offset:3072 ; 16-byte Folded Spill
	v_mov_b32_e32 v28, v78
	scratch_store_dwordx4 off, v[74:77], off offset:3216 ; 16-byte Folded Spill
	s_nop 0
	scratch_store_dwordx4 off, v[78:81], off offset:3232 ; 16-byte Folded Spill
	scratch_store_dwordx4 off, v[82:85], off offset:3248 ; 16-byte Folded Spill
	scratch_store_dwordx4 off, v[86:89], off offset:3264 ; 16-byte Folded Spill
	scratch_store_dwordx4 off, v[90:93], off offset:3280 ; 16-byte Folded Spill
	scratch_store_dwordx4 off, v[94:97], off offset:3296 ; 16-byte Folded Spill
	scratch_store_dwordx4 off, v[98:101], off offset:3312 ; 16-byte Folded Spill
	scratch_store_dwordx4 off, v[102:105], off offset:3328 ; 16-byte Folded Spill
	;; [unrolled: 10-line block ×3, first 2 shown]
	scratch_load_dwordx4 v[176:179], off, off offset:1800 ; 16-byte Folded Reload
	scratch_load_dwordx4 v[180:183], off, off offset:1816 ; 16-byte Folded Reload
	scratch_load_dwordx4 v[184:187], off, off offset:1832 ; 16-byte Folded Reload
	scratch_load_dwordx4 v[188:191], off, off offset:1848 ; 16-byte Folded Reload
	scratch_load_dwordx4 v[192:195], off, off offset:1864 ; 16-byte Folded Reload
	scratch_load_dwordx4 v[196:199], off, off offset:1880 ; 16-byte Folded Reload
	scratch_load_dwordx4 v[200:203], off, off offset:1896 ; 16-byte Folded Reload
	scratch_load_dwordx4 v[204:207], off, off offset:1912 ; 16-byte Folded Reload
	s_waitcnt vmcnt(7)
	scratch_store_dwordx4 off, v[176:179], off offset:3728 ; 16-byte Folded Spill
	s_waitcnt vmcnt(7)
	scratch_store_dwordx4 off, v[180:183], off offset:3744 ; 16-byte Folded Spill
	;; [unrolled: 2-line block ×8, first 2 shown]
	s_and_saveexec_b64 s[18:19], vcc
	s_cbranch_execz .LBB50_31
; %bb.30:
	v_mov_b32_e32 v179, v31
	v_mov_b32_e32 v70, v28
	;; [unrolled: 1-line block ×5, first 2 shown]
	scratch_load_dwordx4 v[0:3], off, off offset:256 ; 16-byte Folded Reload
	scratch_load_dwordx4 v[4:7], off, off offset:272 ; 16-byte Folded Reload
	;; [unrolled: 1-line block ×8, first 2 shown]
	s_waitcnt vmcnt(7)
	v_div_scale_f32 v1, s[20:21], v254, v254, 1.0
	v_rcp_f32_e32 v2, v1
	v_mov_b32_e32 v68, v210
	v_mov_b32_e32 v66, v208
	;; [unrolled: 1-line block ×3, first 2 shown]
	v_fma_f32 v3, -v1, v2, 1.0
	v_fmac_f32_e32 v2, v3, v2
	v_div_scale_f32 v3, vcc, 1.0, v254, 1.0
	s_waitcnt vmcnt(6)
	v_mul_f32_e32 v4, v3, v2
	v_fma_f32 v5, -v1, v4, v3
	v_fmac_f32_e32 v4, v5, v2
	v_fma_f32 v1, -v1, v4, v3
	v_div_fmas_f32 v1, v1, v2, v4
	v_div_fixup_f32 v1, v1, v254, 1.0
	v_cndmask_b32_e64 v1, v254, v1, s[2:3]
	v_mov_b32_e32 v62, v96
	v_mov_b32_e32 v61, v91
	;; [unrolled: 1-line block ×8, first 2 shown]
	s_waitcnt vmcnt(3)
	v_mov_b32_e32 v95, v19
	scratch_load_dwordx4 v[2:5], off, off offset:3600 ; 16-byte Folded Reload
	scratch_load_dwordx4 v[6:9], off, off offset:3616 ; 16-byte Folded Reload
	;; [unrolled: 1-line block ×8, first 2 shown]
	s_waitcnt vmcnt(2)
	v_mul_f32_e32 v24, v3, v1
	ds_read2_b32 v[2:3], v252 offset0:2 offset1:3
	ds_read2_b32 v[4:5], v252 offset0:4 offset1:5
	;; [unrolled: 1-line block ×4, first 2 shown]
	v_mov_b32_e32 v1, v24
	s_waitcnt lgkmcnt(3)
	v_pk_fma_f32 v[178:179], v[24:25], v[2:3], v[178:179] op_sel_hi:[0,1,1] neg_lo:[1,0,0] neg_hi:[1,0,0]
	s_waitcnt lgkmcnt(2)
	v_pk_fma_f32 v[70:71], v[24:25], v[4:5], v[70:71] op_sel_hi:[0,1,1] neg_lo:[1,0,0] neg_hi:[1,0,0]
	;; [unrolled: 2-line block ×4, first 2 shown]
	ds_read2_b32 v[2:3], v252 offset0:10 offset1:11
	ds_read2_b32 v[4:5], v252 offset0:12 offset1:13
	;; [unrolled: 1-line block ×4, first 2 shown]
	s_waitcnt lgkmcnt(3)
	v_pk_fma_f32 v[64:65], v[24:25], v[2:3], v[64:65] op_sel_hi:[0,1,1] neg_lo:[1,0,0] neg_hi:[1,0,0]
	s_waitcnt lgkmcnt(2)
	v_pk_fma_f32 v[62:63], v[24:25], v[4:5], v[62:63] op_sel_hi:[0,1,1] neg_lo:[1,0,0] neg_hi:[1,0,0]
	;; [unrolled: 2-line block ×4, first 2 shown]
	ds_read2_b32 v[2:3], v252 offset0:18 offset1:19
	ds_read2_b32 v[4:5], v252 offset0:20 offset1:21
	;; [unrolled: 1-line block ×4, first 2 shown]
	scratch_load_dwordx4 v[26:29], off, off ; 16-byte Folded Reload
	scratch_load_dwordx4 v[30:33], off, off offset:16 ; 16-byte Folded Reload
	scratch_load_dwordx4 v[34:37], off, off offset:32 ; 16-byte Folded Reload
	scratch_load_dwordx4 v[38:41], off, off offset:48 ; 16-byte Folded Reload
	scratch_load_dwordx4 v[42:45], off, off offset:64 ; 16-byte Folded Reload
	scratch_load_dwordx4 v[46:49], off, off offset:80 ; 16-byte Folded Reload
	scratch_load_dwordx4 v[50:53], off, off offset:96 ; 16-byte Folded Reload
	scratch_load_dwordx4 v[54:57], off, off offset:112 ; 16-byte Folded Reload
	s_waitcnt lgkmcnt(3)
	v_pk_fma_f32 v[94:95], v[24:25], v[2:3], v[94:95] op_sel_hi:[0,1,1] neg_lo:[1,0,0] neg_hi:[1,0,0]
	s_waitcnt lgkmcnt(2)
	v_pk_fma_f32 v[92:93], v[24:25], v[4:5], v[92:93] op_sel_hi:[0,1,1] neg_lo:[1,0,0] neg_hi:[1,0,0]
	;; [unrolled: 2-line block ×3, first 2 shown]
	v_mov_b32_e32 v152, v94
	s_waitcnt vmcnt(1)
	v_mov_b32_e32 v75, v51
	scratch_load_dwordx4 v[26:29], off, off offset:3088 ; 16-byte Folded Reload
	scratch_load_dwordx4 v[30:33], off, off offset:3104 ; 16-byte Folded Reload
	;; [unrolled: 1-line block ×8, first 2 shown]
	s_waitcnt lgkmcnt(0)
	v_pk_fma_f32 v[74:75], v[24:25], v[8:9], v[74:75] op_sel_hi:[0,1,1] neg_lo:[1,0,0] neg_hi:[1,0,0]
	s_waitcnt vmcnt(7)
	v_mov_b32_e32 v0, v26
	scratch_store_dwordx4 off, v[0:3], off offset:3600 ; 16-byte Folded Spill
	s_nop 0
	scratch_store_dwordx4 off, v[4:7], off offset:3616 ; 16-byte Folded Spill
	scratch_store_dwordx4 off, v[8:11], off offset:3632 ; 16-byte Folded Spill
	;; [unrolled: 1-line block ×6, first 2 shown]
	s_waitcnt vmcnt(13)
	scratch_store_dwordx4 off, v[28:31], off offset:3712 ; 16-byte Folded Spill
	v_mov_b32_e32 v2, v178
	scratch_store_dwordx4 off, v[0:3], off offset:3728 ; 16-byte Folded Spill
	s_nop 0
	scratch_store_dwordx4 off, v[4:7], off offset:3744 ; 16-byte Folded Spill
	scratch_store_dwordx4 off, v[8:11], off offset:3760 ; 16-byte Folded Spill
	scratch_store_dwordx4 off, v[12:15], off offset:3776 ; 16-byte Folded Spill
	scratch_store_dwordx4 off, v[16:19], off offset:3792 ; 16-byte Folded Spill
	scratch_store_dwordx4 off, v[20:23], off offset:3808 ; 16-byte Folded Spill
	scratch_store_dwordx4 off, v[24:27], off offset:3824 ; 16-byte Folded Spill
	scratch_store_dwordx4 off, v[28:31], off offset:3840 ; 16-byte Folded Spill
	v_mov_b32_e32 v3, v179
	scratch_store_dwordx4 off, v[0:3], off offset:3344 ; 16-byte Folded Spill
	s_nop 0
	scratch_store_dwordx4 off, v[4:7], off offset:3360 ; 16-byte Folded Spill
	scratch_store_dwordx4 off, v[8:11], off offset:3376 ; 16-byte Folded Spill
	scratch_store_dwordx4 off, v[12:15], off offset:3392 ; 16-byte Folded Spill
	scratch_store_dwordx4 off, v[16:19], off offset:3408 ; 16-byte Folded Spill
	scratch_store_dwordx4 off, v[20:23], off offset:3424 ; 16-byte Folded Spill
	scratch_store_dwordx4 off, v[24:27], off offset:3440 ; 16-byte Folded Spill
	;; [unrolled: 10-line block ×4, first 2 shown]
	scratch_store_dwordx4 off, v[28:31], off offset:3072 ; 16-byte Folded Spill
	v_mov_b32_e32 v6, v68
	v_mov_b64_e32 v[130:131], v[30:31]
	v_mov_b64_e32 v[128:129], v[28:29]
	;; [unrolled: 1-line block ×16, first 2 shown]
	v_mov_b32_e32 v7, v69
	scratch_store_dwordx4 off, v[0:3], off offset:2696 ; 16-byte Folded Spill
	s_nop 0
	scratch_store_dwordx4 off, v[4:7], off offset:2712 ; 16-byte Folded Spill
	scratch_store_dwordx4 off, v[8:11], off offset:2728 ; 16-byte Folded Spill
	scratch_store_dwordx4 off, v[12:15], off offset:2744 ; 16-byte Folded Spill
	scratch_store_dwordx4 off, v[16:19], off offset:2760 ; 16-byte Folded Spill
	scratch_store_dwordx4 off, v[20:23], off offset:2776 ; 16-byte Folded Spill
	scratch_store_dwordx4 off, v[24:27], off offset:2792 ; 16-byte Folded Spill
	scratch_store_dwordx4 off, v[28:31], off offset:2808 ; 16-byte Folded Spill
	v_mov_b32_e32 v8, v66
	scratch_store_dwordx4 off, v[0:3], off offset:2568 ; 16-byte Folded Spill
	s_nop 0
	scratch_store_dwordx4 off, v[4:7], off offset:2584 ; 16-byte Folded Spill
	scratch_store_dwordx4 off, v[8:11], off offset:2600 ; 16-byte Folded Spill
	scratch_store_dwordx4 off, v[12:15], off offset:2616 ; 16-byte Folded Spill
	scratch_store_dwordx4 off, v[16:19], off offset:2632 ; 16-byte Folded Spill
	scratch_store_dwordx4 off, v[20:23], off offset:2648 ; 16-byte Folded Spill
	scratch_store_dwordx4 off, v[24:27], off offset:2664 ; 16-byte Folded Spill
	scratch_store_dwordx4 off, v[28:31], off offset:2680 ; 16-byte Folded Spill
	;; [unrolled: 10-line block ×9, first 2 shown]
	v_mov_b32_e32 v16, v58
	v_mov_b64_e32 v[242:243], v[30:31]
	v_mov_b64_e32 v[240:241], v[28:29]
	;; [unrolled: 1-line block ×16, first 2 shown]
	v_mov_b32_e32 v17, v59
	scratch_store_dwordx4 off, v[0:3], off offset:640 ; 16-byte Folded Spill
	s_nop 0
	scratch_store_dwordx4 off, v[4:7], off offset:656 ; 16-byte Folded Spill
	scratch_store_dwordx4 off, v[8:11], off offset:672 ; 16-byte Folded Spill
	scratch_store_dwordx4 off, v[12:15], off offset:688 ; 16-byte Folded Spill
	scratch_store_dwordx4 off, v[16:19], off offset:704 ; 16-byte Folded Spill
	scratch_store_dwordx4 off, v[20:23], off offset:720 ; 16-byte Folded Spill
	scratch_store_dwordx4 off, v[24:27], off offset:736 ; 16-byte Folded Spill
	scratch_store_dwordx4 off, v[28:31], off offset:752 ; 16-byte Folded Spill
	v_mov_b32_e32 v18, v94
	scratch_store_dwordx4 off, v[0:3], off offset:512 ; 16-byte Folded Spill
	s_nop 0
	scratch_store_dwordx4 off, v[4:7], off offset:528 ; 16-byte Folded Spill
	scratch_store_dwordx4 off, v[8:11], off offset:544 ; 16-byte Folded Spill
	scratch_store_dwordx4 off, v[12:15], off offset:560 ; 16-byte Folded Spill
	scratch_store_dwordx4 off, v[16:19], off offset:576 ; 16-byte Folded Spill
	scratch_store_dwordx4 off, v[20:23], off offset:592 ; 16-byte Folded Spill
	scratch_store_dwordx4 off, v[24:27], off offset:608 ; 16-byte Folded Spill
	scratch_store_dwordx4 off, v[28:31], off offset:624 ; 16-byte Folded Spill
	;; [unrolled: 10-line block ×7, first 2 shown]
	s_nop 0
	v_mov_b32_e32 v24, v74
	v_mov_b32_e32 v25, v75
	scratch_store_dwordx4 off, v[0:3], off offset:3088 ; 16-byte Folded Spill
	s_nop 0
	scratch_store_dwordx4 off, v[4:7], off offset:3104 ; 16-byte Folded Spill
	scratch_store_dwordx4 off, v[8:11], off offset:3120 ; 16-byte Folded Spill
	;; [unrolled: 1-line block ×7, first 2 shown]
	s_waitcnt vmcnt(62)
	scratch_store_dwordx4 off, v[50:53], off ; 16-byte Folded Spill
	s_nop 0
	scratch_store_dwordx4 off, v[54:57], off offset:16 ; 16-byte Folded Spill
	scratch_store_dwordx4 off, v[58:61], off offset:32 ; 16-byte Folded Spill
	;; [unrolled: 1-line block ×7, first 2 shown]
	v_mov_b32_e32 v31, v179
	v_mov_b32_e32 v98, v64
	;; [unrolled: 1-line block ×6, first 2 shown]
	scratch_store_dwordx4 off, v[76:79], off offset:256 ; 16-byte Folded Spill
	s_nop 0
	scratch_store_dwordx4 off, v[80:83], off offset:272 ; 16-byte Folded Spill
	scratch_store_dwordx4 off, v[84:87], off offset:288 ; 16-byte Folded Spill
	;; [unrolled: 1-line block ×7, first 2 shown]
	v_mov_b32_e32 v255, v74
	v_mov_b32_e32 v28, v70
	;; [unrolled: 1-line block ×9, first 2 shown]
.LBB50_31:
	s_or_b64 exec, exec, s[18:19]
	v_lshl_add_u32 v45, v253, 2, v252
	scratch_store_dwordx4 off, v[100:103], off offset:1672 ; 16-byte Folded Spill
	s_nop 0
	scratch_store_dwordx4 off, v[104:107], off offset:1688 ; 16-byte Folded Spill
	scratch_store_dwordx4 off, v[108:111], off offset:1704 ; 16-byte Folded Spill
	;; [unrolled: 1-line block ×7, first 2 shown]
	s_waitcnt vmcnt(63) expcnt(7) lgkmcnt(15)
	s_barrier
	ds_write_b32 v45, v178
	s_waitcnt lgkmcnt(0)
	s_barrier
	ds_read_b32 v45, v252 offset:8
	v_mov_b64_e32 v[186:187], v[212:213]
	v_mov_b64_e32 v[188:189], v[214:215]
	v_mov_b64_e32 v[190:191], v[216:217]
	v_mov_b64_e32 v[192:193], v[218:219]
	v_mov_b64_e32 v[194:195], v[220:221]
	v_mov_b64_e32 v[196:197], v[222:223]
	v_mov_b64_e32 v[198:199], v[224:225]
	v_mov_b64_e32 v[200:201], v[226:227]
	v_mov_b32_e32 v202, v228
	v_mov_b32_e32 v54, v178
	s_cmp_lt_i32 s22, 4
	v_mov_b32_e32 v46, 2
	v_mov_b32_e32 v139, v63
	s_cbranch_scc1 .LBB50_34
; %bb.32:
	scratch_load_dword v47, off, off offset:1024 ; 4-byte Folded Reload
	scratch_load_dwordx4 v[218:221], off, off offset:1416 ; 16-byte Folded Reload
	scratch_load_dwordx4 v[222:225], off, off offset:1432 ; 16-byte Folded Reload
	;; [unrolled: 1-line block ×16, first 2 shown]
	v_mov_b32_e32 v46, 2
	s_mov_b32 s18, 3
	s_waitcnt vmcnt(16)
	v_add3_u32 v47, v47, 0, 12
.LBB50_33:                              ; =>This Inner Loop Header: Depth=1
	ds_read_b32 v48, v47
	v_add_u32_e32 v47, 4, v47
	s_waitcnt lgkmcnt(0)
	v_cmp_lt_f32_e64 vcc, |v45|, |v48|
	s_nop 1
	v_cndmask_b32_e32 v45, v45, v48, vcc
	v_mov_b32_e32 v48, s18
	s_add_i32 s18, s18, 1
	v_cndmask_b32_e32 v46, v46, v48, vcc
	s_cmp_lg_u32 s22, s18
	s_cbranch_scc1 .LBB50_33
	s_branch .LBB50_35
.LBB50_34:
	scratch_load_dwordx4 v[218:221], off, off offset:1416 ; 16-byte Folded Reload
	scratch_load_dwordx4 v[222:225], off, off offset:1432 ; 16-byte Folded Reload
	;; [unrolled: 1-line block ×16, first 2 shown]
.LBB50_35:
	scratch_load_dwordx4 v[100:103], off, off offset:3088 ; 16-byte Folded Reload
	scratch_load_dwordx4 v[104:107], off, off offset:3104 ; 16-byte Folded Reload
	;; [unrolled: 1-line block ×8, first 2 shown]
	v_cndmask_b32_e64 v47, 2, 1, s[0:1]
	v_cndmask_b32_e64 v48, 0, 1, s[0:1]
	v_mov_b32_e32 v59, v31
	s_waitcnt lgkmcnt(0)
	v_cmp_eq_f32_e32 vcc, 0, v45
	s_waitcnt vmcnt(4)
	v_mov_b64_e32 v[0:1], v[100:101]
	v_mov_b64_e32 v[2:3], v[102:103]
	;; [unrolled: 1-line block ×3, first 2 shown]
	s_waitcnt vmcnt(1)
	v_mov_b64_e32 v[16:17], v[116:117]
	v_mov_b64_e32 v[6:7], v[106:107]
	;; [unrolled: 1-line block ×18, first 2 shown]
	v_mov_b32_e32 v124, v202
	v_cndmask_b32_e64 v106, v47, v48, s[2:3]
	s_and_saveexec_b64 s[0:1], vcc
	s_xor_b64 s[0:1], exec, s[0:1]
; %bb.36:
	v_cmp_ne_u32_e32 vcc, 0, v106
	s_nop 1
	v_cndmask_b32_e32 v106, 3, v106, vcc
; %bb.37:
	s_andn2_saveexec_b64 s[0:1], s[0:1]
	s_cbranch_execz .LBB50_39
; %bb.38:
	v_div_scale_f32 v47, s[2:3], v45, v45, 1.0
	v_rcp_f32_e32 v48, v47
	v_div_scale_f32 v49, vcc, 1.0, v45, 1.0
	v_fma_f32 v50, -v47, v48, 1.0
	v_fmac_f32_e32 v48, v50, v48
	v_mul_f32_e32 v50, v49, v48
	v_fma_f32 v51, -v47, v50, v49
	v_fmac_f32_e32 v50, v51, v48
	v_fma_f32 v47, -v47, v50, v49
	v_div_fmas_f32 v47, v47, v48, v50
	v_div_fixup_f32 v45, v47, v45, 1.0
.LBB50_39:
	s_or_b64 exec, exec, s[0:1]
	v_cmp_ne_u32_e32 vcc, v253, v46
	s_and_saveexec_b64 s[0:1], vcc
	s_xor_b64 s[0:1], exec, s[0:1]
	s_cbranch_execz .LBB50_45
; %bb.40:
	v_cmp_eq_u32_e32 vcc, 2, v253
	s_and_saveexec_b64 s[2:3], vcc
	s_cbranch_execz .LBB50_44
; %bb.41:
	v_cmp_ne_u32_e32 vcc, 2, v46
	s_xor_b64 s[18:19], s[16:17], -1
	s_and_b64 s[20:21], s[18:19], vcc
	s_and_saveexec_b64 s[18:19], s[20:21]
	s_cbranch_execz .LBB50_43
; %bb.42:
	scratch_load_dwordx2 v[52:53], off, off offset:2952 ; 8-byte Folded Reload
	v_ashrrev_i32_e32 v47, 31, v46
	s_waitcnt vmcnt(0)
	v_lshl_add_u64 v[48:49], v[46:47], 2, v[52:53]
	global_load_dword v47, v[48:49], off
	global_load_dword v50, v[52:53], off offset:8
	s_waitcnt vmcnt(1)
	global_store_dword v[52:53], v47, off offset:8
	s_waitcnt vmcnt(1)
	global_store_dword v[48:49], v50, off
.LBB50_43:
	s_or_b64 exec, exec, s[18:19]
	v_mov_b32_e32 v47, v46
	v_mov_b32_e32 v253, v46
	scratch_store_dword off, v47, off offset:1156 ; 4-byte Folded Spill
.LBB50_44:
	s_or_b64 exec, exec, s[2:3]
.LBB50_45:
	s_andn2_saveexec_b64 s[0:1], s[0:1]
	s_cbranch_execz .LBB50_47
; %bb.46:
	ds_write2_b32 v252, v3, v4 offset0:3 offset1:4
	ds_write2_b32 v252, v5, v6 offset0:5 offset1:6
	;; [unrolled: 1-line block ×11, first 2 shown]
	scratch_load_dwordx4 v[176:179], off, off ; 16-byte Folded Reload
	scratch_load_dwordx4 v[180:183], off, off offset:16 ; 16-byte Folded Reload
	scratch_load_dwordx4 v[184:187], off, off offset:32 ; 16-byte Folded Reload
	scratch_load_dwordx4 v[188:191], off, off offset:48 ; 16-byte Folded Reload
	scratch_load_dwordx4 v[192:195], off, off offset:64 ; 16-byte Folded Reload
	scratch_load_dwordx4 v[196:199], off, off offset:80 ; 16-byte Folded Reload
	scratch_load_dwordx4 v[200:203], off, off offset:96 ; 16-byte Folded Reload
	scratch_load_dwordx4 v[204:207], off, off offset:112 ; 16-byte Folded Reload
	v_mov_b32_e32 v59, v31
	v_mov_b32_e32 v253, 2
	s_waitcnt vmcnt(1)
	ds_write_b32 v252, v201 offset:100
.LBB50_47:
	s_or_b64 exec, exec, s[0:1]
	v_cmp_lt_i32_e32 vcc, 2, v253
	s_waitcnt lgkmcnt(0)
	s_barrier
	s_and_saveexec_b64 s[0:1], vcc
	s_cbranch_execz .LBB50_49
; %bb.48:
	scratch_load_dwordx4 v[186:189], off, off offset:3600 ; 16-byte Folded Reload
	scratch_load_dwordx4 v[190:193], off, off offset:3616 ; 16-byte Folded Reload
	;; [unrolled: 1-line block ×8, first 2 shown]
	ds_read2_b32 v[0:1], v252 offset0:3 offset1:4
	ds_read2_b32 v[26:27], v252 offset0:5 offset1:6
	;; [unrolled: 1-line block ×4, first 2 shown]
	s_waitcnt vmcnt(7)
	v_mul_f32_e32 v188, v54, v45
	v_mov_b32_e32 v2, v3
	v_mov_b32_e32 v3, v4
	;; [unrolled: 1-line block ×5, first 2 shown]
	s_waitcnt lgkmcnt(3)
	v_pk_fma_f32 v[46:47], v[188:189], v[0:1], v[2:3] op_sel_hi:[0,1,1] neg_lo:[1,0,0] neg_hi:[1,0,0]
	v_mov_b32_e32 v0, v5
	v_mov_b32_e32 v1, v6
	s_waitcnt lgkmcnt(2)
	v_pk_fma_f32 v[48:49], v[188:189], v[26:27], v[0:1] op_sel_hi:[0,1,1] neg_lo:[1,0,0] neg_hi:[1,0,0]
	v_mov_b32_e32 v0, v7
	v_mov_b32_e32 v1, v8
	;; [unrolled: 4-line block ×3, first 2 shown]
	s_waitcnt lgkmcnt(0)
	v_pk_fma_f32 v[52:53], v[188:189], v[30:31], v[0:1] op_sel_hi:[0,1,1] neg_lo:[1,0,0] neg_hi:[1,0,0]
	ds_read2_b32 v[0:1], v252 offset0:11 offset1:12
	ds_read2_b32 v[4:5], v252 offset0:13 offset1:14
	;; [unrolled: 1-line block ×4, first 2 shown]
	v_mov_b32_e32 v2, v11
	v_mov_b32_e32 v3, v12
	;; [unrolled: 1-line block ×3, first 2 shown]
	s_waitcnt lgkmcnt(3)
	v_pk_fma_f32 v[54:55], v[188:189], v[0:1], v[2:3] op_sel_hi:[0,1,1] neg_lo:[1,0,0] neg_hi:[1,0,0]
	v_mov_b32_e32 v0, v13
	v_mov_b32_e32 v1, v14
	s_waitcnt lgkmcnt(2)
	v_pk_fma_f32 v[56:57], v[188:189], v[4:5], v[0:1] op_sel_hi:[0,1,1] neg_lo:[1,0,0] neg_hi:[1,0,0]
	v_mov_b32_e32 v0, v15
	v_mov_b32_e32 v1, v16
	;; [unrolled: 4-line block ×3, first 2 shown]
	s_waitcnt lgkmcnt(0)
	v_pk_fma_f32 v[82:83], v[188:189], v[8:9], v[0:1] op_sel_hi:[0,1,1] neg_lo:[1,0,0] neg_hi:[1,0,0]
	ds_read2_b32 v[0:1], v252 offset0:19 offset1:20
	ds_read2_b32 v[4:5], v252 offset0:21 offset1:22
	;; [unrolled: 1-line block ×3, first 2 shown]
	ds_read_b32 v8, v252 offset:100
	v_mov_b32_e32 v2, v19
	v_mov_b32_e32 v3, v20
	;; [unrolled: 1-line block ×3, first 2 shown]
	s_waitcnt lgkmcnt(3)
	v_pk_fma_f32 v[84:85], v[188:189], v[0:1], v[2:3] op_sel_hi:[0,1,1] neg_lo:[1,0,0] neg_hi:[1,0,0]
	v_mov_b32_e32 v0, v21
	v_mov_b32_e32 v1, v22
	s_waitcnt lgkmcnt(2)
	v_pk_fma_f32 v[86:87], v[188:189], v[4:5], v[0:1] op_sel_hi:[0,1,1] neg_lo:[1,0,0] neg_hi:[1,0,0]
	v_mov_b32_e32 v0, v23
	v_mov_b32_e32 v1, v24
	scratch_load_dwordx4 v[10:13], off, off ; 16-byte Folded Reload
	scratch_load_dwordx4 v[14:17], off, off offset:16 ; 16-byte Folded Reload
	scratch_load_dwordx4 v[18:21], off, off offset:32 ; 16-byte Folded Reload
	scratch_load_dwordx4 v[22:25], off, off offset:48 ; 16-byte Folded Reload
	scratch_load_dwordx4 v[26:29], off, off offset:64 ; 16-byte Folded Reload
	scratch_load_dwordx4 v[30:33], off, off offset:80 ; 16-byte Folded Reload
	scratch_load_dwordx4 v[34:37], off, off offset:96 ; 16-byte Folded Reload
	scratch_load_dwordx4 v[38:41], off, off offset:112 ; 16-byte Folded Reload
	s_waitcnt lgkmcnt(1)
	v_pk_fma_f32 v[254:255], v[188:189], v[6:7], v[0:1] op_sel_hi:[0,1,1] neg_lo:[1,0,0] neg_hi:[1,0,0]
	v_mov_b32_e32 v0, v186
	v_mov_b32_e32 v1, v187
	;; [unrolled: 1-line block ×75, first 2 shown]
	s_waitcnt vmcnt(1) lgkmcnt(0)
	v_fma_f32 v25, -v188, v8, v35
	scratch_store_dwordx4 off, v[0:3], off offset:3216 ; 16-byte Folded Spill
	s_nop 0
	scratch_store_dwordx4 off, v[4:7], off offset:3232 ; 16-byte Folded Spill
	scratch_store_dwordx4 off, v[8:11], off offset:3248 ; 16-byte Folded Spill
	scratch_store_dwordx4 off, v[12:15], off offset:3264 ; 16-byte Folded Spill
	scratch_store_dwordx4 off, v[16:19], off offset:3280 ; 16-byte Folded Spill
	scratch_store_dwordx4 off, v[20:23], off offset:3296 ; 16-byte Folded Spill
	scratch_store_dwordx4 off, v[24:27], off offset:3312 ; 16-byte Folded Spill
	scratch_store_dwordx4 off, v[28:31], off offset:3328 ; 16-byte Folded Spill
	v_mov_b32_e32 v5, v48
	scratch_store_dwordx4 off, v[0:3], off offset:2960 ; 16-byte Folded Spill
	s_nop 0
	scratch_store_dwordx4 off, v[4:7], off offset:2976 ; 16-byte Folded Spill
	scratch_store_dwordx4 off, v[8:11], off offset:2992 ; 16-byte Folded Spill
	scratch_store_dwordx4 off, v[12:15], off offset:3008 ; 16-byte Folded Spill
	scratch_store_dwordx4 off, v[16:19], off offset:3024 ; 16-byte Folded Spill
	scratch_store_dwordx4 off, v[20:23], off offset:3040 ; 16-byte Folded Spill
	scratch_store_dwordx4 off, v[24:27], off offset:3056 ; 16-byte Folded Spill
	scratch_store_dwordx4 off, v[28:31], off offset:3072 ; 16-byte Folded Spill
	v_mov_b32_e32 v6, v49
	;; [unrolled: 10-line block ×12, first 2 shown]
	v_mov_b32_e32 v17, v82
	scratch_store_dwordx4 off, v[0:3], off offset:640 ; 16-byte Folded Spill
	s_nop 0
	scratch_store_dwordx4 off, v[4:7], off offset:656 ; 16-byte Folded Spill
	scratch_store_dwordx4 off, v[8:11], off offset:672 ; 16-byte Folded Spill
	scratch_store_dwordx4 off, v[12:15], off offset:688 ; 16-byte Folded Spill
	scratch_store_dwordx4 off, v[16:19], off offset:704 ; 16-byte Folded Spill
	scratch_store_dwordx4 off, v[20:23], off offset:720 ; 16-byte Folded Spill
	scratch_store_dwordx4 off, v[24:27], off offset:736 ; 16-byte Folded Spill
	scratch_store_dwordx4 off, v[28:31], off offset:752 ; 16-byte Folded Spill
	v_mov_b32_e32 v18, v83
	scratch_store_dwordx4 off, v[0:3], off offset:512 ; 16-byte Folded Spill
	s_nop 0
	scratch_store_dwordx4 off, v[4:7], off offset:528 ; 16-byte Folded Spill
	scratch_store_dwordx4 off, v[8:11], off offset:544 ; 16-byte Folded Spill
	scratch_store_dwordx4 off, v[12:15], off offset:560 ; 16-byte Folded Spill
	scratch_store_dwordx4 off, v[16:19], off offset:576 ; 16-byte Folded Spill
	scratch_store_dwordx4 off, v[20:23], off offset:592 ; 16-byte Folded Spill
	scratch_store_dwordx4 off, v[24:27], off offset:608 ; 16-byte Folded Spill
	scratch_store_dwordx4 off, v[28:31], off offset:624 ; 16-byte Folded Spill
	;; [unrolled: 10-line block ×3, first 2 shown]
	v_mov_b32_e32 v20, v85
	v_mov_b32_e32 v21, v86
	;; [unrolled: 1-line block ×3, first 2 shown]
	scratch_store_dwordx4 off, v[0:3], off offset:896 ; 16-byte Folded Spill
	s_nop 0
	scratch_store_dwordx4 off, v[4:7], off offset:912 ; 16-byte Folded Spill
	scratch_store_dwordx4 off, v[8:11], off offset:928 ; 16-byte Folded Spill
	;; [unrolled: 1-line block ×7, first 2 shown]
	v_mov_b32_e32 v22, v87
	v_mov_b32_e32 v87, v254
	scratch_store_dwordx4 off, v[0:3], off offset:128 ; 16-byte Folded Spill
	s_nop 0
	scratch_store_dwordx4 off, v[4:7], off offset:144 ; 16-byte Folded Spill
	scratch_store_dwordx4 off, v[8:11], off offset:160 ; 16-byte Folded Spill
	;; [unrolled: 1-line block ×7, first 2 shown]
	v_mov_b32_e32 v23, v254
	v_mov_b32_e32 v24, v255
	;; [unrolled: 1-line block ×7, first 2 shown]
	scratch_store_dwordx4 off, v[186:189], off offset:3344 ; 16-byte Folded Spill
	s_nop 0
	scratch_store_dwordx4 off, v[190:193], off offset:3360 ; 16-byte Folded Spill
	scratch_store_dwordx4 off, v[194:197], off offset:3376 ; 16-byte Folded Spill
	;; [unrolled: 1-line block ×8, first 2 shown]
	s_nop 0
	scratch_store_dwordx4 off, v[190:193], off offset:3744 ; 16-byte Folded Spill
	scratch_store_dwordx4 off, v[194:197], off offset:3760 ; 16-byte Folded Spill
	;; [unrolled: 1-line block ×7, first 2 shown]
	v_mov_b32_e32 v208, v51
	v_mov_b32_e32 v210, v49
	scratch_store_dwordx4 off, v[12:15], off offset:256 ; 16-byte Folded Spill
	s_nop 0
	scratch_store_dwordx4 off, v[16:19], off offset:272 ; 16-byte Folded Spill
	scratch_store_dwordx4 off, v[20:23], off offset:288 ; 16-byte Folded Spill
	scratch_store_dwordx4 off, v[24:27], off offset:304 ; 16-byte Folded Spill
	scratch_store_dwordx4 off, v[28:31], off offset:320 ; 16-byte Folded Spill
	scratch_store_dwordx4 off, v[32:35], off offset:336 ; 16-byte Folded Spill
	s_waitcnt vmcnt(62)
	scratch_store_dwordx4 off, v[36:39], off offset:352 ; 16-byte Folded Spill
	scratch_store_dwordx4 off, v[40:43], off offset:368 ; 16-byte Folded Spill
	v_mov_b32_e32 v45, v25
	scratch_store_dwordx4 off, v[20:23], off ; 16-byte Folded Spill
	s_nop 0
	scratch_store_dwordx4 off, v[24:27], off offset:16 ; 16-byte Folded Spill
	scratch_store_dwordx4 off, v[28:31], off offset:32 ; 16-byte Folded Spill
	;; [unrolled: 1-line block ×7, first 2 shown]
.LBB50_49:
	s_or_b64 exec, exec, s[0:1]
	v_lshl_add_u32 v45, v253, 2, v252
	s_waitcnt vmcnt(63) expcnt(7) lgkmcnt(15)
	s_barrier
	ds_write_b32 v45, v59
	s_waitcnt lgkmcnt(0)
	s_barrier
	ds_read_b32 v45, v252 offset:12
	s_cmp_lt_i32 s22, 5
	v_mov_b32_e32 v46, 3
	s_cbranch_scc1 .LBB50_52
; %bb.50:
	scratch_load_dword v46, off, off offset:1024 ; 4-byte Folded Reload
	s_mov_b32 s0, 4
	s_waitcnt vmcnt(0)
	v_add3_u32 v47, v46, 0, 16
	v_mov_b32_e32 v46, 3
.LBB50_51:                              ; =>This Inner Loop Header: Depth=1
	ds_read_b32 v48, v47
	v_add_u32_e32 v47, 4, v47
	s_waitcnt lgkmcnt(0)
	v_cmp_lt_f32_e64 vcc, |v45|, |v48|
	s_nop 1
	v_cndmask_b32_e32 v45, v45, v48, vcc
	v_mov_b32_e32 v48, s0
	s_add_i32 s0, s0, 1
	v_cndmask_b32_e32 v46, v46, v48, vcc
	s_cmp_lg_u32 s22, s0
	s_cbranch_scc1 .LBB50_51
.LBB50_52:
	s_waitcnt lgkmcnt(0)
	v_cmp_eq_f32_e32 vcc, 0, v45
	s_and_saveexec_b64 s[0:1], vcc
	s_xor_b64 s[0:1], exec, s[0:1]
; %bb.53:
	v_cmp_ne_u32_e32 vcc, 0, v106
	s_nop 1
	v_cndmask_b32_e32 v106, 4, v106, vcc
; %bb.54:
	s_andn2_saveexec_b64 s[0:1], s[0:1]
	s_cbranch_execz .LBB50_56
; %bb.55:
	v_div_scale_f32 v47, s[2:3], v45, v45, 1.0
	v_rcp_f32_e32 v48, v47
	v_div_scale_f32 v49, vcc, 1.0, v45, 1.0
	v_fma_f32 v50, -v47, v48, 1.0
	v_fmac_f32_e32 v48, v50, v48
	v_mul_f32_e32 v50, v49, v48
	v_fma_f32 v51, -v47, v50, v49
	v_fmac_f32_e32 v50, v51, v48
	v_fma_f32 v47, -v47, v50, v49
	v_div_fmas_f32 v47, v47, v48, v50
	v_div_fixup_f32 v45, v47, v45, 1.0
.LBB50_56:
	s_or_b64 exec, exec, s[0:1]
	v_cmp_ne_u32_e32 vcc, v253, v46
	s_and_saveexec_b64 s[0:1], vcc
	s_xor_b64 s[0:1], exec, s[0:1]
	s_cbranch_execz .LBB50_62
; %bb.57:
	v_cmp_eq_u32_e32 vcc, 3, v253
	s_and_saveexec_b64 s[2:3], vcc
	s_cbranch_execz .LBB50_61
; %bb.58:
	v_cmp_ne_u32_e32 vcc, 3, v46
	s_xor_b64 s[18:19], s[16:17], -1
	s_and_b64 s[20:21], s[18:19], vcc
	s_and_saveexec_b64 s[18:19], s[20:21]
	s_cbranch_execz .LBB50_60
; %bb.59:
	scratch_load_dwordx2 v[52:53], off, off offset:2952 ; 8-byte Folded Reload
	v_ashrrev_i32_e32 v47, 31, v46
	s_waitcnt vmcnt(0)
	v_lshl_add_u64 v[48:49], v[46:47], 2, v[52:53]
	global_load_dword v47, v[48:49], off
	global_load_dword v50, v[52:53], off offset:12
	s_waitcnt vmcnt(1)
	global_store_dword v[52:53], v47, off offset:12
	s_waitcnt vmcnt(1)
	global_store_dword v[48:49], v50, off
.LBB50_60:
	s_or_b64 exec, exec, s[18:19]
	v_mov_b32_e32 v47, v46
	v_mov_b32_e32 v253, v46
	scratch_store_dword off, v47, off offset:1156 ; 4-byte Folded Spill
.LBB50_61:
	s_or_b64 exec, exec, s[2:3]
.LBB50_62:
	s_andn2_saveexec_b64 s[0:1], s[0:1]
	s_cbranch_execz .LBB50_64
; %bb.63:
	v_mov_b32_e32 v253, 3
	ds_write2_b32 v252, v4, v5 offset0:4 offset1:5
	ds_write2_b32 v252, v6, v7 offset0:6 offset1:7
	;; [unrolled: 1-line block ×11, first 2 shown]
.LBB50_64:
	s_or_b64 exec, exec, s[0:1]
	v_cmp_lt_i32_e32 vcc, 3, v253
	s_waitcnt lgkmcnt(0)
	s_barrier
	s_and_saveexec_b64 s[0:1], vcc
	s_cbranch_execz .LBB50_66
; %bb.65:
	ds_read2_b32 v[28:29], v252 offset0:4 offset1:5
	ds_read2_b32 v[30:31], v252 offset0:6 offset1:7
	ds_read2_b32 v[32:33], v252 offset0:8 offset1:9
	ds_read2_b32 v[26:27], v252 offset0:24 offset1:25
	ds_read2_b32 v[2:3], v252 offset0:10 offset1:11
	v_mul_f32_e32 v0, v59, v45
	s_waitcnt lgkmcnt(4)
	v_pk_fma_f32 v[180:181], v[0:1], v[28:29], v[4:5] op_sel_hi:[0,1,1] neg_lo:[1,0,0] neg_hi:[1,0,0]
	s_waitcnt lgkmcnt(3)
	v_pk_fma_f32 v[74:75], v[0:1], v[30:31], v[6:7] op_sel_hi:[0,1,1] neg_lo:[1,0,0] neg_hi:[1,0,0]
	s_waitcnt lgkmcnt(2)
	v_pk_fma_f32 v[104:105], v[0:1], v[32:33], v[8:9] op_sel_hi:[0,1,1] neg_lo:[1,0,0] neg_hi:[1,0,0]
	ds_read2_b32 v[4:5], v252 offset0:22 offset1:23
	s_waitcnt lgkmcnt(2)
	v_pk_fma_f32 v[24:25], v[0:1], v[26:27], v[24:25] op_sel_hi:[0,1,1] neg_lo:[1,0,0] neg_hi:[1,0,0]
	scratch_load_dwordx4 v[26:29], off, off offset:3728 ; 16-byte Folded Reload
	scratch_load_dwordx4 v[30:33], off, off offset:3744 ; 16-byte Folded Reload
	;; [unrolled: 1-line block ×8, first 2 shown]
	s_waitcnt vmcnt(7)
	v_mov_b32_e32 v29, v0
	s_waitcnt vmcnt(6)
	v_mov_b32_e32 v30, v180
	v_mov_b32_e32 v31, v181
	s_waitcnt lgkmcnt(1)
	v_pk_fma_f32 v[150:151], v[0:1], v[2:3], v[10:11] op_sel_hi:[0,1,1] neg_lo:[1,0,0] neg_hi:[1,0,0]
	v_mov_b32_e32 v71, v0
	v_mov_b32_e32 v72, v180
	;; [unrolled: 1-line block ×42, first 2 shown]
	s_waitcnt lgkmcnt(0)
	v_pk_fma_f32 v[204:205], v[0:1], v[4:5], v[22:23] op_sel_hi:[0,1,1] neg_lo:[1,0,0] neg_hi:[1,0,0]
	v_mov_b32_e32 v185, v0
	v_mov_b32_e32 v190, v104
	v_mov_b32_e32 v191, v105
	v_mov_b32_e32 v186, v180
	v_mov_b32_e32 v187, v181
	v_mov_b32_e32 v192, v150
	v_mov_b32_e32 v193, v151
	v_mov_b32_e32 v144, v180
	v_mov_b32_e32 v145, v181
	v_mov_b32_e32 v130, v180
	v_mov_b32_e32 v131, v181
	v_mov_b32_e32 v112, v180
	v_mov_b32_e32 v113, v181
	v_mov_b32_e32 v222, v180
	v_mov_b32_e32 v223, v181
	v_mov_b32_e32 v158, v180
	v_mov_b32_e32 v159, v181
	v_mov_b32_e32 v4, v180
	v_mov_b32_e32 v5, v181
	v_mov_b32_e32 v22, v204
	v_mov_b32_e32 v23, v205
	v_mov_b32_e32 v118, v150
	v_mov_b32_e32 v119, v151
	v_mov_b32_e32 v164, v150
	v_mov_b32_e32 v165, v151
	v_mov_b32_e32 v78, v28
	v_mov_b32_e32 v77, v27
	v_mov_b32_e32 v76, v26
	v_mov_b32_e32 v68, v76
	scratch_store_dwordx4 off, v[26:29], off offset:2960 ; 16-byte Folded Spill
	s_nop 0
	scratch_store_dwordx4 off, v[30:33], off offset:2976 ; 16-byte Folded Spill
	s_waitcnt vmcnt(7)
	scratch_store_dwordx4 off, v[34:37], off offset:2992 ; 16-byte Folded Spill
	s_waitcnt vmcnt(7)
	;; [unrolled: 2-line block ×6, first 2 shown]
	scratch_store_dwordx4 off, v[54:57], off offset:3072 ; 16-byte Folded Spill
	v_mov_b32_e32 v32, v74
	v_mov_b32_e32 v33, v75
	;; [unrolled: 1-line block ×32, first 2 shown]
	scratch_store_dwordx4 off, v[26:29], off offset:2696 ; 16-byte Folded Spill
	s_nop 0
	scratch_store_dwordx4 off, v[30:33], off offset:2712 ; 16-byte Folded Spill
	scratch_store_dwordx4 off, v[34:37], off offset:2728 ; 16-byte Folded Spill
	;; [unrolled: 1-line block ×7, first 2 shown]
	v_mov_b32_e32 v34, v104
	v_mov_b32_e32 v35, v105
	scratch_store_dwordx4 off, v[26:29], off offset:2440 ; 16-byte Folded Spill
	s_nop 0
	scratch_store_dwordx4 off, v[30:33], off offset:2456 ; 16-byte Folded Spill
	scratch_store_dwordx4 off, v[34:37], off offset:2472 ; 16-byte Folded Spill
	;; [unrolled: 1-line block ×7, first 2 shown]
	v_mov_b32_e32 v36, v150
	v_mov_b32_e32 v37, v151
	scratch_store_dwordx4 off, v[26:29], off offset:1544 ; 16-byte Folded Spill
	s_nop 0
	scratch_store_dwordx4 off, v[30:33], off offset:1560 ; 16-byte Folded Spill
	scratch_store_dwordx4 off, v[34:37], off offset:1576 ; 16-byte Folded Spill
	;; [unrolled: 1-line block ×7, first 2 shown]
	ds_read2_b32 v[2:3], v252 offset0:12 offset1:13
	ds_read2_b32 v[6:7], v252 offset0:14 offset1:15
	;; [unrolled: 1-line block ×4, first 2 shown]
	s_waitcnt lgkmcnt(3)
	v_pk_fma_f32 v[138:139], v[0:1], v[2:3], v[12:13] op_sel_hi:[0,1,1] neg_lo:[1,0,0] neg_hi:[1,0,0]
	v_mov_b32_e32 v38, v138
	v_mov_b32_e32 v39, v139
	s_waitcnt lgkmcnt(2)
	v_pk_fma_f32 v[94:95], v[0:1], v[6:7], v[14:15] op_sel_hi:[0,1,1] neg_lo:[1,0,0] neg_hi:[1,0,0]
	s_waitcnt lgkmcnt(1)
	v_pk_fma_f32 v[124:125], v[0:1], v[8:9], v[16:17] op_sel_hi:[0,1,1] neg_lo:[1,0,0] neg_hi:[1,0,0]
	s_waitcnt lgkmcnt(0)
	v_pk_fma_f32 v[236:237], v[0:1], v[10:11], v[18:19] op_sel_hi:[0,1,1] neg_lo:[1,0,0] neg_hi:[1,0,0]
	v_mov_b32_e32 v58, v138
	v_mov_b32_e32 v59, v139
	;; [unrolled: 1-line block ×48, first 2 shown]
	scratch_store_dwordx4 off, v[26:29], off offset:1160 ; 16-byte Folded Spill
	s_nop 0
	scratch_store_dwordx4 off, v[30:33], off offset:1176 ; 16-byte Folded Spill
	scratch_store_dwordx4 off, v[34:37], off offset:1192 ; 16-byte Folded Spill
	scratch_store_dwordx4 off, v[38:41], off offset:1208 ; 16-byte Folded Spill
	scratch_store_dwordx4 off, v[42:45], off offset:1224 ; 16-byte Folded Spill
	scratch_store_dwordx4 off, v[46:49], off offset:1240 ; 16-byte Folded Spill
	scratch_store_dwordx4 off, v[50:53], off offset:1256 ; 16-byte Folded Spill
	scratch_store_dwordx4 off, v[54:57], off offset:1272 ; 16-byte Folded Spill
	v_mov_b32_e32 v40, v94
	v_mov_b32_e32 v41, v95
	scratch_store_dwordx4 off, v[26:29], off offset:768 ; 16-byte Folded Spill
	s_nop 0
	scratch_store_dwordx4 off, v[30:33], off offset:784 ; 16-byte Folded Spill
	scratch_store_dwordx4 off, v[34:37], off offset:800 ; 16-byte Folded Spill
	scratch_store_dwordx4 off, v[38:41], off offset:816 ; 16-byte Folded Spill
	scratch_store_dwordx4 off, v[42:45], off offset:832 ; 16-byte Folded Spill
	scratch_store_dwordx4 off, v[46:49], off offset:848 ; 16-byte Folded Spill
	scratch_store_dwordx4 off, v[50:53], off offset:864 ; 16-byte Folded Spill
	scratch_store_dwordx4 off, v[54:57], off offset:880 ; 16-byte Folded Spill
	v_mov_b32_e32 v42, v124
	v_mov_b32_e32 v43, v125
	;; [unrolled: 11-line block ×3, first 2 shown]
	v_mov_b32_e32 v48, v78
	v_mov_b32_e32 v49, v0
	;; [unrolled: 1-line block ×10, first 2 shown]
	scratch_store_dwordx4 off, v[46:49], off offset:384 ; 16-byte Folded Spill
	s_nop 0
	scratch_store_dwordx4 off, v[50:53], off offset:400 ; 16-byte Folded Spill
	scratch_store_dwordx4 off, v[54:57], off offset:416 ; 16-byte Folded Spill
	;; [unrolled: 1-line block ×7, first 2 shown]
	ds_read2_b32 v[2:3], v252 offset0:20 offset1:21
	v_mov_b32_e32 v33, v0
	v_mov_b32_e32 v32, v78
	;; [unrolled: 1-line block ×4, first 2 shown]
	s_waitcnt lgkmcnt(0)
	v_pk_fma_f32 v[174:175], v[0:1], v[2:3], v[20:21] op_sel_hi:[0,1,1] neg_lo:[1,0,0] neg_hi:[1,0,0]
	v_mov_b32_e32 v66, v174
	v_mov_b32_e32 v67, v175
	;; [unrolled: 1-line block ×21, first 2 shown]
	scratch_store_dwordx4 off, v[46:49], off offset:896 ; 16-byte Folded Spill
	s_nop 0
	scratch_store_dwordx4 off, v[50:53], off offset:912 ; 16-byte Folded Spill
	scratch_store_dwordx4 off, v[54:57], off offset:928 ; 16-byte Folded Spill
	scratch_store_dwordx4 off, v[58:61], off offset:944 ; 16-byte Folded Spill
	scratch_store_dwordx4 off, v[62:65], off offset:960 ; 16-byte Folded Spill
	scratch_store_dwordx4 off, v[66:69], off offset:976 ; 16-byte Folded Spill
	scratch_store_dwordx4 off, v[70:73], off offset:992 ; 16-byte Folded Spill
	scratch_store_dwordx4 off, v[74:77], off offset:1008 ; 16-byte Folded Spill
	v_mov_b32_e32 v52, v204
	v_mov_b32_e32 v53, v205
	;; [unrolled: 1-line block ×14, first 2 shown]
	scratch_store_dwordx4 off, v[76:79], off offset:3344 ; 16-byte Folded Spill
	s_nop 0
	scratch_store_dwordx4 off, v[80:83], off offset:3360 ; 16-byte Folded Spill
	scratch_store_dwordx4 off, v[84:87], off offset:3376 ; 16-byte Folded Spill
	scratch_store_dwordx4 off, v[88:91], off offset:3392 ; 16-byte Folded Spill
	scratch_store_dwordx4 off, v[92:95], off offset:3408 ; 16-byte Folded Spill
	scratch_store_dwordx4 off, v[96:99], off offset:3424 ; 16-byte Folded Spill
	scratch_store_dwordx4 off, v[100:103], off offset:3440 ; 16-byte Folded Spill
	scratch_store_dwordx4 off, v[104:107], off offset:3456 ; 16-byte Folded Spill
	v_mov_b32_e32 v188, v74
	v_mov_b32_e32 v189, v75
	;; [unrolled: 1-line block ×6, first 2 shown]
	scratch_store_dwordx4 off, v[176:179], off offset:3216 ; 16-byte Folded Spill
	s_nop 0
	scratch_store_dwordx4 off, v[180:183], off offset:3232 ; 16-byte Folded Spill
	scratch_store_dwordx4 off, v[184:187], off offset:3248 ; 16-byte Folded Spill
	scratch_store_dwordx4 off, v[188:191], off offset:3264 ; 16-byte Folded Spill
	scratch_store_dwordx4 off, v[192:195], off offset:3280 ; 16-byte Folded Spill
	scratch_store_dwordx4 off, v[196:199], off offset:3296 ; 16-byte Folded Spill
	scratch_store_dwordx4 off, v[200:203], off offset:3312 ; 16-byte Folded Spill
	scratch_store_dwordx4 off, v[204:207], off offset:3328 ; 16-byte Folded Spill
	v_mov_b32_e32 v210, v74
	scratch_store_dwordx4 off, v[68:71], off offset:1672 ; 16-byte Folded Spill
	s_nop 0
	scratch_store_dwordx4 off, v[72:75], off offset:1688 ; 16-byte Folded Spill
	scratch_store_dwordx4 off, v[76:79], off offset:1704 ; 16-byte Folded Spill
	scratch_store_dwordx4 off, v[80:83], off offset:1720 ; 16-byte Folded Spill
	scratch_store_dwordx4 off, v[84:87], off offset:1736 ; 16-byte Folded Spill
	scratch_store_dwordx4 off, v[88:91], off offset:1752 ; 16-byte Folded Spill
	scratch_store_dwordx4 off, v[92:95], off offset:1768 ; 16-byte Folded Spill
	scratch_store_dwordx4 off, v[96:99], off offset:1784 ; 16-byte Folded Spill
	v_mov_b32_e32 v208, v104
	;; [unrolled: 10-line block ×4, first 2 shown]
	v_mov_b32_e32 v26, v94
	v_mov_b32_e32 v29, v181
	;; [unrolled: 1-line block ×5, first 2 shown]
	scratch_store_dwordx4 off, v[126:129], off offset:1288 ; 16-byte Folded Spill
	s_nop 0
	scratch_store_dwordx4 off, v[130:133], off offset:1304 ; 16-byte Folded Spill
	scratch_store_dwordx4 off, v[134:137], off offset:1320 ; 16-byte Folded Spill
	;; [unrolled: 1-line block ×8, first 2 shown]
	s_nop 0
	scratch_store_dwordx4 off, v[84:87], off offset:1044 ; 16-byte Folded Spill
	scratch_store_dwordx4 off, v[88:91], off offset:1060 ; 16-byte Folded Spill
	;; [unrolled: 1-line block ×7, first 2 shown]
	v_mov_b32_e32 v152, v236
	scratch_store_dwordx4 off, v[218:221], off offset:512 ; 16-byte Folded Spill
	s_nop 0
	scratch_store_dwordx4 off, v[222:225], off offset:528 ; 16-byte Folded Spill
	scratch_store_dwordx4 off, v[226:229], off offset:544 ; 16-byte Folded Spill
	;; [unrolled: 1-line block ×8, first 2 shown]
	s_nop 0
	scratch_store_dwordx4 off, v[222:225], off offset:272 ; 16-byte Folded Spill
	scratch_store_dwordx4 off, v[226:229], off offset:288 ; 16-byte Folded Spill
	;; [unrolled: 1-line block ×7, first 2 shown]
	v_mov_b32_e32 v86, v204
	scratch_store_dwordx4 off, v[182:185], off offset:128 ; 16-byte Folded Spill
	s_nop 0
	scratch_store_dwordx4 off, v[186:189], off offset:144 ; 16-byte Folded Spill
	scratch_store_dwordx4 off, v[190:193], off offset:160 ; 16-byte Folded Spill
	;; [unrolled: 1-line block ×7, first 2 shown]
	v_mov_b64_e32 v[232:233], v[44:45]
	v_mov_b64_e32 v[240:241], v[52:53]
	v_mov_b32_e32 v88, v124
	v_mov_b32_e32 v89, v125
	v_mov_b64_e32 v[230:231], v[42:43]
	v_mov_b64_e32 v[228:229], v[40:41]
	v_mov_b64_e32 v[226:227], v[38:39]
	v_mov_b64_e32 v[224:225], v[36:37]
	v_mov_b64_e32 v[222:223], v[34:35]
	v_mov_b64_e32 v[220:221], v[32:33]
	v_mov_b64_e32 v[218:219], v[30:31]
	v_mov_b64_e32 v[238:239], v[50:51]
	v_mov_b64_e32 v[236:237], v[48:49]
	v_mov_b64_e32 v[234:235], v[46:47]
	v_mov_b32_e32 v150, v174
	v_mov_b32_e32 v151, v175
	;; [unrolled: 1-line block ×3, first 2 shown]
	scratch_store_dwordx4 off, v[20:23], off ; 16-byte Folded Spill
	s_nop 0
	scratch_store_dwordx4 off, v[24:27], off offset:16 ; 16-byte Folded Spill
	scratch_store_dwordx4 off, v[28:31], off offset:32 ; 16-byte Folded Spill
	;; [unrolled: 1-line block ×7, first 2 shown]
	v_mov_b32_e32 v91, v95
	v_mov_b32_e32 v87, v205
.LBB50_66:
	s_or_b64 exec, exec, s[0:1]
	v_lshl_add_u32 v45, v253, 2, v252
	s_waitcnt vmcnt(63) expcnt(7) lgkmcnt(15)
	s_barrier
	ds_write_b32 v45, v28
	s_waitcnt lgkmcnt(0)
	s_barrier
	ds_read_b32 v45, v252 offset:16
	s_cmp_lt_i32 s22, 6
	v_mov_b32_e32 v46, 4
	s_cbranch_scc1 .LBB50_69
; %bb.67:
	scratch_load_dword v46, off, off offset:1024 ; 4-byte Folded Reload
	s_mov_b32 s0, 5
	s_waitcnt vmcnt(0)
	v_add3_u32 v47, v46, 0, 20
	v_mov_b32_e32 v46, 4
.LBB50_68:                              ; =>This Inner Loop Header: Depth=1
	ds_read_b32 v48, v47
	v_add_u32_e32 v47, 4, v47
	s_waitcnt lgkmcnt(0)
	v_cmp_lt_f32_e64 vcc, |v45|, |v48|
	s_nop 1
	v_cndmask_b32_e32 v45, v45, v48, vcc
	v_mov_b32_e32 v48, s0
	s_add_i32 s0, s0, 1
	v_cndmask_b32_e32 v46, v46, v48, vcc
	s_cmp_lg_u32 s22, s0
	s_cbranch_scc1 .LBB50_68
.LBB50_69:
	s_waitcnt lgkmcnt(0)
	v_cmp_eq_f32_e32 vcc, 0, v45
	s_and_saveexec_b64 s[0:1], vcc
	s_xor_b64 s[0:1], exec, s[0:1]
; %bb.70:
	v_cmp_ne_u32_e32 vcc, 0, v106
	s_nop 1
	v_cndmask_b32_e32 v106, 5, v106, vcc
; %bb.71:
	s_andn2_saveexec_b64 s[0:1], s[0:1]
	s_cbranch_execz .LBB50_73
; %bb.72:
	v_div_scale_f32 v47, s[2:3], v45, v45, 1.0
	v_rcp_f32_e32 v48, v47
	v_div_scale_f32 v49, vcc, 1.0, v45, 1.0
	v_fma_f32 v50, -v47, v48, 1.0
	v_fmac_f32_e32 v48, v50, v48
	v_mul_f32_e32 v50, v49, v48
	v_fma_f32 v51, -v47, v50, v49
	v_fmac_f32_e32 v50, v51, v48
	v_fma_f32 v47, -v47, v50, v49
	v_div_fmas_f32 v47, v47, v48, v50
	v_div_fixup_f32 v45, v47, v45, 1.0
.LBB50_73:
	s_or_b64 exec, exec, s[0:1]
	v_cmp_ne_u32_e32 vcc, v253, v46
	s_and_saveexec_b64 s[0:1], vcc
	s_xor_b64 s[0:1], exec, s[0:1]
	s_cbranch_execz .LBB50_79
; %bb.74:
	v_cmp_eq_u32_e32 vcc, 4, v253
	s_and_saveexec_b64 s[2:3], vcc
	s_cbranch_execz .LBB50_78
; %bb.75:
	v_cmp_ne_u32_e32 vcc, 4, v46
	s_xor_b64 s[18:19], s[16:17], -1
	s_and_b64 s[20:21], s[18:19], vcc
	s_and_saveexec_b64 s[18:19], s[20:21]
	s_cbranch_execz .LBB50_77
; %bb.76:
	scratch_load_dwordx2 v[52:53], off, off offset:2952 ; 8-byte Folded Reload
	v_ashrrev_i32_e32 v47, 31, v46
	s_waitcnt vmcnt(0)
	v_lshl_add_u64 v[48:49], v[46:47], 2, v[52:53]
	global_load_dword v47, v[48:49], off
	global_load_dword v50, v[52:53], off offset:16
	s_waitcnt vmcnt(1)
	global_store_dword v[52:53], v47, off offset:16
	s_waitcnt vmcnt(1)
	global_store_dword v[48:49], v50, off
.LBB50_77:
	s_or_b64 exec, exec, s[18:19]
	v_mov_b32_e32 v47, v46
	v_mov_b32_e32 v253, v46
	scratch_store_dword off, v47, off offset:1156 ; 4-byte Folded Spill
.LBB50_78:
	s_or_b64 exec, exec, s[2:3]
.LBB50_79:
	s_andn2_saveexec_b64 s[0:1], s[0:1]
	s_cbranch_execz .LBB50_81
; %bb.80:
	ds_write2_b32 v252, v5, v6 offset0:5 offset1:6
	ds_write2_b32 v252, v7, v8 offset0:7 offset1:8
	;; [unrolled: 1-line block ×10, first 2 shown]
	scratch_load_dwordx4 v[176:179], off, off ; 16-byte Folded Reload
	scratch_load_dwordx4 v[180:183], off, off offset:16 ; 16-byte Folded Reload
	scratch_load_dwordx4 v[184:187], off, off offset:32 ; 16-byte Folded Reload
	scratch_load_dwordx4 v[188:191], off, off offset:48 ; 16-byte Folded Reload
	scratch_load_dwordx4 v[192:195], off, off offset:64 ; 16-byte Folded Reload
	scratch_load_dwordx4 v[196:199], off, off offset:80 ; 16-byte Folded Reload
	scratch_load_dwordx4 v[200:203], off, off offset:96 ; 16-byte Folded Reload
	scratch_load_dwordx4 v[204:207], off, off offset:112 ; 16-byte Folded Reload
	v_mov_b32_e32 v253, 4
	s_waitcnt vmcnt(1)
	ds_write_b32 v252, v201 offset:100
.LBB50_81:
	s_or_b64 exec, exec, s[0:1]
	v_cmp_lt_i32_e32 vcc, 4, v253
	s_waitcnt lgkmcnt(0)
	s_barrier
	s_and_saveexec_b64 s[0:1], vcc
	s_cbranch_execz .LBB50_83
; %bb.82:
	scratch_load_dwordx4 v[108:111], off, off offset:3344 ; 16-byte Folded Reload
	scratch_load_dwordx4 v[112:115], off, off offset:3360 ; 16-byte Folded Reload
	;; [unrolled: 1-line block ×8, first 2 shown]
	ds_read2_b32 v[0:1], v252 offset0:5 offset1:6
	v_mul_f32_e32 v62, v28, v45
	v_mov_b32_e32 v2, v5
	ds_read2_b32 v[4:5], v252 offset0:7 offset1:8
	ds_read2_b32 v[26:27], v252 offset0:9 offset1:10
	;; [unrolled: 1-line block ×3, first 2 shown]
	v_mov_b32_e32 v3, v6
	s_waitcnt lgkmcnt(3)
	v_pk_fma_f32 v[46:47], v[62:63], v[0:1], v[2:3] op_sel_hi:[0,1,1] neg_lo:[1,0,0] neg_hi:[1,0,0]
	v_mov_b32_e32 v0, v7
	v_mov_b32_e32 v1, v8
	s_waitcnt lgkmcnt(2)
	v_pk_fma_f32 v[48:49], v[62:63], v[4:5], v[0:1] op_sel_hi:[0,1,1] neg_lo:[1,0,0] neg_hi:[1,0,0]
	v_mov_b32_e32 v0, v9
	;; [unrolled: 4-line block ×3, first 2 shown]
	v_mov_b32_e32 v1, v12
	s_waitcnt lgkmcnt(0)
	v_pk_fma_f32 v[52:53], v[62:63], v[28:29], v[0:1] op_sel_hi:[0,1,1] neg_lo:[1,0,0] neg_hi:[1,0,0]
	ds_read2_b32 v[0:1], v252 offset0:13 offset1:14
	ds_read2_b32 v[4:5], v252 offset0:15 offset1:16
	;; [unrolled: 1-line block ×4, first 2 shown]
	v_mov_b32_e32 v2, v13
	v_mov_b32_e32 v3, v14
	s_waitcnt vmcnt(6)
	v_mov_b32_e32 v112, v62
	s_waitcnt lgkmcnt(3)
	v_pk_fma_f32 v[54:55], v[62:63], v[0:1], v[2:3] op_sel_hi:[0,1,1] neg_lo:[1,0,0] neg_hi:[1,0,0]
	v_mov_b32_e32 v0, v15
	v_mov_b32_e32 v1, v16
	s_waitcnt lgkmcnt(2)
	v_pk_fma_f32 v[56:57], v[62:63], v[4:5], v[0:1] op_sel_hi:[0,1,1] neg_lo:[1,0,0] neg_hi:[1,0,0]
	v_mov_b32_e32 v0, v17
	;; [unrolled: 4-line block ×3, first 2 shown]
	v_mov_b32_e32 v1, v20
	s_waitcnt lgkmcnt(0)
	v_pk_fma_f32 v[82:83], v[62:63], v[8:9], v[0:1] op_sel_hi:[0,1,1] neg_lo:[1,0,0] neg_hi:[1,0,0]
	ds_read2_b32 v[0:1], v252 offset0:21 offset1:22
	v_mov_b32_e32 v2, v21
	v_mov_b32_e32 v3, v22
	ds_read2_b32 v[4:5], v252 offset0:23 offset1:24
	ds_read_b32 v6, v252 offset:100
	v_mov_b32_e32 v158, v62
	s_waitcnt lgkmcnt(2)
	v_pk_fma_f32 v[84:85], v[62:63], v[0:1], v[2:3] op_sel_hi:[0,1,1] neg_lo:[1,0,0] neg_hi:[1,0,0]
	v_mov_b32_e32 v0, v23
	v_mov_b32_e32 v1, v24
	scratch_load_dwordx4 v[8:11], off, off  ; 16-byte Folded Reload
	scratch_load_dwordx4 v[12:15], off, off offset:16 ; 16-byte Folded Reload
	scratch_load_dwordx4 v[16:19], off, off offset:32 ; 16-byte Folded Reload
	scratch_load_dwordx4 v[20:23], off, off offset:48 ; 16-byte Folded Reload
	scratch_load_dwordx4 v[24:27], off, off offset:64 ; 16-byte Folded Reload
	scratch_load_dwordx4 v[28:31], off, off offset:80 ; 16-byte Folded Reload
	scratch_load_dwordx4 v[32:35], off, off offset:96 ; 16-byte Folded Reload
	scratch_load_dwordx4 v[36:39], off, off offset:112 ; 16-byte Folded Reload
	s_waitcnt lgkmcnt(1)
	v_pk_fma_f32 v[254:255], v[62:63], v[4:5], v[0:1] op_sel_hi:[0,1,1] neg_lo:[1,0,0] neg_hi:[1,0,0]
	v_mov_b32_e32 v4, v62
	v_mov_b32_e32 v5, v46
	;; [unrolled: 1-line block ×17, first 2 shown]
	s_waitcnt vmcnt(13)
	v_mov_b32_e32 v116, v49
	v_mov_b32_e32 v117, v50
	v_mov_b32_e32 v118, v51
	v_mov_b32_e32 v119, v52
	s_waitcnt vmcnt(12)
	v_mov_b32_e32 v120, v53
	v_mov_b32_e32 v121, v54
	v_mov_b32_e32 v122, v55
	v_mov_b32_e32 v123, v56
	;; [unrolled: 5-line block ×3, first 2 shown]
	v_mov_b32_e32 v162, v49
	v_mov_b32_e32 v163, v50
	v_mov_b32_e32 v164, v51
	v_mov_b64_e32 v[58:59], v[108:109]
	v_mov_b64_e32 v[60:61], v[110:111]
	v_mov_b32_e32 v0, v58
	v_mov_b32_e32 v1, v59
	;; [unrolled: 1-line block ×35, first 2 shown]
	s_waitcnt vmcnt(8)
	v_mov_b32_e32 v139, v54
	v_mov_b32_e32 v91, v56
	s_waitcnt vmcnt(1) lgkmcnt(0)
	v_fma_f32 v25, -v62, v6, v33
	v_mov_b32_e32 v6, v47
	scratch_store_dwordx4 off, v[0:3], off offset:1672 ; 16-byte Folded Spill
	s_nop 0
	scratch_store_dwordx4 off, v[4:7], off offset:1688 ; 16-byte Folded Spill
	scratch_store_dwordx4 off, v[8:11], off offset:1704 ; 16-byte Folded Spill
	scratch_store_dwordx4 off, v[12:15], off offset:1720 ; 16-byte Folded Spill
	scratch_store_dwordx4 off, v[16:19], off offset:1736 ; 16-byte Folded Spill
	scratch_store_dwordx4 off, v[20:23], off offset:1752 ; 16-byte Folded Spill
	scratch_store_dwordx4 off, v[24:27], off offset:1768 ; 16-byte Folded Spill
	scratch_store_dwordx4 off, v[28:31], off offset:1784 ; 16-byte Folded Spill
	v_mov_b32_e32 v7, v48
	scratch_store_dwordx4 off, v[0:3], off offset:2696 ; 16-byte Folded Spill
	s_nop 0
	scratch_store_dwordx4 off, v[4:7], off offset:2712 ; 16-byte Folded Spill
	scratch_store_dwordx4 off, v[8:11], off offset:2728 ; 16-byte Folded Spill
	scratch_store_dwordx4 off, v[12:15], off offset:2744 ; 16-byte Folded Spill
	scratch_store_dwordx4 off, v[16:19], off offset:2760 ; 16-byte Folded Spill
	scratch_store_dwordx4 off, v[20:23], off offset:2776 ; 16-byte Folded Spill
	scratch_store_dwordx4 off, v[24:27], off offset:2792 ; 16-byte Folded Spill
	scratch_store_dwordx4 off, v[28:31], off offset:2808 ; 16-byte Folded Spill
	;; [unrolled: 10-line block ×10, first 2 shown]
	v_mov_b32_e32 v16, v57
	v_mov_b32_e32 v17, v80
	scratch_store_dwordx4 off, v[0:3], off offset:640 ; 16-byte Folded Spill
	s_nop 0
	scratch_store_dwordx4 off, v[4:7], off offset:656 ; 16-byte Folded Spill
	scratch_store_dwordx4 off, v[8:11], off offset:672 ; 16-byte Folded Spill
	scratch_store_dwordx4 off, v[12:15], off offset:688 ; 16-byte Folded Spill
	scratch_store_dwordx4 off, v[16:19], off offset:704 ; 16-byte Folded Spill
	scratch_store_dwordx4 off, v[20:23], off offset:720 ; 16-byte Folded Spill
	scratch_store_dwordx4 off, v[24:27], off offset:736 ; 16-byte Folded Spill
	scratch_store_dwordx4 off, v[28:31], off offset:752 ; 16-byte Folded Spill
	v_mov_b32_e32 v18, v81
	scratch_store_dwordx4 off, v[0:3], off offset:512 ; 16-byte Folded Spill
	s_nop 0
	scratch_store_dwordx4 off, v[4:7], off offset:528 ; 16-byte Folded Spill
	scratch_store_dwordx4 off, v[8:11], off offset:544 ; 16-byte Folded Spill
	scratch_store_dwordx4 off, v[12:15], off offset:560 ; 16-byte Folded Spill
	scratch_store_dwordx4 off, v[16:19], off offset:576 ; 16-byte Folded Spill
	scratch_store_dwordx4 off, v[20:23], off offset:592 ; 16-byte Folded Spill
	scratch_store_dwordx4 off, v[24:27], off offset:608 ; 16-byte Folded Spill
	scratch_store_dwordx4 off, v[28:31], off offset:624 ; 16-byte Folded Spill
	;; [unrolled: 10-line block ×3, first 2 shown]
	v_mov_b32_e32 v20, v83
	v_mov_b32_e32 v21, v84
	scratch_store_dwordx4 off, v[0:3], off offset:896 ; 16-byte Folded Spill
	s_nop 0
	scratch_store_dwordx4 off, v[4:7], off offset:912 ; 16-byte Folded Spill
	scratch_store_dwordx4 off, v[8:11], off offset:928 ; 16-byte Folded Spill
	;; [unrolled: 1-line block ×7, first 2 shown]
	v_mov_b32_e32 v22, v85
	scratch_store_dwordx4 off, v[0:3], off offset:128 ; 16-byte Folded Spill
	s_nop 0
	scratch_store_dwordx4 off, v[4:7], off offset:144 ; 16-byte Folded Spill
	scratch_store_dwordx4 off, v[8:11], off offset:160 ; 16-byte Folded Spill
	scratch_store_dwordx4 off, v[12:15], off offset:176 ; 16-byte Folded Spill
	scratch_store_dwordx4 off, v[16:19], off offset:192 ; 16-byte Folded Spill
	scratch_store_dwordx4 off, v[20:23], off offset:208 ; 16-byte Folded Spill
	scratch_store_dwordx4 off, v[24:27], off offset:224 ; 16-byte Folded Spill
	scratch_store_dwordx4 off, v[28:31], off offset:240 ; 16-byte Folded Spill
	scratch_store_dwordx4 off, v[58:61], off offset:2960 ; 16-byte Folded Spill
	s_nop 0
	scratch_store_dwordx4 off, v[62:65], off offset:2976 ; 16-byte Folded Spill
	scratch_store_dwordx4 off, v[66:69], off offset:2992 ; 16-byte Folded Spill
	scratch_store_dwordx4 off, v[70:73], off offset:3008 ; 16-byte Folded Spill
	scratch_store_dwordx4 off, v[74:77], off offset:3024 ; 16-byte Folded Spill
	scratch_store_dwordx4 off, v[78:81], off offset:3040 ; 16-byte Folded Spill
	scratch_store_dwordx4 off, v[82:85], off offset:3056 ; 16-byte Folded Spill
	scratch_store_dwordx4 off, v[86:89], off offset:3072 ; 16-byte Folded Spill
	;; [unrolled: 9-line block ×3, first 2 shown]
	v_mov_b32_e32 v23, v254
	v_mov_b32_e32 v24, v255
	;; [unrolled: 1-line block ×10, first 2 shown]
	scratch_store_dwordx4 off, v[12:15], off offset:256 ; 16-byte Folded Spill
	s_nop 0
	scratch_store_dwordx4 off, v[16:19], off offset:272 ; 16-byte Folded Spill
	scratch_store_dwordx4 off, v[20:23], off offset:288 ; 16-byte Folded Spill
	scratch_store_dwordx4 off, v[24:27], off offset:304 ; 16-byte Folded Spill
	scratch_store_dwordx4 off, v[28:31], off offset:320 ; 16-byte Folded Spill
	scratch_store_dwordx4 off, v[32:35], off offset:336 ; 16-byte Folded Spill
	s_waitcnt vmcnt(62)
	scratch_store_dwordx4 off, v[36:39], off offset:352 ; 16-byte Folded Spill
	scratch_store_dwordx4 off, v[40:43], off offset:368 ; 16-byte Folded Spill
	v_mov_b32_e32 v89, v80
	v_mov_b32_e32 v152, v81
	;; [unrolled: 1-line block ×6, first 2 shown]
	scratch_store_dwordx4 off, v[20:23], off ; 16-byte Folded Spill
	s_nop 0
	scratch_store_dwordx4 off, v[24:27], off offset:16 ; 16-byte Folded Spill
	scratch_store_dwordx4 off, v[28:31], off offset:32 ; 16-byte Folded Spill
	scratch_store_dwordx4 off, v[32:35], off offset:48 ; 16-byte Folded Spill
	scratch_store_dwordx4 off, v[36:39], off offset:64 ; 16-byte Folded Spill
	scratch_store_dwordx4 off, v[40:43], off offset:80 ; 16-byte Folded Spill
	scratch_store_dwordx4 off, v[44:47], off offset:96 ; 16-byte Folded Spill
	scratch_store_dwordx4 off, v[48:51], off offset:112 ; 16-byte Folded Spill
.LBB50_83:
	s_or_b64 exec, exec, s[0:1]
	v_lshl_add_u32 v45, v253, 2, v252
	s_waitcnt vmcnt(63) expcnt(7) lgkmcnt(15)
	s_barrier
	ds_write_b32 v45, v29
	s_waitcnt lgkmcnt(0)
	s_barrier
	ds_read_b32 v45, v252 offset:20
	s_cmp_lt_i32 s22, 7
	v_mov_b32_e32 v46, 5
	s_cbranch_scc1 .LBB50_86
; %bb.84:
	scratch_load_dword v46, off, off offset:1024 ; 4-byte Folded Reload
	s_mov_b32 s0, 6
	s_waitcnt vmcnt(0)
	v_add3_u32 v47, v46, 0, 24
	v_mov_b32_e32 v46, 5
.LBB50_85:                              ; =>This Inner Loop Header: Depth=1
	ds_read_b32 v48, v47
	v_add_u32_e32 v47, 4, v47
	s_waitcnt lgkmcnt(0)
	v_cmp_lt_f32_e64 vcc, |v45|, |v48|
	s_nop 1
	v_cndmask_b32_e32 v45, v45, v48, vcc
	v_mov_b32_e32 v48, s0
	s_add_i32 s0, s0, 1
	v_cndmask_b32_e32 v46, v46, v48, vcc
	s_cmp_lg_u32 s22, s0
	s_cbranch_scc1 .LBB50_85
.LBB50_86:
	s_waitcnt lgkmcnt(0)
	v_cmp_eq_f32_e32 vcc, 0, v45
	s_and_saveexec_b64 s[0:1], vcc
	s_xor_b64 s[0:1], exec, s[0:1]
; %bb.87:
	v_cmp_ne_u32_e32 vcc, 0, v106
	s_nop 1
	v_cndmask_b32_e32 v106, 6, v106, vcc
; %bb.88:
	s_andn2_saveexec_b64 s[0:1], s[0:1]
	s_cbranch_execz .LBB50_90
; %bb.89:
	v_div_scale_f32 v47, s[2:3], v45, v45, 1.0
	v_rcp_f32_e32 v48, v47
	v_div_scale_f32 v49, vcc, 1.0, v45, 1.0
	v_fma_f32 v50, -v47, v48, 1.0
	v_fmac_f32_e32 v48, v50, v48
	v_mul_f32_e32 v50, v49, v48
	v_fma_f32 v51, -v47, v50, v49
	v_fmac_f32_e32 v50, v51, v48
	v_fma_f32 v47, -v47, v50, v49
	v_div_fmas_f32 v47, v47, v48, v50
	v_div_fixup_f32 v45, v47, v45, 1.0
.LBB50_90:
	s_or_b64 exec, exec, s[0:1]
	v_cmp_ne_u32_e32 vcc, v253, v46
	s_and_saveexec_b64 s[0:1], vcc
	s_xor_b64 s[0:1], exec, s[0:1]
	s_cbranch_execz .LBB50_96
; %bb.91:
	v_cmp_eq_u32_e32 vcc, 5, v253
	s_and_saveexec_b64 s[2:3], vcc
	s_cbranch_execz .LBB50_95
; %bb.92:
	v_cmp_ne_u32_e32 vcc, 5, v46
	s_xor_b64 s[18:19], s[16:17], -1
	s_and_b64 s[20:21], s[18:19], vcc
	s_and_saveexec_b64 s[18:19], s[20:21]
	s_cbranch_execz .LBB50_94
; %bb.93:
	scratch_load_dwordx2 v[52:53], off, off offset:2952 ; 8-byte Folded Reload
	v_ashrrev_i32_e32 v47, 31, v46
	s_waitcnt vmcnt(0)
	v_lshl_add_u64 v[48:49], v[46:47], 2, v[52:53]
	global_load_dword v47, v[48:49], off
	global_load_dword v50, v[52:53], off offset:20
	s_waitcnt vmcnt(1)
	global_store_dword v[52:53], v47, off offset:20
	s_waitcnt vmcnt(1)
	global_store_dword v[48:49], v50, off
.LBB50_94:
	s_or_b64 exec, exec, s[18:19]
	v_mov_b32_e32 v47, v46
	v_mov_b32_e32 v253, v46
	scratch_store_dword off, v47, off offset:1156 ; 4-byte Folded Spill
.LBB50_95:
	s_or_b64 exec, exec, s[2:3]
.LBB50_96:
	s_or_saveexec_b64 s[0:1], s[0:1]
	scratch_store_dwordx4 off, v[218:221], off offset:1416 ; 16-byte Folded Spill
	s_nop 0
	scratch_store_dwordx4 off, v[222:225], off offset:1432 ; 16-byte Folded Spill
	scratch_store_dwordx4 off, v[226:229], off offset:1448 ; 16-byte Folded Spill
	scratch_store_dwordx4 off, v[230:233], off offset:1464 ; 16-byte Folded Spill
	scratch_store_dwordx4 off, v[234:237], off offset:1480 ; 16-byte Folded Spill
	scratch_store_dwordx4 off, v[238:241], off offset:1496 ; 16-byte Folded Spill
	scratch_store_dwordx4 off, v[242:245], off offset:1512 ; 16-byte Folded Spill
	scratch_store_dwordx4 off, v[246:249], off offset:1528 ; 16-byte Folded Spill
	s_xor_b64 exec, exec, s[0:1]
	s_cbranch_execz .LBB50_98
; %bb.97:
	v_mov_b32_e32 v253, 5
	ds_write2_b32 v252, v6, v7 offset0:6 offset1:7
	ds_write2_b32 v252, v8, v9 offset0:8 offset1:9
	;; [unrolled: 1-line block ×10, first 2 shown]
.LBB50_98:
	s_or_b64 exec, exec, s[0:1]
	v_cmp_lt_i32_e32 vcc, 5, v253
	s_waitcnt lgkmcnt(0)
	s_barrier
	s_and_saveexec_b64 s[0:1], vcc
	s_cbranch_execz .LBB50_100
; %bb.99:
	v_mul_f32_e32 v0, v29, v45
	ds_read2_b32 v[26:27], v252 offset0:6 offset1:7
	ds_read2_b32 v[28:29], v252 offset0:8 offset1:9
	;; [unrolled: 1-line block ×5, first 2 shown]
	s_waitcnt lgkmcnt(4)
	v_pk_fma_f32 v[74:75], v[0:1], v[26:27], v[6:7] op_sel_hi:[0,1,1] neg_lo:[1,0,0] neg_hi:[1,0,0]
	ds_read2_b32 v[6:7], v252 offset0:22 offset1:23
	scratch_load_dwordx4 v[176:179], off, off offset:3216 ; 16-byte Folded Reload
	scratch_load_dwordx4 v[180:183], off, off offset:3232 ; 16-byte Folded Reload
	;; [unrolled: 1-line block ×8, first 2 shown]
	s_waitcnt lgkmcnt(4)
	v_pk_fma_f32 v[104:105], v[0:1], v[28:29], v[8:9] op_sel_hi:[0,1,1] neg_lo:[1,0,0] neg_hi:[1,0,0]
	s_waitcnt lgkmcnt(3)
	v_pk_fma_f32 v[150:151], v[0:1], v[30:31], v[10:11] op_sel_hi:[0,1,1] neg_lo:[1,0,0] neg_hi:[1,0,0]
	v_mov_b32_e32 v31, v0
	v_mov_b32_e32 v32, v74
	;; [unrolled: 1-line block ×3, first 2 shown]
	s_waitcnt lgkmcnt(1)
	v_pk_fma_f32 v[138:139], v[0:1], v[2:3], v[12:13] op_sel_hi:[0,1,1] neg_lo:[1,0,0] neg_hi:[1,0,0]
	v_pk_fma_f32 v[24:25], v[0:1], v[4:5], v[24:25] op_sel_hi:[0,1,1] neg_lo:[1,0,0] neg_hi:[1,0,0]
	v_mov_b32_e32 v73, v0
	v_mov_b32_e32 v58, v138
	;; [unrolled: 1-line block ×15, first 2 shown]
	s_waitcnt vmcnt(0) lgkmcnt(0)
	v_pk_fma_f32 v[204:205], v[0:1], v[6:7], v[22:23] op_sel_hi:[0,1,1] neg_lo:[1,0,0] neg_hi:[1,0,0]
	v_mov_b32_e32 v181, v0
	v_mov_b32_e32 v85, v0
	;; [unrolled: 1-line block ×54, first 2 shown]
	scratch_store_dwordx4 off, v[26:29], off offset:2696 ; 16-byte Folded Spill
	s_nop 0
	scratch_store_dwordx4 off, v[30:33], off offset:2712 ; 16-byte Folded Spill
	scratch_store_dwordx4 off, v[34:37], off offset:2728 ; 16-byte Folded Spill
	;; [unrolled: 1-line block ×7, first 2 shown]
	v_mov_b32_e32 v34, v104
	v_mov_b32_e32 v35, v105
	;; [unrolled: 1-line block ×49, first 2 shown]
	scratch_store_dwordx4 off, v[26:29], off offset:2440 ; 16-byte Folded Spill
	s_nop 0
	scratch_store_dwordx4 off, v[30:33], off offset:2456 ; 16-byte Folded Spill
	scratch_store_dwordx4 off, v[34:37], off offset:2472 ; 16-byte Folded Spill
	;; [unrolled: 1-line block ×7, first 2 shown]
	v_mov_b32_e32 v36, v150
	v_mov_b32_e32 v37, v151
	scratch_store_dwordx4 off, v[26:29], off offset:1544 ; 16-byte Folded Spill
	s_nop 0
	scratch_store_dwordx4 off, v[30:33], off offset:1560 ; 16-byte Folded Spill
	scratch_store_dwordx4 off, v[34:37], off offset:1576 ; 16-byte Folded Spill
	;; [unrolled: 1-line block ×7, first 2 shown]
	v_mov_b32_e32 v38, v138
	v_mov_b32_e32 v39, v139
	scratch_store_dwordx4 off, v[26:29], off offset:1160 ; 16-byte Folded Spill
	s_nop 0
	scratch_store_dwordx4 off, v[30:33], off offset:1176 ; 16-byte Folded Spill
	scratch_store_dwordx4 off, v[34:37], off offset:1192 ; 16-byte Folded Spill
	;; [unrolled: 1-line block ×7, first 2 shown]
	ds_read2_b32 v[2:3], v252 offset0:14 offset1:15
	ds_read2_b32 v[4:5], v252 offset0:16 offset1:17
	;; [unrolled: 1-line block ×4, first 2 shown]
	s_waitcnt lgkmcnt(3)
	v_pk_fma_f32 v[94:95], v[0:1], v[2:3], v[14:15] op_sel_hi:[0,1,1] neg_lo:[1,0,0] neg_hi:[1,0,0]
	v_mov_b32_e32 v40, v94
	v_mov_b32_e32 v41, v95
	s_waitcnt lgkmcnt(2)
	v_pk_fma_f32 v[124:125], v[0:1], v[4:5], v[16:17] op_sel_hi:[0,1,1] neg_lo:[1,0,0] neg_hi:[1,0,0]
	s_waitcnt lgkmcnt(1)
	v_pk_fma_f32 v[232:233], v[0:1], v[8:9], v[18:19] op_sel_hi:[0,1,1] neg_lo:[1,0,0] neg_hi:[1,0,0]
	v_mov_b32_e32 v60, v94
	v_mov_b32_e32 v61, v95
	;; [unrolled: 1-line block ×6, first 2 shown]
	s_waitcnt lgkmcnt(0)
	v_pk_fma_f32 v[174:175], v[0:1], v[10:11], v[20:21] op_sel_hi:[0,1,1] neg_lo:[1,0,0] neg_hi:[1,0,0]
	v_mov_b32_e32 v196, v94
	v_mov_b32_e32 v197, v95
	;; [unrolled: 1-line block ×37, first 2 shown]
	scratch_store_dwordx4 off, v[26:29], off offset:768 ; 16-byte Folded Spill
	s_nop 0
	scratch_store_dwordx4 off, v[30:33], off offset:784 ; 16-byte Folded Spill
	scratch_store_dwordx4 off, v[34:37], off offset:800 ; 16-byte Folded Spill
	;; [unrolled: 1-line block ×7, first 2 shown]
	v_mov_b32_e32 v42, v124
	v_mov_b32_e32 v43, v125
	scratch_store_dwordx4 off, v[26:29], off offset:640 ; 16-byte Folded Spill
	s_nop 0
	scratch_store_dwordx4 off, v[30:33], off offset:656 ; 16-byte Folded Spill
	scratch_store_dwordx4 off, v[34:37], off offset:672 ; 16-byte Folded Spill
	;; [unrolled: 1-line block ×7, first 2 shown]
	v_mov_b32_e32 v46, v176
	v_mov_b32_e32 v47, v177
	;; [unrolled: 1-line block ×12, first 2 shown]
	scratch_store_dwordx4 off, v[46:49], off offset:384 ; 16-byte Folded Spill
	s_nop 0
	scratch_store_dwordx4 off, v[50:53], off offset:400 ; 16-byte Folded Spill
	scratch_store_dwordx4 off, v[54:57], off offset:416 ; 16-byte Folded Spill
	;; [unrolled: 1-line block ×7, first 2 shown]
	v_mov_b32_e32 v66, v174
	v_mov_b32_e32 v67, v175
	;; [unrolled: 1-line block ×7, first 2 shown]
	scratch_store_dwordx4 off, v[46:49], off offset:896 ; 16-byte Folded Spill
	s_nop 0
	scratch_store_dwordx4 off, v[50:53], off offset:912 ; 16-byte Folded Spill
	scratch_store_dwordx4 off, v[54:57], off offset:928 ; 16-byte Folded Spill
	;; [unrolled: 1-line block ×7, first 2 shown]
	v_mov_b32_e32 v46, v174
	v_mov_b32_e32 v47, v175
	;; [unrolled: 1-line block ×4, first 2 shown]
	scratch_store_dwordx4 off, v[26:29], off offset:1416 ; 16-byte Folded Spill
	s_nop 0
	scratch_store_dwordx4 off, v[30:33], off offset:1432 ; 16-byte Folded Spill
	scratch_store_dwordx4 off, v[34:37], off offset:1448 ; 16-byte Folded Spill
	;; [unrolled: 1-line block ×7, first 2 shown]
	v_mov_b32_e32 v188, v74
	v_mov_b32_e32 v189, v75
	v_mov_b32_e32 v6, v74
	v_mov_b32_e32 v7, v75
	scratch_store_dwordx4 off, v[176:179], off offset:2960 ; 16-byte Folded Spill
	s_nop 0
	scratch_store_dwordx4 off, v[180:183], off offset:2976 ; 16-byte Folded Spill
	scratch_store_dwordx4 off, v[184:187], off offset:2992 ; 16-byte Folded Spill
	scratch_store_dwordx4 off, v[188:191], off offset:3008 ; 16-byte Folded Spill
	scratch_store_dwordx4 off, v[192:195], off offset:3024 ; 16-byte Folded Spill
	scratch_store_dwordx4 off, v[196:199], off offset:3040 ; 16-byte Folded Spill
	scratch_store_dwordx4 off, v[200:203], off offset:3056 ; 16-byte Folded Spill
	scratch_store_dwordx4 off, v[204:207], off offset:3072 ; 16-byte Folded Spill
	v_mov_b32_e32 v210, v74
	scratch_store_dwordx4 off, v[68:71], off offset:1672 ; 16-byte Folded Spill
	s_nop 0
	scratch_store_dwordx4 off, v[72:75], off offset:1688 ; 16-byte Folded Spill
	scratch_store_dwordx4 off, v[76:79], off offset:1704 ; 16-byte Folded Spill
	scratch_store_dwordx4 off, v[80:83], off offset:1720 ; 16-byte Folded Spill
	scratch_store_dwordx4 off, v[84:87], off offset:1736 ; 16-byte Folded Spill
	scratch_store_dwordx4 off, v[88:91], off offset:1752 ; 16-byte Folded Spill
	scratch_store_dwordx4 off, v[92:95], off offset:1768 ; 16-byte Folded Spill
	scratch_store_dwordx4 off, v[96:99], off offset:1784 ; 16-byte Folded Spill
	v_mov_b32_e32 v45, v25
	;; [unrolled: 10-line block ×4, first 2 shown]
	v_mov_b32_e32 v26, v94
	v_mov_b32_e32 v69, v75
	;; [unrolled: 1-line block ×4, first 2 shown]
	scratch_store_dwordx4 off, v[126:129], off offset:1288 ; 16-byte Folded Spill
	s_nop 0
	scratch_store_dwordx4 off, v[130:133], off offset:1304 ; 16-byte Folded Spill
	scratch_store_dwordx4 off, v[134:137], off offset:1320 ; 16-byte Folded Spill
	;; [unrolled: 1-line block ×8, first 2 shown]
	s_nop 0
	scratch_store_dwordx4 off, v[84:87], off offset:1044 ; 16-byte Folded Spill
	scratch_store_dwordx4 off, v[88:91], off offset:1060 ; 16-byte Folded Spill
	;; [unrolled: 1-line block ×7, first 2 shown]
	v_mov_b32_e32 v152, v232
	scratch_store_dwordx4 off, v[214:217], off offset:512 ; 16-byte Folded Spill
	s_nop 0
	scratch_store_dwordx4 off, v[218:221], off offset:528 ; 16-byte Folded Spill
	scratch_store_dwordx4 off, v[222:225], off offset:544 ; 16-byte Folded Spill
	;; [unrolled: 1-line block ×8, first 2 shown]
	s_nop 0
	scratch_store_dwordx4 off, v[218:221], off offset:272 ; 16-byte Folded Spill
	scratch_store_dwordx4 off, v[222:225], off offset:288 ; 16-byte Folded Spill
	;; [unrolled: 1-line block ×7, first 2 shown]
	v_mov_b32_e32 v86, v204
	scratch_store_dwordx4 off, v[182:185], off offset:128 ; 16-byte Folded Spill
	s_nop 0
	scratch_store_dwordx4 off, v[186:189], off offset:144 ; 16-byte Folded Spill
	scratch_store_dwordx4 off, v[190:193], off offset:160 ; 16-byte Folded Spill
	;; [unrolled: 1-line block ×7, first 2 shown]
	v_mov_b32_e32 v88, v124
	v_mov_b32_e32 v89, v125
	v_mov_b32_e32 v150, v174
	v_mov_b32_e32 v151, v175
	scratch_store_dwordx4 off, v[20:23], off ; 16-byte Folded Spill
	s_nop 0
	scratch_store_dwordx4 off, v[24:27], off offset:16 ; 16-byte Folded Spill
	scratch_store_dwordx4 off, v[28:31], off offset:32 ; 16-byte Folded Spill
	;; [unrolled: 1-line block ×7, first 2 shown]
	v_mov_b32_e32 v91, v95
	v_mov_b32_e32 v87, v205
.LBB50_100:
	s_or_b64 exec, exec, s[0:1]
	v_lshl_add_u32 v45, v253, 2, v252
	s_waitcnt vmcnt(63) expcnt(7) lgkmcnt(15)
	s_barrier
	ds_write_b32 v45, v210
	s_waitcnt lgkmcnt(0)
	s_barrier
	ds_read_b32 v45, v252 offset:24
	s_cmp_lt_i32 s22, 8
	v_mov_b32_e32 v46, 6
	s_cbranch_scc1 .LBB50_443
; %bb.101:
	scratch_load_dword v46, off, off offset:1024 ; 4-byte Folded Reload
	scratch_load_dwordx4 v[214:217], off, off offset:1416 ; 16-byte Folded Reload
	scratch_load_dwordx4 v[218:221], off, off offset:1432 ; 16-byte Folded Reload
	;; [unrolled: 1-line block ×8, first 2 shown]
	s_mov_b32 s0, 7
	s_waitcnt vmcnt(8)
	v_add3_u32 v47, v46, 0, 28
	v_mov_b32_e32 v46, 6
.LBB50_102:                             ; =>This Inner Loop Header: Depth=1
	ds_read_b32 v48, v47
	v_add_u32_e32 v47, 4, v47
	s_waitcnt lgkmcnt(0)
	v_cmp_lt_f32_e64 vcc, |v45|, |v48|
	s_nop 1
	v_cndmask_b32_e32 v45, v45, v48, vcc
	v_mov_b32_e32 v48, s0
	s_add_i32 s0, s0, 1
	v_cndmask_b32_e32 v46, v46, v48, vcc
	s_cmp_lg_u32 s22, s0
	s_cbranch_scc1 .LBB50_102
; %bb.103:
	v_cmp_eq_f32_e32 vcc, 0, v45
	s_and_saveexec_b64 s[0:1], vcc
	s_xor_b64 s[0:1], exec, s[0:1]
.LBB50_104:
	v_cmp_ne_u32_e32 vcc, 0, v106
	s_nop 1
	v_cndmask_b32_e32 v106, 7, v106, vcc
.LBB50_105:
	s_andn2_saveexec_b64 s[0:1], s[0:1]
	s_cbranch_execz .LBB50_107
; %bb.106:
	v_div_scale_f32 v47, s[2:3], v45, v45, 1.0
	v_rcp_f32_e32 v48, v47
	v_div_scale_f32 v49, vcc, 1.0, v45, 1.0
	v_fma_f32 v50, -v47, v48, 1.0
	v_fmac_f32_e32 v48, v50, v48
	v_mul_f32_e32 v50, v49, v48
	v_fma_f32 v51, -v47, v50, v49
	v_fmac_f32_e32 v50, v51, v48
	v_fma_f32 v47, -v47, v50, v49
	v_div_fmas_f32 v47, v47, v48, v50
	v_div_fixup_f32 v45, v47, v45, 1.0
.LBB50_107:
	s_or_b64 exec, exec, s[0:1]
	v_cmp_ne_u32_e32 vcc, v253, v46
	s_and_saveexec_b64 s[0:1], vcc
	s_xor_b64 s[0:1], exec, s[0:1]
	s_cbranch_execz .LBB50_113
; %bb.108:
	v_cmp_eq_u32_e32 vcc, 6, v253
	s_and_saveexec_b64 s[2:3], vcc
	s_cbranch_execz .LBB50_112
; %bb.109:
	v_cmp_ne_u32_e32 vcc, 6, v46
	s_xor_b64 s[18:19], s[16:17], -1
	s_and_b64 s[20:21], s[18:19], vcc
	s_and_saveexec_b64 s[18:19], s[20:21]
	s_cbranch_execz .LBB50_111
; %bb.110:
	scratch_load_dwordx2 v[52:53], off, off offset:2952 ; 8-byte Folded Reload
	v_ashrrev_i32_e32 v47, 31, v46
	s_waitcnt vmcnt(0)
	v_lshl_add_u64 v[48:49], v[46:47], 2, v[52:53]
	global_load_dword v47, v[48:49], off
	global_load_dword v50, v[52:53], off offset:24
	s_waitcnt vmcnt(1)
	global_store_dword v[52:53], v47, off offset:24
	s_waitcnt vmcnt(1)
	global_store_dword v[48:49], v50, off
.LBB50_111:
	s_or_b64 exec, exec, s[18:19]
	v_mov_b32_e32 v47, v46
	v_mov_b32_e32 v253, v46
	scratch_store_dword off, v47, off offset:1156 ; 4-byte Folded Spill
.LBB50_112:
	s_or_b64 exec, exec, s[2:3]
.LBB50_113:
	s_andn2_saveexec_b64 s[0:1], s[0:1]
	s_cbranch_execz .LBB50_115
; %bb.114:
	ds_write2_b32 v252, v7, v8 offset0:7 offset1:8
	ds_write2_b32 v252, v9, v10 offset0:9 offset1:10
	;; [unrolled: 1-line block ×9, first 2 shown]
	scratch_load_dwordx4 v[176:179], off, off ; 16-byte Folded Reload
	scratch_load_dwordx4 v[180:183], off, off offset:16 ; 16-byte Folded Reload
	scratch_load_dwordx4 v[184:187], off, off offset:32 ; 16-byte Folded Reload
	;; [unrolled: 1-line block ×7, first 2 shown]
	v_mov_b32_e32 v253, 6
	s_waitcnt vmcnt(1)
	ds_write_b32 v252, v201 offset:100
.LBB50_115:
	s_or_b64 exec, exec, s[0:1]
	v_cmp_lt_i32_e32 vcc, 6, v253
	s_waitcnt lgkmcnt(0)
	s_barrier
	s_and_saveexec_b64 s[0:1], vcc
	s_cbranch_execz .LBB50_117
; %bb.116:
	scratch_load_dwordx4 v[58:61], off, off offset:2960 ; 16-byte Folded Reload
	scratch_load_dwordx4 v[62:65], off, off offset:2976 ; 16-byte Folded Reload
	scratch_load_dwordx4 v[66:69], off, off offset:2992 ; 16-byte Folded Reload
	scratch_load_dwordx4 v[70:73], off, off offset:3008 ; 16-byte Folded Reload
	scratch_load_dwordx4 v[74:77], off, off offset:3024 ; 16-byte Folded Reload
	scratch_load_dwordx4 v[78:81], off, off offset:3040 ; 16-byte Folded Reload
	scratch_load_dwordx4 v[82:85], off, off offset:3056 ; 16-byte Folded Reload
	scratch_load_dwordx4 v[86:89], off, off offset:3072 ; 16-byte Folded Reload
	ds_read2_b32 v[0:1], v252 offset0:7 offset1:8
	v_mov_b32_e32 v2, v7
	ds_read2_b32 v[4:5], v252 offset0:9 offset1:10
	ds_read2_b32 v[6:7], v252 offset0:11 offset1:12
	;; [unrolled: 1-line block ×3, first 2 shown]
	s_waitcnt vmcnt(6)
	v_mul_f32_e32 v64, v210, v45
	v_mov_b32_e32 v3, v8
	v_mov_b32_e32 v114, v64
	v_mov_b32_e32 v160, v64
	v_mov_b32_e32 v220, v64
	v_mov_b32_e32 v108, v58
	s_waitcnt lgkmcnt(3)
	v_pk_fma_f32 v[46:47], v[64:65], v[0:1], v[2:3] op_sel_hi:[0,1,1] neg_lo:[1,0,0] neg_hi:[1,0,0]
	v_mov_b32_e32 v0, v9
	v_mov_b32_e32 v1, v10
	s_waitcnt lgkmcnt(2)
	v_pk_fma_f32 v[48:49], v[64:65], v[4:5], v[0:1] op_sel_hi:[0,1,1] neg_lo:[1,0,0] neg_hi:[1,0,0]
	v_mov_b32_e32 v0, v11
	v_mov_b32_e32 v1, v12
	;; [unrolled: 4-line block ×3, first 2 shown]
	s_waitcnt lgkmcnt(0)
	v_pk_fma_f32 v[52:53], v[64:65], v[26:27], v[0:1] op_sel_hi:[0,1,1] neg_lo:[1,0,0] neg_hi:[1,0,0]
	ds_read2_b32 v[0:1], v252 offset0:15 offset1:16
	ds_read2_b32 v[4:5], v252 offset0:17 offset1:18
	ds_read2_b32 v[6:7], v252 offset0:19 offset1:20
	ds_read2_b32 v[8:9], v252 offset0:21 offset1:22
	v_mov_b32_e32 v2, v15
	v_mov_b32_e32 v3, v16
	;; [unrolled: 1-line block ×3, first 2 shown]
	s_waitcnt lgkmcnt(3)
	v_pk_fma_f32 v[54:55], v[64:65], v[0:1], v[2:3] op_sel_hi:[0,1,1] neg_lo:[1,0,0] neg_hi:[1,0,0]
	v_mov_b32_e32 v0, v17
	v_mov_b32_e32 v1, v18
	s_waitcnt lgkmcnt(2)
	v_pk_fma_f32 v[56:57], v[64:65], v[4:5], v[0:1] op_sel_hi:[0,1,1] neg_lo:[1,0,0] neg_hi:[1,0,0]
	v_mov_b32_e32 v0, v19
	v_mov_b32_e32 v1, v20
	s_waitcnt vmcnt(2) lgkmcnt(1)
	v_pk_fma_f32 v[80:81], v[64:65], v[6:7], v[0:1] op_sel_hi:[0,1,1] neg_lo:[1,0,0] neg_hi:[1,0,0]
	v_mov_b32_e32 v0, v21
	v_mov_b32_e32 v1, v22
	ds_read2_b32 v[2:3], v252 offset0:23 offset1:24
	ds_read_b32 v4, v252 offset:100
	s_waitcnt vmcnt(1) lgkmcnt(2)
	v_pk_fma_f32 v[82:83], v[64:65], v[8:9], v[0:1] op_sel_hi:[0,1,1] neg_lo:[1,0,0] neg_hi:[1,0,0]
	v_mov_b32_e32 v0, v23
	v_mov_b32_e32 v1, v24
	scratch_load_dwordx4 v[6:9], off, off   ; 16-byte Folded Reload
	scratch_load_dwordx4 v[10:13], off, off offset:16 ; 16-byte Folded Reload
	scratch_load_dwordx4 v[14:17], off, off offset:32 ; 16-byte Folded Reload
	;; [unrolled: 1-line block ×7, first 2 shown]
	s_waitcnt lgkmcnt(1)
	v_pk_fma_f32 v[254:255], v[64:65], v[2:3], v[0:1] op_sel_hi:[0,1,1] neg_lo:[1,0,0] neg_hi:[1,0,0]
	v_mov_b32_e32 v0, v58
	v_mov_b32_e32 v1, v59
	;; [unrolled: 1-line block ×5, first 2 shown]
	s_waitcnt vmcnt(7)
	v_mov_b32_e32 v6, v64
	v_mov_b32_e32 v7, v46
	;; [unrolled: 1-line block ×67, first 2 shown]
	s_waitcnt vmcnt(1) lgkmcnt(0)
	v_fma_f32 v25, -v64, v4, v31
	v_mov_b32_e32 v4, v62
	scratch_store_dwordx4 off, v[0:3], off offset:2568 ; 16-byte Folded Spill
	s_nop 0
	scratch_store_dwordx4 off, v[4:7], off offset:2584 ; 16-byte Folded Spill
	scratch_store_dwordx4 off, v[8:11], off offset:2600 ; 16-byte Folded Spill
	scratch_store_dwordx4 off, v[12:15], off offset:2616 ; 16-byte Folded Spill
	scratch_store_dwordx4 off, v[16:19], off offset:2632 ; 16-byte Folded Spill
	scratch_store_dwordx4 off, v[20:23], off offset:2648 ; 16-byte Folded Spill
	scratch_store_dwordx4 off, v[24:27], off offset:2664 ; 16-byte Folded Spill
	scratch_store_dwordx4 off, v[28:31], off offset:2680 ; 16-byte Folded Spill
	v_mov_b32_e32 v9, v48
	scratch_store_dwordx4 off, v[0:3], off offset:2440 ; 16-byte Folded Spill
	s_nop 0
	scratch_store_dwordx4 off, v[4:7], off offset:2456 ; 16-byte Folded Spill
	scratch_store_dwordx4 off, v[8:11], off offset:2472 ; 16-byte Folded Spill
	scratch_store_dwordx4 off, v[12:15], off offset:2488 ; 16-byte Folded Spill
	scratch_store_dwordx4 off, v[16:19], off offset:2504 ; 16-byte Folded Spill
	scratch_store_dwordx4 off, v[20:23], off offset:2520 ; 16-byte Folded Spill
	scratch_store_dwordx4 off, v[24:27], off offset:2536 ; 16-byte Folded Spill
	scratch_store_dwordx4 off, v[28:31], off offset:2552 ; 16-byte Folded Spill
	;; [unrolled: 10-line block ×8, first 2 shown]
	v_mov_b32_e32 v16, v55
	v_mov_b32_e32 v17, v56
	scratch_store_dwordx4 off, v[0:3], off offset:640 ; 16-byte Folded Spill
	s_nop 0
	scratch_store_dwordx4 off, v[4:7], off offset:656 ; 16-byte Folded Spill
	scratch_store_dwordx4 off, v[8:11], off offset:672 ; 16-byte Folded Spill
	scratch_store_dwordx4 off, v[12:15], off offset:688 ; 16-byte Folded Spill
	scratch_store_dwordx4 off, v[16:19], off offset:704 ; 16-byte Folded Spill
	scratch_store_dwordx4 off, v[20:23], off offset:720 ; 16-byte Folded Spill
	scratch_store_dwordx4 off, v[24:27], off offset:736 ; 16-byte Folded Spill
	scratch_store_dwordx4 off, v[28:31], off offset:752 ; 16-byte Folded Spill
	v_mov_b32_e32 v18, v57
	scratch_store_dwordx4 off, v[0:3], off offset:512 ; 16-byte Folded Spill
	s_nop 0
	scratch_store_dwordx4 off, v[4:7], off offset:528 ; 16-byte Folded Spill
	scratch_store_dwordx4 off, v[8:11], off offset:544 ; 16-byte Folded Spill
	scratch_store_dwordx4 off, v[12:15], off offset:560 ; 16-byte Folded Spill
	scratch_store_dwordx4 off, v[16:19], off offset:576 ; 16-byte Folded Spill
	scratch_store_dwordx4 off, v[20:23], off offset:592 ; 16-byte Folded Spill
	scratch_store_dwordx4 off, v[24:27], off offset:608 ; 16-byte Folded Spill
	scratch_store_dwordx4 off, v[28:31], off offset:624 ; 16-byte Folded Spill
	;; [unrolled: 10-line block ×3, first 2 shown]
	v_mov_b32_e32 v20, v81
	v_mov_b32_e32 v21, v82
	scratch_store_dwordx4 off, v[0:3], off offset:896 ; 16-byte Folded Spill
	s_nop 0
	scratch_store_dwordx4 off, v[4:7], off offset:912 ; 16-byte Folded Spill
	scratch_store_dwordx4 off, v[8:11], off offset:928 ; 16-byte Folded Spill
	;; [unrolled: 1-line block ×7, first 2 shown]
	v_mov_b32_e32 v22, v83
	scratch_store_dwordx4 off, v[0:3], off offset:128 ; 16-byte Folded Spill
	s_nop 0
	scratch_store_dwordx4 off, v[4:7], off offset:144 ; 16-byte Folded Spill
	scratch_store_dwordx4 off, v[8:11], off offset:160 ; 16-byte Folded Spill
	scratch_store_dwordx4 off, v[12:15], off offset:176 ; 16-byte Folded Spill
	scratch_store_dwordx4 off, v[16:19], off offset:192 ; 16-byte Folded Spill
	scratch_store_dwordx4 off, v[20:23], off offset:208 ; 16-byte Folded Spill
	scratch_store_dwordx4 off, v[24:27], off offset:224 ; 16-byte Folded Spill
	scratch_store_dwordx4 off, v[28:31], off offset:240 ; 16-byte Folded Spill
	scratch_store_dwordx4 off, v[58:61], off offset:2696 ; 16-byte Folded Spill
	s_nop 0
	scratch_store_dwordx4 off, v[62:65], off offset:2712 ; 16-byte Folded Spill
	scratch_store_dwordx4 off, v[66:69], off offset:2728 ; 16-byte Folded Spill
	scratch_store_dwordx4 off, v[70:73], off offset:2744 ; 16-byte Folded Spill
	scratch_store_dwordx4 off, v[74:77], off offset:2760 ; 16-byte Folded Spill
	scratch_store_dwordx4 off, v[78:81], off offset:2776 ; 16-byte Folded Spill
	scratch_store_dwordx4 off, v[82:85], off offset:2792 ; 16-byte Folded Spill
	scratch_store_dwordx4 off, v[86:89], off offset:2808 ; 16-byte Folded Spill
	scratch_store_dwordx4 off, v[58:61], off offset:1672 ; 16-byte Folded Spill
	s_nop 0
	scratch_store_dwordx4 off, v[62:65], off offset:1688 ; 16-byte Folded Spill
	scratch_store_dwordx4 off, v[66:69], off offset:1704 ; 16-byte Folded Spill
	scratch_store_dwordx4 off, v[70:73], off offset:1720 ; 16-byte Folded Spill
	scratch_store_dwordx4 off, v[74:77], off offset:1736 ; 16-byte Folded Spill
	scratch_store_dwordx4 off, v[78:81], off offset:1752 ; 16-byte Folded Spill
	scratch_store_dwordx4 off, v[82:85], off offset:1768 ; 16-byte Folded Spill
	scratch_store_dwordx4 off, v[86:89], off offset:1784 ; 16-byte Folded Spill
	v_mov_b32_e32 v23, v254
	v_mov_b32_e32 v24, v255
	;; [unrolled: 1-line block ×10, first 2 shown]
	scratch_store_dwordx4 off, v[10:13], off offset:256 ; 16-byte Folded Spill
	s_nop 0
	scratch_store_dwordx4 off, v[14:17], off offset:272 ; 16-byte Folded Spill
	scratch_store_dwordx4 off, v[18:21], off offset:288 ; 16-byte Folded Spill
	;; [unrolled: 1-line block ×5, first 2 shown]
	s_waitcnt vmcnt(62)
	scratch_store_dwordx4 off, v[34:37], off offset:352 ; 16-byte Folded Spill
	scratch_store_dwordx4 off, v[38:41], off offset:368 ; 16-byte Folded Spill
	v_mov_b32_e32 v150, v81
	v_mov_b32_e32 v151, v82
	;; [unrolled: 1-line block ×4, first 2 shown]
	scratch_store_dwordx4 off, v[20:23], off ; 16-byte Folded Spill
	s_nop 0
	scratch_store_dwordx4 off, v[24:27], off offset:16 ; 16-byte Folded Spill
	scratch_store_dwordx4 off, v[28:31], off offset:32 ; 16-byte Folded Spill
	;; [unrolled: 1-line block ×7, first 2 shown]
.LBB50_117:
	s_or_b64 exec, exec, s[0:1]
	v_lshl_add_u32 v45, v253, 2, v252
	s_waitcnt vmcnt(63) expcnt(7) lgkmcnt(15)
	s_barrier
	ds_write_b32 v45, v69
	s_waitcnt lgkmcnt(0)
	s_barrier
	ds_read_b32 v45, v252 offset:28
	s_cmp_lt_i32 s22, 9
	v_mov_b32_e32 v46, 7
	s_cbranch_scc1 .LBB50_120
; %bb.118:
	scratch_load_dword v46, off, off offset:1024 ; 4-byte Folded Reload
	s_mov_b32 s0, 8
	s_waitcnt vmcnt(0)
	v_add3_u32 v47, v46, 0, 32
	v_mov_b32_e32 v46, 7
.LBB50_119:                             ; =>This Inner Loop Header: Depth=1
	ds_read_b32 v48, v47
	v_add_u32_e32 v47, 4, v47
	s_waitcnt lgkmcnt(0)
	v_cmp_lt_f32_e64 vcc, |v45|, |v48|
	s_nop 1
	v_cndmask_b32_e32 v45, v45, v48, vcc
	v_mov_b32_e32 v48, s0
	s_add_i32 s0, s0, 1
	v_cndmask_b32_e32 v46, v46, v48, vcc
	s_cmp_lg_u32 s22, s0
	s_cbranch_scc1 .LBB50_119
.LBB50_120:
	s_waitcnt lgkmcnt(0)
	v_cmp_eq_f32_e32 vcc, 0, v45
	s_and_saveexec_b64 s[0:1], vcc
	s_xor_b64 s[0:1], exec, s[0:1]
; %bb.121:
	v_cmp_ne_u32_e32 vcc, 0, v106
	s_nop 1
	v_cndmask_b32_e32 v106, 8, v106, vcc
; %bb.122:
	s_andn2_saveexec_b64 s[0:1], s[0:1]
	s_cbranch_execz .LBB50_124
; %bb.123:
	v_div_scale_f32 v47, s[2:3], v45, v45, 1.0
	v_rcp_f32_e32 v48, v47
	v_div_scale_f32 v49, vcc, 1.0, v45, 1.0
	v_fma_f32 v50, -v47, v48, 1.0
	v_fmac_f32_e32 v48, v50, v48
	v_mul_f32_e32 v50, v49, v48
	v_fma_f32 v51, -v47, v50, v49
	v_fmac_f32_e32 v50, v51, v48
	v_fma_f32 v47, -v47, v50, v49
	v_div_fmas_f32 v47, v47, v48, v50
	v_div_fixup_f32 v45, v47, v45, 1.0
.LBB50_124:
	s_or_b64 exec, exec, s[0:1]
	v_cmp_ne_u32_e32 vcc, v253, v46
	s_and_saveexec_b64 s[0:1], vcc
	s_xor_b64 s[0:1], exec, s[0:1]
	s_cbranch_execz .LBB50_130
; %bb.125:
	v_cmp_eq_u32_e32 vcc, 7, v253
	s_and_saveexec_b64 s[2:3], vcc
	s_cbranch_execz .LBB50_129
; %bb.126:
	v_cmp_ne_u32_e32 vcc, 7, v46
	s_xor_b64 s[18:19], s[16:17], -1
	s_and_b64 s[20:21], s[18:19], vcc
	s_and_saveexec_b64 s[18:19], s[20:21]
	s_cbranch_execz .LBB50_128
; %bb.127:
	scratch_load_dwordx2 v[52:53], off, off offset:2952 ; 8-byte Folded Reload
	v_ashrrev_i32_e32 v47, 31, v46
	s_waitcnt vmcnt(0)
	v_lshl_add_u64 v[48:49], v[46:47], 2, v[52:53]
	global_load_dword v47, v[48:49], off
	global_load_dword v50, v[52:53], off offset:28
	s_waitcnt vmcnt(1)
	global_store_dword v[52:53], v47, off offset:28
	s_waitcnt vmcnt(1)
	global_store_dword v[48:49], v50, off
.LBB50_128:
	s_or_b64 exec, exec, s[18:19]
	v_mov_b32_e32 v47, v46
	v_mov_b32_e32 v253, v46
	scratch_store_dword off, v47, off offset:1156 ; 4-byte Folded Spill
.LBB50_129:
	s_or_b64 exec, exec, s[2:3]
.LBB50_130:
	s_or_saveexec_b64 s[0:1], s[0:1]
	s_waitcnt vmcnt(7)
	scratch_store_dwordx4 off, v[214:217], off offset:1416 ; 16-byte Folded Spill
	s_waitcnt vmcnt(7)
	scratch_store_dwordx4 off, v[218:221], off offset:1432 ; 16-byte Folded Spill
	s_waitcnt vmcnt(7)
	scratch_store_dwordx4 off, v[222:225], off offset:1448 ; 16-byte Folded Spill
	s_waitcnt vmcnt(7)
	scratch_store_dwordx4 off, v[226:229], off offset:1464 ; 16-byte Folded Spill
	s_waitcnt vmcnt(7)
	scratch_store_dwordx4 off, v[230:233], off offset:1480 ; 16-byte Folded Spill
	s_waitcnt vmcnt(7)
	scratch_store_dwordx4 off, v[234:237], off offset:1496 ; 16-byte Folded Spill
	s_waitcnt vmcnt(7)
	scratch_store_dwordx4 off, v[238:241], off offset:1512 ; 16-byte Folded Spill
	s_waitcnt vmcnt(7)
	scratch_store_dwordx4 off, v[242:245], off offset:1528 ; 16-byte Folded Spill
	s_xor_b64 exec, exec, s[0:1]
	s_cbranch_execz .LBB50_132
; %bb.131:
	v_mov_b32_e32 v253, 7
	ds_write2_b32 v252, v8, v9 offset0:8 offset1:9
	ds_write2_b32 v252, v10, v11 offset0:10 offset1:11
	;; [unrolled: 1-line block ×9, first 2 shown]
.LBB50_132:
	s_or_b64 exec, exec, s[0:1]
	v_cmp_lt_i32_e32 vcc, 7, v253
	s_waitcnt lgkmcnt(0)
	s_barrier
	s_and_saveexec_b64 s[0:1], vcc
	s_cbranch_execz .LBB50_134
; %bb.133:
	v_mul_f32_e32 v0, v69, v45
	ds_read2_b32 v[2:3], v252 offset0:8 offset1:9
	ds_read2_b32 v[4:5], v252 offset0:10 offset1:11
	;; [unrolled: 1-line block ×5, first 2 shown]
	scratch_load_dwordx4 v[68:71], off, off offset:1672 ; 16-byte Folded Reload
	scratch_load_dwordx4 v[72:75], off, off offset:1688 ; 16-byte Folded Reload
	;; [unrolled: 1-line block ×8, first 2 shown]
	s_waitcnt lgkmcnt(4)
	v_pk_fma_f32 v[104:105], v[0:1], v[2:3], v[8:9] op_sel_hi:[0,1,1] neg_lo:[1,0,0] neg_hi:[1,0,0]
	s_waitcnt lgkmcnt(3)
	v_pk_fma_f32 v[150:151], v[0:1], v[4:5], v[10:11] op_sel_hi:[0,1,1] neg_lo:[1,0,0] neg_hi:[1,0,0]
	;; [unrolled: 2-line block ×4, first 2 shown]
	v_mov_b32_e32 v9, v0
	v_mov_b32_e32 v10, v104
	;; [unrolled: 1-line block ×10, first 2 shown]
	s_waitcnt vmcnt(6)
	v_mov_b32_e32 v75, v0
	s_waitcnt vmcnt(3)
	v_mov_b32_e32 v87, v0
	;; [unrolled: 2-line block ×3, first 2 shown]
	v_mov_b32_e32 v89, v105
	v_mov_b32_e32 v90, v150
	;; [unrolled: 1-line block ×3, first 2 shown]
	s_waitcnt vmcnt(1)
	v_mov_b32_e32 v92, v138
	v_mov_b32_e32 v93, v139
	;; [unrolled: 1-line block ×47, first 2 shown]
	scratch_store_dwordx4 off, v[2:5], off offset:2440 ; 16-byte Folded Spill
	s_nop 0
	scratch_store_dwordx4 off, v[6:9], off offset:2456 ; 16-byte Folded Spill
	scratch_store_dwordx4 off, v[10:13], off offset:2472 ; 16-byte Folded Spill
	;; [unrolled: 1-line block ×5, first 2 shown]
	s_waitcnt lgkmcnt(0)
	scratch_store_dwordx4 off, v[26:29], off offset:2536 ; 16-byte Folded Spill
	scratch_store_dwordx4 off, v[30:33], off offset:2552 ; 16-byte Folded Spill
	v_mov_b32_e32 v12, v150
	v_mov_b32_e32 v13, v151
	;; [unrolled: 1-line block ×5, first 2 shown]
	s_waitcnt vmcnt(8)
	v_mov_b32_e32 v96, v68
	v_mov_b32_e32 v97, v69
	;; [unrolled: 1-line block ×42, first 2 shown]
	scratch_store_dwordx4 off, v[2:5], off offset:1544 ; 16-byte Folded Spill
	s_nop 0
	scratch_store_dwordx4 off, v[6:9], off offset:1560 ; 16-byte Folded Spill
	scratch_store_dwordx4 off, v[10:13], off offset:1576 ; 16-byte Folded Spill
	;; [unrolled: 1-line block ×7, first 2 shown]
	s_nop 1
	v_mov_b32_e32 v30, v68
	v_mov_b32_e32 v31, v69
	;; [unrolled: 1-line block ×4, first 2 shown]
	scratch_store_dwordx4 off, v[30:33], off offset:1160 ; 16-byte Folded Spill
	s_nop 0
	scratch_store_dwordx4 off, v[34:37], off offset:1176 ; 16-byte Folded Spill
	scratch_store_dwordx4 off, v[38:41], off offset:1192 ; 16-byte Folded Spill
	;; [unrolled: 1-line block ×7, first 2 shown]
	v_mov_b32_e32 v26, v68
	v_mov_b32_e32 v27, v69
	;; [unrolled: 1-line block ×18, first 2 shown]
	v_pk_fma_f32 v[94:95], v[0:1], v[28:29], v[14:15] op_sel_hi:[0,1,1] neg_lo:[1,0,0] neg_hi:[1,0,0]
	v_mov_b32_e32 v28, v70
	v_mov_b32_e32 v29, v71
	;; [unrolled: 1-line block ×4, first 2 shown]
	scratch_store_dwordx4 off, v[26:29], off offset:768 ; 16-byte Folded Spill
	s_nop 0
	scratch_store_dwordx4 off, v[30:33], off offset:784 ; 16-byte Folded Spill
	scratch_store_dwordx4 off, v[34:37], off offset:800 ; 16-byte Folded Spill
	;; [unrolled: 1-line block ×7, first 2 shown]
	ds_read2_b32 v[2:3], v252 offset0:16 offset1:17
	ds_read2_b32 v[4:5], v252 offset0:18 offset1:19
	;; [unrolled: 1-line block ×4, first 2 shown]
	v_mov_b32_e32 v60, v94
	s_waitcnt lgkmcnt(3)
	v_pk_fma_f32 v[124:125], v[0:1], v[2:3], v[16:17] op_sel_hi:[0,1,1] neg_lo:[1,0,0] neg_hi:[1,0,0]
	v_mov_b32_e32 v42, v124
	v_mov_b32_e32 v43, v125
	s_waitcnt lgkmcnt(2)
	v_pk_fma_f32 v[230:231], v[0:1], v[4:5], v[18:19] op_sel_hi:[0,1,1] neg_lo:[1,0,0] neg_hi:[1,0,0]
	v_mov_b32_e32 v61, v95
	v_mov_b32_e32 v62, v124
	;; [unrolled: 1-line block ×5, first 2 shown]
	s_waitcnt lgkmcnt(1)
	v_pk_fma_f32 v[174:175], v[0:1], v[6:7], v[20:21] op_sel_hi:[0,1,1] neg_lo:[1,0,0] neg_hi:[1,0,0]
	s_waitcnt lgkmcnt(0)
	v_pk_fma_f32 v[198:199], v[0:1], v[8:9], v[22:23] op_sel_hi:[0,1,1] neg_lo:[1,0,0] neg_hi:[1,0,0]
	v_mov_b32_e32 v122, v94
	v_mov_b32_e32 v123, v95
	v_mov_b32_e32 v226, v94
	v_mov_b32_e32 v227, v95
	v_mov_b32_e32 v168, v94
	v_mov_b32_e32 v169, v95
	v_mov_b32_e32 v190, v94
	v_mov_b32_e32 v191, v95
	v_mov_b32_e32 v7, v0
	v_mov_b32_e32 v14, v94
	v_mov_b32_e32 v15, v95
	v_mov_b32_e32 v228, v124
	v_mov_b32_e32 v229, v125
	v_mov_b32_e32 v170, v124
	v_mov_b32_e32 v171, v125
	v_mov_b32_e32 v192, v124
	v_mov_b32_e32 v193, v125
	v_mov_b32_e32 v8, v104
	v_mov_b32_e32 v9, v105
	v_mov_b32_e32 v16, v124
	v_mov_b32_e32 v17, v125
	v_mov_b32_e32 v194, v230
	v_mov_b32_e32 v195, v231
	v_mov_b32_e32 v196, v174
	v_mov_b32_e32 v197, v175
	v_mov_b32_e32 v172, v230
	v_mov_b32_e32 v173, v231
	v_mov_b32_e32 v18, v230
	v_mov_b32_e32 v19, v231
	v_mov_b32_e32 v22, v198
	v_mov_b32_e32 v23, v199
	v_mov_b32_e32 v20, v174
	v_mov_b32_e32 v21, v175
	v_mov_b32_e32 v255, v24
	scratch_store_dwordx4 off, v[26:29], off offset:640 ; 16-byte Folded Spill
	s_nop 0
	scratch_store_dwordx4 off, v[30:33], off offset:656 ; 16-byte Folded Spill
	scratch_store_dwordx4 off, v[34:37], off offset:672 ; 16-byte Folded Spill
	;; [unrolled: 1-line block ×7, first 2 shown]
	v_mov_b32_e32 v46, v68
	v_mov_b32_e32 v47, v69
	;; [unrolled: 1-line block ×12, first 2 shown]
	scratch_store_dwordx4 off, v[46:49], off offset:384 ; 16-byte Folded Spill
	s_nop 0
	scratch_store_dwordx4 off, v[50:53], off offset:400 ; 16-byte Folded Spill
	scratch_store_dwordx4 off, v[54:57], off offset:416 ; 16-byte Folded Spill
	;; [unrolled: 1-line block ×7, first 2 shown]
	v_mov_b32_e32 v66, v174
	v_mov_b32_e32 v67, v175
	;; [unrolled: 1-line block ×11, first 2 shown]
	scratch_store_dwordx4 off, v[46:49], off offset:896 ; 16-byte Folded Spill
	s_nop 0
	scratch_store_dwordx4 off, v[50:53], off offset:912 ; 16-byte Folded Spill
	scratch_store_dwordx4 off, v[54:57], off offset:928 ; 16-byte Folded Spill
	;; [unrolled: 1-line block ×7, first 2 shown]
	v_mov_b32_e32 v46, v174
	v_mov_b32_e32 v47, v175
	;; [unrolled: 1-line block ×4, first 2 shown]
	scratch_store_dwordx4 off, v[26:29], off offset:1416 ; 16-byte Folded Spill
	s_nop 0
	scratch_store_dwordx4 off, v[30:33], off offset:1432 ; 16-byte Folded Spill
	scratch_store_dwordx4 off, v[34:37], off offset:1448 ; 16-byte Folded Spill
	;; [unrolled: 1-line block ×7, first 2 shown]
	v_mov_b32_e32 v176, v68
	v_mov_b32_e32 v177, v69
	;; [unrolled: 1-line block ×14, first 2 shown]
	scratch_store_dwordx4 off, v[68:71], off offset:2696 ; 16-byte Folded Spill
	s_nop 0
	scratch_store_dwordx4 off, v[72:75], off offset:2712 ; 16-byte Folded Spill
	scratch_store_dwordx4 off, v[76:79], off offset:2728 ; 16-byte Folded Spill
	scratch_store_dwordx4 off, v[80:83], off offset:2744 ; 16-byte Folded Spill
	scratch_store_dwordx4 off, v[84:87], off offset:2760 ; 16-byte Folded Spill
	scratch_store_dwordx4 off, v[88:91], off offset:2776 ; 16-byte Folded Spill
	scratch_store_dwordx4 off, v[92:95], off offset:2792 ; 16-byte Folded Spill
	scratch_store_dwordx4 off, v[96:99], off offset:2808 ; 16-byte Folded Spill
	v_mov_b32_e32 v45, v25
	scratch_store_dwordx4 off, v[96:99], off offset:2568 ; 16-byte Folded Spill
	s_nop 0
	scratch_store_dwordx4 off, v[100:103], off offset:2584 ; 16-byte Folded Spill
	scratch_store_dwordx4 off, v[104:107], off offset:2600 ; 16-byte Folded Spill
	scratch_store_dwordx4 off, v[108:111], off offset:2616 ; 16-byte Folded Spill
	scratch_store_dwordx4 off, v[112:115], off offset:2632 ; 16-byte Folded Spill
	scratch_store_dwordx4 off, v[116:119], off offset:2648 ; 16-byte Folded Spill
	scratch_store_dwordx4 off, v[120:123], off offset:2664 ; 16-byte Folded Spill
	scratch_store_dwordx4 off, v[124:127], off offset:2680 ; 16-byte Folded Spill
	v_mov_b32_e32 v98, v150
	scratch_store_dwordx4 off, v[140:143], off offset:2312 ; 16-byte Folded Spill
	s_nop 0
	scratch_store_dwordx4 off, v[144:147], off offset:2328 ; 16-byte Folded Spill
	scratch_store_dwordx4 off, v[148:151], off offset:2344 ; 16-byte Folded Spill
	scratch_store_dwordx4 off, v[152:155], off offset:2360 ; 16-byte Folded Spill
	scratch_store_dwordx4 off, v[156:159], off offset:2376 ; 16-byte Folded Spill
	scratch_store_dwordx4 off, v[160:163], off offset:2392 ; 16-byte Folded Spill
	scratch_store_dwordx4 off, v[164:167], off offset:2408 ; 16-byte Folded Spill
	scratch_store_dwordx4 off, v[168:171], off offset:2424 ; 16-byte Folded Spill
	v_mov_b32_e32 v96, v138
	v_mov_b32_e32 v26, v94
	v_mov_b32_e32 v27, v105
	;; [unrolled: 1-line block ×3, first 2 shown]
	scratch_store_dwordx4 off, v[126:129], off offset:1288 ; 16-byte Folded Spill
	s_nop 0
	scratch_store_dwordx4 off, v[130:133], off offset:1304 ; 16-byte Folded Spill
	scratch_store_dwordx4 off, v[134:137], off offset:1320 ; 16-byte Folded Spill
	;; [unrolled: 1-line block ×8, first 2 shown]
	s_nop 0
	scratch_store_dwordx4 off, v[84:87], off offset:1044 ; 16-byte Folded Spill
	scratch_store_dwordx4 off, v[88:91], off offset:1060 ; 16-byte Folded Spill
	;; [unrolled: 1-line block ×7, first 2 shown]
	v_mov_b32_e32 v152, v230
	scratch_store_dwordx4 off, v[212:215], off offset:512 ; 16-byte Folded Spill
	s_nop 0
	scratch_store_dwordx4 off, v[216:219], off offset:528 ; 16-byte Folded Spill
	scratch_store_dwordx4 off, v[220:223], off offset:544 ; 16-byte Folded Spill
	;; [unrolled: 1-line block ×8, first 2 shown]
	s_nop 0
	scratch_store_dwordx4 off, v[216:219], off offset:272 ; 16-byte Folded Spill
	scratch_store_dwordx4 off, v[220:223], off offset:288 ; 16-byte Folded Spill
	;; [unrolled: 1-line block ×7, first 2 shown]
	v_mov_b32_e32 v86, v198
	scratch_store_dwordx4 off, v[176:179], off offset:128 ; 16-byte Folded Spill
	s_nop 0
	scratch_store_dwordx4 off, v[180:183], off offset:144 ; 16-byte Folded Spill
	scratch_store_dwordx4 off, v[184:187], off offset:160 ; 16-byte Folded Spill
	;; [unrolled: 1-line block ×7, first 2 shown]
	v_mov_b32_e32 v88, v124
	v_mov_b32_e32 v89, v125
	;; [unrolled: 1-line block ×4, first 2 shown]
	scratch_store_dwordx4 off, v[20:23], off ; 16-byte Folded Spill
	s_nop 0
	scratch_store_dwordx4 off, v[24:27], off offset:16 ; 16-byte Folded Spill
	scratch_store_dwordx4 off, v[28:31], off offset:32 ; 16-byte Folded Spill
	scratch_store_dwordx4 off, v[32:35], off offset:48 ; 16-byte Folded Spill
	scratch_store_dwordx4 off, v[36:39], off offset:64 ; 16-byte Folded Spill
	scratch_store_dwordx4 off, v[40:43], off offset:80 ; 16-byte Folded Spill
	scratch_store_dwordx4 off, v[44:47], off offset:96 ; 16-byte Folded Spill
	scratch_store_dwordx4 off, v[48:51], off offset:112 ; 16-byte Folded Spill
	v_mov_b32_e32 v91, v95
	v_mov_b32_e32 v87, v199
.LBB50_134:
	s_or_b64 exec, exec, s[0:1]
	v_lshl_add_u32 v45, v253, 2, v252
	s_waitcnt vmcnt(63) expcnt(7) lgkmcnt(15)
	s_barrier
	ds_write_b32 v45, v208
	s_waitcnt lgkmcnt(0)
	s_barrier
	ds_read_b32 v45, v252 offset:32
	s_cmp_lt_i32 s22, 10
	v_mov_b32_e32 v46, 8
	s_cbranch_scc1 .LBB50_444
; %bb.135:
	scratch_load_dword v46, off, off offset:1024 ; 4-byte Folded Reload
	scratch_load_dwordx4 v[212:215], off, off offset:1416 ; 16-byte Folded Reload
	scratch_load_dwordx4 v[216:219], off, off offset:1432 ; 16-byte Folded Reload
	;; [unrolled: 1-line block ×8, first 2 shown]
	s_mov_b32 s0, 9
	s_waitcnt vmcnt(8)
	v_add3_u32 v47, v46, 0, 36
	v_mov_b32_e32 v46, 8
.LBB50_136:                             ; =>This Inner Loop Header: Depth=1
	ds_read_b32 v48, v47
	v_add_u32_e32 v47, 4, v47
	s_waitcnt lgkmcnt(0)
	v_cmp_lt_f32_e64 vcc, |v45|, |v48|
	s_nop 1
	v_cndmask_b32_e32 v45, v45, v48, vcc
	v_mov_b32_e32 v48, s0
	s_add_i32 s0, s0, 1
	v_cndmask_b32_e32 v46, v46, v48, vcc
	s_cmp_lg_u32 s22, s0
	s_cbranch_scc1 .LBB50_136
; %bb.137:
	v_cmp_eq_f32_e32 vcc, 0, v45
	s_and_saveexec_b64 s[0:1], vcc
	s_xor_b64 s[0:1], exec, s[0:1]
.LBB50_138:
	v_cmp_ne_u32_e32 vcc, 0, v106
	s_nop 1
	v_cndmask_b32_e32 v106, 9, v106, vcc
.LBB50_139:
	s_andn2_saveexec_b64 s[0:1], s[0:1]
	s_cbranch_execz .LBB50_141
; %bb.140:
	v_div_scale_f32 v47, s[2:3], v45, v45, 1.0
	v_rcp_f32_e32 v48, v47
	v_div_scale_f32 v49, vcc, 1.0, v45, 1.0
	v_fma_f32 v50, -v47, v48, 1.0
	v_fmac_f32_e32 v48, v50, v48
	v_mul_f32_e32 v50, v49, v48
	v_fma_f32 v51, -v47, v50, v49
	v_fmac_f32_e32 v50, v51, v48
	v_fma_f32 v47, -v47, v50, v49
	v_div_fmas_f32 v47, v47, v48, v50
	v_div_fixup_f32 v45, v47, v45, 1.0
.LBB50_141:
	s_or_b64 exec, exec, s[0:1]
	v_cmp_ne_u32_e32 vcc, v253, v46
	s_and_saveexec_b64 s[0:1], vcc
	s_xor_b64 s[0:1], exec, s[0:1]
	s_cbranch_execz .LBB50_147
; %bb.142:
	v_cmp_eq_u32_e32 vcc, 8, v253
	s_and_saveexec_b64 s[2:3], vcc
	s_cbranch_execz .LBB50_146
; %bb.143:
	v_cmp_ne_u32_e32 vcc, 8, v46
	s_xor_b64 s[18:19], s[16:17], -1
	s_and_b64 s[20:21], s[18:19], vcc
	s_and_saveexec_b64 s[18:19], s[20:21]
	s_cbranch_execz .LBB50_145
; %bb.144:
	scratch_load_dwordx2 v[52:53], off, off offset:2952 ; 8-byte Folded Reload
	v_ashrrev_i32_e32 v47, 31, v46
	s_waitcnt vmcnt(0)
	v_lshl_add_u64 v[48:49], v[46:47], 2, v[52:53]
	global_load_dword v47, v[48:49], off
	global_load_dword v50, v[52:53], off offset:32
	s_waitcnt vmcnt(1)
	global_store_dword v[52:53], v47, off offset:32
	s_waitcnt vmcnt(1)
	global_store_dword v[48:49], v50, off
.LBB50_145:
	s_or_b64 exec, exec, s[18:19]
	v_mov_b32_e32 v47, v46
	v_mov_b32_e32 v253, v46
	scratch_store_dword off, v47, off offset:1156 ; 4-byte Folded Spill
.LBB50_146:
	s_or_b64 exec, exec, s[2:3]
.LBB50_147:
	s_andn2_saveexec_b64 s[0:1], s[0:1]
	s_cbranch_execz .LBB50_149
; %bb.148:
	ds_write2_b32 v252, v9, v10 offset0:9 offset1:10
	ds_write2_b32 v252, v11, v12 offset0:11 offset1:12
	;; [unrolled: 1-line block ×8, first 2 shown]
	scratch_load_dwordx4 v[176:179], off, off ; 16-byte Folded Reload
	scratch_load_dwordx4 v[180:183], off, off offset:16 ; 16-byte Folded Reload
	scratch_load_dwordx4 v[184:187], off, off offset:32 ; 16-byte Folded Reload
	;; [unrolled: 1-line block ×7, first 2 shown]
	v_mov_b32_e32 v253, 8
	s_waitcnt vmcnt(1)
	ds_write_b32 v252, v201 offset:100
.LBB50_149:
	s_or_b64 exec, exec, s[0:1]
	v_cmp_lt_i32_e32 vcc, 8, v253
	s_waitcnt lgkmcnt(0)
	s_barrier
	s_and_saveexec_b64 s[0:1], vcc
	s_cbranch_execz .LBB50_151
; %bb.150:
	scratch_load_dwordx4 v[58:61], off, off offset:2696 ; 16-byte Folded Reload
	scratch_load_dwordx4 v[62:65], off, off offset:2712 ; 16-byte Folded Reload
	;; [unrolled: 1-line block ×8, first 2 shown]
	ds_read2_b32 v[0:1], v252 offset0:9 offset1:10
	v_mov_b32_e32 v2, v9
	ds_read2_b32 v[4:5], v252 offset0:11 offset1:12
	ds_read2_b32 v[6:7], v252 offset0:13 offset1:14
	;; [unrolled: 1-line block ×3, first 2 shown]
	s_waitcnt vmcnt(5)
	v_mul_f32_e32 v66, v208, v45
	v_mov_b32_e32 v3, v10
	v_mov_b32_e32 v116, v66
	;; [unrolled: 1-line block ×6, first 2 shown]
	s_waitcnt lgkmcnt(3)
	v_pk_fma_f32 v[46:47], v[66:67], v[0:1], v[2:3] op_sel_hi:[0,1,1] neg_lo:[1,0,0] neg_hi:[1,0,0]
	v_mov_b32_e32 v0, v11
	v_mov_b32_e32 v1, v12
	s_waitcnt lgkmcnt(2)
	v_pk_fma_f32 v[48:49], v[66:67], v[4:5], v[0:1] op_sel_hi:[0,1,1] neg_lo:[1,0,0] neg_hi:[1,0,0]
	v_mov_b32_e32 v0, v13
	v_mov_b32_e32 v1, v14
	;; [unrolled: 4-line block ×3, first 2 shown]
	s_waitcnt lgkmcnt(0)
	v_pk_fma_f32 v[52:53], v[66:67], v[8:9], v[0:1] op_sel_hi:[0,1,1] neg_lo:[1,0,0] neg_hi:[1,0,0]
	ds_read2_b32 v[0:1], v252 offset0:17 offset1:18
	ds_read2_b32 v[4:5], v252 offset0:19 offset1:20
	ds_read2_b32 v[6:7], v252 offset0:21 offset1:22
	ds_read2_b32 v[8:9], v252 offset0:23 offset1:24
	v_mov_b32_e32 v2, v17
	v_mov_b32_e32 v3, v18
	v_mov_b32_e32 v110, v60
	s_waitcnt lgkmcnt(3)
	v_pk_fma_f32 v[54:55], v[66:67], v[0:1], v[2:3] op_sel_hi:[0,1,1] neg_lo:[1,0,0] neg_hi:[1,0,0]
	v_mov_b32_e32 v0, v19
	v_mov_b32_e32 v1, v20
	s_waitcnt lgkmcnt(2)
	v_pk_fma_f32 v[56:57], v[66:67], v[4:5], v[0:1] op_sel_hi:[0,1,1] neg_lo:[1,0,0] neg_hi:[1,0,0]
	v_mov_b32_e32 v0, v21
	v_mov_b32_e32 v1, v22
	s_waitcnt vmcnt(2) lgkmcnt(1)
	v_pk_fma_f32 v[80:81], v[66:67], v[6:7], v[0:1] op_sel_hi:[0,1,1] neg_lo:[1,0,0] neg_hi:[1,0,0]
	v_mov_b32_e32 v0, v23
	v_mov_b32_e32 v1, v24
	ds_read_b32 v2, v252 offset:100
	s_waitcnt lgkmcnt(1)
	v_pk_fma_f32 v[254:255], v[66:67], v[8:9], v[0:1] op_sel_hi:[0,1,1] neg_lo:[1,0,0] neg_hi:[1,0,0]
	scratch_load_dwordx4 v[4:7], off, off   ; 16-byte Folded Reload
	scratch_load_dwordx4 v[8:11], off, off offset:16 ; 16-byte Folded Reload
	scratch_load_dwordx4 v[12:15], off, off offset:32 ; 16-byte Folded Reload
	;; [unrolled: 1-line block ×7, first 2 shown]
	v_mov_b32_e32 v0, v58
	v_mov_b32_e32 v1, v59
	;; [unrolled: 1-line block ×3, first 2 shown]
	s_waitcnt vmcnt(7)
	v_mov_b32_e32 v4, v62
	v_mov_b32_e32 v5, v63
	;; [unrolled: 1-line block ×4, first 2 shown]
	s_waitcnt vmcnt(6)
	v_mov_b32_e32 v8, v66
	v_mov_b32_e32 v9, v46
	;; [unrolled: 1-line block ×66, first 2 shown]
	s_waitcnt vmcnt(1) lgkmcnt(0)
	v_fma_f32 v25, -v66, v2, v29
	v_mov_b32_e32 v2, v60
	scratch_store_dwordx4 off, v[0:3], off offset:2312 ; 16-byte Folded Spill
	s_nop 0
	scratch_store_dwordx4 off, v[4:7], off offset:2328 ; 16-byte Folded Spill
	scratch_store_dwordx4 off, v[8:11], off offset:2344 ; 16-byte Folded Spill
	scratch_store_dwordx4 off, v[12:15], off offset:2360 ; 16-byte Folded Spill
	scratch_store_dwordx4 off, v[16:19], off offset:2376 ; 16-byte Folded Spill
	scratch_store_dwordx4 off, v[20:23], off offset:2392 ; 16-byte Folded Spill
	scratch_store_dwordx4 off, v[24:27], off offset:2408 ; 16-byte Folded Spill
	scratch_store_dwordx4 off, v[28:31], off offset:2424 ; 16-byte Folded Spill
	v_mov_b32_e32 v11, v48
	scratch_store_dwordx4 off, v[0:3], off offset:1544 ; 16-byte Folded Spill
	s_nop 0
	scratch_store_dwordx4 off, v[4:7], off offset:1560 ; 16-byte Folded Spill
	scratch_store_dwordx4 off, v[8:11], off offset:1576 ; 16-byte Folded Spill
	scratch_store_dwordx4 off, v[12:15], off offset:1592 ; 16-byte Folded Spill
	scratch_store_dwordx4 off, v[16:19], off offset:1608 ; 16-byte Folded Spill
	scratch_store_dwordx4 off, v[20:23], off offset:1624 ; 16-byte Folded Spill
	scratch_store_dwordx4 off, v[24:27], off offset:1640 ; 16-byte Folded Spill
	scratch_store_dwordx4 off, v[28:31], off offset:1656 ; 16-byte Folded Spill
	;; [unrolled: 10-line block ×6, first 2 shown]
	v_mov_b32_e32 v16, v53
	v_mov_b32_e32 v17, v54
	scratch_store_dwordx4 off, v[0:3], off offset:640 ; 16-byte Folded Spill
	s_nop 0
	scratch_store_dwordx4 off, v[4:7], off offset:656 ; 16-byte Folded Spill
	scratch_store_dwordx4 off, v[8:11], off offset:672 ; 16-byte Folded Spill
	scratch_store_dwordx4 off, v[12:15], off offset:688 ; 16-byte Folded Spill
	scratch_store_dwordx4 off, v[16:19], off offset:704 ; 16-byte Folded Spill
	scratch_store_dwordx4 off, v[20:23], off offset:720 ; 16-byte Folded Spill
	scratch_store_dwordx4 off, v[24:27], off offset:736 ; 16-byte Folded Spill
	scratch_store_dwordx4 off, v[28:31], off offset:752 ; 16-byte Folded Spill
	v_mov_b32_e32 v18, v55
	scratch_store_dwordx4 off, v[0:3], off offset:512 ; 16-byte Folded Spill
	s_nop 0
	scratch_store_dwordx4 off, v[4:7], off offset:528 ; 16-byte Folded Spill
	scratch_store_dwordx4 off, v[8:11], off offset:544 ; 16-byte Folded Spill
	scratch_store_dwordx4 off, v[12:15], off offset:560 ; 16-byte Folded Spill
	scratch_store_dwordx4 off, v[16:19], off offset:576 ; 16-byte Folded Spill
	scratch_store_dwordx4 off, v[20:23], off offset:592 ; 16-byte Folded Spill
	scratch_store_dwordx4 off, v[24:27], off offset:608 ; 16-byte Folded Spill
	scratch_store_dwordx4 off, v[28:31], off offset:624 ; 16-byte Folded Spill
	v_mov_b32_e32 v19, v56
	scratch_store_dwordx4 off, v[0:3], off offset:384 ; 16-byte Folded Spill
	s_nop 0
	scratch_store_dwordx4 off, v[4:7], off offset:400 ; 16-byte Folded Spill
	scratch_store_dwordx4 off, v[8:11], off offset:416 ; 16-byte Folded Spill
	scratch_store_dwordx4 off, v[12:15], off offset:432 ; 16-byte Folded Spill
	scratch_store_dwordx4 off, v[16:19], off offset:448 ; 16-byte Folded Spill
	scratch_store_dwordx4 off, v[20:23], off offset:464 ; 16-byte Folded Spill
	scratch_store_dwordx4 off, v[24:27], off offset:480 ; 16-byte Folded Spill
	scratch_store_dwordx4 off, v[28:31], off offset:496 ; 16-byte Folded Spill
	v_mov_b32_e32 v20, v57
	v_mov_b32_e32 v21, v80
	scratch_store_dwordx4 off, v[0:3], off offset:896 ; 16-byte Folded Spill
	s_nop 0
	scratch_store_dwordx4 off, v[4:7], off offset:912 ; 16-byte Folded Spill
	scratch_store_dwordx4 off, v[8:11], off offset:928 ; 16-byte Folded Spill
	;; [unrolled: 1-line block ×7, first 2 shown]
	v_mov_b32_e32 v22, v81
	scratch_store_dwordx4 off, v[0:3], off offset:128 ; 16-byte Folded Spill
	s_nop 0
	scratch_store_dwordx4 off, v[4:7], off offset:144 ; 16-byte Folded Spill
	scratch_store_dwordx4 off, v[8:11], off offset:160 ; 16-byte Folded Spill
	;; [unrolled: 1-line block ×7, first 2 shown]
	v_mov_b32_e32 v23, v254
	v_mov_b32_e32 v24, v255
	;; [unrolled: 1-line block ×5, first 2 shown]
	scratch_store_dwordx4 off, v[58:61], off offset:2440 ; 16-byte Folded Spill
	s_nop 0
	scratch_store_dwordx4 off, v[62:65], off offset:2456 ; 16-byte Folded Spill
	scratch_store_dwordx4 off, v[66:69], off offset:2472 ; 16-byte Folded Spill
	scratch_store_dwordx4 off, v[70:73], off offset:2488 ; 16-byte Folded Spill
	scratch_store_dwordx4 off, v[74:77], off offset:2504 ; 16-byte Folded Spill
	scratch_store_dwordx4 off, v[78:81], off offset:2520 ; 16-byte Folded Spill
	scratch_store_dwordx4 off, v[82:85], off offset:2536 ; 16-byte Folded Spill
	scratch_store_dwordx4 off, v[86:89], off offset:2552 ; 16-byte Folded Spill
	scratch_store_dwordx4 off, v[58:61], off offset:2568 ; 16-byte Folded Spill
	s_nop 0
	scratch_store_dwordx4 off, v[62:65], off offset:2584 ; 16-byte Folded Spill
	scratch_store_dwordx4 off, v[66:69], off offset:2600 ; 16-byte Folded Spill
	;; [unrolled: 1-line block ×7, first 2 shown]
	v_mov_b32_e32 v65, v48
	scratch_store_dwordx4 off, v[10:13], off offset:256 ; 16-byte Folded Spill
	s_nop 0
	scratch_store_dwordx4 off, v[14:17], off offset:272 ; 16-byte Folded Spill
	scratch_store_dwordx4 off, v[18:21], off offset:288 ; 16-byte Folded Spill
	;; [unrolled: 1-line block ×4, first 2 shown]
	s_waitcnt vmcnt(62)
	scratch_store_dwordx4 off, v[30:33], off offset:336 ; 16-byte Folded Spill
	scratch_store_dwordx4 off, v[34:37], off offset:352 ; 16-byte Folded Spill
	;; [unrolled: 1-line block ×3, first 2 shown]
	v_mov_b32_e32 v88, v53
	v_mov_b32_e32 v89, v54
	;; [unrolled: 1-line block ×6, first 2 shown]
	scratch_store_dwordx4 off, v[20:23], off ; 16-byte Folded Spill
	s_nop 0
	scratch_store_dwordx4 off, v[24:27], off offset:16 ; 16-byte Folded Spill
	scratch_store_dwordx4 off, v[28:31], off offset:32 ; 16-byte Folded Spill
	scratch_store_dwordx4 off, v[32:35], off offset:48 ; 16-byte Folded Spill
	scratch_store_dwordx4 off, v[36:39], off offset:64 ; 16-byte Folded Spill
	scratch_store_dwordx4 off, v[40:43], off offset:80 ; 16-byte Folded Spill
	scratch_store_dwordx4 off, v[44:47], off offset:96 ; 16-byte Folded Spill
	scratch_store_dwordx4 off, v[48:51], off offset:112 ; 16-byte Folded Spill
.LBB50_151:
	s_or_b64 exec, exec, s[0:1]
	v_lshl_add_u32 v45, v253, 2, v252
	s_waitcnt vmcnt(63) expcnt(7) lgkmcnt(15)
	s_barrier
	ds_write_b32 v45, v27
	s_waitcnt lgkmcnt(0)
	s_barrier
	ds_read_b32 v45, v252 offset:36
	s_cmp_lt_i32 s22, 11
	v_mov_b32_e32 v46, 9
	s_cbranch_scc1 .LBB50_154
; %bb.152:
	scratch_load_dword v46, off, off offset:1024 ; 4-byte Folded Reload
	s_mov_b32 s0, 10
	s_waitcnt vmcnt(0)
	v_add3_u32 v47, v46, 0, 40
	v_mov_b32_e32 v46, 9
.LBB50_153:                             ; =>This Inner Loop Header: Depth=1
	ds_read_b32 v48, v47
	v_add_u32_e32 v47, 4, v47
	s_waitcnt lgkmcnt(0)
	v_cmp_lt_f32_e64 vcc, |v45|, |v48|
	s_nop 1
	v_cndmask_b32_e32 v45, v45, v48, vcc
	v_mov_b32_e32 v48, s0
	s_add_i32 s0, s0, 1
	v_cndmask_b32_e32 v46, v46, v48, vcc
	s_cmp_lg_u32 s22, s0
	s_cbranch_scc1 .LBB50_153
.LBB50_154:
	s_waitcnt lgkmcnt(0)
	v_cmp_eq_f32_e32 vcc, 0, v45
	s_and_saveexec_b64 s[0:1], vcc
	s_xor_b64 s[0:1], exec, s[0:1]
; %bb.155:
	v_cmp_ne_u32_e32 vcc, 0, v106
	s_nop 1
	v_cndmask_b32_e32 v106, 10, v106, vcc
; %bb.156:
	s_andn2_saveexec_b64 s[0:1], s[0:1]
	s_cbranch_execz .LBB50_158
; %bb.157:
	v_div_scale_f32 v47, s[2:3], v45, v45, 1.0
	v_rcp_f32_e32 v48, v47
	v_div_scale_f32 v49, vcc, 1.0, v45, 1.0
	v_fma_f32 v50, -v47, v48, 1.0
	v_fmac_f32_e32 v48, v50, v48
	v_mul_f32_e32 v50, v49, v48
	v_fma_f32 v51, -v47, v50, v49
	v_fmac_f32_e32 v50, v51, v48
	v_fma_f32 v47, -v47, v50, v49
	v_div_fmas_f32 v47, v47, v48, v50
	v_div_fixup_f32 v45, v47, v45, 1.0
.LBB50_158:
	s_or_b64 exec, exec, s[0:1]
	v_cmp_ne_u32_e32 vcc, v253, v46
	s_and_saveexec_b64 s[0:1], vcc
	s_xor_b64 s[0:1], exec, s[0:1]
	s_cbranch_execz .LBB50_164
; %bb.159:
	v_cmp_eq_u32_e32 vcc, 9, v253
	s_and_saveexec_b64 s[2:3], vcc
	s_cbranch_execz .LBB50_163
; %bb.160:
	v_cmp_ne_u32_e32 vcc, 9, v46
	s_xor_b64 s[18:19], s[16:17], -1
	s_and_b64 s[20:21], s[18:19], vcc
	s_and_saveexec_b64 s[18:19], s[20:21]
	s_cbranch_execz .LBB50_162
; %bb.161:
	scratch_load_dwordx2 v[52:53], off, off offset:2952 ; 8-byte Folded Reload
	v_ashrrev_i32_e32 v47, 31, v46
	s_waitcnt vmcnt(0)
	v_lshl_add_u64 v[48:49], v[46:47], 2, v[52:53]
	global_load_dword v47, v[48:49], off
	global_load_dword v50, v[52:53], off offset:36
	s_waitcnt vmcnt(1)
	global_store_dword v[52:53], v47, off offset:36
	s_waitcnt vmcnt(1)
	global_store_dword v[48:49], v50, off
.LBB50_162:
	s_or_b64 exec, exec, s[18:19]
	v_mov_b32_e32 v47, v46
	v_mov_b32_e32 v253, v46
	scratch_store_dword off, v47, off offset:1156 ; 4-byte Folded Spill
.LBB50_163:
	s_or_b64 exec, exec, s[2:3]
.LBB50_164:
	s_or_saveexec_b64 s[0:1], s[0:1]
	s_waitcnt vmcnt(0)
	v_mov_b64_e32 v[242:243], v[234:235]
	v_mov_b64_e32 v[240:241], v[232:233]
	;; [unrolled: 1-line block ×12, first 2 shown]
	s_xor_b64 exec, exec, s[0:1]
	s_cbranch_execz .LBB50_166
; %bb.165:
	v_mov_b32_e32 v253, 9
	ds_write2_b32 v252, v10, v11 offset0:10 offset1:11
	ds_write2_b32 v252, v12, v13 offset0:12 offset1:13
	;; [unrolled: 1-line block ×8, first 2 shown]
.LBB50_166:
	s_or_b64 exec, exec, s[0:1]
	v_cmp_lt_i32_e32 vcc, 9, v253
	s_waitcnt lgkmcnt(0)
	s_barrier
	s_and_saveexec_b64 s[0:1], vcc
	s_cbranch_execz .LBB50_168
; %bb.167:
	v_mul_f32_e32 v0, v27, v45
	ds_read2_b32 v[2:3], v252 offset0:10 offset1:11
	ds_read2_b32 v[4:5], v252 offset0:12 offset1:13
	;; [unrolled: 1-line block ×5, first 2 shown]
	s_waitcnt lgkmcnt(4)
	v_pk_fma_f32 v[150:151], v[0:1], v[2:3], v[10:11] op_sel_hi:[0,1,1] neg_lo:[1,0,0] neg_hi:[1,0,0]
	ds_read2_b32 v[2:3], v252 offset0:22 offset1:23
	scratch_load_dwordx4 v[28:31], off, off offset:2568 ; 16-byte Folded Reload
	scratch_load_dwordx4 v[32:35], off, off offset:2584 ; 16-byte Folded Reload
	;; [unrolled: 1-line block ×8, first 2 shown]
	s_waitcnt lgkmcnt(4)
	v_pk_fma_f32 v[138:139], v[0:1], v[4:5], v[12:13] op_sel_hi:[0,1,1] neg_lo:[1,0,0] neg_hi:[1,0,0]
	s_waitcnt lgkmcnt(3)
	v_pk_fma_f32 v[94:95], v[0:1], v[6:7], v[14:15] op_sel_hi:[0,1,1] neg_lo:[1,0,0] neg_hi:[1,0,0]
	;; [unrolled: 2-line block ×3, first 2 shown]
	v_mov_b32_e32 v13, v0
	v_mov_b32_e32 v14, v150
	;; [unrolled: 1-line block ×3, first 2 shown]
	s_waitcnt vmcnt(5)
	v_mov_b32_e32 v37, v0
	v_mov_b32_e32 v38, v150
	;; [unrolled: 1-line block ×3, first 2 shown]
	s_waitcnt vmcnt(4)
	v_mov_b32_e32 v40, v138
	v_mov_b32_e32 v41, v139
	v_mov_b32_e32 v60, v94
	v_mov_b32_e32 v61, v95
	v_mov_b32_e32 v105, v0
	v_mov_b32_e32 v117, v0
	v_mov_b32_e32 v118, v150
	v_mov_b32_e32 v119, v151
	v_mov_b32_e32 v120, v138
	v_mov_b32_e32 v121, v139
	v_mov_b32_e32 v122, v94
	v_mov_b32_e32 v123, v95
	v_mov_b32_e32 v149, v0
	v_mov_b32_e32 v135, v0
	v_mov_b32_e32 v89, v0
	v_mov_b32_e32 v209, v0
	v_mov_b32_e32 v163, v0
	v_mov_b32_e32 v164, v150
	v_mov_b32_e32 v165, v151
	v_mov_b32_e32 v166, v138
	v_mov_b32_e32 v167, v139
	v_mov_b32_e32 v168, v94
	v_mov_b32_e32 v169, v95
	v_mov_b32_e32 v185, v0
	v_mov_b32_e32 v136, v150
	v_mov_b32_e32 v137, v151
	v_mov_b32_e32 v90, v150
	v_mov_b32_e32 v91, v151
	v_mov_b32_e32 v210, v150
	v_mov_b32_e32 v211, v151
	v_mov_b32_e32 v186, v150
	v_mov_b32_e32 v187, v151
	v_mov_b32_e32 v92, v138
	v_mov_b32_e32 v93, v139
	v_mov_b32_e32 v212, v138
	v_mov_b32_e32 v213, v139
	v_mov_b32_e32 v214, v94
	v_mov_b32_e32 v215, v95
	v_mov_b32_e32 v188, v138
	v_mov_b32_e32 v189, v139
	v_mov_b32_e32 v190, v94
	v_mov_b32_e32 v191, v95
	v_mov_b32_e32 v104, v36
	v_mov_b32_e32 v103, v35
	v_mov_b32_e32 v102, v34
	v_mov_b32_e32 v101, v33
	v_mov_b32_e32 v100, v32
	v_mov_b32_e32 v99, v31
	v_mov_b32_e32 v98, v30
	v_mov_b32_e32 v97, v29
	v_mov_b32_e32 v96, v28
	v_mov_b32_e32 v4, v96
	v_mov_b32_e32 v5, v97
	v_mov_b32_e32 v6, v98
	v_mov_b32_e32 v7, v99
	v_mov_b32_e32 v8, v100
	v_mov_b32_e32 v9, v101
	v_mov_b32_e32 v10, v102
	v_mov_b32_e32 v11, v103
	v_mov_b32_e32 v12, v104
	scratch_store_dwordx4 off, v[4:7], off offset:1544 ; 16-byte Folded Spill
	s_nop 0
	scratch_store_dwordx4 off, v[8:11], off offset:1560 ; 16-byte Folded Spill
	scratch_store_dwordx4 off, v[12:15], off offset:1576 ; 16-byte Folded Spill
	;; [unrolled: 1-line block ×4, first 2 shown]
	s_waitcnt lgkmcnt(1)
	scratch_store_dwordx4 off, v[24:27], off offset:1624 ; 16-byte Folded Spill
	scratch_store_dwordx4 off, v[28:31], off offset:1640 ; 16-byte Folded Spill
	scratch_store_dwordx4 off, v[32:35], off offset:1656 ; 16-byte Folded Spill
	v_mov_b32_e32 v126, v96
	v_mov_b32_e32 v127, v97
	;; [unrolled: 1-line block ×54, first 2 shown]
	scratch_store_dwordx4 off, v[28:31], off offset:1160 ; 16-byte Folded Spill
	s_nop 0
	scratch_store_dwordx4 off, v[32:35], off offset:1176 ; 16-byte Folded Spill
	scratch_store_dwordx4 off, v[36:39], off offset:1192 ; 16-byte Folded Spill
	;; [unrolled: 1-line block ×3, first 2 shown]
	s_waitcnt vmcnt(15)
	scratch_store_dwordx4 off, v[44:47], off offset:1224 ; 16-byte Folded Spill
	s_waitcnt vmcnt(15)
	scratch_store_dwordx4 off, v[48:51], off offset:1240 ; 16-byte Folded Spill
	;; [unrolled: 2-line block ×4, first 2 shown]
	v_mov_b32_e32 v42, v94
	v_mov_b32_e32 v43, v95
	v_pk_fma_f32 v[124:125], v[0:1], v[26:27], v[16:17] op_sel_hi:[0,1,1] neg_lo:[1,0,0] neg_hi:[1,0,0]
	v_mov_b32_e32 v26, v96
	v_mov_b32_e32 v27, v97
	;; [unrolled: 1-line block ×8, first 2 shown]
	s_waitcnt lgkmcnt(0)
	v_pk_fma_f32 v[198:199], v[0:1], v[2:3], v[22:23] op_sel_hi:[0,1,1] neg_lo:[1,0,0] neg_hi:[1,0,0]
	v_mov_b32_e32 v176, v96
	v_mov_b32_e32 v177, v97
	;; [unrolled: 1-line block ×26, first 2 shown]
	scratch_store_dwordx4 off, v[28:31], off offset:768 ; 16-byte Folded Spill
	s_nop 0
	scratch_store_dwordx4 off, v[32:35], off offset:784 ; 16-byte Folded Spill
	scratch_store_dwordx4 off, v[36:39], off offset:800 ; 16-byte Folded Spill
	;; [unrolled: 1-line block ×7, first 2 shown]
	v_mov_b32_e32 v28, v98
	v_mov_b32_e32 v29, v99
	;; [unrolled: 1-line block ×18, first 2 shown]
	scratch_store_dwordx4 off, v[26:29], off offset:640 ; 16-byte Folded Spill
	s_nop 0
	scratch_store_dwordx4 off, v[30:33], off offset:656 ; 16-byte Folded Spill
	scratch_store_dwordx4 off, v[34:37], off offset:672 ; 16-byte Folded Spill
	;; [unrolled: 1-line block ×7, first 2 shown]
	ds_read2_b32 v[4:5], v252 offset0:18 offset1:19
	ds_read2_b32 v[6:7], v252 offset0:20 offset1:21
	v_mov_b32_e32 v46, v96
	v_mov_b32_e32 v47, v97
	;; [unrolled: 1-line block ×3, first 2 shown]
	s_waitcnt lgkmcnt(1)
	v_pk_fma_f32 v[218:219], v[0:1], v[4:5], v[18:19] op_sel_hi:[0,1,1] neg_lo:[1,0,0] neg_hi:[1,0,0]
	v_mov_b32_e32 v49, v99
	v_mov_b32_e32 v50, v100
	;; [unrolled: 1-line block ×11, first 2 shown]
	scratch_store_dwordx4 off, v[46:49], off offset:384 ; 16-byte Folded Spill
	s_nop 0
	scratch_store_dwordx4 off, v[50:53], off offset:400 ; 16-byte Folded Spill
	scratch_store_dwordx4 off, v[54:57], off offset:416 ; 16-byte Folded Spill
	;; [unrolled: 1-line block ×7, first 2 shown]
	s_waitcnt lgkmcnt(0)
	v_pk_fma_f32 v[174:175], v[0:1], v[6:7], v[20:21] op_sel_hi:[0,1,1] neg_lo:[1,0,0] neg_hi:[1,0,0]
	v_mov_b32_e32 v66, v174
	v_mov_b32_e32 v67, v175
	;; [unrolled: 1-line block ×20, first 2 shown]
	scratch_store_dwordx4 off, v[46:49], off offset:896 ; 16-byte Folded Spill
	s_nop 0
	scratch_store_dwordx4 off, v[50:53], off offset:912 ; 16-byte Folded Spill
	scratch_store_dwordx4 off, v[54:57], off offset:928 ; 16-byte Folded Spill
	;; [unrolled: 1-line block ×8, first 2 shown]
	s_nop 0
	scratch_store_dwordx4 off, v[100:103], off offset:2456 ; 16-byte Folded Spill
	scratch_store_dwordx4 off, v[104:107], off offset:2472 ; 16-byte Folded Spill
	;; [unrolled: 1-line block ×7, first 2 shown]
	v_mov_b32_e32 v98, v150
	scratch_store_dwordx4 off, v[140:143], off offset:2312 ; 16-byte Folded Spill
	s_nop 0
	scratch_store_dwordx4 off, v[144:147], off offset:2328 ; 16-byte Folded Spill
	scratch_store_dwordx4 off, v[148:151], off offset:2344 ; 16-byte Folded Spill
	;; [unrolled: 1-line block ×7, first 2 shown]
	v_mov_b64_e32 v[234:235], v[40:41]
	v_mov_b64_e32 v[230:231], v[36:37]
	v_mov_b64_e32 v[228:229], v[34:35]
	v_mov_b64_e32 v[226:227], v[32:33]
	v_mov_b64_e32 v[224:225], v[30:31]
	v_mov_b64_e32 v[222:223], v[28:29]
	v_mov_b64_e32 v[220:221], v[26:27]
	v_mov_b32_e32 v96, v138
	v_mov_b64_e32 v[232:233], v[38:39]
	v_mov_b32_e32 v26, v94
	v_mov_b32_e32 v48, v198
	v_mov_b32_e32 v49, v199
	v_mov_b32_e32 v46, v174
	v_mov_b32_e32 v47, v175
	v_mov_b64_e32 v[242:243], v[48:49]
	v_mov_b64_e32 v[240:241], v[46:47]
	;; [unrolled: 1-line block ×4, first 2 shown]
	v_mov_b32_e32 v45, v25
	v_mov_b32_e32 v65, v151
	scratch_store_dwordx4 off, v[126:129], off offset:1288 ; 16-byte Folded Spill
	s_nop 0
	scratch_store_dwordx4 off, v[130:133], off offset:1304 ; 16-byte Folded Spill
	scratch_store_dwordx4 off, v[134:137], off offset:1320 ; 16-byte Folded Spill
	;; [unrolled: 1-line block ×8, first 2 shown]
	s_nop 0
	scratch_store_dwordx4 off, v[84:87], off offset:1044 ; 16-byte Folded Spill
	scratch_store_dwordx4 off, v[88:91], off offset:1060 ; 16-byte Folded Spill
	;; [unrolled: 1-line block ×7, first 2 shown]
	v_mov_b32_e32 v152, v218
	scratch_store_dwordx4 off, v[200:203], off offset:512 ; 16-byte Folded Spill
	s_nop 0
	scratch_store_dwordx4 off, v[204:207], off offset:528 ; 16-byte Folded Spill
	scratch_store_dwordx4 off, v[208:211], off offset:544 ; 16-byte Folded Spill
	;; [unrolled: 1-line block ×8, first 2 shown]
	s_nop 0
	scratch_store_dwordx4 off, v[204:207], off offset:272 ; 16-byte Folded Spill
	scratch_store_dwordx4 off, v[208:211], off offset:288 ; 16-byte Folded Spill
	;; [unrolled: 1-line block ×7, first 2 shown]
	v_mov_b32_e32 v86, v198
	v_mov_b32_e32 v88, v124
	;; [unrolled: 1-line block ×5, first 2 shown]
	scratch_store_dwordx4 off, v[176:179], off offset:128 ; 16-byte Folded Spill
	s_nop 0
	scratch_store_dwordx4 off, v[180:183], off offset:144 ; 16-byte Folded Spill
	scratch_store_dwordx4 off, v[184:187], off offset:160 ; 16-byte Folded Spill
	;; [unrolled: 1-line block ×7, first 2 shown]
	v_mov_b32_e32 v91, v95
	scratch_store_dwordx4 off, v[20:23], off ; 16-byte Folded Spill
	s_nop 0
	scratch_store_dwordx4 off, v[24:27], off offset:16 ; 16-byte Folded Spill
	scratch_store_dwordx4 off, v[28:31], off offset:32 ; 16-byte Folded Spill
	;; [unrolled: 1-line block ×7, first 2 shown]
	v_mov_b32_e32 v87, v199
.LBB50_168:
	s_or_b64 exec, exec, s[0:1]
	v_lshl_add_u32 v45, v253, 2, v252
	s_waitcnt vmcnt(63) expcnt(7) lgkmcnt(15)
	s_barrier
	ds_write_b32 v45, v98
	s_waitcnt lgkmcnt(0)
	s_barrier
	ds_read_b32 v45, v252 offset:40
	s_cmp_lt_i32 s22, 12
	v_mov_b32_e32 v46, 10
	s_cbranch_scc1 .LBB50_445
; %bb.169:
	scratch_load_dword v46, off, off offset:1024 ; 4-byte Folded Reload
	v_mov_b64_e32 v[218:219], v[220:221]
	v_mov_b64_e32 v[220:221], v[222:223]
	;; [unrolled: 1-line block ×9, first 2 shown]
	s_mov_b32 s0, 11
	v_mov_b64_e32 v[236:237], v[238:239]
	v_mov_b64_e32 v[238:239], v[240:241]
	;; [unrolled: 1-line block ×3, first 2 shown]
	s_waitcnt vmcnt(0)
	v_add3_u32 v47, v46, 0, 44
	v_mov_b32_e32 v46, 10
.LBB50_170:                             ; =>This Inner Loop Header: Depth=1
	ds_read_b32 v48, v47
	v_add_u32_e32 v47, 4, v47
	s_waitcnt lgkmcnt(0)
	v_cmp_lt_f32_e64 vcc, |v45|, |v48|
	s_nop 1
	v_cndmask_b32_e32 v45, v45, v48, vcc
	v_mov_b32_e32 v48, s0
	s_add_i32 s0, s0, 1
	v_cndmask_b32_e32 v46, v46, v48, vcc
	s_cmp_lg_u32 s22, s0
	s_cbranch_scc1 .LBB50_170
; %bb.171:
	v_cmp_eq_f32_e32 vcc, 0, v45
	s_and_saveexec_b64 s[0:1], vcc
	s_xor_b64 s[0:1], exec, s[0:1]
.LBB50_172:
	v_cmp_ne_u32_e32 vcc, 0, v106
	s_nop 1
	v_cndmask_b32_e32 v106, 11, v106, vcc
.LBB50_173:
	s_andn2_saveexec_b64 s[0:1], s[0:1]
	s_cbranch_execz .LBB50_175
; %bb.174:
	v_div_scale_f32 v47, s[2:3], v45, v45, 1.0
	v_rcp_f32_e32 v48, v47
	v_div_scale_f32 v49, vcc, 1.0, v45, 1.0
	v_fma_f32 v50, -v47, v48, 1.0
	v_fmac_f32_e32 v48, v50, v48
	v_mul_f32_e32 v50, v49, v48
	v_fma_f32 v51, -v47, v50, v49
	v_fmac_f32_e32 v50, v51, v48
	v_fma_f32 v47, -v47, v50, v49
	v_div_fmas_f32 v47, v47, v48, v50
	v_div_fixup_f32 v45, v47, v45, 1.0
.LBB50_175:
	s_or_b64 exec, exec, s[0:1]
	v_cmp_ne_u32_e32 vcc, v253, v46
	s_and_saveexec_b64 s[0:1], vcc
	s_xor_b64 s[0:1], exec, s[0:1]
	s_cbranch_execz .LBB50_181
; %bb.176:
	v_cmp_eq_u32_e32 vcc, 10, v253
	s_and_saveexec_b64 s[2:3], vcc
	s_cbranch_execz .LBB50_180
; %bb.177:
	v_cmp_ne_u32_e32 vcc, 10, v46
	s_xor_b64 s[18:19], s[16:17], -1
	s_and_b64 s[20:21], s[18:19], vcc
	s_and_saveexec_b64 s[18:19], s[20:21]
	s_cbranch_execz .LBB50_179
; %bb.178:
	scratch_load_dwordx2 v[52:53], off, off offset:2952 ; 8-byte Folded Reload
	v_ashrrev_i32_e32 v47, 31, v46
	s_waitcnt vmcnt(0)
	v_lshl_add_u64 v[48:49], v[46:47], 2, v[52:53]
	global_load_dword v47, v[48:49], off
	global_load_dword v50, v[52:53], off offset:40
	s_waitcnt vmcnt(1)
	global_store_dword v[52:53], v47, off offset:40
	s_waitcnt vmcnt(1)
	global_store_dword v[48:49], v50, off
.LBB50_179:
	s_or_b64 exec, exec, s[18:19]
	v_mov_b32_e32 v47, v46
	v_mov_b32_e32 v253, v46
	scratch_store_dword off, v47, off offset:1156 ; 4-byte Folded Spill
.LBB50_180:
	s_or_b64 exec, exec, s[2:3]
.LBB50_181:
	s_andn2_saveexec_b64 s[0:1], s[0:1]
	s_cbranch_execz .LBB50_183
; %bb.182:
	ds_write2_b32 v252, v11, v12 offset0:11 offset1:12
	ds_write2_b32 v252, v13, v14 offset0:13 offset1:14
	;; [unrolled: 1-line block ×7, first 2 shown]
	scratch_load_dwordx4 v[176:179], off, off ; 16-byte Folded Reload
	scratch_load_dwordx4 v[180:183], off, off offset:16 ; 16-byte Folded Reload
	scratch_load_dwordx4 v[184:187], off, off offset:32 ; 16-byte Folded Reload
	;; [unrolled: 1-line block ×7, first 2 shown]
	v_mov_b32_e32 v253, 10
	s_waitcnt vmcnt(1)
	ds_write_b32 v252, v201 offset:100
.LBB50_183:
	s_or_b64 exec, exec, s[0:1]
	v_cmp_lt_i32_e32 vcc, 10, v253
	s_waitcnt lgkmcnt(0)
	s_barrier
	s_and_saveexec_b64 s[0:1], vcc
	s_cbranch_execz .LBB50_185
; %bb.184:
	scratch_load_dwordx4 v[58:61], off, off offset:2440 ; 16-byte Folded Reload
	scratch_load_dwordx4 v[62:65], off, off offset:2456 ; 16-byte Folded Reload
	;; [unrolled: 1-line block ×8, first 2 shown]
	ds_read2_b32 v[0:1], v252 offset0:11 offset1:12
	ds_read2_b32 v[4:5], v252 offset0:13 offset1:14
	;; [unrolled: 1-line block ×4, first 2 shown]
	s_waitcnt vmcnt(5)
	v_mul_f32_e32 v68, v98, v45
	v_mov_b32_e32 v2, v11
	v_mov_b32_e32 v3, v12
	;; [unrolled: 1-line block ×7, first 2 shown]
	s_waitcnt lgkmcnt(3)
	v_pk_fma_f32 v[46:47], v[68:69], v[0:1], v[2:3] op_sel_hi:[0,1,1] neg_lo:[1,0,0] neg_hi:[1,0,0]
	v_mov_b32_e32 v0, v13
	v_mov_b32_e32 v1, v14
	s_waitcnt lgkmcnt(2)
	v_pk_fma_f32 v[48:49], v[68:69], v[4:5], v[0:1] op_sel_hi:[0,1,1] neg_lo:[1,0,0] neg_hi:[1,0,0]
	v_mov_b32_e32 v0, v15
	v_mov_b32_e32 v1, v16
	;; [unrolled: 4-line block ×3, first 2 shown]
	s_waitcnt lgkmcnt(0)
	v_pk_fma_f32 v[52:53], v[68:69], v[8:9], v[0:1] op_sel_hi:[0,1,1] neg_lo:[1,0,0] neg_hi:[1,0,0]
	ds_read2_b32 v[0:1], v252 offset0:19 offset1:20
	ds_read2_b32 v[4:5], v252 offset0:21 offset1:22
	;; [unrolled: 1-line block ×3, first 2 shown]
	ds_read_b32 v8, v252 offset:100
	v_mov_b32_e32 v2, v19
	v_mov_b32_e32 v3, v20
	;; [unrolled: 1-line block ×3, first 2 shown]
	s_waitcnt lgkmcnt(3)
	v_pk_fma_f32 v[54:55], v[68:69], v[0:1], v[2:3] op_sel_hi:[0,1,1] neg_lo:[1,0,0] neg_hi:[1,0,0]
	v_mov_b32_e32 v0, v21
	v_mov_b32_e32 v1, v22
	s_waitcnt lgkmcnt(2)
	v_pk_fma_f32 v[56:57], v[68:69], v[4:5], v[0:1] op_sel_hi:[0,1,1] neg_lo:[1,0,0] neg_hi:[1,0,0]
	v_mov_b32_e32 v0, v23
	v_mov_b32_e32 v1, v24
	scratch_load_dwordx4 v[10:13], off, off ; 16-byte Folded Reload
	scratch_load_dwordx4 v[14:17], off, off offset:16 ; 16-byte Folded Reload
	scratch_load_dwordx4 v[18:21], off, off offset:32 ; 16-byte Folded Reload
	;; [unrolled: 1-line block ×7, first 2 shown]
	s_waitcnt lgkmcnt(1)
	v_pk_fma_f32 v[254:255], v[68:69], v[6:7], v[0:1] op_sel_hi:[0,1,1] neg_lo:[1,0,0] neg_hi:[1,0,0]
	v_mov_b32_e32 v0, v58
	v_mov_b32_e32 v1, v59
	;; [unrolled: 1-line block ×8, first 2 shown]
	s_waitcnt vmcnt(7)
	v_mov_b32_e32 v10, v68
	v_mov_b32_e32 v11, v46
	;; [unrolled: 1-line block ×67, first 2 shown]
	s_waitcnt vmcnt(1) lgkmcnt(0)
	v_fma_f32 v25, -v68, v8, v35
	v_mov_b32_e32 v8, v66
	scratch_store_dwordx4 off, v[0:3], off offset:1288 ; 16-byte Folded Spill
	s_nop 0
	scratch_store_dwordx4 off, v[4:7], off offset:1304 ; 16-byte Folded Spill
	scratch_store_dwordx4 off, v[8:11], off offset:1320 ; 16-byte Folded Spill
	scratch_store_dwordx4 off, v[12:15], off offset:1336 ; 16-byte Folded Spill
	scratch_store_dwordx4 off, v[16:19], off offset:1352 ; 16-byte Folded Spill
	scratch_store_dwordx4 off, v[20:23], off offset:1368 ; 16-byte Folded Spill
	scratch_store_dwordx4 off, v[24:27], off offset:1384 ; 16-byte Folded Spill
	scratch_store_dwordx4 off, v[28:31], off offset:1400 ; 16-byte Folded Spill
	v_mov_b32_e32 v13, v48
	scratch_store_dwordx4 off, v[0:3], off offset:1160 ; 16-byte Folded Spill
	s_nop 0
	scratch_store_dwordx4 off, v[4:7], off offset:1176 ; 16-byte Folded Spill
	scratch_store_dwordx4 off, v[8:11], off offset:1192 ; 16-byte Folded Spill
	scratch_store_dwordx4 off, v[12:15], off offset:1208 ; 16-byte Folded Spill
	scratch_store_dwordx4 off, v[16:19], off offset:1224 ; 16-byte Folded Spill
	scratch_store_dwordx4 off, v[20:23], off offset:1240 ; 16-byte Folded Spill
	scratch_store_dwordx4 off, v[24:27], off offset:1256 ; 16-byte Folded Spill
	scratch_store_dwordx4 off, v[28:31], off offset:1272 ; 16-byte Folded Spill
	;; [unrolled: 10-line block ×4, first 2 shown]
	v_mov_b32_e32 v16, v51
	v_mov_b32_e32 v17, v52
	scratch_store_dwordx4 off, v[0:3], off offset:640 ; 16-byte Folded Spill
	s_nop 0
	scratch_store_dwordx4 off, v[4:7], off offset:656 ; 16-byte Folded Spill
	scratch_store_dwordx4 off, v[8:11], off offset:672 ; 16-byte Folded Spill
	scratch_store_dwordx4 off, v[12:15], off offset:688 ; 16-byte Folded Spill
	scratch_store_dwordx4 off, v[16:19], off offset:704 ; 16-byte Folded Spill
	scratch_store_dwordx4 off, v[20:23], off offset:720 ; 16-byte Folded Spill
	scratch_store_dwordx4 off, v[24:27], off offset:736 ; 16-byte Folded Spill
	scratch_store_dwordx4 off, v[28:31], off offset:752 ; 16-byte Folded Spill
	v_mov_b32_e32 v18, v53
	scratch_store_dwordx4 off, v[0:3], off offset:512 ; 16-byte Folded Spill
	s_nop 0
	scratch_store_dwordx4 off, v[4:7], off offset:528 ; 16-byte Folded Spill
	scratch_store_dwordx4 off, v[8:11], off offset:544 ; 16-byte Folded Spill
	scratch_store_dwordx4 off, v[12:15], off offset:560 ; 16-byte Folded Spill
	scratch_store_dwordx4 off, v[16:19], off offset:576 ; 16-byte Folded Spill
	scratch_store_dwordx4 off, v[20:23], off offset:592 ; 16-byte Folded Spill
	scratch_store_dwordx4 off, v[24:27], off offset:608 ; 16-byte Folded Spill
	scratch_store_dwordx4 off, v[28:31], off offset:624 ; 16-byte Folded Spill
	;; [unrolled: 10-line block ×3, first 2 shown]
	v_mov_b32_e32 v20, v55
	v_mov_b32_e32 v21, v56
	scratch_store_dwordx4 off, v[0:3], off offset:896 ; 16-byte Folded Spill
	s_nop 0
	scratch_store_dwordx4 off, v[4:7], off offset:912 ; 16-byte Folded Spill
	scratch_store_dwordx4 off, v[8:11], off offset:928 ; 16-byte Folded Spill
	;; [unrolled: 1-line block ×7, first 2 shown]
	v_mov_b32_e32 v22, v57
	scratch_store_dwordx4 off, v[0:3], off offset:128 ; 16-byte Folded Spill
	s_nop 0
	scratch_store_dwordx4 off, v[4:7], off offset:144 ; 16-byte Folded Spill
	scratch_store_dwordx4 off, v[8:11], off offset:160 ; 16-byte Folded Spill
	;; [unrolled: 1-line block ×7, first 2 shown]
	v_mov_b32_e32 v23, v254
	v_mov_b32_e32 v24, v255
	;; [unrolled: 1-line block ×4, first 2 shown]
	scratch_store_dwordx4 off, v[58:61], off offset:1544 ; 16-byte Folded Spill
	s_nop 0
	scratch_store_dwordx4 off, v[62:65], off offset:1560 ; 16-byte Folded Spill
	scratch_store_dwordx4 off, v[66:69], off offset:1576 ; 16-byte Folded Spill
	scratch_store_dwordx4 off, v[70:73], off offset:1592 ; 16-byte Folded Spill
	scratch_store_dwordx4 off, v[74:77], off offset:1608 ; 16-byte Folded Spill
	scratch_store_dwordx4 off, v[78:81], off offset:1624 ; 16-byte Folded Spill
	scratch_store_dwordx4 off, v[82:85], off offset:1640 ; 16-byte Folded Spill
	scratch_store_dwordx4 off, v[86:89], off offset:1656 ; 16-byte Folded Spill
	scratch_store_dwordx4 off, v[58:61], off offset:2312 ; 16-byte Folded Spill
	s_nop 0
	scratch_store_dwordx4 off, v[62:65], off offset:2328 ; 16-byte Folded Spill
	scratch_store_dwordx4 off, v[66:69], off offset:2344 ; 16-byte Folded Spill
	;; [unrolled: 1-line block ×7, first 2 shown]
	v_mov_b32_e32 v65, v46
	scratch_store_dwordx4 off, v[8:11], off offset:256 ; 16-byte Folded Spill
	s_nop 0
	scratch_store_dwordx4 off, v[12:15], off offset:272 ; 16-byte Folded Spill
	scratch_store_dwordx4 off, v[16:19], off offset:288 ; 16-byte Folded Spill
	;; [unrolled: 1-line block ×6, first 2 shown]
	s_waitcnt vmcnt(62)
	scratch_store_dwordx4 off, v[36:39], off offset:368 ; 16-byte Folded Spill
	v_mov_b32_e32 v88, v51
	v_mov_b32_e32 v89, v52
	;; [unrolled: 1-line block ×5, first 2 shown]
	scratch_store_dwordx4 off, v[20:23], off ; 16-byte Folded Spill
	s_nop 0
	scratch_store_dwordx4 off, v[24:27], off offset:16 ; 16-byte Folded Spill
	scratch_store_dwordx4 off, v[28:31], off offset:32 ; 16-byte Folded Spill
	scratch_store_dwordx4 off, v[32:35], off offset:48 ; 16-byte Folded Spill
	scratch_store_dwordx4 off, v[36:39], off offset:64 ; 16-byte Folded Spill
	scratch_store_dwordx4 off, v[40:43], off offset:80 ; 16-byte Folded Spill
	scratch_store_dwordx4 off, v[44:47], off offset:96 ; 16-byte Folded Spill
	scratch_store_dwordx4 off, v[48:51], off offset:112 ; 16-byte Folded Spill
.LBB50_185:
	s_or_b64 exec, exec, s[0:1]
	v_lshl_add_u32 v45, v253, 2, v252
	s_waitcnt vmcnt(63) expcnt(7) lgkmcnt(15)
	s_barrier
	ds_write_b32 v45, v65
	s_waitcnt lgkmcnt(0)
	s_barrier
	ds_read_b32 v45, v252 offset:44
	s_cmp_lt_i32 s22, 13
	v_mov_b32_e32 v46, 11
	s_cbranch_scc1 .LBB50_188
; %bb.186:
	scratch_load_dword v46, off, off offset:1024 ; 4-byte Folded Reload
	s_mov_b32 s0, 12
	s_waitcnt vmcnt(0)
	v_add3_u32 v47, v46, 0, 48
	v_mov_b32_e32 v46, 11
.LBB50_187:                             ; =>This Inner Loop Header: Depth=1
	ds_read_b32 v48, v47
	v_add_u32_e32 v47, 4, v47
	s_waitcnt lgkmcnt(0)
	v_cmp_lt_f32_e64 vcc, |v45|, |v48|
	s_nop 1
	v_cndmask_b32_e32 v45, v45, v48, vcc
	v_mov_b32_e32 v48, s0
	s_add_i32 s0, s0, 1
	v_cndmask_b32_e32 v46, v46, v48, vcc
	s_cmp_lg_u32 s22, s0
	s_cbranch_scc1 .LBB50_187
.LBB50_188:
	s_waitcnt lgkmcnt(0)
	v_cmp_eq_f32_e32 vcc, 0, v45
	s_and_saveexec_b64 s[0:1], vcc
	s_xor_b64 s[0:1], exec, s[0:1]
; %bb.189:
	v_cmp_ne_u32_e32 vcc, 0, v106
	s_nop 1
	v_cndmask_b32_e32 v106, 12, v106, vcc
; %bb.190:
	s_andn2_saveexec_b64 s[0:1], s[0:1]
	s_cbranch_execz .LBB50_192
; %bb.191:
	v_div_scale_f32 v47, s[2:3], v45, v45, 1.0
	v_rcp_f32_e32 v48, v47
	v_div_scale_f32 v49, vcc, 1.0, v45, 1.0
	v_fma_f32 v50, -v47, v48, 1.0
	v_fmac_f32_e32 v48, v50, v48
	v_mul_f32_e32 v50, v49, v48
	v_fma_f32 v51, -v47, v50, v49
	v_fmac_f32_e32 v50, v51, v48
	v_fma_f32 v47, -v47, v50, v49
	v_div_fmas_f32 v47, v47, v48, v50
	v_div_fixup_f32 v45, v47, v45, 1.0
.LBB50_192:
	s_or_b64 exec, exec, s[0:1]
	v_cmp_ne_u32_e32 vcc, v253, v46
	s_and_saveexec_b64 s[0:1], vcc
	s_xor_b64 s[0:1], exec, s[0:1]
	s_cbranch_execz .LBB50_198
; %bb.193:
	v_cmp_eq_u32_e32 vcc, 11, v253
	s_and_saveexec_b64 s[2:3], vcc
	s_cbranch_execz .LBB50_197
; %bb.194:
	v_cmp_ne_u32_e32 vcc, 11, v46
	s_xor_b64 s[18:19], s[16:17], -1
	s_and_b64 s[20:21], s[18:19], vcc
	s_and_saveexec_b64 s[18:19], s[20:21]
	s_cbranch_execz .LBB50_196
; %bb.195:
	scratch_load_dwordx2 v[52:53], off, off offset:2952 ; 8-byte Folded Reload
	v_ashrrev_i32_e32 v47, 31, v46
	s_waitcnt vmcnt(0)
	v_lshl_add_u64 v[48:49], v[46:47], 2, v[52:53]
	global_load_dword v47, v[48:49], off
	global_load_dword v50, v[52:53], off offset:44
	s_waitcnt vmcnt(1)
	global_store_dword v[52:53], v47, off offset:44
	s_waitcnt vmcnt(1)
	global_store_dword v[48:49], v50, off
.LBB50_196:
	s_or_b64 exec, exec, s[18:19]
	v_mov_b32_e32 v47, v46
	v_mov_b32_e32 v253, v46
	scratch_store_dword off, v47, off offset:1156 ; 4-byte Folded Spill
.LBB50_197:
	s_or_b64 exec, exec, s[2:3]
.LBB50_198:
	s_andn2_saveexec_b64 s[0:1], s[0:1]
	s_cbranch_execz .LBB50_200
; %bb.199:
	v_mov_b32_e32 v253, 11
	ds_write2_b32 v252, v12, v13 offset0:12 offset1:13
	ds_write2_b32 v252, v14, v15 offset0:14 offset1:15
	;; [unrolled: 1-line block ×7, first 2 shown]
.LBB50_200:
	s_or_b64 exec, exec, s[0:1]
	v_cmp_lt_i32_e32 vcc, 11, v253
	s_waitcnt lgkmcnt(0)
	s_barrier
	s_and_saveexec_b64 s[0:1], vcc
	s_cbranch_execz .LBB50_202
; %bb.201:
	v_mul_f32_e32 v0, v65, v45
	ds_read2_b32 v[4:5], v252 offset0:12 offset1:13
	ds_read2_b32 v[6:7], v252 offset0:14 offset1:15
	;; [unrolled: 1-line block ×5, first 2 shown]
	s_waitcnt lgkmcnt(4)
	v_pk_fma_f32 v[138:139], v[0:1], v[4:5], v[12:13] op_sel_hi:[0,1,1] neg_lo:[1,0,0] neg_hi:[1,0,0]
	ds_read2_b32 v[4:5], v252 offset0:22 offset1:23
	scratch_load_dwordx4 v[140:143], off, off offset:2312 ; 16-byte Folded Reload
	scratch_load_dwordx4 v[144:147], off, off offset:2328 ; 16-byte Folded Reload
	;; [unrolled: 1-line block ×8, first 2 shown]
	v_mov_b32_e32 v37, v0
	v_mov_b32_e32 v38, v138
	v_mov_b32_e32 v39, v139
	s_waitcnt lgkmcnt(4)
	v_pk_fma_f32 v[94:95], v[0:1], v[6:7], v[14:15] op_sel_hi:[0,1,1] neg_lo:[1,0,0] neg_hi:[1,0,0]
	s_waitcnt lgkmcnt(3)
	v_pk_fma_f32 v[124:125], v[0:1], v[8:9], v[16:17] op_sel_hi:[0,1,1] neg_lo:[1,0,0] neg_hi:[1,0,0]
	;; [unrolled: 2-line block ×3, first 2 shown]
	v_mov_b32_e32 v58, v138
	v_mov_b32_e32 v59, v139
	;; [unrolled: 1-line block ×8, first 2 shown]
	s_waitcnt vmcnt(5)
	v_mov_b32_e32 v151, v0
	s_waitcnt vmcnt(1)
	v_mov_b32_e32 v165, v0
	v_mov_b32_e32 v166, v138
	;; [unrolled: 1-line block ×3, first 2 shown]
	s_waitcnt vmcnt(0)
	v_mov_b32_e32 v168, v94
	v_mov_b32_e32 v169, v95
	;; [unrolled: 1-line block ×4, first 2 shown]
	v_pk_fma_f32 v[24:25], v[0:1], v[10:11], v[24:25] op_sel_hi:[0,1,1] neg_lo:[1,0,0] neg_hi:[1,0,0]
	v_mov_b32_e32 v137, v0
	v_mov_b32_e32 v91, v0
	;; [unrolled: 1-line block ×49, first 2 shown]
	scratch_store_dwordx4 off, v[26:29], off offset:1160 ; 16-byte Folded Spill
	s_nop 0
	scratch_store_dwordx4 off, v[30:33], off offset:1176 ; 16-byte Folded Spill
	scratch_store_dwordx4 off, v[34:37], off offset:1192 ; 16-byte Folded Spill
	;; [unrolled: 1-line block ×7, first 2 shown]
	v_mov_b32_e32 v40, v94
	v_mov_b32_e32 v41, v95
	;; [unrolled: 1-line block ×61, first 2 shown]
	scratch_store_dwordx4 off, v[26:29], off offset:768 ; 16-byte Folded Spill
	s_nop 0
	scratch_store_dwordx4 off, v[30:33], off offset:784 ; 16-byte Folded Spill
	scratch_store_dwordx4 off, v[34:37], off offset:800 ; 16-byte Folded Spill
	;; [unrolled: 1-line block ×7, first 2 shown]
	v_mov_b32_e32 v42, v124
	v_mov_b32_e32 v43, v125
	;; [unrolled: 1-line block ×14, first 2 shown]
	scratch_store_dwordx4 off, v[26:29], off offset:640 ; 16-byte Folded Spill
	s_nop 0
	scratch_store_dwordx4 off, v[30:33], off offset:656 ; 16-byte Folded Spill
	scratch_store_dwordx4 off, v[34:37], off offset:672 ; 16-byte Folded Spill
	;; [unrolled: 1-line block ×7, first 2 shown]
	v_mov_b32_e32 v46, v140
	v_mov_b32_e32 v47, v141
	;; [unrolled: 1-line block ×12, first 2 shown]
	scratch_store_dwordx4 off, v[46:49], off offset:384 ; 16-byte Folded Spill
	s_nop 0
	scratch_store_dwordx4 off, v[50:53], off offset:400 ; 16-byte Folded Spill
	scratch_store_dwordx4 off, v[54:57], off offset:416 ; 16-byte Folded Spill
	;; [unrolled: 1-line block ×7, first 2 shown]
	ds_read2_b32 v[2:3], v252 offset0:20 offset1:21
	v_mov_b32_e32 v26, v94
	v_mov_b32_e32 v45, v25
	s_waitcnt lgkmcnt(0)
	v_pk_fma_f32 v[174:175], v[0:1], v[2:3], v[20:21] op_sel_hi:[0,1,1] neg_lo:[1,0,0] neg_hi:[1,0,0]
	v_mov_b32_e32 v66, v174
	v_mov_b32_e32 v67, v175
	;; [unrolled: 1-line block ×8, first 2 shown]
	scratch_store_dwordx4 off, v[46:49], off offset:896 ; 16-byte Folded Spill
	s_nop 0
	scratch_store_dwordx4 off, v[50:53], off offset:912 ; 16-byte Folded Spill
	scratch_store_dwordx4 off, v[54:57], off offset:928 ; 16-byte Folded Spill
	;; [unrolled: 1-line block ×7, first 2 shown]
	v_pk_fma_f32 v[68:69], v[0:1], v[4:5], v[22:23] op_sel_hi:[0,1,1] neg_lo:[1,0,0] neg_hi:[1,0,0]
	v_mov_b32_e32 v0, v140
	v_mov_b32_e32 v1, v141
	;; [unrolled: 1-line block ×4, first 2 shown]
	scratch_store_dwordx4 off, v[140:143], off offset:1544 ; 16-byte Folded Spill
	s_nop 0
	scratch_store_dwordx4 off, v[144:147], off offset:1560 ; 16-byte Folded Spill
	scratch_store_dwordx4 off, v[148:151], off offset:1576 ; 16-byte Folded Spill
	;; [unrolled: 1-line block ×7, first 2 shown]
	v_mov_b32_e32 v240, v68
	v_mov_b32_e32 v241, v69
	;; [unrolled: 1-line block ×4, first 2 shown]
	scratch_store_dwordx4 off, v[126:129], off offset:1288 ; 16-byte Folded Spill
	s_nop 0
	scratch_store_dwordx4 off, v[130:133], off offset:1304 ; 16-byte Folded Spill
	scratch_store_dwordx4 off, v[134:137], off offset:1320 ; 16-byte Folded Spill
	;; [unrolled: 1-line block ×8, first 2 shown]
	s_nop 0
	scratch_store_dwordx4 off, v[84:87], off offset:1044 ; 16-byte Folded Spill
	scratch_store_dwordx4 off, v[88:91], off offset:1060 ; 16-byte Folded Spill
	;; [unrolled: 1-line block ×7, first 2 shown]
	v_mov_b32_e32 v152, v208
	scratch_store_dwordx4 off, v[190:193], off offset:512 ; 16-byte Folded Spill
	s_nop 0
	scratch_store_dwordx4 off, v[194:197], off offset:528 ; 16-byte Folded Spill
	scratch_store_dwordx4 off, v[198:201], off offset:544 ; 16-byte Folded Spill
	;; [unrolled: 1-line block ×8, first 2 shown]
	s_nop 0
	scratch_store_dwordx4 off, v[194:197], off offset:272 ; 16-byte Folded Spill
	scratch_store_dwordx4 off, v[198:201], off offset:288 ; 16-byte Folded Spill
	;; [unrolled: 1-line block ×7, first 2 shown]
	v_mov_b32_e32 v86, v68
	scratch_store_dwordx4 off, v[46:49], off offset:128 ; 16-byte Folded Spill
	s_nop 0
	scratch_store_dwordx4 off, v[50:53], off offset:144 ; 16-byte Folded Spill
	scratch_store_dwordx4 off, v[54:57], off offset:160 ; 16-byte Folded Spill
	;; [unrolled: 1-line block ×7, first 2 shown]
	v_mov_b32_e32 v88, v124
	v_mov_b32_e32 v89, v125
	;; [unrolled: 1-line block ×4, first 2 shown]
	scratch_store_dwordx4 off, v[20:23], off ; 16-byte Folded Spill
	s_nop 0
	scratch_store_dwordx4 off, v[24:27], off offset:16 ; 16-byte Folded Spill
	scratch_store_dwordx4 off, v[28:31], off offset:32 ; 16-byte Folded Spill
	;; [unrolled: 1-line block ×7, first 2 shown]
	v_mov_b32_e32 v91, v95
	v_mov_b32_e32 v87, v69
.LBB50_202:
	s_or_b64 exec, exec, s[0:1]
	v_lshl_add_u32 v45, v253, 2, v252
	s_waitcnt vmcnt(63) expcnt(7) lgkmcnt(15)
	s_barrier
	ds_write_b32 v45, v96
	s_waitcnt lgkmcnt(0)
	s_barrier
	ds_read_b32 v45, v252 offset:48
	s_cmp_lt_i32 s22, 14
	v_mov_b32_e32 v46, 12
	s_cbranch_scc1 .LBB50_205
; %bb.203:
	scratch_load_dword v46, off, off offset:1024 ; 4-byte Folded Reload
	s_mov_b32 s0, 13
	s_waitcnt vmcnt(0)
	v_add3_u32 v47, v46, 0, 52
	v_mov_b32_e32 v46, 12
.LBB50_204:                             ; =>This Inner Loop Header: Depth=1
	ds_read_b32 v48, v47
	v_add_u32_e32 v47, 4, v47
	s_waitcnt lgkmcnt(0)
	v_cmp_lt_f32_e64 vcc, |v45|, |v48|
	s_nop 1
	v_cndmask_b32_e32 v45, v45, v48, vcc
	v_mov_b32_e32 v48, s0
	s_add_i32 s0, s0, 1
	v_cndmask_b32_e32 v46, v46, v48, vcc
	s_cmp_lg_u32 s22, s0
	s_cbranch_scc1 .LBB50_204
.LBB50_205:
	s_waitcnt lgkmcnt(0)
	v_cmp_eq_f32_e32 vcc, 0, v45
	s_and_saveexec_b64 s[0:1], vcc
	s_xor_b64 s[0:1], exec, s[0:1]
; %bb.206:
	v_cmp_ne_u32_e32 vcc, 0, v106
	s_nop 1
	v_cndmask_b32_e32 v106, 13, v106, vcc
; %bb.207:
	s_andn2_saveexec_b64 s[0:1], s[0:1]
	s_cbranch_execz .LBB50_209
; %bb.208:
	v_div_scale_f32 v47, s[2:3], v45, v45, 1.0
	v_rcp_f32_e32 v48, v47
	v_div_scale_f32 v49, vcc, 1.0, v45, 1.0
	v_fma_f32 v50, -v47, v48, 1.0
	v_fmac_f32_e32 v48, v50, v48
	v_mul_f32_e32 v50, v49, v48
	v_fma_f32 v51, -v47, v50, v49
	v_fmac_f32_e32 v50, v51, v48
	v_fma_f32 v47, -v47, v50, v49
	v_div_fmas_f32 v47, v47, v48, v50
	v_div_fixup_f32 v45, v47, v45, 1.0
.LBB50_209:
	s_or_b64 exec, exec, s[0:1]
	v_cmp_ne_u32_e32 vcc, v253, v46
	s_and_saveexec_b64 s[0:1], vcc
	s_xor_b64 s[0:1], exec, s[0:1]
	s_cbranch_execz .LBB50_215
; %bb.210:
	v_cmp_eq_u32_e32 vcc, 12, v253
	s_and_saveexec_b64 s[2:3], vcc
	s_cbranch_execz .LBB50_214
; %bb.211:
	v_cmp_ne_u32_e32 vcc, 12, v46
	s_xor_b64 s[18:19], s[16:17], -1
	s_and_b64 s[20:21], s[18:19], vcc
	s_and_saveexec_b64 s[18:19], s[20:21]
	s_cbranch_execz .LBB50_213
; %bb.212:
	scratch_load_dwordx2 v[52:53], off, off offset:2952 ; 8-byte Folded Reload
	v_ashrrev_i32_e32 v47, 31, v46
	s_waitcnt vmcnt(0)
	v_lshl_add_u64 v[48:49], v[46:47], 2, v[52:53]
	global_load_dword v47, v[48:49], off
	global_load_dword v50, v[52:53], off offset:48
	s_waitcnt vmcnt(1)
	global_store_dword v[52:53], v47, off offset:48
	s_waitcnt vmcnt(1)
	global_store_dword v[48:49], v50, off
.LBB50_213:
	s_or_b64 exec, exec, s[18:19]
	v_mov_b32_e32 v47, v46
	v_mov_b32_e32 v253, v46
	scratch_store_dword off, v47, off offset:1156 ; 4-byte Folded Spill
.LBB50_214:
	s_or_b64 exec, exec, s[2:3]
.LBB50_215:
	s_andn2_saveexec_b64 s[0:1], s[0:1]
	s_cbranch_execz .LBB50_217
; %bb.216:
	ds_write2_b32 v252, v13, v14 offset0:13 offset1:14
	ds_write2_b32 v252, v15, v16 offset0:15 offset1:16
	;; [unrolled: 1-line block ×6, first 2 shown]
	scratch_load_dwordx4 v[46:49], off, off ; 16-byte Folded Reload
	scratch_load_dwordx4 v[50:53], off, off offset:16 ; 16-byte Folded Reload
	scratch_load_dwordx4 v[54:57], off, off offset:32 ; 16-byte Folded Reload
	;; [unrolled: 1-line block ×7, first 2 shown]
	v_mov_b32_e32 v253, 12
	s_waitcnt vmcnt(1)
	ds_write_b32 v252, v71 offset:100
.LBB50_217:
	s_or_b64 exec, exec, s[0:1]
	v_cmp_lt_i32_e32 vcc, 12, v253
	s_waitcnt lgkmcnt(0)
	s_barrier
	s_and_saveexec_b64 s[0:1], vcc
	s_cbranch_execz .LBB50_219
; %bb.218:
	scratch_load_dwordx4 v[46:49], off, off offset:1544 ; 16-byte Folded Reload
	scratch_load_dwordx4 v[50:53], off, off offset:1560 ; 16-byte Folded Reload
	;; [unrolled: 1-line block ×8, first 2 shown]
	ds_read2_b32 v[0:1], v252 offset0:13 offset1:14
	ds_read2_b32 v[4:5], v252 offset0:15 offset1:16
	;; [unrolled: 1-line block ×4, first 2 shown]
	v_mul_f32_e32 v92, v96, v45
	v_mov_b32_e32 v2, v13
	v_mov_b32_e32 v3, v14
	;; [unrolled: 1-line block ×5, first 2 shown]
	s_waitcnt vmcnt(5)
	v_mov_b64_e32 v[90:91], v[56:57]
	v_mov_b64_e32 v[88:89], v[54:55]
	;; [unrolled: 1-line block ×6, first 2 shown]
	s_waitcnt lgkmcnt(3)
	v_pk_fma_f32 v[46:47], v[92:93], v[0:1], v[2:3] op_sel_hi:[0,1,1] neg_lo:[1,0,0] neg_hi:[1,0,0]
	v_mov_b32_e32 v0, v15
	v_mov_b32_e32 v1, v16
	s_waitcnt lgkmcnt(2)
	v_pk_fma_f32 v[48:49], v[92:93], v[4:5], v[0:1] op_sel_hi:[0,1,1] neg_lo:[1,0,0] neg_hi:[1,0,0]
	v_mov_b32_e32 v0, v17
	v_mov_b32_e32 v1, v18
	;; [unrolled: 4-line block ×3, first 2 shown]
	s_waitcnt lgkmcnt(0)
	v_pk_fma_f32 v[52:53], v[92:93], v[8:9], v[0:1] op_sel_hi:[0,1,1] neg_lo:[1,0,0] neg_hi:[1,0,0]
	ds_read2_b32 v[0:1], v252 offset0:21 offset1:22
	v_mov_b32_e32 v2, v21
	v_mov_b32_e32 v3, v22
	ds_read2_b32 v[4:5], v252 offset0:23 offset1:24
	ds_read_b32 v6, v252 offset:100
	v_mov_b32_e32 v7, v87
	s_waitcnt lgkmcnt(2)
	v_pk_fma_f32 v[54:55], v[92:93], v[0:1], v[2:3] op_sel_hi:[0,1,1] neg_lo:[1,0,0] neg_hi:[1,0,0]
	v_mov_b32_e32 v0, v23
	v_mov_b32_e32 v1, v24
	scratch_load_dwordx4 v[8:11], off, off  ; 16-byte Folded Reload
	scratch_load_dwordx4 v[12:15], off, off offset:16 ; 16-byte Folded Reload
	scratch_load_dwordx4 v[16:19], off, off offset:32 ; 16-byte Folded Reload
	;; [unrolled: 1-line block ×7, first 2 shown]
	s_waitcnt lgkmcnt(1)
	v_pk_fma_f32 v[254:255], v[92:93], v[4:5], v[0:1] op_sel_hi:[0,1,1] neg_lo:[1,0,0] neg_hi:[1,0,0]
	v_mov_b32_e32 v0, v80
	v_mov_b32_e32 v1, v81
	;; [unrolled: 1-line block ×6, first 2 shown]
	s_waitcnt vmcnt(7)
	v_mov_b32_e32 v8, v88
	v_mov_b32_e32 v9, v89
	;; [unrolled: 1-line block ×4, first 2 shown]
	s_waitcnt vmcnt(6)
	v_mov_b32_e32 v12, v92
	v_mov_b32_e32 v13, v46
	;; [unrolled: 1-line block ×67, first 2 shown]
	s_waitcnt vmcnt(1) lgkmcnt(0)
	v_fma_f32 v25, -v92, v6, v33
	v_mov_b32_e32 v6, v86
	scratch_store_dwordx4 off, v[0:3], off offset:1028 ; 16-byte Folded Spill
	s_nop 0
	scratch_store_dwordx4 off, v[4:7], off offset:1044 ; 16-byte Folded Spill
	scratch_store_dwordx4 off, v[8:11], off offset:1060 ; 16-byte Folded Spill
	;; [unrolled: 1-line block ×7, first 2 shown]
	v_mov_b32_e32 v15, v48
	scratch_store_dwordx4 off, v[0:3], off offset:768 ; 16-byte Folded Spill
	s_nop 0
	scratch_store_dwordx4 off, v[4:7], off offset:784 ; 16-byte Folded Spill
	scratch_store_dwordx4 off, v[8:11], off offset:800 ; 16-byte Folded Spill
	;; [unrolled: 1-line block ×7, first 2 shown]
	v_mov_b32_e32 v16, v49
	v_mov_b32_e32 v17, v50
	scratch_store_dwordx4 off, v[0:3], off offset:640 ; 16-byte Folded Spill
	s_nop 0
	scratch_store_dwordx4 off, v[4:7], off offset:656 ; 16-byte Folded Spill
	scratch_store_dwordx4 off, v[8:11], off offset:672 ; 16-byte Folded Spill
	scratch_store_dwordx4 off, v[12:15], off offset:688 ; 16-byte Folded Spill
	scratch_store_dwordx4 off, v[16:19], off offset:704 ; 16-byte Folded Spill
	scratch_store_dwordx4 off, v[20:23], off offset:720 ; 16-byte Folded Spill
	scratch_store_dwordx4 off, v[24:27], off offset:736 ; 16-byte Folded Spill
	scratch_store_dwordx4 off, v[28:31], off offset:752 ; 16-byte Folded Spill
	v_mov_b32_e32 v18, v51
	scratch_store_dwordx4 off, v[0:3], off offset:512 ; 16-byte Folded Spill
	s_nop 0
	scratch_store_dwordx4 off, v[4:7], off offset:528 ; 16-byte Folded Spill
	scratch_store_dwordx4 off, v[8:11], off offset:544 ; 16-byte Folded Spill
	scratch_store_dwordx4 off, v[12:15], off offset:560 ; 16-byte Folded Spill
	scratch_store_dwordx4 off, v[16:19], off offset:576 ; 16-byte Folded Spill
	scratch_store_dwordx4 off, v[20:23], off offset:592 ; 16-byte Folded Spill
	scratch_store_dwordx4 off, v[24:27], off offset:608 ; 16-byte Folded Spill
	scratch_store_dwordx4 off, v[28:31], off offset:624 ; 16-byte Folded Spill
	;; [unrolled: 10-line block ×3, first 2 shown]
	v_mov_b32_e32 v20, v53
	v_mov_b32_e32 v21, v54
	scratch_store_dwordx4 off, v[0:3], off offset:896 ; 16-byte Folded Spill
	s_nop 0
	scratch_store_dwordx4 off, v[4:7], off offset:912 ; 16-byte Folded Spill
	scratch_store_dwordx4 off, v[8:11], off offset:928 ; 16-byte Folded Spill
	;; [unrolled: 1-line block ×7, first 2 shown]
	v_mov_b32_e32 v22, v55
	scratch_store_dwordx4 off, v[0:3], off offset:128 ; 16-byte Folded Spill
	s_nop 0
	scratch_store_dwordx4 off, v[4:7], off offset:144 ; 16-byte Folded Spill
	scratch_store_dwordx4 off, v[8:11], off offset:160 ; 16-byte Folded Spill
	;; [unrolled: 1-line block ×7, first 2 shown]
	v_mov_b32_e32 v23, v254
	v_mov_b32_e32 v24, v255
	;; [unrolled: 1-line block ×4, first 2 shown]
	scratch_store_dwordx4 off, v[80:83], off offset:1160 ; 16-byte Folded Spill
	s_nop 0
	scratch_store_dwordx4 off, v[84:87], off offset:1176 ; 16-byte Folded Spill
	scratch_store_dwordx4 off, v[88:91], off offset:1192 ; 16-byte Folded Spill
	;; [unrolled: 1-line block ×8, first 2 shown]
	s_nop 0
	scratch_store_dwordx4 off, v[84:87], off offset:1304 ; 16-byte Folded Spill
	scratch_store_dwordx4 off, v[88:91], off offset:1320 ; 16-byte Folded Spill
	;; [unrolled: 1-line block ×7, first 2 shown]
	v_mov_b32_e32 v91, v48
	v_mov_b32_e32 v88, v49
	;; [unrolled: 1-line block ×5, first 2 shown]
	scratch_store_dwordx4 off, v[8:11], off offset:256 ; 16-byte Folded Spill
	s_nop 0
	scratch_store_dwordx4 off, v[12:15], off offset:272 ; 16-byte Folded Spill
	scratch_store_dwordx4 off, v[16:19], off offset:288 ; 16-byte Folded Spill
	;; [unrolled: 1-line block ×6, first 2 shown]
	s_waitcnt vmcnt(62)
	scratch_store_dwordx4 off, v[36:39], off offset:368 ; 16-byte Folded Spill
	v_mov_b32_e32 v45, v25
	scratch_store_dwordx4 off, v[20:23], off ; 16-byte Folded Spill
	s_nop 0
	scratch_store_dwordx4 off, v[24:27], off offset:16 ; 16-byte Folded Spill
	scratch_store_dwordx4 off, v[28:31], off offset:32 ; 16-byte Folded Spill
	;; [unrolled: 1-line block ×7, first 2 shown]
.LBB50_219:
	s_or_b64 exec, exec, s[0:1]
	v_lshl_add_u32 v45, v253, 2, v252
	s_waitcnt vmcnt(63) expcnt(7) lgkmcnt(15)
	s_barrier
	ds_write_b32 v45, v139
	s_waitcnt lgkmcnt(0)
	s_barrier
	ds_read_b32 v45, v252 offset:52
	s_cmp_lt_i32 s22, 15
	v_mov_b32_e32 v46, 13
	s_cbranch_scc1 .LBB50_222
; %bb.220:
	scratch_load_dword v46, off, off offset:1024 ; 4-byte Folded Reload
	s_mov_b32 s0, 14
	s_waitcnt vmcnt(0)
	v_add3_u32 v47, v46, 0, 56
	v_mov_b32_e32 v46, 13
.LBB50_221:                             ; =>This Inner Loop Header: Depth=1
	ds_read_b32 v48, v47
	v_add_u32_e32 v47, 4, v47
	s_waitcnt lgkmcnt(0)
	v_cmp_lt_f32_e64 vcc, |v45|, |v48|
	s_nop 1
	v_cndmask_b32_e32 v45, v45, v48, vcc
	v_mov_b32_e32 v48, s0
	s_add_i32 s0, s0, 1
	v_cndmask_b32_e32 v46, v46, v48, vcc
	s_cmp_lg_u32 s22, s0
	s_cbranch_scc1 .LBB50_221
.LBB50_222:
	s_waitcnt lgkmcnt(0)
	v_cmp_eq_f32_e32 vcc, 0, v45
	s_and_saveexec_b64 s[0:1], vcc
	s_xor_b64 s[0:1], exec, s[0:1]
; %bb.223:
	v_cmp_ne_u32_e32 vcc, 0, v106
	s_nop 1
	v_cndmask_b32_e32 v106, 14, v106, vcc
; %bb.224:
	s_andn2_saveexec_b64 s[0:1], s[0:1]
	s_cbranch_execz .LBB50_226
; %bb.225:
	v_div_scale_f32 v47, s[2:3], v45, v45, 1.0
	v_rcp_f32_e32 v48, v47
	v_div_scale_f32 v49, vcc, 1.0, v45, 1.0
	v_fma_f32 v50, -v47, v48, 1.0
	v_fmac_f32_e32 v48, v50, v48
	v_mul_f32_e32 v50, v49, v48
	v_fma_f32 v51, -v47, v50, v49
	v_fmac_f32_e32 v50, v51, v48
	v_fma_f32 v47, -v47, v50, v49
	v_div_fmas_f32 v47, v47, v48, v50
	v_div_fixup_f32 v45, v47, v45, 1.0
.LBB50_226:
	s_or_b64 exec, exec, s[0:1]
	v_cmp_ne_u32_e32 vcc, v253, v46
	s_and_saveexec_b64 s[0:1], vcc
	s_xor_b64 s[0:1], exec, s[0:1]
	s_cbranch_execz .LBB50_232
; %bb.227:
	v_cmp_eq_u32_e32 vcc, 13, v253
	s_and_saveexec_b64 s[2:3], vcc
	s_cbranch_execz .LBB50_231
; %bb.228:
	v_cmp_ne_u32_e32 vcc, 13, v46
	s_xor_b64 s[18:19], s[16:17], -1
	s_and_b64 s[20:21], s[18:19], vcc
	s_and_saveexec_b64 s[18:19], s[20:21]
	s_cbranch_execz .LBB50_230
; %bb.229:
	scratch_load_dwordx2 v[52:53], off, off offset:2952 ; 8-byte Folded Reload
	v_ashrrev_i32_e32 v47, 31, v46
	s_waitcnt vmcnt(0)
	v_lshl_add_u64 v[48:49], v[46:47], 2, v[52:53]
	global_load_dword v47, v[48:49], off
	global_load_dword v50, v[52:53], off offset:52
	s_waitcnt vmcnt(1)
	global_store_dword v[52:53], v47, off offset:52
	s_waitcnt vmcnt(1)
	global_store_dword v[48:49], v50, off
.LBB50_230:
	s_or_b64 exec, exec, s[18:19]
	v_mov_b32_e32 v47, v46
	v_mov_b32_e32 v253, v46
	scratch_store_dword off, v47, off offset:1156 ; 4-byte Folded Spill
.LBB50_231:
	s_or_b64 exec, exec, s[2:3]
.LBB50_232:
	s_andn2_saveexec_b64 s[0:1], s[0:1]
	s_cbranch_execz .LBB50_234
; %bb.233:
	v_mov_b32_e32 v253, 13
	ds_write2_b32 v252, v14, v15 offset0:14 offset1:15
	ds_write2_b32 v252, v16, v17 offset0:16 offset1:17
	;; [unrolled: 1-line block ×6, first 2 shown]
.LBB50_234:
	s_or_b64 exec, exec, s[0:1]
	v_cmp_lt_i32_e32 vcc, 13, v253
	s_waitcnt lgkmcnt(0)
	s_barrier
	s_and_saveexec_b64 s[0:1], vcc
	s_cbranch_execz .LBB50_236
; %bb.235:
	v_mul_f32_e32 v0, v139, v45
	ds_read2_b32 v[4:5], v252 offset0:14 offset1:15
	ds_read2_b32 v[6:7], v252 offset0:16 offset1:17
	;; [unrolled: 1-line block ×5, first 2 shown]
	s_waitcnt lgkmcnt(4)
	v_pk_fma_f32 v[94:95], v[0:1], v[4:5], v[14:15] op_sel_hi:[0,1,1] neg_lo:[1,0,0] neg_hi:[1,0,0]
	ds_read2_b32 v[4:5], v252 offset0:22 offset1:23
	scratch_load_dwordx4 v[126:129], off, off offset:1288 ; 16-byte Folded Reload
	scratch_load_dwordx4 v[130:133], off, off offset:1304 ; 16-byte Folded Reload
	;; [unrolled: 1-line block ×8, first 2 shown]
	v_mov_b32_e32 v39, v0
	v_mov_b32_e32 v40, v94
	;; [unrolled: 1-line block ×3, first 2 shown]
	s_waitcnt lgkmcnt(4)
	v_pk_fma_f32 v[124:125], v[0:1], v[6:7], v[16:17] op_sel_hi:[0,1,1] neg_lo:[1,0,0] neg_hi:[1,0,0]
	s_waitcnt lgkmcnt(3)
	v_pk_fma_f32 v[208:209], v[0:1], v[8:9], v[18:19] op_sel_hi:[0,1,1] neg_lo:[1,0,0] neg_hi:[1,0,0]
	v_mov_b32_e32 v59, v0
	v_mov_b32_e32 v60, v94
	;; [unrolled: 1-line block ×7, first 2 shown]
	s_waitcnt lgkmcnt(1)
	v_pk_fma_f32 v[174:175], v[0:1], v[2:3], v[20:21] op_sel_hi:[0,1,1] neg_lo:[1,0,0] neg_hi:[1,0,0]
	s_waitcnt vmcnt(4)
	v_mov_b32_e32 v139, v0
	v_mov_b32_e32 v93, v0
	v_pk_fma_f32 v[24:25], v[0:1], v[10:11], v[24:25] op_sel_hi:[0,1,1] neg_lo:[1,0,0] neg_hi:[1,0,0]
	v_mov_b32_e32 v121, v0
	v_mov_b32_e32 v122, v94
	;; [unrolled: 1-line block ×47, first 2 shown]
	scratch_store_dwordx4 off, v[26:29], off offset:768 ; 16-byte Folded Spill
	s_nop 0
	scratch_store_dwordx4 off, v[30:33], off offset:784 ; 16-byte Folded Spill
	scratch_store_dwordx4 off, v[34:37], off offset:800 ; 16-byte Folded Spill
	;; [unrolled: 1-line block ×7, first 2 shown]
	v_mov_b32_e32 v42, v124
	v_mov_b32_e32 v43, v125
	;; [unrolled: 1-line block ×20, first 2 shown]
	s_waitcnt vmcnt(8)
	v_mov_b32_e32 v154, v126
	v_mov_b32_e32 v155, v127
	;; [unrolled: 1-line block ×40, first 2 shown]
	scratch_store_dwordx4 off, v[26:29], off offset:640 ; 16-byte Folded Spill
	s_nop 0
	scratch_store_dwordx4 off, v[30:33], off offset:656 ; 16-byte Folded Spill
	scratch_store_dwordx4 off, v[34:37], off offset:672 ; 16-byte Folded Spill
	;; [unrolled: 1-line block ×7, first 2 shown]
	v_mov_b32_e32 v46, v126
	v_mov_b32_e32 v47, v127
	;; [unrolled: 1-line block ×12, first 2 shown]
	scratch_store_dwordx4 off, v[46:49], off offset:384 ; 16-byte Folded Spill
	s_nop 0
	scratch_store_dwordx4 off, v[50:53], off offset:400 ; 16-byte Folded Spill
	scratch_store_dwordx4 off, v[54:57], off offset:416 ; 16-byte Folded Spill
	;; [unrolled: 1-line block ×7, first 2 shown]
	v_mov_b32_e32 v66, v174
	v_mov_b32_e32 v67, v175
	;; [unrolled: 1-line block ×21, first 2 shown]
	scratch_store_dwordx4 off, v[46:49], off offset:896 ; 16-byte Folded Spill
	s_nop 0
	scratch_store_dwordx4 off, v[50:53], off offset:912 ; 16-byte Folded Spill
	scratch_store_dwordx4 off, v[54:57], off offset:928 ; 16-byte Folded Spill
	;; [unrolled: 1-line block ×7, first 2 shown]
	s_waitcnt lgkmcnt(0)
	v_pk_fma_f32 v[68:69], v[0:1], v[4:5], v[22:23] op_sel_hi:[0,1,1] neg_lo:[1,0,0] neg_hi:[1,0,0]
	v_mov_b32_e32 v0, v126
	v_mov_b32_e32 v1, v127
	;; [unrolled: 1-line block ×4, first 2 shown]
	scratch_store_dwordx4 off, v[126:129], off offset:1160 ; 16-byte Folded Spill
	s_nop 0
	scratch_store_dwordx4 off, v[130:133], off offset:1176 ; 16-byte Folded Spill
	scratch_store_dwordx4 off, v[134:137], off offset:1192 ; 16-byte Folded Spill
	;; [unrolled: 1-line block ×8, first 2 shown]
	s_nop 0
	scratch_store_dwordx4 off, v[84:87], off offset:1044 ; 16-byte Folded Spill
	scratch_store_dwordx4 off, v[88:91], off offset:1060 ; 16-byte Folded Spill
	;; [unrolled: 1-line block ×7, first 2 shown]
	v_mov_b32_e32 v240, v68
	v_mov_b32_e32 v241, v69
	;; [unrolled: 1-line block ×5, first 2 shown]
	scratch_store_dwordx4 off, v[190:193], off offset:512 ; 16-byte Folded Spill
	s_nop 0
	scratch_store_dwordx4 off, v[194:197], off offset:528 ; 16-byte Folded Spill
	scratch_store_dwordx4 off, v[198:201], off offset:544 ; 16-byte Folded Spill
	;; [unrolled: 1-line block ×8, first 2 shown]
	s_nop 0
	scratch_store_dwordx4 off, v[194:197], off offset:272 ; 16-byte Folded Spill
	scratch_store_dwordx4 off, v[198:201], off offset:288 ; 16-byte Folded Spill
	;; [unrolled: 1-line block ×7, first 2 shown]
	v_mov_b32_e32 v86, v68
	v_mov_b32_e32 v88, v124
	;; [unrolled: 1-line block ×5, first 2 shown]
	scratch_store_dwordx4 off, v[46:49], off offset:128 ; 16-byte Folded Spill
	s_nop 0
	scratch_store_dwordx4 off, v[50:53], off offset:144 ; 16-byte Folded Spill
	scratch_store_dwordx4 off, v[54:57], off offset:160 ; 16-byte Folded Spill
	scratch_store_dwordx4 off, v[58:61], off offset:176 ; 16-byte Folded Spill
	scratch_store_dwordx4 off, v[62:65], off offset:192 ; 16-byte Folded Spill
	scratch_store_dwordx4 off, v[66:69], off offset:208 ; 16-byte Folded Spill
	scratch_store_dwordx4 off, v[70:73], off offset:224 ; 16-byte Folded Spill
	scratch_store_dwordx4 off, v[74:77], off offset:240 ; 16-byte Folded Spill
	scratch_store_dwordx4 off, v[20:23], off ; 16-byte Folded Spill
	s_nop 0
	scratch_store_dwordx4 off, v[24:27], off offset:16 ; 16-byte Folded Spill
	scratch_store_dwordx4 off, v[28:31], off offset:32 ; 16-byte Folded Spill
	;; [unrolled: 1-line block ×7, first 2 shown]
	v_mov_b32_e32 v91, v95
	v_mov_b32_e32 v87, v69
.LBB50_236:
	s_or_b64 exec, exec, s[0:1]
	v_lshl_add_u32 v45, v253, 2, v252
	s_waitcnt vmcnt(63) expcnt(7) lgkmcnt(15)
	s_barrier
	ds_write_b32 v45, v26
	s_waitcnt lgkmcnt(0)
	s_barrier
	ds_read_b32 v45, v252 offset:56
	s_cmp_lt_i32 s22, 16
	v_mov_b32_e32 v46, 14
	s_cbranch_scc1 .LBB50_239
; %bb.237:
	scratch_load_dword v46, off, off offset:1024 ; 4-byte Folded Reload
	s_mov_b32 s0, 15
	s_waitcnt vmcnt(0)
	v_add3_u32 v47, v46, 0, 60
	v_mov_b32_e32 v46, 14
.LBB50_238:                             ; =>This Inner Loop Header: Depth=1
	ds_read_b32 v48, v47
	v_add_u32_e32 v47, 4, v47
	s_waitcnt lgkmcnt(0)
	v_cmp_lt_f32_e64 vcc, |v45|, |v48|
	s_nop 1
	v_cndmask_b32_e32 v45, v45, v48, vcc
	v_mov_b32_e32 v48, s0
	s_add_i32 s0, s0, 1
	v_cndmask_b32_e32 v46, v46, v48, vcc
	s_cmp_lg_u32 s22, s0
	s_cbranch_scc1 .LBB50_238
.LBB50_239:
	s_waitcnt lgkmcnt(0)
	v_cmp_eq_f32_e32 vcc, 0, v45
	s_and_saveexec_b64 s[0:1], vcc
	s_xor_b64 s[0:1], exec, s[0:1]
; %bb.240:
	v_cmp_ne_u32_e32 vcc, 0, v106
	s_nop 1
	v_cndmask_b32_e32 v106, 15, v106, vcc
; %bb.241:
	s_andn2_saveexec_b64 s[0:1], s[0:1]
	s_cbranch_execz .LBB50_243
; %bb.242:
	v_div_scale_f32 v47, s[2:3], v45, v45, 1.0
	v_rcp_f32_e32 v48, v47
	v_div_scale_f32 v49, vcc, 1.0, v45, 1.0
	v_fma_f32 v50, -v47, v48, 1.0
	v_fmac_f32_e32 v48, v50, v48
	v_mul_f32_e32 v50, v49, v48
	v_fma_f32 v51, -v47, v50, v49
	v_fmac_f32_e32 v50, v51, v48
	v_fma_f32 v47, -v47, v50, v49
	v_div_fmas_f32 v47, v47, v48, v50
	v_div_fixup_f32 v45, v47, v45, 1.0
.LBB50_243:
	s_or_b64 exec, exec, s[0:1]
	v_cmp_ne_u32_e32 vcc, v253, v46
	s_and_saveexec_b64 s[0:1], vcc
	s_xor_b64 s[0:1], exec, s[0:1]
	s_cbranch_execz .LBB50_249
; %bb.244:
	v_cmp_eq_u32_e32 vcc, 14, v253
	s_and_saveexec_b64 s[2:3], vcc
	s_cbranch_execz .LBB50_248
; %bb.245:
	v_cmp_ne_u32_e32 vcc, 14, v46
	s_xor_b64 s[18:19], s[16:17], -1
	s_and_b64 s[20:21], s[18:19], vcc
	s_and_saveexec_b64 s[18:19], s[20:21]
	s_cbranch_execz .LBB50_247
; %bb.246:
	scratch_load_dwordx2 v[52:53], off, off offset:2952 ; 8-byte Folded Reload
	v_ashrrev_i32_e32 v47, 31, v46
	s_waitcnt vmcnt(0)
	v_lshl_add_u64 v[48:49], v[46:47], 2, v[52:53]
	global_load_dword v47, v[48:49], off
	global_load_dword v50, v[52:53], off offset:56
	s_waitcnt vmcnt(1)
	global_store_dword v[52:53], v47, off offset:56
	s_waitcnt vmcnt(1)
	global_store_dword v[48:49], v50, off
.LBB50_247:
	s_or_b64 exec, exec, s[18:19]
	v_mov_b32_e32 v47, v46
	v_mov_b32_e32 v253, v46
	scratch_store_dword off, v47, off offset:1156 ; 4-byte Folded Spill
.LBB50_248:
	s_or_b64 exec, exec, s[2:3]
.LBB50_249:
	s_andn2_saveexec_b64 s[0:1], s[0:1]
	s_cbranch_execz .LBB50_251
; %bb.250:
	ds_write2_b32 v252, v15, v16 offset0:15 offset1:16
	ds_write2_b32 v252, v17, v18 offset0:17 offset1:18
	ds_write2_b32 v252, v19, v20 offset0:19 offset1:20
	ds_write2_b32 v252, v21, v22 offset0:21 offset1:22
	ds_write2_b32 v252, v23, v24 offset0:23 offset1:24
	scratch_load_dwordx4 v[46:49], off, off ; 16-byte Folded Reload
	scratch_load_dwordx4 v[50:53], off, off offset:16 ; 16-byte Folded Reload
	scratch_load_dwordx4 v[54:57], off, off offset:32 ; 16-byte Folded Reload
	scratch_load_dwordx4 v[58:61], off, off offset:48 ; 16-byte Folded Reload
	scratch_load_dwordx4 v[62:65], off, off offset:64 ; 16-byte Folded Reload
	scratch_load_dwordx4 v[66:69], off, off offset:80 ; 16-byte Folded Reload
	scratch_load_dwordx4 v[70:73], off, off offset:96 ; 16-byte Folded Reload
	scratch_load_dwordx4 v[74:77], off, off offset:112 ; 16-byte Folded Reload
	v_mov_b32_e32 v253, 14
	s_waitcnt vmcnt(1)
	ds_write_b32 v252, v71 offset:100
.LBB50_251:
	s_or_b64 exec, exec, s[0:1]
	v_cmp_lt_i32_e32 vcc, 14, v253
	s_waitcnt lgkmcnt(0)
	s_barrier
	s_and_saveexec_b64 s[0:1], vcc
	s_cbranch_execz .LBB50_253
; %bb.252:
	scratch_load_dwordx4 v[46:49], off, off offset:1160 ; 16-byte Folded Reload
	scratch_load_dwordx4 v[50:53], off, off offset:1176 ; 16-byte Folded Reload
	;; [unrolled: 1-line block ×8, first 2 shown]
	ds_read2_b32 v[0:1], v252 offset0:15 offset1:16
	ds_read2_b32 v[4:5], v252 offset0:17 offset1:18
	;; [unrolled: 1-line block ×4, first 2 shown]
	v_mul_f32_e32 v94, v26, v45
	v_mov_b32_e32 v2, v15
	v_mov_b32_e32 v3, v16
	;; [unrolled: 1-line block ×5, first 2 shown]
	s_waitcnt vmcnt(5)
	v_mov_b64_e32 v[90:91], v[56:57]
	v_mov_b64_e32 v[88:89], v[54:55]
	;; [unrolled: 1-line block ×6, first 2 shown]
	s_waitcnt lgkmcnt(3)
	v_pk_fma_f32 v[46:47], v[94:95], v[0:1], v[2:3] op_sel_hi:[0,1,1] neg_lo:[1,0,0] neg_hi:[1,0,0]
	v_mov_b32_e32 v0, v17
	v_mov_b32_e32 v1, v18
	s_waitcnt lgkmcnt(2)
	v_pk_fma_f32 v[48:49], v[94:95], v[4:5], v[0:1] op_sel_hi:[0,1,1] neg_lo:[1,0,0] neg_hi:[1,0,0]
	v_mov_b32_e32 v0, v19
	v_mov_b32_e32 v1, v20
	s_waitcnt lgkmcnt(1)
	v_pk_fma_f32 v[50:51], v[94:95], v[6:7], v[0:1] op_sel_hi:[0,1,1] neg_lo:[1,0,0] neg_hi:[1,0,0]
	v_mov_b32_e32 v0, v21
	v_mov_b32_e32 v1, v22
	ds_read2_b32 v[2:3], v252 offset0:23 offset1:24
	ds_read_b32 v4, v252 offset:100
	s_waitcnt lgkmcnt(2)
	v_pk_fma_f32 v[52:53], v[94:95], v[8:9], v[0:1] op_sel_hi:[0,1,1] neg_lo:[1,0,0] neg_hi:[1,0,0]
	v_mov_b32_e32 v0, v23
	v_mov_b32_e32 v1, v24
	scratch_load_dwordx4 v[6:9], off, off   ; 16-byte Folded Reload
	scratch_load_dwordx4 v[10:13], off, off offset:16 ; 16-byte Folded Reload
	scratch_load_dwordx4 v[14:17], off, off offset:32 ; 16-byte Folded Reload
	;; [unrolled: 1-line block ×7, first 2 shown]
	s_waitcnt vmcnt(12)
	v_mov_b64_e32 v[92:93], v[58:59]
	s_waitcnt lgkmcnt(1)
	v_pk_fma_f32 v[254:255], v[94:95], v[2:3], v[0:1] op_sel_hi:[0,1,1] neg_lo:[1,0,0] neg_hi:[1,0,0]
	v_mov_b32_e32 v0, v80
	v_mov_b32_e32 v1, v81
	;; [unrolled: 1-line block ×5, first 2 shown]
	s_waitcnt vmcnt(7)
	v_mov_b32_e32 v6, v86
	v_mov_b32_e32 v7, v87
	v_mov_b32_e32 v8, v88
	v_mov_b32_e32 v9, v89
	s_waitcnt vmcnt(6)
	v_mov_b32_e32 v10, v90
	v_mov_b32_e32 v11, v91
	v_mov_b32_e32 v12, v92
	v_mov_b32_e32 v13, v93
	;; [unrolled: 5-line block ×3, first 2 shown]
	v_mov_b32_e32 v95, v46
	v_mov_b32_e32 v108, v80
	;; [unrolled: 1-line block ×59, first 2 shown]
	s_waitcnt vmcnt(1) lgkmcnt(0)
	v_fma_f32 v25, -v94, v4, v31
	v_mov_b32_e32 v4, v84
	scratch_store_dwordx4 off, v[0:3], off offset:640 ; 16-byte Folded Spill
	s_nop 0
	scratch_store_dwordx4 off, v[4:7], off offset:656 ; 16-byte Folded Spill
	scratch_store_dwordx4 off, v[8:11], off offset:672 ; 16-byte Folded Spill
	;; [unrolled: 1-line block ×7, first 2 shown]
	v_mov_b32_e32 v18, v49
	v_mov_b32_e32 v241, v254
	;; [unrolled: 1-line block ×5, first 2 shown]
	scratch_store_dwordx4 off, v[0:3], off offset:512 ; 16-byte Folded Spill
	s_nop 0
	scratch_store_dwordx4 off, v[4:7], off offset:528 ; 16-byte Folded Spill
	scratch_store_dwordx4 off, v[8:11], off offset:544 ; 16-byte Folded Spill
	;; [unrolled: 1-line block ×7, first 2 shown]
	v_mov_b32_e32 v19, v50
	scratch_store_dwordx4 off, v[0:3], off offset:384 ; 16-byte Folded Spill
	s_nop 0
	scratch_store_dwordx4 off, v[4:7], off offset:400 ; 16-byte Folded Spill
	scratch_store_dwordx4 off, v[8:11], off offset:416 ; 16-byte Folded Spill
	;; [unrolled: 1-line block ×7, first 2 shown]
	v_mov_b32_e32 v20, v51
	v_mov_b32_e32 v21, v52
	scratch_store_dwordx4 off, v[0:3], off offset:896 ; 16-byte Folded Spill
	s_nop 0
	scratch_store_dwordx4 off, v[4:7], off offset:912 ; 16-byte Folded Spill
	scratch_store_dwordx4 off, v[8:11], off offset:928 ; 16-byte Folded Spill
	;; [unrolled: 1-line block ×7, first 2 shown]
	v_mov_b32_e32 v22, v53
	scratch_store_dwordx4 off, v[0:3], off offset:128 ; 16-byte Folded Spill
	s_nop 0
	scratch_store_dwordx4 off, v[4:7], off offset:144 ; 16-byte Folded Spill
	scratch_store_dwordx4 off, v[8:11], off offset:160 ; 16-byte Folded Spill
	;; [unrolled: 1-line block ×7, first 2 shown]
	v_mov_b32_e32 v23, v254
	v_mov_b32_e32 v24, v255
	;; [unrolled: 1-line block ×3, first 2 shown]
	scratch_store_dwordx4 off, v[80:83], off offset:768 ; 16-byte Folded Spill
	s_nop 0
	scratch_store_dwordx4 off, v[84:87], off offset:784 ; 16-byte Folded Spill
	scratch_store_dwordx4 off, v[88:91], off offset:800 ; 16-byte Folded Spill
	;; [unrolled: 1-line block ×8, first 2 shown]
	s_nop 0
	scratch_store_dwordx4 off, v[84:87], off offset:1044 ; 16-byte Folded Spill
	scratch_store_dwordx4 off, v[88:91], off offset:1060 ; 16-byte Folded Spill
	scratch_store_dwordx4 off, v[92:95], off offset:1076 ; 16-byte Folded Spill
	scratch_store_dwordx4 off, v[96:99], off offset:1092 ; 16-byte Folded Spill
	scratch_store_dwordx4 off, v[100:103], off offset:1108 ; 16-byte Folded Spill
	scratch_store_dwordx4 off, v[104:107], off offset:1124 ; 16-byte Folded Spill
	scratch_store_dwordx4 off, v[108:111], off offset:1140 ; 16-byte Folded Spill
	v_mov_b32_e32 v91, v46
	v_mov_b32_e32 v88, v47
	;; [unrolled: 1-line block ×5, first 2 shown]
	scratch_store_dwordx4 off, v[8:11], off offset:256 ; 16-byte Folded Spill
	s_nop 0
	scratch_store_dwordx4 off, v[12:15], off offset:272 ; 16-byte Folded Spill
	scratch_store_dwordx4 off, v[16:19], off offset:288 ; 16-byte Folded Spill
	;; [unrolled: 1-line block ×5, first 2 shown]
	s_waitcnt vmcnt(62)
	scratch_store_dwordx4 off, v[32:35], off offset:352 ; 16-byte Folded Spill
	scratch_store_dwordx4 off, v[36:39], off offset:368 ; 16-byte Folded Spill
	v_mov_b32_e32 v45, v25
	scratch_store_dwordx4 off, v[20:23], off ; 16-byte Folded Spill
	s_nop 0
	scratch_store_dwordx4 off, v[24:27], off offset:16 ; 16-byte Folded Spill
	scratch_store_dwordx4 off, v[28:31], off offset:32 ; 16-byte Folded Spill
	;; [unrolled: 1-line block ×7, first 2 shown]
.LBB50_253:
	s_or_b64 exec, exec, s[0:1]
	v_lshl_add_u32 v45, v253, 2, v252
	s_waitcnt vmcnt(63) expcnt(7) lgkmcnt(15)
	s_barrier
	ds_write_b32 v45, v91
	s_waitcnt lgkmcnt(0)
	s_barrier
	ds_read_b32 v45, v252 offset:60
	s_cmp_lt_i32 s22, 17
	v_mov_b32_e32 v46, 15
	s_cbranch_scc1 .LBB50_446
; %bb.254:
	scratch_load_dword v46, off, off offset:1024 ; 4-byte Folded Reload
	scratch_load_dwordx4 v[54:57], off, off offset:896 ; 16-byte Folded Reload
	scratch_load_dwordx4 v[58:61], off, off offset:912 ; 16-byte Folded Reload
	scratch_load_dwordx4 v[62:65], off, off offset:928 ; 16-byte Folded Reload
	scratch_load_dwordx4 v[66:69], off, off offset:944 ; 16-byte Folded Reload
	scratch_load_dwordx4 v[70:73], off, off offset:960 ; 16-byte Folded Reload
	scratch_load_dwordx4 v[74:77], off, off offset:976 ; 16-byte Folded Reload
	scratch_load_dwordx4 v[78:81], off, off offset:992 ; 16-byte Folded Reload
	scratch_load_dwordx4 v[82:85], off, off offset:1008 ; 16-byte Folded Reload
	s_mov_b32 s0, 16
	s_waitcnt vmcnt(8)
	v_add3_u32 v47, v46, 0, 64
	v_mov_b32_e32 v46, 15
.LBB50_255:                             ; =>This Inner Loop Header: Depth=1
	ds_read_b32 v48, v47
	v_mov_b32_e32 v49, s0
	s_add_i32 s0, s0, 1
	v_add_u32_e32 v47, 4, v47
	s_cmp_lg_u32 s22, s0
	s_waitcnt lgkmcnt(0)
	v_cmp_lt_f32_e64 vcc, |v45|, |v48|
	s_nop 1
	v_cndmask_b32_e32 v45, v45, v48, vcc
	v_cndmask_b32_e32 v46, v46, v49, vcc
	s_cbranch_scc1 .LBB50_255
; %bb.256:
	v_cmp_eq_f32_e32 vcc, 0, v45
	s_and_saveexec_b64 s[0:1], vcc
	s_xor_b64 s[0:1], exec, s[0:1]
.LBB50_257:
	v_cmp_ne_u32_e32 vcc, 0, v106
	s_nop 1
	v_cndmask_b32_e32 v106, 16, v106, vcc
.LBB50_258:
	s_andn2_saveexec_b64 s[0:1], s[0:1]
	s_cbranch_execz .LBB50_260
; %bb.259:
	v_div_scale_f32 v47, s[2:3], v45, v45, 1.0
	v_rcp_f32_e32 v48, v47
	v_div_scale_f32 v49, vcc, 1.0, v45, 1.0
	v_fma_f32 v50, -v47, v48, 1.0
	v_fmac_f32_e32 v48, v50, v48
	v_mul_f32_e32 v50, v49, v48
	v_fma_f32 v51, -v47, v50, v49
	v_fmac_f32_e32 v50, v51, v48
	v_fma_f32 v47, -v47, v50, v49
	v_div_fmas_f32 v47, v47, v48, v50
	v_div_fixup_f32 v45, v47, v45, 1.0
.LBB50_260:
	s_or_b64 exec, exec, s[0:1]
	v_cmp_ne_u32_e32 vcc, v253, v46
	s_and_saveexec_b64 s[0:1], vcc
	s_xor_b64 s[0:1], exec, s[0:1]
	s_cbranch_execz .LBB50_266
; %bb.261:
	v_cmp_eq_u32_e32 vcc, 15, v253
	s_and_saveexec_b64 s[2:3], vcc
	s_cbranch_execz .LBB50_265
; %bb.262:
	v_cmp_ne_u32_e32 vcc, 15, v46
	s_xor_b64 s[18:19], s[16:17], -1
	s_and_b64 s[20:21], s[18:19], vcc
	s_and_saveexec_b64 s[18:19], s[20:21]
	s_cbranch_execz .LBB50_264
; %bb.263:
	scratch_load_dwordx2 v[52:53], off, off offset:2952 ; 8-byte Folded Reload
	v_ashrrev_i32_e32 v47, 31, v46
	s_waitcnt vmcnt(0)
	v_lshl_add_u64 v[48:49], v[46:47], 2, v[52:53]
	global_load_dword v47, v[48:49], off
	global_load_dword v50, v[52:53], off offset:60
	s_waitcnt vmcnt(1)
	global_store_dword v[52:53], v47, off offset:60
	s_waitcnt vmcnt(1)
	global_store_dword v[48:49], v50, off
.LBB50_264:
	s_or_b64 exec, exec, s[18:19]
	v_mov_b32_e32 v47, v46
	v_mov_b32_e32 v253, v46
	scratch_store_dword off, v47, off offset:1156 ; 4-byte Folded Spill
.LBB50_265:
	s_or_b64 exec, exec, s[2:3]
.LBB50_266:
	s_andn2_saveexec_b64 s[0:1], s[0:1]
	s_cbranch_execz .LBB50_268
; %bb.267:
	v_mov_b32_e32 v253, 15
	ds_write2_b32 v252, v16, v17 offset0:16 offset1:17
	ds_write2_b32 v252, v18, v19 offset0:18 offset1:19
	ds_write2_b32 v252, v20, v21 offset0:20 offset1:21
	ds_write2_b32 v252, v22, v23 offset0:22 offset1:23
	ds_write2_b32 v252, v24, v25 offset0:24 offset1:25
.LBB50_268:
	s_or_b64 exec, exec, s[0:1]
	v_cmp_lt_i32_e32 vcc, 15, v253
	s_waitcnt lgkmcnt(0)
	s_barrier
	s_and_saveexec_b64 s[0:1], vcc
	s_cbranch_execz .LBB50_270
; %bb.269:
	ds_read2_b32 v[2:3], v252 offset0:16 offset1:17
	ds_read2_b32 v[4:5], v252 offset0:18 offset1:19
	;; [unrolled: 1-line block ×5, first 2 shown]
	scratch_load_dwordx4 v[46:49], off, off offset:1028 ; 16-byte Folded Reload
	scratch_load_dwordx4 v[50:53], off, off offset:1044 ; 16-byte Folded Reload
	;; [unrolled: 1-line block ×8, first 2 shown]
	v_mul_f32_e32 v0, v91, v45
	s_waitcnt lgkmcnt(4)
	v_pk_fma_f32 v[138:139], v[0:1], v[2:3], v[16:17] op_sel_hi:[0,1,1] neg_lo:[1,0,0] neg_hi:[1,0,0]
	s_waitcnt lgkmcnt(3)
	v_pk_fma_f32 v[44:45], v[0:1], v[4:5], v[18:19] op_sel_hi:[0,1,1] neg_lo:[1,0,0] neg_hi:[1,0,0]
	v_mov_b32_e32 v41, v0
	v_mov_b32_e32 v42, v138
	;; [unrolled: 1-line block ×3, first 2 shown]
	s_waitcnt vmcnt(4)
	v_mov_b32_e32 v61, v0
	s_waitcnt vmcnt(3)
	v_mov_b32_e32 v62, v138
	v_mov_b32_e32 v63, v139
	s_waitcnt lgkmcnt(2)
	v_pk_fma_f32 v[174:175], v[0:1], v[6:7], v[20:21] op_sel_hi:[0,1,1] neg_lo:[1,0,0] neg_hi:[1,0,0]
	v_mov_b32_e32 v105, v0
	s_waitcnt lgkmcnt(0)
	v_pk_fma_f32 v[198:199], v[0:1], v[10:11], v[22:23] op_sel_hi:[0,1,1] neg_lo:[1,0,0] neg_hi:[1,0,0]
	v_mov_b32_e32 v191, v0
	v_mov_b32_e32 v192, v138
	;; [unrolled: 1-line block ×5, first 2 shown]
	v_pk_fma_f32 v[24:25], v[0:1], v[8:9], v[24:25] op_sel_hi:[0,1,1] neg_lo:[1,0,0] neg_hi:[1,0,0]
	v_mov_b32_e32 v137, v0
	v_mov_b32_e32 v169, v0
	;; [unrolled: 1-line block ×24, first 2 shown]
	v_mov_b64_e32 v[100:101], v[56:57]
	v_mov_b32_e32 v104, v60
	v_mov_b64_e32 v[98:99], v[54:55]
	v_mov_b64_e32 v[96:97], v[52:53]
	;; [unrolled: 1-line block ×5, first 2 shown]
	v_mov_b32_e32 v103, v59
	v_mov_b32_e32 v102, v58
	;; [unrolled: 1-line block ×17, first 2 shown]
	scratch_store_dwordx4 off, v[26:29], off offset:640 ; 16-byte Folded Spill
	s_nop 0
	scratch_store_dwordx4 off, v[30:33], off offset:656 ; 16-byte Folded Spill
	scratch_store_dwordx4 off, v[34:37], off offset:672 ; 16-byte Folded Spill
	;; [unrolled: 1-line block ×7, first 2 shown]
	v_mov_b32_e32 v176, v90
	v_mov_b32_e32 v177, v91
	;; [unrolled: 1-line block ×74, first 2 shown]
	scratch_store_dwordx4 off, v[46:49], off offset:384 ; 16-byte Folded Spill
	s_nop 0
	scratch_store_dwordx4 off, v[50:53], off offset:400 ; 16-byte Folded Spill
	scratch_store_dwordx4 off, v[54:57], off offset:416 ; 16-byte Folded Spill
	;; [unrolled: 1-line block ×4, first 2 shown]
	s_waitcnt vmcnt(15)
	scratch_store_dwordx4 off, v[66:69], off offset:464 ; 16-byte Folded Spill
	s_waitcnt vmcnt(15)
	scratch_store_dwordx4 off, v[70:73], off offset:480 ; 16-byte Folded Spill
	;; [unrolled: 2-line block ×3, first 2 shown]
	v_mov_b32_e32 v54, v90
	v_mov_b32_e32 v55, v91
	;; [unrolled: 1-line block ×29, first 2 shown]
	scratch_store_dwordx4 off, v[90:93], off offset:768 ; 16-byte Folded Spill
	s_nop 0
	scratch_store_dwordx4 off, v[94:97], off offset:784 ; 16-byte Folded Spill
	scratch_store_dwordx4 off, v[98:101], off offset:800 ; 16-byte Folded Spill
	;; [unrolled: 1-line block ×7, first 2 shown]
	v_mov_b32_e32 v152, v44
	v_mov_b64_e32 v[108:109], v[122:123]
	v_mov_b32_e32 v70, v138
	v_mov_b32_e32 v71, v139
	;; [unrolled: 1-line block ×4, first 2 shown]
	v_mov_b64_e32 v[110:111], v[124:125]
	v_mov_b64_e32 v[112:113], v[126:127]
	;; [unrolled: 1-line block ×7, first 2 shown]
	v_mov_b32_e32 v124, v138
	scratch_store_dwordx4 off, v[26:29], off offset:512 ; 16-byte Folded Spill
	s_nop 0
	scratch_store_dwordx4 off, v[30:33], off offset:528 ; 16-byte Folded Spill
	scratch_store_dwordx4 off, v[34:37], off offset:544 ; 16-byte Folded Spill
	scratch_store_dwordx4 off, v[38:41], off offset:560 ; 16-byte Folded Spill
	scratch_store_dwordx4 off, v[42:45], off offset:576 ; 16-byte Folded Spill
	scratch_store_dwordx4 off, v[46:49], off offset:592 ; 16-byte Folded Spill
	scratch_store_dwordx4 off, v[50:53], off offset:608 ; 16-byte Folded Spill
	scratch_store_dwordx4 off, v[54:57], off offset:624 ; 16-byte Folded Spill
	scratch_store_dwordx4 off, v[26:29], off offset:256 ; 16-byte Folded Spill
	s_nop 0
	scratch_store_dwordx4 off, v[30:33], off offset:272 ; 16-byte Folded Spill
	scratch_store_dwordx4 off, v[34:37], off offset:288 ; 16-byte Folded Spill
	scratch_store_dwordx4 off, v[38:41], off offset:304 ; 16-byte Folded Spill
	scratch_store_dwordx4 off, v[42:45], off offset:320 ; 16-byte Folded Spill
	scratch_store_dwordx4 off, v[46:49], off offset:336 ; 16-byte Folded Spill
	scratch_store_dwordx4 off, v[50:53], off offset:352 ; 16-byte Folded Spill
	scratch_store_dwordx4 off, v[54:57], off offset:368 ; 16-byte Folded Spill
	;; [unrolled: 9-line block ×3, first 2 shown]
	v_mov_b32_e32 v45, v25
	scratch_store_dwordx4 off, v[20:23], off ; 16-byte Folded Spill
	s_nop 0
	scratch_store_dwordx4 off, v[24:27], off offset:16 ; 16-byte Folded Spill
	scratch_store_dwordx4 off, v[28:31], off offset:32 ; 16-byte Folded Spill
	;; [unrolled: 1-line block ×7, first 2 shown]
	v_mov_b32_e32 v87, v199
.LBB50_270:
	s_or_b64 exec, exec, s[0:1]
	v_lshl_add_u32 v45, v253, 2, v252
	s_barrier
	ds_write_b32 v45, v88
	s_waitcnt lgkmcnt(0)
	s_barrier
	ds_read_b32 v45, v252 offset:64
	s_cmp_lt_i32 s22, 18
	v_mov_b32_e32 v46, 16
	s_cbranch_scc1 .LBB50_273
; %bb.271:
	v_add_u32_e32 v47, 0x44, v252
	v_mov_b32_e32 v46, 16
	s_mov_b32 s0, 17
.LBB50_272:                             ; =>This Inner Loop Header: Depth=1
	ds_read_b32 v48, v47
	v_mov_b32_e32 v49, s0
	s_add_i32 s0, s0, 1
	v_add_u32_e32 v47, 4, v47
	s_cmp_lg_u32 s22, s0
	s_waitcnt lgkmcnt(0)
	v_cmp_lt_f32_e64 vcc, |v45|, |v48|
	s_nop 1
	v_cndmask_b32_e32 v45, v45, v48, vcc
	v_cndmask_b32_e32 v46, v46, v49, vcc
	s_cbranch_scc1 .LBB50_272
.LBB50_273:
	s_waitcnt lgkmcnt(0)
	v_cmp_eq_f32_e32 vcc, 0, v45
	s_and_saveexec_b64 s[0:1], vcc
	s_xor_b64 s[0:1], exec, s[0:1]
; %bb.274:
	v_cmp_ne_u32_e32 vcc, 0, v106
	s_nop 1
	v_cndmask_b32_e32 v106, 17, v106, vcc
; %bb.275:
	s_andn2_saveexec_b64 s[0:1], s[0:1]
	s_cbranch_execz .LBB50_277
; %bb.276:
	v_div_scale_f32 v47, s[2:3], v45, v45, 1.0
	v_rcp_f32_e32 v48, v47
	v_div_scale_f32 v49, vcc, 1.0, v45, 1.0
	v_fma_f32 v50, -v47, v48, 1.0
	v_fmac_f32_e32 v48, v50, v48
	v_mul_f32_e32 v50, v49, v48
	v_fma_f32 v51, -v47, v50, v49
	v_fmac_f32_e32 v50, v51, v48
	v_fma_f32 v47, -v47, v50, v49
	v_div_fmas_f32 v47, v47, v48, v50
	v_div_fixup_f32 v45, v47, v45, 1.0
.LBB50_277:
	s_or_b64 exec, exec, s[0:1]
	v_cmp_ne_u32_e32 vcc, v253, v46
	s_and_saveexec_b64 s[0:1], vcc
	s_xor_b64 s[0:1], exec, s[0:1]
	s_cbranch_execz .LBB50_283
; %bb.278:
	v_cmp_eq_u32_e32 vcc, 16, v253
	s_and_saveexec_b64 s[2:3], vcc
	s_cbranch_execz .LBB50_282
; %bb.279:
	v_cmp_ne_u32_e32 vcc, 16, v46
	s_xor_b64 s[18:19], s[16:17], -1
	s_and_b64 s[20:21], s[18:19], vcc
	s_and_saveexec_b64 s[18:19], s[20:21]
	s_cbranch_execz .LBB50_281
; %bb.280:
	scratch_load_dwordx2 v[52:53], off, off offset:2952 ; 8-byte Folded Reload
	v_ashrrev_i32_e32 v47, 31, v46
	s_waitcnt vmcnt(0)
	v_lshl_add_u64 v[48:49], v[46:47], 2, v[52:53]
	global_load_dword v47, v[48:49], off
	global_load_dword v50, v[52:53], off offset:64
	s_waitcnt vmcnt(1)
	global_store_dword v[52:53], v47, off offset:64
	s_waitcnt vmcnt(1)
	global_store_dword v[48:49], v50, off
.LBB50_281:
	s_or_b64 exec, exec, s[18:19]
	v_mov_b32_e32 v47, v46
	v_mov_b32_e32 v253, v46
	scratch_store_dword off, v47, off offset:1156 ; 4-byte Folded Spill
.LBB50_282:
	s_or_b64 exec, exec, s[2:3]
.LBB50_283:
	s_andn2_saveexec_b64 s[0:1], s[0:1]
	s_cbranch_execz .LBB50_285
; %bb.284:
	ds_write2_b32 v252, v17, v18 offset0:17 offset1:18
	ds_write2_b32 v252, v19, v20 offset0:19 offset1:20
	;; [unrolled: 1-line block ×4, first 2 shown]
	scratch_load_dwordx4 v[176:179], off, off ; 16-byte Folded Reload
	scratch_load_dwordx4 v[180:183], off, off offset:16 ; 16-byte Folded Reload
	scratch_load_dwordx4 v[184:187], off, off offset:32 ; 16-byte Folded Reload
	scratch_load_dwordx4 v[188:191], off, off offset:48 ; 16-byte Folded Reload
	scratch_load_dwordx4 v[192:195], off, off offset:64 ; 16-byte Folded Reload
	scratch_load_dwordx4 v[196:199], off, off offset:80 ; 16-byte Folded Reload
	scratch_load_dwordx4 v[200:203], off, off offset:96 ; 16-byte Folded Reload
	scratch_load_dwordx4 v[204:207], off, off offset:112 ; 16-byte Folded Reload
	v_mov_b32_e32 v253, 16
	s_waitcnt vmcnt(1)
	ds_write_b32 v252, v201 offset:100
.LBB50_285:
	s_or_b64 exec, exec, s[0:1]
	v_cmp_lt_i32_e32 vcc, 16, v253
	s_waitcnt lgkmcnt(0)
	s_barrier
	s_and_saveexec_b64 s[0:1], vcc
	s_cbranch_execz .LBB50_287
; %bb.286:
	scratch_load_dwordx4 v[108:111], off, off offset:768 ; 16-byte Folded Reload
	scratch_load_dwordx4 v[112:115], off, off offset:784 ; 16-byte Folded Reload
	;; [unrolled: 1-line block ×8, first 2 shown]
	ds_read2_b32 v[0:1], v252 offset0:17 offset1:18
	ds_read2_b32 v[4:5], v252 offset0:19 offset1:20
	;; [unrolled: 1-line block ×4, first 2 shown]
	s_waitcnt vmcnt(3)
	v_mul_f32_e32 v124, v88, v45
	v_mov_b32_e32 v2, v17
	v_mov_b32_e32 v3, v18
	;; [unrolled: 1-line block ×9, first 2 shown]
	s_waitcnt lgkmcnt(3)
	v_pk_fma_f32 v[46:47], v[124:125], v[0:1], v[2:3] op_sel_hi:[0,1,1] neg_lo:[1,0,0] neg_hi:[1,0,0]
	v_mov_b32_e32 v0, v19
	v_mov_b32_e32 v1, v20
	s_waitcnt lgkmcnt(2)
	v_pk_fma_f32 v[48:49], v[124:125], v[4:5], v[0:1] op_sel_hi:[0,1,1] neg_lo:[1,0,0] neg_hi:[1,0,0]
	v_mov_b32_e32 v0, v21
	v_mov_b32_e32 v1, v22
	;; [unrolled: 4-line block ×3, first 2 shown]
	ds_read_b32 v2, v252 offset:100
	s_waitcnt lgkmcnt(1)
	v_pk_fma_f32 v[254:255], v[124:125], v[8:9], v[0:1] op_sel_hi:[0,1,1] neg_lo:[1,0,0] neg_hi:[1,0,0]
	scratch_load_dwordx4 v[4:7], off, off   ; 16-byte Folded Reload
	scratch_load_dwordx4 v[8:11], off, off offset:16 ; 16-byte Folded Reload
	scratch_load_dwordx4 v[12:15], off, off offset:32 ; 16-byte Folded Reload
	;; [unrolled: 1-line block ×7, first 2 shown]
	v_mov_b32_e32 v0, v108
	v_mov_b32_e32 v1, v109
	v_mov_b32_e32 v3, v111
	s_waitcnt vmcnt(7)
	v_mov_b32_e32 v4, v112
	v_mov_b32_e32 v5, v113
	v_mov_b32_e32 v6, v114
	v_mov_b32_e32 v7, v115
	s_waitcnt vmcnt(6)
	v_mov_b32_e32 v8, v116
	;; [unrolled: 5-line block ×4, first 2 shown]
	v_mov_b32_e32 v17, v46
	v_mov_b32_e32 v18, v47
	;; [unrolled: 1-line block ×62, first 2 shown]
	s_waitcnt vmcnt(1) lgkmcnt(0)
	v_fma_f32 v25, -v124, v2, v29
	v_mov_b32_e32 v2, v110
	scratch_store_dwordx4 off, v[0:3], off offset:512 ; 16-byte Folded Spill
	s_nop 0
	scratch_store_dwordx4 off, v[4:7], off offset:528 ; 16-byte Folded Spill
	scratch_store_dwordx4 off, v[8:11], off offset:544 ; 16-byte Folded Spill
	;; [unrolled: 1-line block ×7, first 2 shown]
	v_mov_b32_e32 v19, v48
	v_mov_b32_e32 v241, v254
	;; [unrolled: 1-line block ×8, first 2 shown]
	scratch_store_dwordx4 off, v[0:3], off offset:384 ; 16-byte Folded Spill
	s_nop 0
	scratch_store_dwordx4 off, v[4:7], off offset:400 ; 16-byte Folded Spill
	scratch_store_dwordx4 off, v[8:11], off offset:416 ; 16-byte Folded Spill
	;; [unrolled: 1-line block ×7, first 2 shown]
	v_mov_b32_e32 v20, v49
	v_mov_b32_e32 v21, v50
	;; [unrolled: 1-line block ×3, first 2 shown]
	scratch_store_dwordx4 off, v[0:3], off offset:128 ; 16-byte Folded Spill
	s_nop 0
	scratch_store_dwordx4 off, v[4:7], off offset:144 ; 16-byte Folded Spill
	scratch_store_dwordx4 off, v[8:11], off offset:160 ; 16-byte Folded Spill
	;; [unrolled: 1-line block ×7, first 2 shown]
	v_mov_b32_e32 v23, v254
	v_mov_b32_e32 v24, v255
	;; [unrolled: 1-line block ×3, first 2 shown]
	scratch_store_dwordx4 off, v[108:111], off offset:640 ; 16-byte Folded Spill
	s_nop 0
	scratch_store_dwordx4 off, v[112:115], off offset:656 ; 16-byte Folded Spill
	scratch_store_dwordx4 off, v[116:119], off offset:672 ; 16-byte Folded Spill
	;; [unrolled: 1-line block ×8, first 2 shown]
	s_nop 0
	scratch_store_dwordx4 off, v[12:15], off offset:272 ; 16-byte Folded Spill
	scratch_store_dwordx4 off, v[16:19], off offset:288 ; 16-byte Folded Spill
	;; [unrolled: 1-line block ×5, first 2 shown]
	s_waitcnt vmcnt(38)
	scratch_store_dwordx4 off, v[32:35], off offset:352 ; 16-byte Folded Spill
	scratch_store_dwordx4 off, v[36:39], off offset:368 ; 16-byte Folded Spill
	v_mov_b32_e32 v45, v25
	scratch_store_dwordx4 off, v[20:23], off ; 16-byte Folded Spill
	s_nop 0
	scratch_store_dwordx4 off, v[24:27], off offset:16 ; 16-byte Folded Spill
	scratch_store_dwordx4 off, v[28:31], off offset:32 ; 16-byte Folded Spill
	;; [unrolled: 1-line block ×7, first 2 shown]
.LBB50_287:
	s_or_b64 exec, exec, s[0:1]
	v_lshl_add_u32 v45, v253, 2, v252
	s_barrier
	ds_write_b32 v45, v89
	s_waitcnt lgkmcnt(0)
	s_barrier
	ds_read_b32 v45, v252 offset:68
	s_cmp_lt_i32 s22, 19
	v_mov_b32_e32 v46, 17
	s_cbranch_scc1 .LBB50_290
; %bb.288:
	v_add_u32_e32 v47, 0x48, v252
	v_mov_b32_e32 v46, 17
	s_mov_b32 s0, 18
.LBB50_289:                             ; =>This Inner Loop Header: Depth=1
	ds_read_b32 v48, v47
	v_mov_b32_e32 v49, s0
	s_add_i32 s0, s0, 1
	v_add_u32_e32 v47, 4, v47
	s_cmp_lg_u32 s22, s0
	s_waitcnt lgkmcnt(0)
	v_cmp_lt_f32_e64 vcc, |v45|, |v48|
	s_nop 1
	v_cndmask_b32_e32 v45, v45, v48, vcc
	v_cndmask_b32_e32 v46, v46, v49, vcc
	s_cbranch_scc1 .LBB50_289
.LBB50_290:
	s_waitcnt lgkmcnt(0)
	v_cmp_eq_f32_e32 vcc, 0, v45
	s_and_saveexec_b64 s[0:1], vcc
	s_xor_b64 s[0:1], exec, s[0:1]
; %bb.291:
	v_cmp_ne_u32_e32 vcc, 0, v106
	s_nop 1
	v_cndmask_b32_e32 v106, 18, v106, vcc
; %bb.292:
	s_andn2_saveexec_b64 s[0:1], s[0:1]
	s_cbranch_execz .LBB50_294
; %bb.293:
	v_div_scale_f32 v47, s[2:3], v45, v45, 1.0
	v_rcp_f32_e32 v48, v47
	v_div_scale_f32 v49, vcc, 1.0, v45, 1.0
	v_fma_f32 v50, -v47, v48, 1.0
	v_fmac_f32_e32 v48, v50, v48
	v_mul_f32_e32 v50, v49, v48
	v_fma_f32 v51, -v47, v50, v49
	v_fmac_f32_e32 v50, v51, v48
	v_fma_f32 v47, -v47, v50, v49
	v_div_fmas_f32 v47, v47, v48, v50
	v_div_fixup_f32 v45, v47, v45, 1.0
.LBB50_294:
	s_or_b64 exec, exec, s[0:1]
	v_cmp_ne_u32_e32 vcc, v253, v46
	s_and_saveexec_b64 s[0:1], vcc
	s_xor_b64 s[0:1], exec, s[0:1]
	s_cbranch_execz .LBB50_300
; %bb.295:
	v_cmp_eq_u32_e32 vcc, 17, v253
	s_and_saveexec_b64 s[2:3], vcc
	s_cbranch_execz .LBB50_299
; %bb.296:
	v_cmp_ne_u32_e32 vcc, 17, v46
	s_xor_b64 s[18:19], s[16:17], -1
	s_and_b64 s[20:21], s[18:19], vcc
	s_and_saveexec_b64 s[18:19], s[20:21]
	s_cbranch_execz .LBB50_298
; %bb.297:
	scratch_load_dwordx2 v[52:53], off, off offset:2952 ; 8-byte Folded Reload
	v_ashrrev_i32_e32 v47, 31, v46
	s_waitcnt vmcnt(0)
	v_lshl_add_u64 v[48:49], v[46:47], 2, v[52:53]
	global_load_dword v47, v[48:49], off
	global_load_dword v50, v[52:53], off offset:68
	s_waitcnt vmcnt(1)
	global_store_dword v[52:53], v47, off offset:68
	s_waitcnt vmcnt(1)
	global_store_dword v[48:49], v50, off
.LBB50_298:
	s_or_b64 exec, exec, s[18:19]
	v_mov_b32_e32 v47, v46
	v_mov_b32_e32 v253, v46
	scratch_store_dword off, v47, off offset:1156 ; 4-byte Folded Spill
.LBB50_299:
	s_or_b64 exec, exec, s[2:3]
.LBB50_300:
	s_andn2_saveexec_b64 s[0:1], s[0:1]
	s_cbranch_execz .LBB50_302
; %bb.301:
	v_mov_b32_e32 v253, 17
	ds_write2_b32 v252, v18, v19 offset0:18 offset1:19
	ds_write2_b32 v252, v20, v21 offset0:20 offset1:21
	;; [unrolled: 1-line block ×4, first 2 shown]
.LBB50_302:
	s_or_b64 exec, exec, s[0:1]
	v_cmp_lt_i32_e32 vcc, 17, v253
	s_waitcnt lgkmcnt(0)
	s_barrier
	s_and_saveexec_b64 s[0:1], vcc
	s_cbranch_execz .LBB50_304
; %bb.303:
	ds_read2_b32 v[0:1], v252 offset0:18 offset1:19
	ds_read2_b32 v[2:3], v252 offset0:20 offset1:21
	;; [unrolled: 1-line block ×4, first 2 shown]
	v_mul_f32_e32 v8, v89, v45
	s_waitcnt vmcnt(0)
	v_mov_b64_e32 v[80:81], v[108:109]
	s_waitcnt lgkmcnt(3)
	v_pk_fma_f32 v[208:209], v[8:9], v[0:1], v[18:19] op_sel_hi:[0,1,1] neg_lo:[1,0,0] neg_hi:[1,0,0]
	v_mov_b64_e32 v[82:83], v[110:111]
	v_mov_b64_e32 v[84:85], v[112:113]
	;; [unrolled: 1-line block ×7, first 2 shown]
	v_mov_b32_e32 v46, v80
	v_mov_b32_e32 v47, v81
	v_mov_b32_e32 v48, v82
	v_mov_b32_e32 v49, v83
	v_mov_b32_e32 v50, v84
	v_mov_b32_e32 v51, v85
	v_mov_b32_e32 v52, v86
	v_mov_b32_e32 v53, v87
	v_mov_b32_e32 v54, v88
	v_mov_b32_e32 v55, v89
	v_mov_b32_e32 v56, v90
	v_mov_b32_e32 v57, v91
	v_mov_b32_e32 v58, v92
	v_mov_b32_e32 v59, v93
	v_mov_b32_e32 v60, v94
	v_mov_b32_e32 v61, v95
	v_mov_b32_e32 v62, v124
	v_mov_b32_e32 v63, v8
	v_mov_b32_e32 v64, v208
	v_mov_b32_e32 v65, v209
	s_waitcnt lgkmcnt(2)
	v_pk_fma_f32 v[174:175], v[8:9], v[2:3], v[20:21] op_sel_hi:[0,1,1] neg_lo:[1,0,0] neg_hi:[1,0,0]
	v_mov_b32_e32 v96, v124
	v_mov_b32_e32 v97, v8
	scratch_store_dwordx4 off, v[46:49], off offset:384 ; 16-byte Folded Spill
	s_nop 0
	scratch_store_dwordx4 off, v[50:53], off offset:400 ; 16-byte Folded Spill
	scratch_store_dwordx4 off, v[54:57], off offset:416 ; 16-byte Folded Spill
	scratch_store_dwordx4 off, v[58:61], off offset:432 ; 16-byte Folded Spill
	scratch_store_dwordx4 off, v[62:65], off offset:448 ; 16-byte Folded Spill
	scratch_store_dwordx4 off, v[66:69], off offset:464 ; 16-byte Folded Spill
	scratch_store_dwordx4 off, v[70:73], off offset:480 ; 16-byte Folded Spill
	scratch_store_dwordx4 off, v[74:77], off offset:496 ; 16-byte Folded Spill
	s_waitcnt lgkmcnt(1)
	v_pk_fma_f32 v[148:149], v[8:9], v[4:5], v[22:23] op_sel_hi:[0,1,1] neg_lo:[1,0,0] neg_hi:[1,0,0]
	s_waitcnt lgkmcnt(0)
	v_pk_fma_f32 v[24:25], v[8:9], v[6:7], v[24:25] op_sel_hi:[0,1,1] neg_lo:[1,0,0] neg_hi:[1,0,0]
	v_mov_b32_e32 v190, v80
	v_mov_b32_e32 v191, v81
	;; [unrolled: 1-line block ×108, first 2 shown]
	scratch_store_dwordx4 off, v[80:83], off offset:640 ; 16-byte Folded Spill
	s_nop 0
	scratch_store_dwordx4 off, v[84:87], off offset:656 ; 16-byte Folded Spill
	scratch_store_dwordx4 off, v[88:91], off offset:672 ; 16-byte Folded Spill
	;; [unrolled: 1-line block ×7, first 2 shown]
	v_mov_b32_e32 v152, v208
	v_mov_b32_e32 v150, v174
	;; [unrolled: 1-line block ×15, first 2 shown]
	scratch_store_dwordx4 off, v[190:193], off offset:512 ; 16-byte Folded Spill
	s_nop 0
	scratch_store_dwordx4 off, v[194:197], off offset:528 ; 16-byte Folded Spill
	scratch_store_dwordx4 off, v[198:201], off offset:544 ; 16-byte Folded Spill
	;; [unrolled: 1-line block ×8, first 2 shown]
	s_nop 0
	scratch_store_dwordx4 off, v[194:197], off offset:272 ; 16-byte Folded Spill
	scratch_store_dwordx4 off, v[198:201], off offset:288 ; 16-byte Folded Spill
	;; [unrolled: 1-line block ×7, first 2 shown]
	v_mov_b32_e32 v86, v148
	scratch_store_dwordx4 off, v[126:129], off offset:128 ; 16-byte Folded Spill
	s_nop 0
	scratch_store_dwordx4 off, v[130:133], off offset:144 ; 16-byte Folded Spill
	scratch_store_dwordx4 off, v[134:137], off offset:160 ; 16-byte Folded Spill
	;; [unrolled: 1-line block ×7, first 2 shown]
	v_mov_b32_e32 v170, v124
	v_mov_b32_e32 v70, v124
	;; [unrolled: 1-line block ×12, first 2 shown]
	scratch_store_dwordx4 off, v[20:23], off ; 16-byte Folded Spill
	s_nop 0
	scratch_store_dwordx4 off, v[24:27], off offset:16 ; 16-byte Folded Spill
	scratch_store_dwordx4 off, v[28:31], off offset:32 ; 16-byte Folded Spill
	scratch_store_dwordx4 off, v[32:35], off offset:48 ; 16-byte Folded Spill
	scratch_store_dwordx4 off, v[36:39], off offset:64 ; 16-byte Folded Spill
	scratch_store_dwordx4 off, v[40:43], off offset:80 ; 16-byte Folded Spill
	scratch_store_dwordx4 off, v[44:47], off offset:96 ; 16-byte Folded Spill
	scratch_store_dwordx4 off, v[48:51], off offset:112 ; 16-byte Folded Spill
	v_mov_b32_e32 v87, v149
.LBB50_304:
	s_or_b64 exec, exec, s[0:1]
	v_lshl_add_u32 v45, v253, 2, v252
	s_barrier
	ds_write_b32 v45, v152
	s_waitcnt lgkmcnt(0)
	s_barrier
	ds_read_b32 v45, v252 offset:72
	s_cmp_lt_i32 s22, 20
	v_mov_b32_e32 v46, 18
	s_cbranch_scc1 .LBB50_307
; %bb.305:
	v_add_u32_e32 v47, 0x4c, v252
	v_mov_b32_e32 v46, 18
	s_mov_b32 s0, 19
.LBB50_306:                             ; =>This Inner Loop Header: Depth=1
	ds_read_b32 v48, v47
	v_mov_b32_e32 v49, s0
	s_add_i32 s0, s0, 1
	v_add_u32_e32 v47, 4, v47
	s_cmp_lg_u32 s22, s0
	s_waitcnt lgkmcnt(0)
	v_cmp_lt_f32_e64 vcc, |v45|, |v48|
	s_nop 1
	v_cndmask_b32_e32 v45, v45, v48, vcc
	v_cndmask_b32_e32 v46, v46, v49, vcc
	s_cbranch_scc1 .LBB50_306
.LBB50_307:
	s_waitcnt lgkmcnt(0)
	v_cmp_eq_f32_e32 vcc, 0, v45
	s_and_saveexec_b64 s[0:1], vcc
	s_xor_b64 s[0:1], exec, s[0:1]
; %bb.308:
	v_cmp_ne_u32_e32 vcc, 0, v106
	s_nop 1
	v_cndmask_b32_e32 v106, 19, v106, vcc
; %bb.309:
	s_andn2_saveexec_b64 s[0:1], s[0:1]
	s_cbranch_execz .LBB50_311
; %bb.310:
	v_div_scale_f32 v47, s[2:3], v45, v45, 1.0
	v_rcp_f32_e32 v48, v47
	v_div_scale_f32 v49, vcc, 1.0, v45, 1.0
	v_fma_f32 v50, -v47, v48, 1.0
	v_fmac_f32_e32 v48, v50, v48
	v_mul_f32_e32 v50, v49, v48
	v_fma_f32 v51, -v47, v50, v49
	v_fmac_f32_e32 v50, v51, v48
	v_fma_f32 v47, -v47, v50, v49
	v_div_fmas_f32 v47, v47, v48, v50
	v_div_fixup_f32 v45, v47, v45, 1.0
.LBB50_311:
	s_or_b64 exec, exec, s[0:1]
	v_cmp_ne_u32_e32 vcc, v253, v46
	s_and_saveexec_b64 s[0:1], vcc
	s_xor_b64 s[0:1], exec, s[0:1]
	s_cbranch_execz .LBB50_317
; %bb.312:
	v_cmp_eq_u32_e32 vcc, 18, v253
	s_and_saveexec_b64 s[2:3], vcc
	s_cbranch_execz .LBB50_316
; %bb.313:
	v_cmp_ne_u32_e32 vcc, 18, v46
	s_xor_b64 s[18:19], s[16:17], -1
	s_and_b64 s[20:21], s[18:19], vcc
	s_and_saveexec_b64 s[18:19], s[20:21]
	s_cbranch_execz .LBB50_315
; %bb.314:
	scratch_load_dwordx2 v[52:53], off, off offset:2952 ; 8-byte Folded Reload
	v_ashrrev_i32_e32 v47, 31, v46
	s_waitcnt vmcnt(0)
	v_lshl_add_u64 v[48:49], v[46:47], 2, v[52:53]
	global_load_dword v47, v[48:49], off
	global_load_dword v50, v[52:53], off offset:72
	s_waitcnt vmcnt(1)
	global_store_dword v[52:53], v47, off offset:72
	s_waitcnt vmcnt(1)
	global_store_dword v[48:49], v50, off
.LBB50_315:
	s_or_b64 exec, exec, s[18:19]
	v_mov_b32_e32 v47, v46
	v_mov_b32_e32 v253, v46
	scratch_store_dword off, v47, off offset:1156 ; 4-byte Folded Spill
.LBB50_316:
	s_or_b64 exec, exec, s[2:3]
.LBB50_317:
	s_andn2_saveexec_b64 s[0:1], s[0:1]
	s_cbranch_execz .LBB50_319
; %bb.318:
	ds_write2_b32 v252, v19, v20 offset0:19 offset1:20
	ds_write2_b32 v252, v21, v22 offset0:21 offset1:22
	;; [unrolled: 1-line block ×3, first 2 shown]
	scratch_load_dwordx4 v[108:111], off, off ; 16-byte Folded Reload
	scratch_load_dwordx4 v[112:115], off, off offset:16 ; 16-byte Folded Reload
	scratch_load_dwordx4 v[116:119], off, off offset:32 ; 16-byte Folded Reload
	;; [unrolled: 1-line block ×7, first 2 shown]
	v_mov_b32_e32 v253, 18
	s_waitcnt vmcnt(1)
	ds_write_b32 v252, v133 offset:100
.LBB50_319:
	s_or_b64 exec, exec, s[0:1]
	v_cmp_lt_i32_e32 vcc, 18, v253
	s_waitcnt lgkmcnt(0)
	s_barrier
	s_and_saveexec_b64 s[0:1], vcc
	s_cbranch_execz .LBB50_321
; %bb.320:
	scratch_load_dwordx4 v[46:49], off, off offset:640 ; 16-byte Folded Reload
	scratch_load_dwordx4 v[50:53], off, off offset:656 ; 16-byte Folded Reload
	;; [unrolled: 1-line block ×8, first 2 shown]
	ds_read2_b32 v[0:1], v252 offset0:19 offset1:20
	ds_read2_b32 v[4:5], v252 offset0:21 offset1:22
	;; [unrolled: 1-line block ×3, first 2 shown]
	ds_read_b32 v8, v252 offset:100
	v_mul_f32_e32 v44, v152, v45
	v_mov_b32_e32 v2, v19
	v_mov_b32_e32 v3, v20
	s_waitcnt vmcnt(9) lgkmcnt(3)
	v_pk_fma_f32 v[80:81], v[44:45], v[0:1], v[2:3] op_sel_hi:[0,1,1] neg_lo:[1,0,0] neg_hi:[1,0,0]
	v_mov_b32_e32 v0, v21
	v_mov_b32_e32 v1, v22
	s_waitcnt vmcnt(8) lgkmcnt(2)
	v_pk_fma_f32 v[82:83], v[44:45], v[4:5], v[0:1] op_sel_hi:[0,1,1] neg_lo:[1,0,0] neg_hi:[1,0,0]
	v_mov_b32_e32 v0, v23
	v_mov_b32_e32 v1, v24
	s_waitcnt lgkmcnt(1)
	v_pk_fma_f32 v[254:255], v[44:45], v[6:7], v[0:1] op_sel_hi:[0,1,1] neg_lo:[1,0,0] neg_hi:[1,0,0]
	v_mov_b32_e32 v18, v44
	v_mov_b32_e32 v19, v80
	;; [unrolled: 1-line block ×21, first 2 shown]
	s_waitcnt vmcnt(4)
	v_mov_b64_e32 v[26:27], v[46:47]
	v_mov_b64_e32 v[28:29], v[48:49]
	;; [unrolled: 1-line block ×8, first 2 shown]
	s_waitcnt vmcnt(3)
	v_mov_b64_e32 v[42:43], v[62:63]
	scratch_load_dwordx4 v[46:49], off, off ; 16-byte Folded Reload
	scratch_load_dwordx4 v[50:53], off, off offset:16 ; 16-byte Folded Reload
	scratch_load_dwordx4 v[54:57], off, off offset:32 ; 16-byte Folded Reload
	;; [unrolled: 1-line block ×7, first 2 shown]
	v_mov_b32_e32 v0, v26
	v_mov_b32_e32 v1, v27
	;; [unrolled: 1-line block ×23, first 2 shown]
	s_waitcnt vmcnt(4)
	v_mov_b32_e32 v58, v26
	v_mov_b32_e32 v59, v27
	;; [unrolled: 1-line block ×4, first 2 shown]
	s_waitcnt vmcnt(3)
	v_mov_b32_e32 v62, v30
	v_mov_b32_e32 v63, v31
	;; [unrolled: 1-line block ×16, first 2 shown]
	s_waitcnt vmcnt(2)
	v_mov_b32_e32 v66, v34
	v_mov_b32_e32 v67, v35
	;; [unrolled: 1-line block ×4, first 2 shown]
	s_waitcnt vmcnt(1)
	v_mov_b32_e32 v70, v38
	v_mov_b32_e32 v72, v40
	;; [unrolled: 1-line block ×3, first 2 shown]
	s_waitcnt vmcnt(0)
	v_mov_b32_e32 v74, v42
	v_mov_b32_e32 v75, v43
	;; [unrolled: 1-line block ×16, first 2 shown]
	s_waitcnt lgkmcnt(0)
	v_fma_f32 v25, -v44, v8, v71
	v_mov_b32_e32 v8, v34
	scratch_store_dwordx4 off, v[0:3], off offset:128 ; 16-byte Folded Spill
	s_nop 0
	scratch_store_dwordx4 off, v[4:7], off offset:144 ; 16-byte Folded Spill
	scratch_store_dwordx4 off, v[8:11], off offset:160 ; 16-byte Folded Spill
	;; [unrolled: 1-line block ×7, first 2 shown]
	v_mov_b32_e32 v71, v39
	v_mov_b32_e32 v23, v254
	;; [unrolled: 1-line block ×9, first 2 shown]
	scratch_store_dwordx4 off, v[26:29], off offset:384 ; 16-byte Folded Spill
	s_nop 0
	scratch_store_dwordx4 off, v[30:33], off offset:400 ; 16-byte Folded Spill
	scratch_store_dwordx4 off, v[34:37], off offset:416 ; 16-byte Folded Spill
	;; [unrolled: 1-line block ×8, first 2 shown]
	s_nop 0
	scratch_store_dwordx4 off, v[30:33], off offset:528 ; 16-byte Folded Spill
	scratch_store_dwordx4 off, v[34:37], off offset:544 ; 16-byte Folded Spill
	;; [unrolled: 1-line block ×7, first 2 shown]
	v_mov_b32_e32 v27, v80
	scratch_store_dwordx4 off, v[8:11], off offset:256 ; 16-byte Folded Spill
	s_nop 0
	scratch_store_dwordx4 off, v[12:15], off offset:272 ; 16-byte Folded Spill
	scratch_store_dwordx4 off, v[16:19], off offset:288 ; 16-byte Folded Spill
	;; [unrolled: 1-line block ×7, first 2 shown]
	v_mov_b64_e32 v[54:55], v[58:59]
	v_mov_b64_e32 v[56:57], v[60:61]
	v_mov_b64_e32 v[58:59], v[62:63]
	v_mov_b64_e32 v[60:61], v[64:65]
	v_mov_b64_e32 v[62:63], v[66:67]
	v_mov_b64_e32 v[64:65], v[68:69]
	v_mov_b64_e32 v[66:67], v[70:71]
	v_mov_b64_e32 v[68:69], v[72:73]
	v_mov_b64_e32 v[70:71], v[74:75]
	v_mov_b64_e32 v[72:73], v[76:77]
	v_mov_b64_e32 v[74:75], v[78:79]
	v_mov_b32_e32 v45, v25
	scratch_store_dwordx4 off, v[20:23], off ; 16-byte Folded Spill
	s_nop 0
	scratch_store_dwordx4 off, v[24:27], off offset:16 ; 16-byte Folded Spill
	scratch_store_dwordx4 off, v[28:31], off offset:32 ; 16-byte Folded Spill
	;; [unrolled: 1-line block ×7, first 2 shown]
.LBB50_321:
	s_or_b64 exec, exec, s[0:1]
	s_barrier
	scratch_load_dwordx4 v[108:111], off, off offset:256 ; 16-byte Folded Reload
	scratch_load_dwordx4 v[112:115], off, off offset:272 ; 16-byte Folded Reload
	;; [unrolled: 1-line block ×8, first 2 shown]
	v_lshl_add_u32 v45, v253, 2, v252
	s_cmp_lt_i32 s22, 21
	v_mov_b32_e32 v46, 19
	s_waitcnt vmcnt(3)
	ds_write_b32 v45, v127
	s_waitcnt lgkmcnt(0)
	s_barrier
	ds_read_b32 v45, v252 offset:76
	s_cbranch_scc1 .LBB50_324
; %bb.322:
	v_add_u32_e32 v47, 0x50, v252
	v_mov_b32_e32 v46, 19
	s_mov_b32 s0, 20
.LBB50_323:                             ; =>This Inner Loop Header: Depth=1
	ds_read_b32 v48, v47
	v_mov_b32_e32 v49, s0
	s_add_i32 s0, s0, 1
	v_add_u32_e32 v47, 4, v47
	s_cmp_lg_u32 s22, s0
	s_waitcnt lgkmcnt(0)
	v_cmp_lt_f32_e64 vcc, |v45|, |v48|
	s_nop 1
	v_cndmask_b32_e32 v45, v45, v48, vcc
	v_cndmask_b32_e32 v46, v46, v49, vcc
	s_cbranch_scc1 .LBB50_323
.LBB50_324:
	s_waitcnt lgkmcnt(0)
	v_cmp_eq_f32_e32 vcc, 0, v45
	s_and_saveexec_b64 s[0:1], vcc
	s_xor_b64 s[0:1], exec, s[0:1]
; %bb.325:
	v_cmp_ne_u32_e32 vcc, 0, v106
	s_nop 1
	v_cndmask_b32_e32 v106, 20, v106, vcc
; %bb.326:
	s_andn2_saveexec_b64 s[0:1], s[0:1]
	s_cbranch_execz .LBB50_328
; %bb.327:
	v_div_scale_f32 v47, s[2:3], v45, v45, 1.0
	v_rcp_f32_e32 v48, v47
	v_div_scale_f32 v49, vcc, 1.0, v45, 1.0
	v_fma_f32 v50, -v47, v48, 1.0
	v_fmac_f32_e32 v48, v50, v48
	v_mul_f32_e32 v50, v49, v48
	v_fma_f32 v51, -v47, v50, v49
	v_fmac_f32_e32 v50, v51, v48
	v_fma_f32 v47, -v47, v50, v49
	v_div_fmas_f32 v47, v47, v48, v50
	v_div_fixup_f32 v45, v47, v45, 1.0
.LBB50_328:
	s_or_b64 exec, exec, s[0:1]
	v_cmp_ne_u32_e32 vcc, v253, v46
	s_and_saveexec_b64 s[0:1], vcc
	s_xor_b64 s[0:1], exec, s[0:1]
	s_cbranch_execz .LBB50_334
; %bb.329:
	v_cmp_eq_u32_e32 vcc, 19, v253
	s_and_saveexec_b64 s[2:3], vcc
	s_cbranch_execz .LBB50_333
; %bb.330:
	v_cmp_ne_u32_e32 vcc, 19, v46
	s_xor_b64 s[18:19], s[16:17], -1
	s_and_b64 s[20:21], s[18:19], vcc
	s_and_saveexec_b64 s[18:19], s[20:21]
	s_cbranch_execz .LBB50_332
; %bb.331:
	scratch_load_dwordx2 v[52:53], off, off offset:2952 ; 8-byte Folded Reload
	v_ashrrev_i32_e32 v47, 31, v46
	s_waitcnt vmcnt(0)
	v_lshl_add_u64 v[48:49], v[46:47], 2, v[52:53]
	global_load_dword v47, v[48:49], off
	global_load_dword v50, v[52:53], off offset:76
	s_waitcnt vmcnt(1)
	global_store_dword v[52:53], v47, off offset:76
	s_waitcnt vmcnt(1)
	global_store_dword v[48:49], v50, off
.LBB50_332:
	s_or_b64 exec, exec, s[18:19]
	v_mov_b32_e32 v47, v46
	v_mov_b32_e32 v253, v46
	scratch_store_dword off, v47, off offset:1156 ; 4-byte Folded Spill
.LBB50_333:
	s_or_b64 exec, exec, s[2:3]
.LBB50_334:
	s_andn2_saveexec_b64 s[0:1], s[0:1]
	s_cbranch_execz .LBB50_336
; %bb.335:
	v_mov_b32_e32 v253, 19
	ds_write2_b32 v252, v20, v21 offset0:20 offset1:21
	ds_write2_b32 v252, v22, v23 offset0:22 offset1:23
	;; [unrolled: 1-line block ×3, first 2 shown]
.LBB50_336:
	s_or_b64 exec, exec, s[0:1]
	v_cmp_lt_i32_e32 vcc, 19, v253
	s_waitcnt lgkmcnt(0)
	s_barrier
	s_and_saveexec_b64 s[0:1], vcc
	s_cbranch_execz .LBB50_338
; %bb.337:
	ds_read2_b32 v[0:1], v252 offset0:20 offset1:21
	ds_read2_b32 v[2:3], v252 offset0:22 offset1:23
	;; [unrolled: 1-line block ×3, first 2 shown]
	scratch_load_dwordx4 v[46:49], off, off offset:256 ; 16-byte Folded Reload
	scratch_load_dwordx4 v[50:53], off, off offset:272 ; 16-byte Folded Reload
	;; [unrolled: 1-line block ×8, first 2 shown]
	s_waitcnt vmcnt(3)
	v_mul_f32_e32 v46, v65, v45
	scratch_load_dwordx4 v[48:51], off, off offset:512 ; 16-byte Folded Reload
	scratch_load_dwordx4 v[52:55], off, off offset:528 ; 16-byte Folded Reload
	;; [unrolled: 1-line block ×8, first 2 shown]
	s_waitcnt lgkmcnt(2)
	v_pk_fma_f32 v[174:175], v[46:47], v[0:1], v[20:21] op_sel_hi:[0,1,1] neg_lo:[1,0,0] neg_hi:[1,0,0]
	s_waitcnt lgkmcnt(1)
	v_pk_fma_f32 v[130:131], v[46:47], v[2:3], v[22:23] op_sel_hi:[0,1,1] neg_lo:[1,0,0] neg_hi:[1,0,0]
	v_mov_b32_e32 v45, v46
	v_mov_b32_e32 v127, v46
	;; [unrolled: 1-line block ×4, first 2 shown]
	s_waitcnt lgkmcnt(0)
	v_pk_fma_f32 v[24:25], v[46:47], v[4:5], v[24:25] op_sel_hi:[0,1,1] neg_lo:[1,0,0] neg_hi:[1,0,0]
	v_mov_b32_e32 v173, v46
	s_waitcnt vmcnt(1)
	v_mov_b32_e32 v73, v46
	v_mov_b32_e32 v237, v46
	;; [unrolled: 1-line block ×17, first 2 shown]
	v_mov_b64_e32 v[26:27], v[48:49]
	v_mov_b32_e32 v42, v64
	v_mov_b64_e32 v[28:29], v[50:51]
	v_mov_b64_e32 v[30:31], v[52:53]
	;; [unrolled: 1-line block ×7, first 2 shown]
	v_mov_b32_e32 v43, v65
	v_mov_b32_e32 v44, v66
	;; [unrolled: 1-line block ×97, first 2 shown]
	scratch_store_dwordx4 off, v[26:29], off offset:384 ; 16-byte Folded Spill
	s_nop 0
	scratch_store_dwordx4 off, v[30:33], off offset:400 ; 16-byte Folded Spill
	scratch_store_dwordx4 off, v[34:37], off offset:416 ; 16-byte Folded Spill
	;; [unrolled: 1-line block ×8, first 2 shown]
	s_nop 0
	scratch_store_dwordx4 off, v[112:115], off offset:144 ; 16-byte Folded Spill
	scratch_store_dwordx4 off, v[116:119], off offset:160 ; 16-byte Folded Spill
	;; [unrolled: 1-line block ×7, first 2 shown]
	v_mov_b32_e32 v27, v25
	scratch_store_dwordx4 off, v[2:5], off  ; 16-byte Folded Spill
	s_nop 0
	scratch_store_dwordx4 off, v[6:9], off offset:16 ; 16-byte Folded Spill
	scratch_store_dwordx4 off, v[10:13], off offset:32 ; 16-byte Folded Spill
	;; [unrolled: 1-line block ×7, first 2 shown]
	v_mov_b32_e32 v87, v131
.LBB50_338:
	s_or_b64 exec, exec, s[0:1]
	v_lshl_add_u32 v26, v253, 2, v252
	s_barrier
	ds_write_b32 v26, v150
	s_waitcnt lgkmcnt(0)
	s_barrier
	ds_read_b32 v28, v252 offset:80
	s_cmp_lt_i32 s22, 22
	v_mov_b32_e32 v26, 20
	s_cbranch_scc1 .LBB50_341
; %bb.339:
	v_add_u32_e32 v27, 0x54, v252
	v_mov_b32_e32 v26, 20
	s_mov_b32 s0, 21
.LBB50_340:                             ; =>This Inner Loop Header: Depth=1
	ds_read_b32 v29, v27
	v_mov_b32_e32 v30, s0
	s_add_i32 s0, s0, 1
	v_add_u32_e32 v27, 4, v27
	s_cmp_lg_u32 s22, s0
	s_waitcnt lgkmcnt(0)
	v_cmp_lt_f32_e64 vcc, |v28|, |v29|
	s_nop 1
	v_cndmask_b32_e32 v28, v28, v29, vcc
	v_cndmask_b32_e32 v26, v26, v30, vcc
	s_cbranch_scc1 .LBB50_340
.LBB50_341:
	s_waitcnt lgkmcnt(0)
	v_cmp_eq_f32_e32 vcc, 0, v28
	s_and_saveexec_b64 s[0:1], vcc
	s_xor_b64 s[0:1], exec, s[0:1]
; %bb.342:
	v_cmp_ne_u32_e32 vcc, 0, v106
	s_nop 1
	v_cndmask_b32_e32 v106, 21, v106, vcc
; %bb.343:
	s_andn2_saveexec_b64 s[0:1], s[0:1]
	s_cbranch_execz .LBB50_345
; %bb.344:
	v_div_scale_f32 v27, s[2:3], v28, v28, 1.0
	v_rcp_f32_e32 v29, v27
	v_div_scale_f32 v30, vcc, 1.0, v28, 1.0
	v_fma_f32 v31, -v27, v29, 1.0
	v_fmac_f32_e32 v29, v31, v29
	v_mul_f32_e32 v31, v30, v29
	v_fma_f32 v32, -v27, v31, v30
	v_fmac_f32_e32 v31, v32, v29
	v_fma_f32 v27, -v27, v31, v30
	v_div_fmas_f32 v27, v27, v29, v31
	v_div_fixup_f32 v28, v27, v28, 1.0
.LBB50_345:
	s_or_b64 exec, exec, s[0:1]
	v_cmp_ne_u32_e32 vcc, v253, v26
	s_and_saveexec_b64 s[0:1], vcc
	s_xor_b64 s[0:1], exec, s[0:1]
	s_cbranch_execz .LBB50_351
; %bb.346:
	v_cmp_eq_u32_e32 vcc, 20, v253
	s_and_saveexec_b64 s[2:3], vcc
	s_cbranch_execz .LBB50_350
; %bb.347:
	v_cmp_ne_u32_e32 vcc, 20, v26
	s_xor_b64 s[18:19], s[16:17], -1
	s_and_b64 s[20:21], s[18:19], vcc
	s_and_saveexec_b64 s[18:19], s[20:21]
	s_cbranch_execz .LBB50_349
; %bb.348:
	scratch_load_dwordx2 v[32:33], off, off offset:2952 ; 8-byte Folded Reload
	v_ashrrev_i32_e32 v27, 31, v26
	s_waitcnt vmcnt(0)
	v_lshl_add_u64 v[30:31], v[26:27], 2, v[32:33]
	global_load_dword v27, v[30:31], off
	global_load_dword v29, v[32:33], off offset:80
	s_waitcnt vmcnt(1)
	global_store_dword v[32:33], v27, off offset:80
	s_waitcnt vmcnt(1)
	global_store_dword v[30:31], v29, off
.LBB50_349:
	s_or_b64 exec, exec, s[18:19]
	v_mov_b32_e32 v27, v26
	v_mov_b32_e32 v253, v26
	scratch_store_dword off, v27, off offset:1156 ; 4-byte Folded Spill
.LBB50_350:
	s_or_b64 exec, exec, s[2:3]
.LBB50_351:
	s_andn2_saveexec_b64 s[0:1], s[0:1]
	s_cbranch_execz .LBB50_353
; %bb.352:
	ds_write2_b32 v252, v21, v22 offset0:21 offset1:22
	ds_write2_b32 v252, v23, v24 offset0:23 offset1:24
	scratch_load_dwordx4 v[108:111], off, off ; 16-byte Folded Reload
	scratch_load_dwordx4 v[112:115], off, off offset:16 ; 16-byte Folded Reload
	scratch_load_dwordx4 v[116:119], off, off offset:32 ; 16-byte Folded Reload
	scratch_load_dwordx4 v[120:123], off, off offset:48 ; 16-byte Folded Reload
	scratch_load_dwordx4 v[124:127], off, off offset:64 ; 16-byte Folded Reload
	scratch_load_dwordx4 v[128:131], off, off offset:80 ; 16-byte Folded Reload
	scratch_load_dwordx4 v[132:135], off, off offset:96 ; 16-byte Folded Reload
	scratch_load_dwordx4 v[136:139], off, off offset:112 ; 16-byte Folded Reload
	v_mov_b32_e32 v253, 20
	s_waitcnt vmcnt(1)
	ds_write_b32 v252, v133 offset:100
.LBB50_353:
	s_or_b64 exec, exec, s[0:1]
	v_mov_b64_e32 v[122:123], v[14:15]
	s_waitcnt vmcnt(1)
	v_mov_b64_e32 v[132:133], v[24:25]
	v_mov_b64_e32 v[120:121], v[12:13]
	;; [unrolled: 1-line block ×12, first 2 shown]
	v_cmp_lt_i32_e32 vcc, 20, v253
	s_waitcnt lgkmcnt(0)
	s_barrier
	s_and_saveexec_b64 s[0:1], vcc
	s_cbranch_execz .LBB50_355
; %bb.354:
	scratch_load_dwordx4 v[154:157], off, off offset:384 ; 16-byte Folded Reload
	scratch_load_dwordx4 v[158:161], off, off offset:400 ; 16-byte Folded Reload
	;; [unrolled: 1-line block ×8, first 2 shown]
	s_waitcnt vmcnt(2)
	v_mul_f32_e32 v174, v150, v28
	ds_read2_b32 v[0:1], v252 offset0:21 offset1:22
	ds_read2_b32 v[4:5], v252 offset0:23 offset1:24
	ds_read_b32 v6, v252 offset:100
	scratch_load_dwordx4 v[28:31], off, off ; 16-byte Folded Reload
	scratch_load_dwordx4 v[32:35], off, off offset:16 ; 16-byte Folded Reload
	scratch_load_dwordx4 v[36:39], off, off offset:32 ; 16-byte Folded Reload
	;; [unrolled: 1-line block ×7, first 2 shown]
	v_mov_b32_e32 v2, v129
	v_mov_b32_e32 v3, v130
	;; [unrolled: 1-line block ×10, first 2 shown]
	s_waitcnt lgkmcnt(2)
	v_pk_fma_f32 v[26:27], v[174:175], v[0:1], v[2:3] op_sel_hi:[0,1,1] neg_lo:[1,0,0] neg_hi:[1,0,0]
	v_mov_b32_e32 v0, v131
	v_mov_b32_e32 v1, v132
	s_waitcnt lgkmcnt(1)
	v_pk_fma_f32 v[254:255], v[174:175], v[4:5], v[0:1] op_sel_hi:[0,1,1] neg_lo:[1,0,0] neg_hi:[1,0,0]
	v_mov_b32_e32 v0, v154
	s_waitcnt vmcnt(1) lgkmcnt(0)
	v_fma_f32 v141, -v174, v6, v53
	v_mov_b32_e32 v1, v155
	v_mov_b32_e32 v2, v156
	;; [unrolled: 1-line block ×18, first 2 shown]
	scratch_store_dwordx4 off, v[0:3], off offset:128 ; 16-byte Folded Spill
	s_nop 0
	scratch_store_dwordx4 off, v[4:7], off offset:144 ; 16-byte Folded Spill
	scratch_store_dwordx4 off, v[8:11], off offset:160 ; 16-byte Folded Spill
	;; [unrolled: 1-line block ×7, first 2 shown]
	v_mov_b32_e32 v117, v155
	v_mov_b32_e32 v118, v156
	;; [unrolled: 1-line block ×17, first 2 shown]
	v_mov_b64_e32 v[108:109], v[116:117]
	v_mov_b32_e32 v134, v172
	v_mov_b32_e32 v135, v173
	;; [unrolled: 1-line block ×4, first 2 shown]
	s_waitcnt vmcnt(8)
	v_mov_b64_e32 v[54:55], v[154:155]
	v_mov_b64_e32 v[110:111], v[118:119]
	;; [unrolled: 1-line block ×8, first 2 shown]
	v_mov_b32_e32 v218, v154
	v_mov_b32_e32 v219, v155
	;; [unrolled: 1-line block ×21, first 2 shown]
	v_mov_b64_e32 v[56:57], v[156:157]
	v_mov_b64_e32 v[58:59], v[158:159]
	;; [unrolled: 1-line block ×15, first 2 shown]
	v_mov_b32_e32 v87, v254
	v_mov_b32_e32 v137, v26
	v_mov_b32_e32 v138, v27
	v_mov_b64_e32 v[124:125], v[132:133]
	v_mov_b32_e32 v239, v26
	v_mov_b32_e32 v240, v27
	;; [unrolled: 1-line block ×4, first 2 shown]
	v_mov_b64_e32 v[126:127], v[134:135]
	v_mov_b64_e32 v[128:129], v[136:137]
	;; [unrolled: 1-line block ×4, first 2 shown]
	scratch_store_dwordx4 off, v[116:119], off ; 16-byte Folded Spill
	s_nop 0
	scratch_store_dwordx4 off, v[120:123], off offset:16 ; 16-byte Folded Spill
	scratch_store_dwordx4 off, v[124:127], off offset:32 ; 16-byte Folded Spill
	;; [unrolled: 1-line block ×7, first 2 shown]
.LBB50_355:
	s_or_b64 exec, exec, s[0:1]
	v_lshl_add_u32 v26, v253, 2, v252
	s_barrier
	ds_write_b32 v26, v151
	s_waitcnt lgkmcnt(0)
	s_barrier
	ds_read_b32 v28, v252 offset:84
	s_cmp_lt_i32 s22, 23
	v_mov_b32_e32 v26, 21
	s_cbranch_scc1 .LBB50_358
; %bb.356:
	v_add_u32_e32 v27, 0x58, v252
	v_mov_b32_e32 v26, 21
	s_mov_b32 s0, 22
.LBB50_357:                             ; =>This Inner Loop Header: Depth=1
	ds_read_b32 v29, v27
	v_mov_b32_e32 v30, s0
	s_add_i32 s0, s0, 1
	v_add_u32_e32 v27, 4, v27
	s_cmp_lg_u32 s22, s0
	s_waitcnt lgkmcnt(0)
	v_cmp_lt_f32_e64 vcc, |v28|, |v29|
	s_nop 1
	v_cndmask_b32_e32 v28, v28, v29, vcc
	v_cndmask_b32_e32 v26, v26, v30, vcc
	s_cbranch_scc1 .LBB50_357
.LBB50_358:
	s_waitcnt lgkmcnt(0)
	v_cmp_eq_f32_e32 vcc, 0, v28
	s_and_saveexec_b64 s[0:1], vcc
	s_xor_b64 s[0:1], exec, s[0:1]
; %bb.359:
	v_cmp_ne_u32_e32 vcc, 0, v106
	s_nop 1
	v_cndmask_b32_e32 v106, 22, v106, vcc
; %bb.360:
	s_andn2_saveexec_b64 s[0:1], s[0:1]
	s_cbranch_execz .LBB50_362
; %bb.361:
	v_div_scale_f32 v27, s[2:3], v28, v28, 1.0
	v_rcp_f32_e32 v29, v27
	v_div_scale_f32 v30, vcc, 1.0, v28, 1.0
	v_fma_f32 v31, -v27, v29, 1.0
	v_fmac_f32_e32 v29, v31, v29
	v_mul_f32_e32 v31, v30, v29
	v_fma_f32 v32, -v27, v31, v30
	v_fmac_f32_e32 v31, v32, v29
	v_fma_f32 v27, -v27, v31, v30
	v_div_fmas_f32 v27, v27, v29, v31
	v_div_fixup_f32 v28, v27, v28, 1.0
.LBB50_362:
	s_or_b64 exec, exec, s[0:1]
	v_cmp_ne_u32_e32 vcc, v253, v26
	s_and_saveexec_b64 s[0:1], vcc
	s_xor_b64 s[0:1], exec, s[0:1]
	s_cbranch_execz .LBB50_368
; %bb.363:
	v_cmp_eq_u32_e32 vcc, 21, v253
	s_and_saveexec_b64 s[2:3], vcc
	s_cbranch_execz .LBB50_367
; %bb.364:
	v_cmp_ne_u32_e32 vcc, 21, v26
	s_xor_b64 s[18:19], s[16:17], -1
	s_and_b64 s[20:21], s[18:19], vcc
	s_and_saveexec_b64 s[18:19], s[20:21]
	s_cbranch_execz .LBB50_366
; %bb.365:
	scratch_load_dwordx2 v[32:33], off, off offset:2952 ; 8-byte Folded Reload
	v_ashrrev_i32_e32 v27, 31, v26
	s_waitcnt vmcnt(0)
	v_lshl_add_u64 v[30:31], v[26:27], 2, v[32:33]
	global_load_dword v27, v[30:31], off
	global_load_dword v29, v[32:33], off offset:84
	s_waitcnt vmcnt(1)
	global_store_dword v[32:33], v27, off offset:84
	s_waitcnt vmcnt(1)
	global_store_dword v[30:31], v29, off
.LBB50_366:
	s_or_b64 exec, exec, s[18:19]
	v_mov_b32_e32 v27, v26
	v_mov_b32_e32 v253, v26
	scratch_store_dword off, v27, off offset:1156 ; 4-byte Folded Spill
.LBB50_367:
	s_or_b64 exec, exec, s[2:3]
.LBB50_368:
	s_andn2_saveexec_b64 s[0:1], s[0:1]
	s_cbranch_execz .LBB50_370
; %bb.369:
	v_mov_b64_e32 v[16:17], v[124:125]
	v_mov_b64_e32 v[22:23], v[130:131]
	v_mov_b32_e32 v253, 21
	v_mov_b64_e32 v[18:19], v[126:127]
	v_mov_b64_e32 v[20:21], v[128:129]
	;; [unrolled: 1-line block ×3, first 2 shown]
	ds_write2_b32 v252, v22, v23 offset0:22 offset1:23
	ds_write2_b32 v252, v24, v25 offset0:24 offset1:25
.LBB50_370:
	s_or_b64 exec, exec, s[0:1]
	v_cmp_lt_i32_e32 vcc, 21, v253
	s_waitcnt lgkmcnt(0)
	s_barrier
	s_and_saveexec_b64 s[0:1], vcc
	s_cbranch_execz .LBB50_372
; %bb.371:
	ds_read2_b32 v[0:1], v252 offset0:22 offset1:23
	ds_read2_b32 v[6:7], v252 offset0:24 offset1:25
	v_mul_f32_e32 v2, v151, v28
	v_mov_b32_e32 v4, v130
	v_mov_b32_e32 v5, v131
	s_waitcnt lgkmcnt(1)
	v_pk_fma_f32 v[208:209], v[2:3], v[0:1], v[4:5] op_sel_hi:[0,1,1] neg_lo:[1,0,0] neg_hi:[1,0,0]
	v_mov_b32_e32 v0, v132
	v_mov_b32_e32 v1, v133
	s_waitcnt lgkmcnt(0)
	v_pk_fma_f32 v[28:29], v[2:3], v[6:7], v[0:1] op_sel_hi:[0,1,1] neg_lo:[1,0,0] neg_hi:[1,0,0]
	v_mov_b32_e32 v186, v154
	v_mov_b32_e32 v187, v155
	v_mov_b32_e32 v188, v156
	v_mov_b32_e32 v189, v157
	v_mov_b32_e32 v190, v158
	v_mov_b32_e32 v191, v159
	v_mov_b32_e32 v192, v160
	v_mov_b32_e32 v193, v161
	v_mov_b32_e32 v194, v162
	v_mov_b32_e32 v195, v163
	v_mov_b32_e32 v196, v164
	v_mov_b32_e32 v197, v165
	v_mov_b32_e32 v198, v166
	v_mov_b32_e32 v199, v167
	v_mov_b32_e32 v200, v168
	v_mov_b32_e32 v201, v169
	v_mov_b32_e32 v202, v170
	v_mov_b32_e32 v203, v171
	v_mov_b32_e32 v204, v172
	v_mov_b32_e32 v205, v173
	v_mov_b32_e32 v206, v174
	v_mov_b32_e32 v207, v2
	v_mov_b32_e32 v4, v154
	v_mov_b32_e32 v5, v155
	v_mov_b32_e32 v6, v156
	v_mov_b32_e32 v7, v157
	v_mov_b32_e32 v8, v158
	v_mov_b32_e32 v9, v159
	v_mov_b32_e32 v10, v160
	v_mov_b32_e32 v11, v161
	v_mov_b32_e32 v12, v162
	v_mov_b32_e32 v13, v163
	v_mov_b32_e32 v14, v164
	v_mov_b32_e32 v15, v165
	v_mov_b32_e32 v16, v166
	v_mov_b32_e32 v17, v167
	v_mov_b32_e32 v18, v168
	v_mov_b32_e32 v19, v169
	v_mov_b32_e32 v20, v170
	v_mov_b32_e32 v21, v171
	v_mov_b32_e32 v22, v172
	v_mov_b32_e32 v23, v173
	v_mov_b32_e32 v24, v174
	v_mov_b32_e32 v25, v2
	v_mov_b32_e32 v26, v208
	v_mov_b32_e32 v27, v209
	s_waitcnt vmcnt(0)
	v_mov_b64_e32 v[138:139], v[34:35]
	v_mov_b32_e32 v240, v208
	v_mov_b32_e32 v241, v209
	v_mov_b64_e32 v[136:137], v[32:33]
	v_mov_b64_e32 v[134:135], v[30:31]
	;; [unrolled: 1-line block ×15, first 2 shown]
	v_mov_b32_e32 v86, v208
	scratch_store_dwordx4 off, v[186:189], off offset:128 ; 16-byte Folded Spill
	s_nop 0
	scratch_store_dwordx4 off, v[190:193], off offset:144 ; 16-byte Folded Spill
	scratch_store_dwordx4 off, v[194:197], off offset:160 ; 16-byte Folded Spill
	;; [unrolled: 1-line block ×7, first 2 shown]
	scratch_store_dwordx4 off, v[4:7], off  ; 16-byte Folded Spill
	s_nop 0
	scratch_store_dwordx4 off, v[8:11], off offset:16 ; 16-byte Folded Spill
	scratch_store_dwordx4 off, v[12:15], off offset:32 ; 16-byte Folded Spill
	;; [unrolled: 1-line block ×7, first 2 shown]
	v_mov_b32_e32 v175, v2
	v_mov_b64_e32 v[54:55], v[154:155]
	v_mov_b32_e32 v218, v154
	v_mov_b32_e32 v219, v155
	;; [unrolled: 1-line block ×22, first 2 shown]
	v_mov_b64_e32 v[56:57], v[156:157]
	v_mov_b64_e32 v[58:59], v[158:159]
	;; [unrolled: 1-line block ×15, first 2 shown]
	v_mov_b32_e32 v87, v209
	v_mov_b32_e32 v255, v28
.LBB50_372:
	s_or_b64 exec, exec, s[0:1]
	v_lshl_add_u32 v26, v253, 2, v252
	s_barrier
	ds_write_b32 v26, v86
	s_waitcnt lgkmcnt(0)
	s_barrier
	ds_read_b32 v28, v252 offset:88
	s_cmp_lt_i32 s22, 24
	v_mov_b32_e32 v26, 22
	s_cbranch_scc1 .LBB50_447
; %bb.373:
	v_mov_b64_e32 v[0:1], v[108:109]
	v_mov_b64_e32 v[16:17], v[124:125]
	v_add_u32_e32 v27, 0x5c, v252
	v_mov_b32_e32 v26, 22
	s_mov_b32 s0, 23
	v_mov_b64_e32 v[2:3], v[110:111]
	v_mov_b64_e32 v[4:5], v[112:113]
	;; [unrolled: 1-line block ×11, first 2 shown]
.LBB50_374:                             ; =>This Inner Loop Header: Depth=1
	ds_read_b32 v29, v27
	v_mov_b32_e32 v30, s0
	s_add_i32 s0, s0, 1
	v_add_u32_e32 v27, 4, v27
	s_cmp_lg_u32 s22, s0
	s_waitcnt lgkmcnt(0)
	v_cmp_lt_f32_e64 vcc, |v28|, |v29|
	s_nop 1
	v_cndmask_b32_e32 v28, v28, v29, vcc
	v_cndmask_b32_e32 v26, v26, v30, vcc
	s_cbranch_scc1 .LBB50_374
; %bb.375:
	v_cmp_eq_f32_e32 vcc, 0, v28
	s_and_saveexec_b64 s[0:1], vcc
	s_xor_b64 s[0:1], exec, s[0:1]
.LBB50_376:
	v_cmp_ne_u32_e32 vcc, 0, v106
	s_nop 1
	v_cndmask_b32_e32 v106, 23, v106, vcc
.LBB50_377:
	s_andn2_saveexec_b64 s[0:1], s[0:1]
	s_cbranch_execz .LBB50_379
; %bb.378:
	v_div_scale_f32 v27, s[2:3], v28, v28, 1.0
	v_rcp_f32_e32 v29, v27
	v_div_scale_f32 v30, vcc, 1.0, v28, 1.0
	v_fma_f32 v31, -v27, v29, 1.0
	v_fmac_f32_e32 v29, v31, v29
	v_mul_f32_e32 v31, v30, v29
	v_fma_f32 v32, -v27, v31, v30
	v_fmac_f32_e32 v31, v32, v29
	v_fma_f32 v27, -v27, v31, v30
	v_div_fmas_f32 v27, v27, v29, v31
	v_div_fixup_f32 v28, v27, v28, 1.0
.LBB50_379:
	s_or_b64 exec, exec, s[0:1]
	v_cmp_ne_u32_e32 vcc, v253, v26
	s_and_saveexec_b64 s[0:1], vcc
	s_xor_b64 s[0:1], exec, s[0:1]
	s_cbranch_execz .LBB50_385
; %bb.380:
	v_cmp_eq_u32_e32 vcc, 22, v253
	s_and_saveexec_b64 s[2:3], vcc
	s_cbranch_execz .LBB50_384
; %bb.381:
	v_cmp_ne_u32_e32 vcc, 22, v26
	s_xor_b64 s[18:19], s[16:17], -1
	s_and_b64 s[20:21], s[18:19], vcc
	s_and_saveexec_b64 s[18:19], s[20:21]
	s_cbranch_execz .LBB50_383
; %bb.382:
	scratch_load_dwordx2 v[32:33], off, off offset:2952 ; 8-byte Folded Reload
	v_ashrrev_i32_e32 v27, 31, v26
	s_waitcnt vmcnt(0)
	v_lshl_add_u64 v[30:31], v[26:27], 2, v[32:33]
	global_load_dword v27, v[30:31], off
	global_load_dword v29, v[32:33], off offset:88
	s_waitcnt vmcnt(1)
	global_store_dword v[32:33], v27, off offset:88
	s_waitcnt vmcnt(1)
	global_store_dword v[30:31], v29, off
.LBB50_383:
	s_or_b64 exec, exec, s[18:19]
	v_mov_b32_e32 v27, v26
	v_mov_b32_e32 v253, v26
	scratch_store_dword off, v27, off offset:1156 ; 4-byte Folded Spill
.LBB50_384:
	s_or_b64 exec, exec, s[2:3]
.LBB50_385:
	s_andn2_saveexec_b64 s[0:1], s[0:1]
	s_cbranch_execz .LBB50_387
; %bb.386:
	ds_write2_b32 v252, v23, v24 offset0:23 offset1:24
	scratch_load_dwordx4 v[108:111], off, off ; 16-byte Folded Reload
	scratch_load_dwordx4 v[112:115], off, off offset:16 ; 16-byte Folded Reload
	scratch_load_dwordx4 v[116:119], off, off offset:32 ; 16-byte Folded Reload
	;; [unrolled: 1-line block ×7, first 2 shown]
	v_mov_b32_e32 v253, 22
	s_waitcnt vmcnt(1)
	ds_write_b32 v252, v133 offset:100
.LBB50_387:
	s_or_b64 exec, exec, s[0:1]
	v_cmp_lt_i32_e32 vcc, 22, v253
	s_waitcnt lgkmcnt(0)
	s_barrier
	s_and_saveexec_b64 s[0:1], vcc
	s_cbranch_execz .LBB50_389
; %bb.388:
	ds_read2_b32 v[0:1], v252 offset0:23 offset1:24
	ds_read_b32 v4, v252 offset:100
	v_mul_f32_e32 v76, v86, v28
	v_mov_b32_e32 v3, v24
	v_mov_b32_e32 v2, v23
	scratch_load_dwordx4 v[6:9], off, off   ; 16-byte Folded Reload
	scratch_load_dwordx4 v[10:13], off, off offset:16 ; 16-byte Folded Reload
	scratch_load_dwordx4 v[14:17], off, off offset:32 ; 16-byte Folded Reload
	;; [unrolled: 1-line block ×7, first 2 shown]
	s_waitcnt lgkmcnt(1)
	v_pk_fma_f32 v[254:255], v[76:77], v[0:1], v[2:3] op_sel_hi:[0,1,1] neg_lo:[1,0,0] neg_hi:[1,0,0]
	v_mov_b32_e32 v77, v254
	v_mov_b64_e32 v[248:249], v[84:85]
	v_mov_b32_e32 v0, v54
	v_mov_b32_e32 v1, v55
	v_mov_b32_e32 v2, v56
	v_mov_b32_e32 v3, v57
	v_mov_b32_e32 v5, v59
	s_waitcnt vmcnt(7)
	v_mov_b32_e32 v6, v60
	v_mov_b32_e32 v7, v61
	v_mov_b32_e32 v8, v62
	v_mov_b32_e32 v9, v63
	s_waitcnt vmcnt(6)
	v_mov_b32_e32 v10, v64
	v_mov_b32_e32 v11, v65
	v_mov_b32_e32 v12, v66
	v_mov_b32_e32 v13, v67
	;; [unrolled: 5-line block ×4, first 2 shown]
	s_waitcnt vmcnt(3)
	v_mov_b32_e32 v22, v76
	v_mov_b32_e32 v23, v254
	;; [unrolled: 1-line block ×3, first 2 shown]
	v_mov_b64_e32 v[246:247], v[82:83]
	v_mov_b64_e32 v[244:245], v[80:81]
	;; [unrolled: 1-line block ×14, first 2 shown]
	v_mov_b32_e32 v87, v254
	v_mov_b64_e32 v[242:243], v[78:79]
	s_waitcnt vmcnt(1)
	v_mov_b32_e32 v25, v31
	s_waitcnt lgkmcnt(0)
	v_fma_f32 v25, -v76, v4, v25
	v_mov_b32_e32 v4, v58
	v_mov_b32_e32 v27, v25
	scratch_store_dwordx4 off, v[2:5], off  ; 16-byte Folded Spill
	s_nop 0
	scratch_store_dwordx4 off, v[6:9], off offset:16 ; 16-byte Folded Spill
	scratch_store_dwordx4 off, v[10:13], off offset:32 ; 16-byte Folded Spill
	;; [unrolled: 1-line block ×8, first 2 shown]
	s_nop 0
	scratch_store_dwordx4 off, v[58:61], off offset:144 ; 16-byte Folded Spill
	scratch_store_dwordx4 off, v[62:65], off offset:160 ; 16-byte Folded Spill
	;; [unrolled: 1-line block ×7, first 2 shown]
.LBB50_389:
	s_or_b64 exec, exec, s[0:1]
	v_lshl_add_u32 v26, v253, 2, v252
	s_barrier
	ds_write_b32 v26, v87
	s_waitcnt lgkmcnt(0)
	s_barrier
	ds_read_b32 v28, v252 offset:92
	s_cmp_lt_i32 s22, 25
	v_mov_b32_e32 v26, 23
	s_cbranch_scc1 .LBB50_392
; %bb.390:
	v_add_u32_e32 v27, 0x60, v252
	v_mov_b32_e32 v26, 23
	s_mov_b32 s0, 24
.LBB50_391:                             ; =>This Inner Loop Header: Depth=1
	ds_read_b32 v29, v27
	v_mov_b32_e32 v30, s0
	s_add_i32 s0, s0, 1
	v_add_u32_e32 v27, 4, v27
	s_cmp_lg_u32 s22, s0
	s_waitcnt lgkmcnt(0)
	v_cmp_lt_f32_e64 vcc, |v28|, |v29|
	s_nop 1
	v_cndmask_b32_e32 v28, v28, v29, vcc
	v_cndmask_b32_e32 v26, v26, v30, vcc
	s_cbranch_scc1 .LBB50_391
.LBB50_392:
	s_waitcnt lgkmcnt(0)
	v_cmp_eq_f32_e32 vcc, 0, v28
	s_and_saveexec_b64 s[0:1], vcc
	s_xor_b64 s[0:1], exec, s[0:1]
; %bb.393:
	v_cmp_ne_u32_e32 vcc, 0, v106
	s_nop 1
	v_cndmask_b32_e32 v106, 24, v106, vcc
; %bb.394:
	s_andn2_saveexec_b64 s[0:1], s[0:1]
	s_cbranch_execz .LBB50_396
; %bb.395:
	v_div_scale_f32 v27, s[2:3], v28, v28, 1.0
	v_rcp_f32_e32 v29, v27
	v_div_scale_f32 v30, vcc, 1.0, v28, 1.0
	v_fma_f32 v31, -v27, v29, 1.0
	v_fmac_f32_e32 v29, v31, v29
	v_mul_f32_e32 v31, v30, v29
	v_fma_f32 v32, -v27, v31, v30
	v_fmac_f32_e32 v31, v32, v29
	v_fma_f32 v27, -v27, v31, v30
	v_div_fmas_f32 v27, v27, v29, v31
	v_div_fixup_f32 v28, v27, v28, 1.0
.LBB50_396:
	s_or_b64 exec, exec, s[0:1]
	v_cmp_ne_u32_e32 vcc, v253, v26
	s_and_saveexec_b64 s[0:1], vcc
	s_xor_b64 s[0:1], exec, s[0:1]
	s_cbranch_execz .LBB50_402
; %bb.397:
	v_cmp_eq_u32_e32 vcc, 23, v253
	s_and_saveexec_b64 s[2:3], vcc
	s_cbranch_execz .LBB50_401
; %bb.398:
	v_cmp_ne_u32_e32 vcc, 23, v26
	s_xor_b64 s[18:19], s[16:17], -1
	s_and_b64 s[20:21], s[18:19], vcc
	s_and_saveexec_b64 s[18:19], s[20:21]
	s_cbranch_execz .LBB50_400
; %bb.399:
	scratch_load_dwordx2 v[32:33], off, off offset:2952 ; 8-byte Folded Reload
	v_ashrrev_i32_e32 v27, 31, v26
	s_waitcnt vmcnt(0)
	v_lshl_add_u64 v[30:31], v[26:27], 2, v[32:33]
	global_load_dword v27, v[30:31], off
	global_load_dword v29, v[32:33], off offset:92
	s_waitcnt vmcnt(1)
	global_store_dword v[32:33], v27, off offset:92
	s_waitcnt vmcnt(1)
	global_store_dword v[30:31], v29, off
.LBB50_400:
	s_or_b64 exec, exec, s[18:19]
	v_mov_b32_e32 v27, v26
	v_mov_b32_e32 v253, v26
	scratch_store_dword off, v27, off offset:1156 ; 4-byte Folded Spill
.LBB50_401:
	s_or_b64 exec, exec, s[2:3]
.LBB50_402:
	s_andn2_saveexec_b64 s[0:1], s[0:1]
; %bb.403:
	v_mov_b32_e32 v253, 23
	ds_write2_b32 v252, v24, v25 offset0:24 offset1:25
; %bb.404:
	s_or_b64 exec, exec, s[0:1]
	v_cmp_lt_i32_e32 vcc, 23, v253
	s_waitcnt lgkmcnt(0)
	s_barrier
	s_and_saveexec_b64 s[0:1], vcc
	s_cbranch_execz .LBB50_406
; %bb.405:
	ds_read2_b32 v[0:1], v252 offset0:24 offset1:25
	scratch_load_dwordx4 v[218:221], off, off offset:128 ; 16-byte Folded Reload
	scratch_load_dwordx4 v[222:225], off, off offset:144 ; 16-byte Folded Reload
	;; [unrolled: 1-line block ×8, first 2 shown]
	v_mul_f32_e32 v2, v87, v28
	v_mov_b32_e32 v4, v24
	v_mov_b32_e32 v5, v25
	;; [unrolled: 1-line block ×3, first 2 shown]
	s_waitcnt vmcnt(2)
	v_mov_b32_e32 v241, v2
	s_waitcnt lgkmcnt(0)
	v_pk_fma_f32 v[32:33], v[2:3], v[0:1], v[4:5] op_sel_hi:[0,1,1] neg_lo:[1,0,0] neg_hi:[1,0,0]
	v_mov_b32_e32 v8, v218
	v_mov_b32_e32 v9, v219
	v_mov_b32_e32 v10, v220
	v_mov_b32_e32 v11, v221
	v_mov_b32_e32 v12, v222
	v_mov_b32_e32 v13, v223
	v_mov_b32_e32 v14, v224
	v_mov_b32_e32 v15, v225
	v_mov_b32_e32 v16, v226
	v_mov_b32_e32 v17, v227
	v_mov_b32_e32 v18, v228
	v_mov_b32_e32 v19, v229
	v_mov_b32_e32 v20, v230
	v_mov_b32_e32 v21, v231
	v_mov_b32_e32 v22, v232
	v_mov_b32_e32 v23, v233
	v_mov_b32_e32 v24, v234
	v_mov_b32_e32 v25, v235
	v_mov_b32_e32 v26, v236
	v_mov_b32_e32 v27, v237
	v_mov_b32_e32 v28, v238
	v_mov_b32_e32 v29, v239
	v_mov_b32_e32 v30, v240
	v_mov_b64_e32 v[0:1], v[8:9]
	v_mov_b64_e32 v[2:3], v[10:11]
	;; [unrolled: 1-line block ×16, first 2 shown]
	scratch_store_dwordx4 off, v[8:11], off ; 16-byte Folded Spill
	s_nop 0
	scratch_store_dwordx4 off, v[12:15], off offset:16 ; 16-byte Folded Spill
	scratch_store_dwordx4 off, v[16:19], off offset:32 ; 16-byte Folded Spill
	;; [unrolled: 1-line block ×7, first 2 shown]
	v_mov_b32_e32 v255, v32
.LBB50_406:
	s_or_b64 exec, exec, s[0:1]
	v_lshl_add_u32 v26, v253, 2, v252
	s_barrier
	ds_write_b32 v26, v255
	s_waitcnt lgkmcnt(0)
	s_barrier
	ds_read_b32 v28, v252 offset:96
	s_cmp_lt_i32 s22, 26
	v_mov_b32_e32 v26, 24
	s_cbranch_scc1 .LBB50_409
; %bb.407:
	v_add_u32_e32 v27, 0x64, v252
	v_mov_b32_e32 v26, 24
	s_mov_b32 s0, 25
.LBB50_408:                             ; =>This Inner Loop Header: Depth=1
	ds_read_b32 v29, v27
	v_mov_b32_e32 v30, s0
	s_add_i32 s0, s0, 1
	v_add_u32_e32 v27, 4, v27
	s_cmp_lg_u32 s22, s0
	s_waitcnt lgkmcnt(0)
	v_cmp_lt_f32_e64 vcc, |v28|, |v29|
	s_nop 1
	v_cndmask_b32_e32 v28, v28, v29, vcc
	v_cndmask_b32_e32 v26, v26, v30, vcc
	s_cbranch_scc1 .LBB50_408
.LBB50_409:
	s_waitcnt lgkmcnt(0)
	v_cmp_eq_f32_e32 vcc, 0, v28
	s_and_saveexec_b64 s[0:1], vcc
	s_xor_b64 s[0:1], exec, s[0:1]
; %bb.410:
	v_cmp_ne_u32_e32 vcc, 0, v106
	s_nop 1
	v_cndmask_b32_e32 v106, 25, v106, vcc
; %bb.411:
	s_andn2_saveexec_b64 s[0:1], s[0:1]
	s_cbranch_execz .LBB50_413
; %bb.412:
	v_div_scale_f32 v27, s[2:3], v28, v28, 1.0
	v_rcp_f32_e32 v29, v27
	v_div_scale_f32 v30, vcc, 1.0, v28, 1.0
	v_fma_f32 v31, -v27, v29, 1.0
	v_fmac_f32_e32 v29, v31, v29
	v_mul_f32_e32 v31, v30, v29
	v_fma_f32 v32, -v27, v31, v30
	v_fmac_f32_e32 v31, v32, v29
	v_fma_f32 v27, -v27, v31, v30
	v_div_fmas_f32 v27, v27, v29, v31
	v_div_fixup_f32 v28, v27, v28, 1.0
.LBB50_413:
	s_or_b64 exec, exec, s[0:1]
	v_cmp_ne_u32_e32 vcc, v253, v26
	s_and_saveexec_b64 s[0:1], vcc
	s_xor_b64 s[0:1], exec, s[0:1]
	s_cbranch_execz .LBB50_419
; %bb.414:
	v_cmp_eq_u32_e32 vcc, 24, v253
	s_and_saveexec_b64 s[2:3], vcc
	s_cbranch_execz .LBB50_418
; %bb.415:
	v_cmp_ne_u32_e32 vcc, 24, v26
	s_xor_b64 s[18:19], s[16:17], -1
	s_and_b64 s[20:21], s[18:19], vcc
	s_and_saveexec_b64 s[18:19], s[20:21]
	s_cbranch_execz .LBB50_417
; %bb.416:
	scratch_load_dwordx2 v[32:33], off, off offset:2952 ; 8-byte Folded Reload
	v_ashrrev_i32_e32 v27, 31, v26
	s_waitcnt vmcnt(0)
	v_lshl_add_u64 v[30:31], v[26:27], 2, v[32:33]
	global_load_dword v27, v[30:31], off
	global_load_dword v29, v[32:33], off offset:96
	s_waitcnt vmcnt(1)
	global_store_dword v[32:33], v27, off offset:96
	s_waitcnt vmcnt(1)
	global_store_dword v[30:31], v29, off
.LBB50_417:
	s_or_b64 exec, exec, s[18:19]
	v_mov_b32_e32 v27, v26
	v_mov_b32_e32 v253, v26
	scratch_store_dword off, v27, off offset:1156 ; 4-byte Folded Spill
.LBB50_418:
	s_or_b64 exec, exec, s[2:3]
.LBB50_419:
	s_andn2_saveexec_b64 s[0:1], s[0:1]
	s_cbranch_execz .LBB50_421
; %bb.420:
	scratch_load_dwordx4 v[30:33], off, off ; 16-byte Folded Reload
	scratch_load_dwordx4 v[34:37], off, off offset:16 ; 16-byte Folded Reload
	scratch_load_dwordx4 v[38:41], off, off offset:32 ; 16-byte Folded Reload
	;; [unrolled: 1-line block ×7, first 2 shown]
	v_mov_b32_e32 v253, 24
	s_waitcnt vmcnt(1)
	ds_write_b32 v252, v55 offset:100
.LBB50_421:
	s_or_b64 exec, exec, s[0:1]
	v_cmp_lt_i32_e32 vcc, 24, v253
	s_waitcnt lgkmcnt(0)
	s_barrier
	s_and_saveexec_b64 s[0:1], vcc
	s_cbranch_execz .LBB50_423
; %bb.422:
	ds_read_b32 v0, v252 offset:100
	s_waitcnt vmcnt(9)
	v_mul_f32_e32 v242, v255, v28
	scratch_load_dwordx4 v[2:5], off, off   ; 16-byte Folded Reload
	scratch_load_dwordx4 v[6:9], off, off offset:16 ; 16-byte Folded Reload
	scratch_load_dwordx4 v[10:13], off, off offset:32 ; 16-byte Folded Reload
	;; [unrolled: 1-line block ×7, first 2 shown]
	s_waitcnt vmcnt(1) lgkmcnt(0)
	v_fma_f32 v243, -v242, v0, v27
	s_waitcnt vmcnt(0)
	v_mov_b64_e32 v[0:1], v[218:219]
	v_mov_b64_e32 v[2:3], v[220:221]
	;; [unrolled: 1-line block ×16, first 2 shown]
	scratch_store_dwordx4 off, v[218:221], off ; 16-byte Folded Spill
	s_nop 0
	scratch_store_dwordx4 off, v[222:225], off offset:16 ; 16-byte Folded Spill
	scratch_store_dwordx4 off, v[226:229], off offset:32 ; 16-byte Folded Spill
	;; [unrolled: 1-line block ×7, first 2 shown]
.LBB50_423:
	s_or_b64 exec, exec, s[0:1]
	s_barrier
	scratch_load_dwordx4 v[28:31], off, off ; 16-byte Folded Reload
	scratch_load_dwordx4 v[32:35], off, off offset:16 ; 16-byte Folded Reload
	scratch_load_dwordx4 v[36:39], off, off offset:32 ; 16-byte Folded Reload
	;; [unrolled: 1-line block ×7, first 2 shown]
	v_lshl_add_u32 v26, v253, 2, v252
	s_cmp_lt_i32 s22, 27
	s_waitcnt vmcnt(1)
	ds_write_b32 v26, v53
	s_waitcnt lgkmcnt(0)
	s_barrier
	ds_read_b32 v30, v252 offset:100
	v_mov_b32_e32 v26, 25
	s_cbranch_scc1 .LBB50_426
; %bb.424:
	v_add_u32_e32 v27, 0x68, v252
	v_mov_b32_e32 v26, 25
	s_mov_b32 s0, 26
.LBB50_425:                             ; =>This Inner Loop Header: Depth=1
	ds_read_b32 v28, v27
	v_mov_b32_e32 v29, s0
	s_add_i32 s0, s0, 1
	v_add_u32_e32 v27, 4, v27
	s_cmp_lg_u32 s22, s0
	s_waitcnt lgkmcnt(0)
	v_cmp_lt_f32_e64 vcc, |v30|, |v28|
	s_nop 1
	v_cndmask_b32_e32 v30, v30, v28, vcc
	v_cndmask_b32_e32 v26, v26, v29, vcc
	s_cbranch_scc1 .LBB50_425
.LBB50_426:
	s_waitcnt lgkmcnt(0)
	v_cmp_eq_f32_e32 vcc, 0, v30
	s_and_saveexec_b64 s[0:1], vcc
	s_xor_b64 s[0:1], exec, s[0:1]
; %bb.427:
	v_cmp_ne_u32_e32 vcc, 0, v106
	s_nop 1
	v_cndmask_b32_e32 v106, 26, v106, vcc
; %bb.428:
	s_andn2_saveexec_b64 s[0:1], s[0:1]
	s_cbranch_execz .LBB50_430
; %bb.429:
	v_div_scale_f32 v27, s[2:3], v30, v30, 1.0
	v_rcp_f32_e32 v28, v27
	v_div_scale_f32 v29, vcc, 1.0, v30, 1.0
	v_fma_f32 v31, -v27, v28, 1.0
	v_fmac_f32_e32 v28, v31, v28
	v_mul_f32_e32 v31, v29, v28
	v_fma_f32 v32, -v27, v31, v29
	v_fmac_f32_e32 v31, v32, v28
	v_fma_f32 v27, -v27, v31, v29
	v_div_fmas_f32 v27, v27, v28, v31
	v_div_fixup_f32 v30, v27, v30, 1.0
.LBB50_430:
	s_or_b64 exec, exec, s[0:1]
	v_cmp_ne_u32_e32 vcc, v253, v26
	v_mov_b32_e32 v28, 25
	s_and_saveexec_b64 s[0:1], vcc
	s_cbranch_execz .LBB50_436
; %bb.431:
	v_cmp_eq_u32_e32 vcc, 25, v253
	s_and_saveexec_b64 s[2:3], vcc
	s_cbranch_execz .LBB50_435
; %bb.432:
	v_cmp_ne_u32_e32 vcc, 25, v26
	s_xor_b64 s[16:17], s[16:17], -1
	s_and_b64 s[18:19], s[16:17], vcc
	s_and_saveexec_b64 s[16:17], s[18:19]
	s_cbranch_execz .LBB50_434
; %bb.433:
	scratch_load_dwordx2 v[32:33], off, off offset:2952 ; 8-byte Folded Reload
	v_ashrrev_i32_e32 v27, 31, v26
	s_waitcnt vmcnt(0)
	v_lshl_add_u64 v[28:29], v[26:27], 2, v[32:33]
	global_load_dword v27, v[28:29], off
	global_load_dword v31, v[32:33], off offset:100
	s_waitcnt vmcnt(1)
	global_store_dword v[32:33], v27, off offset:100
	s_waitcnt vmcnt(1)
	global_store_dword v[28:29], v31, off
.LBB50_434:
	s_or_b64 exec, exec, s[16:17]
	v_mov_b32_e32 v27, v26
	v_mov_b32_e32 v253, v26
	scratch_store_dword off, v27, off offset:1156 ; 4-byte Folded Spill
.LBB50_435:
	s_or_b64 exec, exec, s[2:3]
	v_mov_b32_e32 v28, v253
.LBB50_436:
	s_or_b64 exec, exec, s[0:1]
	v_cmp_gt_i32_e32 vcc, 26, v28
	v_ashrrev_i32_e32 v29, 31, v28
	s_barrier
	s_barrier
	s_and_saveexec_b64 s[0:1], vcc
	s_cbranch_execz .LBB50_438
; %bb.437:
	scratch_load_dwordx2 v[32:33], off, off offset:3856 ; 8-byte Folded Reload
	v_mov_b32_e32 v26, s6
	v_mov_b32_e32 v27, s7
	s_waitcnt vmcnt(0)
	v_mul_lo_u32 v31, s11, v32
	v_mul_lo_u32 v34, s10, v33
	v_mad_u64_u32 v[32:33], s[2:3], s10, v32, 0
	v_add3_u32 v33, v33, v34, v31
	scratch_load_dword v31, off, off offset:1156 ; 4-byte Folded Reload
	v_lshl_add_u64 v[26:27], v[32:33], 2, v[26:27]
	v_lshl_add_u64 v[26:27], s[8:9], 2, v[26:27]
	;; [unrolled: 1-line block ×3, first 2 shown]
	s_waitcnt vmcnt(0)
	v_add3_u32 v31, v31, s15, 1
	global_store_dword v[26:27], v31, off
.LBB50_438:
	s_or_b64 exec, exec, s[0:1]
	v_cmp_eq_u32_e32 vcc, 0, v28
	s_and_saveexec_b64 s[2:3], vcc
	s_cbranch_execz .LBB50_441
; %bb.439:
	scratch_load_dwordx2 v[32:33], off, off offset:3856 ; 8-byte Folded Reload
	v_mov_b32_e32 v26, s4
	v_mov_b32_e32 v27, s5
	v_cmp_ne_u32_e64 s[0:1], 0, v106
	s_waitcnt vmcnt(0)
	v_lshl_add_u64 v[26:27], v[32:33], 2, v[26:27]
	global_load_dword v31, v[26:27], off
	s_waitcnt vmcnt(0)
	v_cmp_eq_u32_e32 vcc, 0, v31
	s_and_b64 s[0:1], vcc, s[0:1]
	s_and_b64 exec, exec, s[0:1]
	s_cbranch_execz .LBB50_441
; %bb.440:
	v_add_u32_e32 v31, s15, v106
	global_store_dword v[26:27], v31, off
.LBB50_441:
	s_or_b64 exec, exec, s[2:3]
	scratch_load_dwordx4 v[32:35], off, off ; 16-byte Folded Reload
	scratch_load_dwordx4 v[36:39], off, off offset:16 ; 16-byte Folded Reload
	scratch_load_dwordx4 v[40:43], off, off offset:32 ; 16-byte Folded Reload
	;; [unrolled: 1-line block ×7, first 2 shown]
	v_cmp_lt_i32_e32 vcc, 25, v28
	s_waitcnt vmcnt(1)
	v_mul_f32_e32 v26, v57, v30
	v_cndmask_b32_e32 v25, v25, v26, vcc
	v_lshl_add_u64 v[26:27], v[28:29], 2, v[250:251]
	global_store_dword v[26:27], v0, off
	v_lshl_add_u64 v[26:27], s[12:13], 2, v[26:27]
	v_add_u32_e32 v0, s14, v28
	global_store_dword v[26:27], v1, off
	v_ashrrev_i32_e32 v1, 31, v0
	v_lshl_add_u64 v[26:27], v[0:1], 2, v[250:251]
	v_add_u32_e32 v0, s12, v0
	v_ashrrev_i32_e32 v1, 31, v0
	global_store_dword v[26:27], v2, off
	v_lshl_add_u64 v[26:27], v[0:1], 2, v[250:251]
	v_add_u32_e32 v0, s12, v0
	v_ashrrev_i32_e32 v1, 31, v0
	global_store_dword v[26:27], v3, off
	;; [unrolled: 4-line block ×22, first 2 shown]
	v_lshl_add_u64 v[2:3], v[0:1], 2, v[250:251]
	v_add_u32_e32 v0, s12, v0
	v_ashrrev_i32_e32 v1, 31, v0
	v_lshl_add_u64 v[0:1], v[0:1], 2, v[250:251]
	global_store_dword v[2:3], v24, off
	global_store_dword v[0:1], v25, off
.LBB50_442:
	s_endpgm
.LBB50_443:
	scratch_load_dwordx4 v[214:217], off, off offset:1416 ; 16-byte Folded Reload
	scratch_load_dwordx4 v[218:221], off, off offset:1432 ; 16-byte Folded Reload
	;; [unrolled: 1-line block ×8, first 2 shown]
	s_waitcnt lgkmcnt(0)
	v_cmp_eq_f32_e32 vcc, 0, v45
	s_and_saveexec_b64 s[0:1], vcc
	s_xor_b64 s[0:1], exec, s[0:1]
	s_cbranch_execnz .LBB50_104
	s_branch .LBB50_105
.LBB50_444:
	scratch_load_dwordx4 v[212:215], off, off offset:1416 ; 16-byte Folded Reload
	scratch_load_dwordx4 v[216:219], off, off offset:1432 ; 16-byte Folded Reload
	scratch_load_dwordx4 v[220:223], off, off offset:1448 ; 16-byte Folded Reload
	scratch_load_dwordx4 v[224:227], off, off offset:1464 ; 16-byte Folded Reload
	scratch_load_dwordx4 v[228:231], off, off offset:1480 ; 16-byte Folded Reload
	scratch_load_dwordx4 v[232:235], off, off offset:1496 ; 16-byte Folded Reload
	scratch_load_dwordx4 v[236:239], off, off offset:1512 ; 16-byte Folded Reload
	scratch_load_dwordx4 v[240:243], off, off offset:1528 ; 16-byte Folded Reload
	s_waitcnt lgkmcnt(0)
	v_cmp_eq_f32_e32 vcc, 0, v45
	s_and_saveexec_b64 s[0:1], vcc
	s_xor_b64 s[0:1], exec, s[0:1]
	s_cbranch_execnz .LBB50_138
	s_branch .LBB50_139
.LBB50_445:
	v_mov_b64_e32 v[218:219], v[220:221]
	v_mov_b64_e32 v[220:221], v[222:223]
	;; [unrolled: 1-line block ×12, first 2 shown]
	s_waitcnt lgkmcnt(0)
	v_cmp_eq_f32_e32 vcc, 0, v45
	s_and_saveexec_b64 s[0:1], vcc
	s_xor_b64 s[0:1], exec, s[0:1]
	s_cbranch_execnz .LBB50_172
	s_branch .LBB50_173
.LBB50_446:
	scratch_load_dwordx4 v[54:57], off, off offset:896 ; 16-byte Folded Reload
	scratch_load_dwordx4 v[58:61], off, off offset:912 ; 16-byte Folded Reload
	;; [unrolled: 1-line block ×8, first 2 shown]
	s_waitcnt lgkmcnt(0)
	v_cmp_eq_f32_e32 vcc, 0, v45
	s_and_saveexec_b64 s[0:1], vcc
	s_xor_b64 s[0:1], exec, s[0:1]
	s_cbranch_execnz .LBB50_257
	s_branch .LBB50_258
.LBB50_447:
	v_mov_b64_e32 v[0:1], v[108:109]
	v_mov_b64_e32 v[16:17], v[124:125]
	;; [unrolled: 1-line block ×13, first 2 shown]
	s_waitcnt lgkmcnt(0)
	v_cmp_eq_f32_e32 vcc, 0, v28
	s_and_saveexec_b64 s[0:1], vcc
	s_xor_b64 s[0:1], exec, s[0:1]
	s_cbranch_execnz .LBB50_376
	s_branch .LBB50_377
	.section	.rodata,"a",@progbits
	.p2align	6, 0x0
	.amdhsa_kernel _ZN9rocsolver6v33100L18getf2_small_kernelILi26EfiiPfEEvT1_T3_lS3_lPS3_llPT2_S3_S3_S5_l
		.amdhsa_group_segment_fixed_size 0
		.amdhsa_private_segment_fixed_size 3868
		.amdhsa_kernarg_size 352
		.amdhsa_user_sgpr_count 2
		.amdhsa_user_sgpr_dispatch_ptr 0
		.amdhsa_user_sgpr_queue_ptr 0
		.amdhsa_user_sgpr_kernarg_segment_ptr 1
		.amdhsa_user_sgpr_dispatch_id 0
		.amdhsa_user_sgpr_kernarg_preload_length 0
		.amdhsa_user_sgpr_kernarg_preload_offset 0
		.amdhsa_user_sgpr_private_segment_size 0
		.amdhsa_uses_dynamic_stack 0
		.amdhsa_enable_private_segment 1
		.amdhsa_system_sgpr_workgroup_id_x 1
		.amdhsa_system_sgpr_workgroup_id_y 1
		.amdhsa_system_sgpr_workgroup_id_z 0
		.amdhsa_system_sgpr_workgroup_info 0
		.amdhsa_system_vgpr_workitem_id 1
		.amdhsa_next_free_vgpr 256
		.amdhsa_next_free_sgpr 28
		.amdhsa_accum_offset 256
		.amdhsa_reserve_vcc 1
		.amdhsa_float_round_mode_32 0
		.amdhsa_float_round_mode_16_64 0
		.amdhsa_float_denorm_mode_32 3
		.amdhsa_float_denorm_mode_16_64 3
		.amdhsa_dx10_clamp 1
		.amdhsa_ieee_mode 1
		.amdhsa_fp16_overflow 0
		.amdhsa_tg_split 0
		.amdhsa_exception_fp_ieee_invalid_op 0
		.amdhsa_exception_fp_denorm_src 0
		.amdhsa_exception_fp_ieee_div_zero 0
		.amdhsa_exception_fp_ieee_overflow 0
		.amdhsa_exception_fp_ieee_underflow 0
		.amdhsa_exception_fp_ieee_inexact 0
		.amdhsa_exception_int_div_zero 0
	.end_amdhsa_kernel
	.section	.text._ZN9rocsolver6v33100L18getf2_small_kernelILi26EfiiPfEEvT1_T3_lS3_lPS3_llPT2_S3_S3_S5_l,"axG",@progbits,_ZN9rocsolver6v33100L18getf2_small_kernelILi26EfiiPfEEvT1_T3_lS3_lPS3_llPT2_S3_S3_S5_l,comdat
.Lfunc_end50:
	.size	_ZN9rocsolver6v33100L18getf2_small_kernelILi26EfiiPfEEvT1_T3_lS3_lPS3_llPT2_S3_S3_S5_l, .Lfunc_end50-_ZN9rocsolver6v33100L18getf2_small_kernelILi26EfiiPfEEvT1_T3_lS3_lPS3_llPT2_S3_S3_S5_l
                                        ; -- End function
	.set _ZN9rocsolver6v33100L18getf2_small_kernelILi26EfiiPfEEvT1_T3_lS3_lPS3_llPT2_S3_S3_S5_l.num_vgpr, 256
	.set _ZN9rocsolver6v33100L18getf2_small_kernelILi26EfiiPfEEvT1_T3_lS3_lPS3_llPT2_S3_S3_S5_l.num_agpr, 0
	.set _ZN9rocsolver6v33100L18getf2_small_kernelILi26EfiiPfEEvT1_T3_lS3_lPS3_llPT2_S3_S3_S5_l.numbered_sgpr, 28
	.set _ZN9rocsolver6v33100L18getf2_small_kernelILi26EfiiPfEEvT1_T3_lS3_lPS3_llPT2_S3_S3_S5_l.num_named_barrier, 0
	.set _ZN9rocsolver6v33100L18getf2_small_kernelILi26EfiiPfEEvT1_T3_lS3_lPS3_llPT2_S3_S3_S5_l.private_seg_size, 3868
	.set _ZN9rocsolver6v33100L18getf2_small_kernelILi26EfiiPfEEvT1_T3_lS3_lPS3_llPT2_S3_S3_S5_l.uses_vcc, 1
	.set _ZN9rocsolver6v33100L18getf2_small_kernelILi26EfiiPfEEvT1_T3_lS3_lPS3_llPT2_S3_S3_S5_l.uses_flat_scratch, 0
	.set _ZN9rocsolver6v33100L18getf2_small_kernelILi26EfiiPfEEvT1_T3_lS3_lPS3_llPT2_S3_S3_S5_l.has_dyn_sized_stack, 0
	.set _ZN9rocsolver6v33100L18getf2_small_kernelILi26EfiiPfEEvT1_T3_lS3_lPS3_llPT2_S3_S3_S5_l.has_recursion, 0
	.set _ZN9rocsolver6v33100L18getf2_small_kernelILi26EfiiPfEEvT1_T3_lS3_lPS3_llPT2_S3_S3_S5_l.has_indirect_call, 0
	.section	.AMDGPU.csdata,"",@progbits
; Kernel info:
; codeLenInByte = 62152
; TotalNumSgprs: 34
; NumVgprs: 256
; NumAgprs: 0
; TotalNumVgprs: 256
; ScratchSize: 3868
; MemoryBound: 0
; FloatMode: 240
; IeeeMode: 1
; LDSByteSize: 0 bytes/workgroup (compile time only)
; SGPRBlocks: 4
; VGPRBlocks: 31
; NumSGPRsForWavesPerEU: 34
; NumVGPRsForWavesPerEU: 256
; AccumOffset: 256
; Occupancy: 2
; WaveLimiterHint : 0
; COMPUTE_PGM_RSRC2:SCRATCH_EN: 1
; COMPUTE_PGM_RSRC2:USER_SGPR: 2
; COMPUTE_PGM_RSRC2:TRAP_HANDLER: 0
; COMPUTE_PGM_RSRC2:TGID_X_EN: 1
; COMPUTE_PGM_RSRC2:TGID_Y_EN: 1
; COMPUTE_PGM_RSRC2:TGID_Z_EN: 0
; COMPUTE_PGM_RSRC2:TIDIG_COMP_CNT: 1
; COMPUTE_PGM_RSRC3_GFX90A:ACCUM_OFFSET: 63
; COMPUTE_PGM_RSRC3_GFX90A:TG_SPLIT: 0
	.section	.text._ZN9rocsolver6v33100L23getf2_npvt_small_kernelILi26EfiiPfEEvT1_T3_lS3_lPT2_S3_S3_,"axG",@progbits,_ZN9rocsolver6v33100L23getf2_npvt_small_kernelILi26EfiiPfEEvT1_T3_lS3_lPT2_S3_S3_,comdat
	.globl	_ZN9rocsolver6v33100L23getf2_npvt_small_kernelILi26EfiiPfEEvT1_T3_lS3_lPT2_S3_S3_ ; -- Begin function _ZN9rocsolver6v33100L23getf2_npvt_small_kernelILi26EfiiPfEEvT1_T3_lS3_lPT2_S3_S3_
	.p2align	8
	.type	_ZN9rocsolver6v33100L23getf2_npvt_small_kernelILi26EfiiPfEEvT1_T3_lS3_lPT2_S3_S3_,@function
_ZN9rocsolver6v33100L23getf2_npvt_small_kernelILi26EfiiPfEEvT1_T3_lS3_lPT2_S3_S3_: ; @_ZN9rocsolver6v33100L23getf2_npvt_small_kernelILi26EfiiPfEEvT1_T3_lS3_lPT2_S3_S3_
; %bb.0:
	s_load_dword s2, s[0:1], 0x44
	s_load_dwordx2 s[8:9], s[0:1], 0x30
	v_bfe_u32 v1, v0, 10, 10
	s_waitcnt lgkmcnt(0)
	s_lshr_b32 s10, s2, 16
	s_mul_i32 s3, s3, s10
	v_add_u32_e32 v4, s3, v1
	v_cmp_gt_i32_e32 vcc, s8, v4
	s_and_saveexec_b64 s[2:3], vcc
	s_cbranch_execz .LBB51_135
; %bb.1:
	s_load_dwordx4 s[12:15], s[0:1], 0x8
	s_load_dword s2, s[0:1], 0x18
	s_load_dwordx4 s[4:7], s[0:1], 0x20
	v_ashrrev_i32_e32 v5, 31, v4
	s_movk_i32 s0, 0x1360
	v_and_b32_e32 v58, 0x3ff, v0
	scratch_store_dwordx2 off, v[4:5], s0   ; 8-byte Folded Spill
	s_waitcnt lgkmcnt(0)
	v_mul_lo_u32 v0, s5, v4
	v_mul_lo_u32 v6, s4, v5
	v_mad_u64_u32 v[4:5], s[0:1], s4, v4, 0
	v_mov_b32_e32 v2, s12
	v_mov_b32_e32 v3, s13
	v_add3_u32 v5, v5, v6, v0
	v_lshl_add_u64 v[2:3], v[4:5], 2, v[2:3]
	v_lshl_add_u64 v[2:3], s[14:15], 2, v[2:3]
	v_lshlrev_b32_e32 v4, 2, v58
	v_mov_b32_e32 v5, 0
	s_add_i32 s0, s2, s2
	v_lshl_add_u64 v[26:27], v[2:3], 0, v[4:5]
	v_add_u32_e32 v4, s0, v58
	v_ashrrev_i32_e32 v5, 31, v4
	v_lshl_add_u64 v[22:23], v[4:5], 2, v[2:3]
	v_add_u32_e32 v4, s2, v4
	v_ashrrev_i32_e32 v5, 31, v4
	;; [unrolled: 3-line block ×19, first 2 shown]
	v_lshl_add_u64 v[46:47], v[4:5], 2, v[2:3]
	v_add_u32_e32 v4, s2, v4
	s_movk_i32 s0, 0x1190
	v_ashrrev_i32_e32 v5, 31, v4
	scratch_store_dwordx2 off, v[6:7], s0   ; 8-byte Folded Spill
	s_movk_i32 s0, 0x1198
	v_lshl_add_u64 v[48:49], v[4:5], 2, v[2:3]
	v_add_u32_e32 v4, s2, v4
	scratch_store_dwordx2 off, v[8:9], s0   ; 8-byte Folded Spill
	s_movk_i32 s0, 0x11a0
	v_ashrrev_i32_e32 v5, 31, v4
	scratch_store_dwordx2 off, v[44:45], s0 ; 8-byte Folded Spill
	s_movk_i32 s0, 0x11a8
	v_lshl_add_u64 v[50:51], v[4:5], 2, v[2:3]
	v_add_u32_e32 v4, s2, v4
	scratch_store_dwordx2 off, v[46:47], s0 ; 8-byte Folded Spill
	s_movk_i32 s0, 0x11b0
	v_ashrrev_i32_e32 v5, 31, v4
	scratch_store_dwordx2 off, v[48:49], s0 ; 8-byte Folded Spill
	s_movk_i32 s0, 0x11b8
	v_lshl_add_u64 v[52:53], v[4:5], 2, v[2:3]
	scratch_store_dwordx2 off, v[50:51], s0 ; 8-byte Folded Spill
	s_movk_i32 s0, 0x11c0
	scratch_store_dwordx2 off, v[52:53], s0 ; 8-byte Folded Spill
	s_movk_i32 s0, 0x1188
	;; [unrolled: 2-line block ×7, first 2 shown]
	v_add_u32_e32 v4, s2, v4
	scratch_store_dwordx2 off, v[38:39], s0 ; 8-byte Folded Spill
	s_movk_i32 s0, 0x1178
	v_ashrrev_i32_e32 v5, 31, v4
	scratch_store_dwordx2 off, v[40:41], s0 ; 8-byte Folded Spill
	s_movk_i32 s0, 0x1180
	s_ashr_i32 s3, s2, 31
	v_lshl_add_u64 v[54:55], v[4:5], 2, v[2:3]
	v_add_u32_e32 v4, s2, v4
	scratch_store_dwordx2 off, v[42:43], s0 ; 8-byte Folded Spill
	s_movk_i32 s0, 0x1148
	v_lshl_add_u64 v[20:21], s[2:3], 2, v[26:27]
	v_ashrrev_i32_e32 v5, 31, v4
	scratch_store_dwordx2 off, v[18:19], s0 ; 8-byte Folded Spill
	s_movk_i32 s0, 0x1110
	v_lshl_add_u64 v[56:57], v[4:5], 2, v[2:3]
	scratch_store_dwordx2 off, v[20:21], s0 ; 8-byte Folded Spill
	s_movk_i32 s0, 0x1118
	global_load_dword v2, v[6:7], off
	global_load_dword v3, v[8:9], off
	;; [unrolled: 1-line block ×5, first 2 shown]
	s_mulk_i32 s10, 0x68
	global_load_dword v11, v[10:11], off
	s_add_i32 s1, s10, 0
	global_load_dword v12, v[12:13], off
	v_lshl_add_u32 v67, v1, 2, s1
	global_load_dword v19, v[18:19], off
	v_cmp_ne_u32_e64 s[2:3], 0, v58
	global_load_dword v6, v[48:49], off
	global_load_dword v18, v[36:37], off
	global_load_dword v7, v[50:51], off
	global_load_dword v8, v[52:53], off
	global_load_dword v10, v[42:43], off
	global_load_dword v13, v[14:15], off
	global_load_dword v9, v[54:55], off
	global_load_dword v160, v[26:27], off
	s_nop 0
	global_load_dword v14, v[16:17], off
	global_load_dword v15, v[24:25], off
	s_nop 0
	global_load_dword v24, v[20:21], off
	global_load_dword v25, v[22:23], off
	;; [unrolled: 1-line block ×4, first 2 shown]
	s_nop 0
	global_load_dword v20, v[28:29], off
	global_load_dword v21, v[30:31], off
	s_nop 0
	scratch_store_dwordx2 off, v[22:23], s0 ; 8-byte Folded Spill
	global_load_dword v22, v[32:33], off
	s_movk_i32 s0, 0x1120
	global_load_dword v23, v[34:35], off
	s_nop 0
	scratch_store_dwordx2 off, v[28:29], s0 ; 8-byte Folded Spill
	s_movk_i32 s0, 0x1128
	scratch_store_dwordx2 off, v[30:31], s0 ; 8-byte Folded Spill
	s_movk_i32 s0, 0x1130
	;; [unrolled: 2-line block ×8, first 2 shown]
	v_mad_u32_u24 v26, v1, s0, 0
	v_cmp_eq_u32_e64 s[0:1], 0, v58
	scratch_store_dword off, v26, off offset:132 ; 4-byte Folded Spill
	s_and_saveexec_b64 s[4:5], s[0:1]
	s_cbranch_execz .LBB51_4
; %bb.2:
	scratch_load_dword v1, off, off offset:132 ; 4-byte Folded Reload
	s_waitcnt vmcnt(21)
	ds_write_b32 v67, v160
	s_waitcnt vmcnt(0)
	ds_write2_b32 v1, v24, v25 offset0:1 offset1:2
	ds_write2_b32 v1, v20, v21 offset0:3 offset1:4
	;; [unrolled: 1-line block ×12, first 2 shown]
	ds_write_b32 v1, v79 offset:100
	ds_read_b32 v1, v67
	s_waitcnt lgkmcnt(0)
	v_cmp_neq_f32_e32 vcc, 0, v1
	s_and_b64 exec, exec, vcc
	s_cbranch_execz .LBB51_4
; %bb.3:
	v_div_scale_f32 v26, s[10:11], v1, v1, 1.0
	v_rcp_f32_e32 v27, v26
	v_div_scale_f32 v28, vcc, 1.0, v1, 1.0
	v_fma_f32 v29, -v26, v27, 1.0
	v_fmac_f32_e32 v27, v29, v27
	v_mul_f32_e32 v29, v28, v27
	v_fma_f32 v30, -v26, v29, v28
	v_fmac_f32_e32 v29, v30, v27
	v_fma_f32 v26, -v26, v29, v28
	v_div_fmas_f32 v26, v26, v27, v29
	v_div_fixup_f32 v1, v26, v1, 1.0
	ds_write_b32 v67, v1
.LBB51_4:
	s_or_b64 exec, exec, s[4:5]
	s_waitcnt lgkmcnt(0)
	s_barrier
	ds_read_b32 v1, v67
	s_movk_i32 s4, 0x11d8
                                        ; implicit-def: $vgpr183
                                        ; implicit-def: $vgpr181
                                        ; implicit-def: $vgpr180
                                        ; implicit-def: $vgpr26
                                        ; implicit-def: $vgpr179
                                        ; implicit-def: $vgpr178
                                        ; implicit-def: $vgpr105
                                        ; implicit-def: $vgpr42
                                        ; implicit-def: $vgpr159
                                        ; implicit-def: $vgpr174
                                        ; implicit-def: $vgpr173
                                        ; implicit-def: $vgpr172
                                        ; implicit-def: $vgpr35
                                        ; implicit-def: $vgpr34
                                        ; implicit-def: $vgpr169
                                        ; implicit-def: $vgpr168
                                        ; implicit-def: $vgpr167
                                        ; implicit-def: $vgpr32
                                        ; implicit-def: $vgpr31
                                        ; implicit-def: $vgpr164
                                        ; implicit-def: $vgpr29
                                        ; implicit-def: $vgpr28
	s_waitcnt lgkmcnt(0)
	scratch_store_dword off, v1, s4         ; 4-byte Folded Spill
	s_and_saveexec_b64 s[4:5], s[2:3]
	s_xor_b64 s[2:3], exec, s[4:5]
	s_cbranch_execz .LBB51_6
; %bb.5:
	scratch_load_dword v42, off, off offset:132 ; 4-byte Folded Reload
	s_movk_i32 s4, 0x11d8
	s_waitcnt vmcnt(0)
	ds_read2_b32 v[26:27], v42 offset0:1 offset1:2
	ds_read2_b32 v[28:29], v42 offset0:3 offset1:4
	ds_read2_b32 v[30:31], v42 offset0:5 offset1:6
	scratch_load_dword v1, off, s4          ; 4-byte Folded Reload
	ds_read2_b32 v[32:33], v42 offset0:7 offset1:8
	s_waitcnt vmcnt(0)
	v_mul_f32_e32 v160, v160, v1
	s_waitcnt lgkmcnt(3)
	v_pk_fma_f32 v[26:27], v[160:161], v[26:27], v[24:25] op_sel_hi:[0,1,1] neg_lo:[1,0,0] neg_hi:[1,0,0]
	s_waitcnt lgkmcnt(2)
	v_pk_fma_f32 v[28:29], v[160:161], v[28:29], v[20:21] op_sel_hi:[0,1,1] neg_lo:[1,0,0] neg_hi:[1,0,0]
	;; [unrolled: 2-line block ×3, first 2 shown]
	ds_read2_b32 v[20:21], v42 offset0:9 offset1:10
	ds_read2_b32 v[22:23], v42 offset0:11 offset1:12
	;; [unrolled: 1-line block ×4, first 2 shown]
	s_waitcnt lgkmcnt(4)
	v_pk_fma_f32 v[32:33], v[160:161], v[32:33], v[18:19] op_sel_hi:[0,1,1] neg_lo:[1,0,0] neg_hi:[1,0,0]
	s_waitcnt lgkmcnt(3)
	v_pk_fma_f32 v[36:37], v[160:161], v[20:21], v[12:13] op_sel_hi:[0,1,1] neg_lo:[1,0,0] neg_hi:[1,0,0]
	;; [unrolled: 2-line block ×5, first 2 shown]
	ds_read2_b32 v[10:11], v42 offset0:17 offset1:18
	ds_read2_b32 v[12:13], v42 offset0:19 offset1:20
	;; [unrolled: 1-line block ×4, first 2 shown]
	ds_read_b32 v1, v42 offset:100
	s_waitcnt lgkmcnt(4)
	v_pk_fma_f32 v[42:43], v[160:161], v[10:11], v[2:3] op_sel_hi:[0,1,1] neg_lo:[1,0,0] neg_hi:[1,0,0]
	s_waitcnt lgkmcnt(3)
	v_pk_fma_f32 v[44:45], v[160:161], v[12:13], v[4:5] op_sel_hi:[0,1,1] neg_lo:[1,0,0] neg_hi:[1,0,0]
	;; [unrolled: 2-line block ×4, first 2 shown]
	s_waitcnt lgkmcnt(0)
	v_fma_f32 v79, -v160, v1, v79
	v_mov_b32_e32 v78, v49
	v_mov_b32_e32 v76, v47
                                        ; implicit-def: $vgpr24
                                        ; implicit-def: $vgpr20
                                        ; implicit-def: $vgpr22
                                        ; implicit-def: $vgpr18
                                        ; implicit-def: $vgpr12
                                        ; implicit-def: $vgpr14
                                        ; implicit-def: $vgpr16
                                        ; implicit-def: $vgpr10
                                        ; implicit-def: $vgpr2
                                        ; implicit-def: $vgpr4
                                        ; implicit-def: $vgpr6
                                        ; implicit-def: $vgpr8
	v_mov_b32_e32 v183, v48
	v_mov_b32_e32 v181, v46
	;; [unrolled: 1-line block ×21, first 2 shown]
.LBB51_6:
	s_or_saveexec_b64 s[2:3], s[2:3]
	v_mov_b32_e32 v161, v26
	s_xor_b64 exec, exec, s[2:3]
	s_cbranch_execz .LBB51_8
; %bb.7:
	s_waitcnt vmcnt(18)
	v_mov_b32_e32 v161, v24
	s_waitcnt vmcnt(17)
	v_mov_b32_e32 v28, v25
	v_mov_b32_e32 v76, v7
	;; [unrolled: 1-line block ×3, first 2 shown]
	s_waitcnt vmcnt(14)
	v_mov_b32_e32 v29, v20
	s_waitcnt vmcnt(13)
	v_mov_b32_e32 v164, v21
	;; [unrolled: 2-line block ×4, first 2 shown]
	v_mov_b32_e32 v167, v18
	v_mov_b32_e32 v168, v19
	;; [unrolled: 1-line block ×16, first 2 shown]
.LBB51_8:
	s_or_b64 exec, exec, s[2:3]
	v_mov_b32_e32 v64, v28
	v_mov_b32_e32 v162, v28
	v_mov_b32_e32 v73, v29
	v_mov_b32_e32 v163, v29
	v_mov_b32_e32 v38, v164
	v_mov_b32_e32 v123, v31
	v_mov_b32_e32 v165, v31
	v_mov_b32_e32 v86, v32
	v_mov_b32_e32 v166, v32
	s_waitcnt vmcnt(26)
	v_mov_b32_e32 v7, v167
	v_mov_b32_e32 v32, v168
	;; [unrolled: 1-line block ×9, first 2 shown]
	s_waitcnt vmcnt(20)
	v_mov_b32_e32 v14, v174
	v_mov_b32_e32 v175, v159
	;; [unrolled: 1-line block ×11, first 2 shown]
	v_mov_b64_e32 v[68:69], v[78:79]
	v_mov_b32_e32 v66, v76
	v_mov_b32_e32 v185, v79
	;; [unrolled: 1-line block ×3, first 2 shown]
	v_cmp_eq_u32_e32 vcc, 1, v58
	s_barrier
	s_and_saveexec_b64 s[2:3], vcc
	s_cbranch_execz .LBB51_11
; %bb.9:
	scratch_load_dword v0, off, off offset:132 ; 4-byte Folded Reload
	v_mov_b32_e32 v65, v73
	v_mov_b32_e32 v26, v38
	;; [unrolled: 1-line block ×3, first 2 shown]
	ds_write_b32 v67, v161
	v_mov_b32_e32 v87, v7
	v_mov_b32_e32 v117, v197
	;; [unrolled: 1-line block ×4, first 2 shown]
	s_waitcnt vmcnt(0)
	ds_write2_b64 v0, v[64:65], v[26:27] offset0:1 offset1:2
	v_mov_b32_e32 v26, v32
	v_mov_b32_e32 v27, v51
	ds_write2_b64 v0, v[86:87], v[26:27] offset0:3 offset1:4
	v_mov_b32_e32 v26, v222
	v_mov_b32_e32 v27, v223
	;; [unrolled: 3-line block ×4, first 2 shown]
	v_mov_b32_e32 v26, v74
	v_mov_b32_e32 v27, v43
	ds_write2_b64 v0, v[28:29], v[26:27] offset0:9 offset1:10
	v_mov_b32_e32 v26, v66
	v_mov_b32_e32 v27, v205
	ds_write2_b64 v0, v[26:27], v[68:69] offset0:11 offset1:12
	ds_read_b32 v26, v67
	s_waitcnt lgkmcnt(0)
	v_cmp_neq_f32_e32 vcc, 0, v26
	s_and_b64 exec, exec, vcc
	s_cbranch_execz .LBB51_11
; %bb.10:
	v_div_scale_f32 v27, s[4:5], v26, v26, 1.0
	v_rcp_f32_e32 v28, v27
	v_div_scale_f32 v29, vcc, 1.0, v26, 1.0
	v_fma_f32 v30, -v27, v28, 1.0
	v_fmac_f32_e32 v28, v30, v28
	v_mul_f32_e32 v30, v29, v28
	v_fma_f32 v31, -v27, v30, v29
	v_fmac_f32_e32 v30, v31, v28
	v_fma_f32 v27, -v27, v30, v29
	v_div_fmas_f32 v27, v27, v28, v30
	v_div_fixup_f32 v26, v27, v26, 1.0
	ds_write_b32 v67, v26
.LBB51_11:
	s_or_b64 exec, exec, s[2:3]
	v_mov_b32_e32 v118, v160
	v_mov_b32_e32 v119, v161
	;; [unrolled: 1-line block ×5, first 2 shown]
	scratch_store_dwordx4 off, v[118:121], off offset:3080 ; 16-byte Folded Spill
	s_nop 0
	scratch_store_dwordx4 off, v[122:125], off offset:3096 ; 16-byte Folded Spill
	scratch_store_dwordx4 off, v[126:129], off offset:3112 ; 16-byte Folded Spill
	;; [unrolled: 1-line block ×7, first 2 shown]
	v_mov_b32_e32 v106, v160
	v_mov_b32_e32 v107, v161
	;; [unrolled: 1-line block ×39, first 2 shown]
	s_waitcnt vmcnt(18)
	v_mov_b64_e32 v[16:17], v[160:161]
	v_mov_b32_e32 v52, v160
	v_mov_b32_e32 v53, v161
	;; [unrolled: 1-line block ×7, first 2 shown]
	v_mov_b64_e32 v[18:19], v[162:163]
	v_mov_b64_e32 v[20:21], v[164:165]
	v_mov_b64_e32 v[22:23], v[166:167]
	v_mov_b64_e32 v[24:25], v[168:169]
	v_mov_b64_e32 v[26:27], v[170:171]
	v_mov_b64_e32 v[28:29], v[172:173]
	v_mov_b64_e32 v[30:31], v[174:175]
	v_mov_b32_e32 v62, v160
	v_mov_b32_e32 v63, v161
	;; [unrolled: 1-line block ×23, first 2 shown]
	scratch_store_dwordx4 off, v[106:109], off offset:2568 ; 16-byte Folded Spill
	s_nop 0
	scratch_store_dwordx4 off, v[110:113], off offset:2584 ; 16-byte Folded Spill
	scratch_store_dwordx4 off, v[114:117], off offset:2600 ; 16-byte Folded Spill
	;; [unrolled: 1-line block ×7, first 2 shown]
	v_mov_b32_e32 v152, v60
	v_mov_b32_e32 v130, v160
	;; [unrolled: 1-line block ×3, first 2 shown]
	v_mov_b64_e32 v[32:33], v[176:177]
	v_mov_b64_e32 v[34:35], v[178:179]
	;; [unrolled: 1-line block ×5, first 2 shown]
	v_mov_b32_e32 v131, v161
	v_mov_b32_e32 v137, v7
	;; [unrolled: 1-line block ×11, first 2 shown]
	v_mov_b64_e32 v[60:61], v[222:223]
	v_mov_b32_e32 v8, v152
	v_mov_b32_e32 v157, v61
	v_mov_b32_e32 v122, v102
	v_mov_b32_e32 v121, v101
	v_mov_b32_e32 v120, v100
	v_mov_b32_e32 v119, v99
	v_mov_b32_e32 v118, v98
	v_mov_b32_e32 v132, v64
	v_mov_b32_e32 v133, v73
	v_mov_b32_e32 v136, v86
	v_mov_b32_e32 v12, v142
	v_mov_b32_e32 v236, v142
	v_mov_b32_e32 v224, v16
	v_mov_b32_e32 v225, v17
	v_mov_b32_e32 v226, v64
	v_mov_b32_e32 v227, v73
	v_mov_b32_e32 v230, v86
	v_mov_b32_e32 v237, v61
	v_mov_b32_e32 v238, v14
	v_mov_b32_e32 v240, v42
	v_mov_b32_e32 v241, v105
	v_mov_b32_e32 v72, v64
	v_mov_b32_e32 v82, v64
	v_mov_b32_e32 v83, v73
	v_mov_b32_e32 v112, v86
	v_mov_b32_e32 v104, v42
	v_mov_b32_e32 v111, v85
	v_mov_b32_e32 v110, v84
	v_mov_b32_e32 v109, v83
	v_mov_b32_e32 v108, v82
	v_mov_b32_e32 v107, v81
	v_mov_b32_e32 v106, v80
	v_mov_b32_e32 v13, v61
	v_mov_b32_e32 v222, v42
	s_movk_i32 s2, 0x1260
	v_mov_b32_e32 v191, v123
	v_mov_b32_e32 v196, v116
	scratch_store_dwordx4 off, v[186:189], off offset:2056 ; 16-byte Folded Spill
	s_nop 0
	scratch_store_dwordx4 off, v[190:193], off offset:2072 ; 16-byte Folded Spill
	scratch_store_dwordx4 off, v[194:197], off offset:2088 ; 16-byte Folded Spill
	;; [unrolled: 1-line block ×7, first 2 shown]
	v_mov_b64_e32 v[192:193], v[6:7]
	v_mov_b64_e32 v[186:187], v[0:1]
	v_mov_b32_e32 v210, v160
	v_mov_b32_e32 v211, v161
	v_mov_b64_e32 v[190:191], v[4:5]
	v_mov_b64_e32 v[188:189], v[2:3]
	;; [unrolled: 1-line block ×3, first 2 shown]
	v_mov_b32_e32 v212, v64
	v_mov_b32_e32 v213, v73
	;; [unrolled: 1-line block ×8, first 2 shown]
	v_mov_b64_e32 v[172:173], v[188:189]
	v_mov_b64_e32 v[174:175], v[190:191]
	;; [unrolled: 1-line block ×3, first 2 shown]
	v_mov_b32_e32 v168, v152
	v_mov_b64_e32 v[190:191], v[96:97]
	v_mov_b32_e32 v196, v102
	v_mov_b32_e32 v167, v151
	;; [unrolled: 1-line block ×9, first 2 shown]
	v_mov_b64_e32 v[188:189], v[94:95]
	v_mov_b64_e32 v[186:187], v[92:93]
	;; [unrolled: 1-line block ×4, first 2 shown]
	v_mov_b32_e32 v144, v16
	v_mov_b32_e32 v145, v17
	;; [unrolled: 1-line block ×34, first 2 shown]
	v_mov_b64_e32 v[48:49], v[210:211]
	v_mov_b64_e32 v[50:51], v[212:213]
	;; [unrolled: 1-line block ×6, first 2 shown]
	v_mov_b32_e32 v155, v197
	v_mov_b32_e32 v210, v102
	;; [unrolled: 1-line block ×7, first 2 shown]
	scratch_store_dwordx4 off, v[144:147], off offset:2952 ; 16-byte Folded Spill
	s_nop 0
	scratch_store_dwordx4 off, v[148:151], off offset:2968 ; 16-byte Folded Spill
	scratch_store_dwordx4 off, v[152:155], off offset:2984 ; 16-byte Folded Spill
	;; [unrolled: 1-line block ×7, first 2 shown]
	v_mov_b32_e32 v215, v191
	v_mov_b32_e32 v217, v197
	scratch_store_dwordx4 off, v[182:185], off offset:2440 ; 16-byte Folded Spill
	s_nop 0
	scratch_store_dwordx4 off, v[186:189], off offset:2456 ; 16-byte Folded Spill
	scratch_store_dwordx4 off, v[190:193], off offset:2472 ; 16-byte Folded Spill
	;; [unrolled: 1-line block ×7, first 2 shown]
	v_mov_b32_e32 v218, v142
	v_mov_b32_e32 v216, v116
	v_mov_b64_e32 v[116:117], v[72:73]
	v_mov_b64_e32 v[114:115], v[70:71]
	v_mov_b32_e32 v102, v14
	v_mov_b32_e32 v219, v61
	;; [unrolled: 1-line block ×3, first 2 shown]
	v_mov_b64_e32 v[144:145], v[170:171]
	v_mov_b64_e32 v[146:147], v[172:173]
	;; [unrolled: 1-line block ×3, first 2 shown]
	v_mov_b32_e32 v180, v192
	v_mov_b32_e32 v181, v193
	;; [unrolled: 1-line block ×9, first 2 shown]
	scratch_store_dwordx4 off, v[180:183], off offset:2184 ; 16-byte Folded Spill
	s_nop 0
	scratch_store_dwordx4 off, v[184:187], off offset:2200 ; 16-byte Folded Spill
	scratch_store_dwordx4 off, v[188:191], off offset:2216 ; 16-byte Folded Spill
	;; [unrolled: 1-line block ×7, first 2 shown]
	v_mov_b64_e32 v[150:151], v[176:177]
	v_mov_b32_e32 v214, v168
	v_mov_b32_e32 v96, v168
	;; [unrolled: 1-line block ×10, first 2 shown]
	scratch_store_dwordx4 off, v[160:163], off offset:2696 ; 16-byte Folded Spill
	s_nop 0
	scratch_store_dwordx4 off, v[164:167], off offset:2712 ; 16-byte Folded Spill
	scratch_store_dwordx4 off, v[168:171], off offset:2728 ; 16-byte Folded Spill
	;; [unrolled: 1-line block ×7, first 2 shown]
	v_mov_b32_e32 v235, v197
	v_mov_b32_e32 v185, v123
	;; [unrolled: 1-line block ×8, first 2 shown]
	scratch_store_dwordx4 off, v[130:133], off offset:264 ; 16-byte Folded Spill
	s_nop 0
	scratch_store_dwordx4 off, v[134:137], off offset:280 ; 16-byte Folded Spill
	scratch_store_dwordx4 off, v[138:141], off offset:296 ; 16-byte Folded Spill
	;; [unrolled: 1-line block ×7, first 2 shown]
	v_mov_b32_e32 v233, v191
	v_mov_b32_e32 v188, v168
	;; [unrolled: 1-line block ×3, first 2 shown]
	scratch_store_dwordx4 off, v[224:227], off offset:2312 ; 16-byte Folded Spill
	s_nop 0
	scratch_store_dwordx4 off, v[228:231], off offset:2328 ; 16-byte Folded Spill
	scratch_store_dwordx4 off, v[232:235], off offset:2344 ; 16-byte Folded Spill
	;; [unrolled: 1-line block ×7, first 2 shown]
	scratch_load_dwordx4 v[224:227], off, off offset:2440 ; 16-byte Folded Reload
	s_nop 0
	scratch_load_dwordx4 v[228:231], off, off offset:2456 ; 16-byte Folded Reload
	scratch_load_dwordx4 v[232:235], off, off offset:2472 ; 16-byte Folded Reload
	;; [unrolled: 1-line block ×7, first 2 shown]
	v_mov_b32_e32 v187, v151
	v_mov_b32_e32 v195, v159
	s_waitcnt vmcnt(5)
	v_mov_b32_e32 v189, v233
	scratch_load_dwordx4 v[224:227], off, off offset:2568 ; 16-byte Folded Reload
	scratch_load_dwordx4 v[228:231], off, off offset:2584 ; 16-byte Folded Reload
	scratch_load_dwordx4 v[232:235], off, off offset:2600 ; 16-byte Folded Reload
	scratch_load_dwordx4 v[236:239], off, off offset:2616 ; 16-byte Folded Reload
	scratch_load_dwordx4 v[240:243], off, off offset:2632 ; 16-byte Folded Reload
	scratch_load_dwordx4 v[244:247], off, off offset:2648 ; 16-byte Folded Reload
	scratch_load_dwordx4 v[248:251], off, off offset:2664 ; 16-byte Folded Reload
	scratch_load_dwordx4 v[252:255], off, off offset:2680 ; 16-byte Folded Reload
	s_waitcnt vmcnt(5)
	v_mov_b32_e32 v190, v234
	scratch_load_dwordx4 v[224:227], off, off offset:2056 ; 16-byte Folded Reload
	scratch_load_dwordx4 v[228:231], off, off offset:2072 ; 16-byte Folded Reload
	scratch_load_dwordx4 v[232:235], off, off offset:2088 ; 16-byte Folded Reload
	scratch_load_dwordx4 v[236:239], off, off offset:2104 ; 16-byte Folded Reload
	scratch_load_dwordx4 v[240:243], off, off offset:2120 ; 16-byte Folded Reload
	scratch_load_dwordx4 v[244:247], off, off offset:2136 ; 16-byte Folded Reload
	scratch_load_dwordx4 v[248:251], off, off offset:2152 ; 16-byte Folded Reload
	scratch_load_dwordx4 v[252:255], off, off offset:2168 ; 16-byte Folded Reload
	;; [unrolled: 10-line block ×4, first 2 shown]
	s_nop 0
	scratch_store_dwordx4 off, v[114:117], off offset:3464 ; 16-byte Folded Spill
	s_nop 0
	scratch_store_dwordx4 off, v[118:121], off offset:3480 ; 16-byte Folded Spill
	scratch_store_dwordx4 off, v[122:125], off offset:3496 ; 16-byte Folded Spill
	;; [unrolled: 1-line block ×7, first 2 shown]
	v_mov_b32_e32 v114, v16
	v_mov_b32_e32 v115, v17
	v_mov_b32_e32 v116, v64
	v_mov_b32_e32 v120, v112
	v_mov_b32_e32 v131, v105
	v_mov_b32_e32 v134, v74
	v_mov_b32_e32 v133, v199
	v_mov_b32_e32 v127, v61
	v_mov_b32_e32 v136, v16
	v_mov_b32_e32 v137, v17
	v_mov_b32_e32 v138, v64
	v_mov_b32_e32 v129, v159
	v_mov_b32_e32 v128, v14
	v_mov_b32_e32 v130, v42
	v_mov_b64_e32 v[178:179], v[150:151]
	v_mov_b64_e32 v[174:175], v[146:147]
	;; [unrolled: 1-line block ×3, first 2 shown]
	s_waitcnt vmcnt(11)
	v_mov_b32_e32 v198, v242
	scratch_load_dwordx4 v[224:227], off, off offset:2184 ; 16-byte Folded Reload
	scratch_load_dwordx4 v[228:231], off, off offset:2200 ; 16-byte Folded Reload
	;; [unrolled: 1-line block ×8, first 2 shown]
	v_mov_b64_e32 v[174:175], v[150:151]
	v_mov_b64_e32 v[176:177], v[148:149]
	;; [unrolled: 1-line block ×5, first 2 shown]
	v_mov_b32_e32 v121, v179
	v_mov_b32_e32 v149, v61
	;; [unrolled: 1-line block ×3, first 2 shown]
	s_waitcnt vmcnt(6)
	v_mov_b32_e32 v118, v228
	scratch_load_dwordx4 v[224:227], off, off offset:3080 ; 16-byte Folded Reload
	scratch_load_dwordx4 v[228:231], off, off offset:3096 ; 16-byte Folded Reload
	scratch_load_dwordx4 v[232:235], off, off offset:3112 ; 16-byte Folded Reload
	scratch_load_dwordx4 v[236:239], off, off offset:3128 ; 16-byte Folded Reload
	scratch_load_dwordx4 v[240:243], off, off offset:3144 ; 16-byte Folded Reload
	scratch_load_dwordx4 v[244:247], off, off offset:3160 ; 16-byte Folded Reload
	scratch_load_dwordx4 v[248:251], off, off offset:3176 ; 16-byte Folded Reload
	scratch_load_dwordx4 v[252:255], off, off offset:3192 ; 16-byte Folded Reload
	s_waitcnt vmcnt(6)
	v_mov_b32_e32 v119, v229
	scratch_load_dwordx4 v[224:227], off, off offset:2696 ; 16-byte Folded Reload
	scratch_load_dwordx4 v[228:231], off, off offset:2712 ; 16-byte Folded Reload
	scratch_load_dwordx4 v[232:235], off, off offset:2728 ; 16-byte Folded Reload
	scratch_load_dwordx4 v[236:239], off, off offset:2744 ; 16-byte Folded Reload
	scratch_load_dwordx4 v[240:243], off, off offset:2760 ; 16-byte Folded Reload
	scratch_load_dwordx4 v[244:247], off, off offset:2776 ; 16-byte Folded Reload
	scratch_load_dwordx4 v[248:251], off, off offset:2792 ; 16-byte Folded Reload
	scratch_load_dwordx4 v[252:255], off, off offset:2808 ; 16-byte Folded Reload
	;; [unrolled: 10-line block ×6, first 2 shown]
	s_nop 0
	scratch_store_dwordx4 off, v[88:91], off offset:136 ; 16-byte Folded Spill
	s_nop 0
	scratch_store_dwordx4 off, v[92:95], off offset:152 ; 16-byte Folded Spill
	scratch_store_dwordx4 off, v[96:99], off offset:168 ; 16-byte Folded Spill
	;; [unrolled: 1-line block ×7, first 2 shown]
	scratch_load_dwordx4 v[70:73], off, off offset:2312 ; 16-byte Folded Reload
	s_nop 0
	scratch_load_dwordx4 v[74:77], off, off offset:2328 ; 16-byte Folded Reload
	scratch_load_dwordx4 v[78:81], off, off offset:2344 ; 16-byte Folded Reload
	;; [unrolled: 1-line block ×7, first 2 shown]
	v_mov_b32_e32 v142, v112
	s_waitcnt vmcnt(20)
	v_mov_b32_e32 v126, v236
	s_waitcnt vmcnt(3)
	v_mov_b32_e32 v132, v88
	scratch_load_dwordx4 v[70:73], off, off offset:3464 ; 16-byte Folded Reload
	scratch_load_dwordx4 v[74:77], off, off offset:3480 ; 16-byte Folded Reload
	scratch_load_dwordx4 v[78:81], off, off offset:3496 ; 16-byte Folded Reload
	scratch_load_dwordx4 v[82:85], off, off offset:3512 ; 16-byte Folded Reload
	scratch_load_dwordx4 v[86:89], off, off offset:3528 ; 16-byte Folded Reload
	scratch_load_dwordx4 v[90:93], off, off offset:3544 ; 16-byte Folded Reload
	scratch_load_dwordx4 v[94:97], off, off offset:3560 ; 16-byte Folded Reload
	scratch_load_dwordx4 v[98:101], off, off offset:3576 ; 16-byte Folded Reload
	s_waitcnt vmcnt(7)
	v_mov_b32_e32 v139, v73
	scratch_load_dwordx4 v[70:73], off, off offset:2184 ; 16-byte Folded Reload
	scratch_load_dwordx4 v[74:77], off, off offset:2200 ; 16-byte Folded Reload
	scratch_load_dwordx4 v[78:81], off, off offset:2216 ; 16-byte Folded Reload
	scratch_load_dwordx4 v[82:85], off, off offset:2232 ; 16-byte Folded Reload
	scratch_load_dwordx4 v[86:89], off, off offset:2248 ; 16-byte Folded Reload
	scratch_load_dwordx4 v[90:93], off, off offset:2264 ; 16-byte Folded Reload
	scratch_load_dwordx4 v[94:97], off, off offset:2280 ; 16-byte Folded Reload
	scratch_load_dwordx4 v[98:101], off, off offset:2296 ; 16-byte Folded Reload
	;; [unrolled: 10-line block ×3, first 2 shown]
	s_nop 0
	scratch_store_dwordx4 off, v[168:171], off offset:3848 ; 16-byte Folded Spill
	s_nop 0
	scratch_store_dwordx4 off, v[172:175], off offset:3864 ; 16-byte Folded Spill
	scratch_store_dwordx4 off, v[176:179], off offset:3880 ; 16-byte Folded Spill
	;; [unrolled: 1-line block ×7, first 2 shown]
	v_mov_b32_e32 v143, v175
	s_waitcnt vmcnt(14)
	v_mov_b32_e32 v141, v75
	scratch_load_dwordx4 v[70:73], off, off offset:2696 ; 16-byte Folded Reload
	scratch_load_dwordx4 v[74:77], off, off offset:2712 ; 16-byte Folded Reload
	scratch_load_dwordx4 v[78:81], off, off offset:2728 ; 16-byte Folded Reload
	scratch_load_dwordx4 v[82:85], off, off offset:2744 ; 16-byte Folded Reload
	scratch_load_dwordx4 v[86:89], off, off offset:2760 ; 16-byte Folded Reload
	scratch_load_dwordx4 v[90:93], off, off offset:2776 ; 16-byte Folded Reload
	scratch_load_dwordx4 v[94:97], off, off offset:2792 ; 16-byte Folded Reload
	scratch_load_dwordx4 v[98:101], off, off offset:2808 ; 16-byte Folded Reload
	s_waitcnt vmcnt(5)
	v_mov_b32_e32 v144, v78
	scratch_load_dwordx4 v[70:73], off, off offset:2440 ; 16-byte Folded Reload
	scratch_load_dwordx4 v[74:77], off, off offset:2456 ; 16-byte Folded Reload
	scratch_load_dwordx4 v[78:81], off, off offset:2472 ; 16-byte Folded Reload
	scratch_load_dwordx4 v[82:85], off, off offset:2488 ; 16-byte Folded Reload
	scratch_load_dwordx4 v[86:89], off, off offset:2504 ; 16-byte Folded Reload
	scratch_load_dwordx4 v[90:93], off, off offset:2520 ; 16-byte Folded Reload
	scratch_load_dwordx4 v[94:97], off, off offset:2536 ; 16-byte Folded Reload
	scratch_load_dwordx4 v[98:101], off, off offset:2552 ; 16-byte Folded Reload
	;; [unrolled: 10-line block ×3, first 2 shown]
	scratch_load_dwordx4 v[224:227], off, off offset:2056 ; 16-byte Folded Reload
	scratch_load_dwordx4 v[228:231], off, off offset:2072 ; 16-byte Folded Reload
	scratch_load_dwordx4 v[232:235], off, off offset:2088 ; 16-byte Folded Reload
	scratch_load_dwordx4 v[236:239], off, off offset:2104 ; 16-byte Folded Reload
	scratch_load_dwordx4 v[240:243], off, off offset:2120 ; 16-byte Folded Reload
	scratch_load_dwordx4 v[244:247], off, off offset:2136 ; 16-byte Folded Reload
	scratch_load_dwordx4 v[248:251], off, off offset:2152 ; 16-byte Folded Reload
	scratch_load_dwordx4 v[252:255], off, off offset:2168 ; 16-byte Folded Reload
	s_waitcnt vmcnt(13)
	v_mov_b32_e32 v146, v80
	scratch_load_dwordx4 v[70:73], off, off offset:264 ; 16-byte Folded Reload
	scratch_load_dwordx4 v[74:77], off, off offset:280 ; 16-byte Folded Reload
	;; [unrolled: 1-line block ×8, first 2 shown]
	s_waitcnt vmcnt(13)
	v_mov_b32_e32 v147, v235
	s_waitcnt vmcnt(3)
	v_mov_b32_e32 v88, v82
	v_mov_b64_e32 v[86:87], v[80:81]
	v_mov_b64_e32 v[84:85], v[78:79]
	;; [unrolled: 1-line block ×6, first 2 shown]
	v_mov_b32_e32 v148, v88
	scratch_store_dwordx4 off, v[48:51], off offset:264 ; 16-byte Folded Spill
	s_nop 0
	scratch_store_dwordx4 off, v[52:55], off offset:280 ; 16-byte Folded Spill
	scratch_store_dwordx4 off, v[56:59], off offset:296 ; 16-byte Folded Spill
	;; [unrolled: 1-line block ×7, first 2 shown]
	v_mov_b64_e32 v[44:45], v[136:137]
	v_mov_b32_e32 v56, v148
	v_mov_b64_e32 v[46:47], v[138:139]
	v_mov_b64_e32 v[48:49], v[140:141]
	;; [unrolled: 1-line block ×5, first 2 shown]
	v_mov_b32_e32 v57, v149
	v_mov_b32_e32 v58, v150
	scratch_load_dwordx4 v[136:139], off, off offset:2952 ; 16-byte Folded Reload
	scratch_load_dwordx4 v[140:143], off, off offset:2968 ; 16-byte Folded Reload
	;; [unrolled: 1-line block ×16, first 2 shown]
	s_waitcnt vmcnt(11)
	v_mov_b32_e32 v155, v199
	s_waitcnt vmcnt(10)
	v_mov_b32_e32 v157, v43
	v_mov_b32_e32 v152, v42
	;; [unrolled: 1-line block ×5, first 2 shown]
	v_mov_b64_e32 v[150:151], v[58:59]
	s_waitcnt vmcnt(3)
	v_mov_b32_e32 v153, v241
	scratch_load_dwordx4 v[224:227], off, off offset:2312 ; 16-byte Folded Reload
	scratch_load_dwordx4 v[228:231], off, off offset:2328 ; 16-byte Folded Reload
	;; [unrolled: 1-line block ×8, first 2 shown]
	s_nop 0
	scratch_store_dwordx4 off, v[0:3], off offset:1160 ; 16-byte Folded Spill
	s_nop 0
	scratch_store_dwordx4 off, v[4:7], off offset:1176 ; 16-byte Folded Spill
	scratch_store_dwordx4 off, v[8:11], off offset:1192 ; 16-byte Folded Spill
	;; [unrolled: 1-line block ×8, first 2 shown]
	s_nop 0
	scratch_store_dwordx4 off, v[184:187], off offset:536 ; 16-byte Folded Spill
	scratch_store_dwordx4 off, v[188:191], off offset:552 ; 16-byte Folded Spill
	scratch_store_dwordx4 off, v[192:195], off offset:568 ; 16-byte Folded Spill
	scratch_store_dwordx4 off, v[196:199], off offset:584 ; 16-byte Folded Spill
	scratch_store_dwordx4 off, v[200:203], off offset:600 ; 16-byte Folded Spill
	scratch_store_dwordx4 off, v[204:207], off offset:616 ; 16-byte Folded Spill
	scratch_store_dwordx4 off, v[208:211], off offset:632 ; 16-byte Folded Spill
	v_mov_b64_e32 v[148:149], v[56:57]
	v_mov_b64_e32 v[146:147], v[54:55]
	;; [unrolled: 1-line block ×8, first 2 shown]
	v_mov_b32_e32 v190, v66
	v_mov_b32_e32 v180, v88
	;; [unrolled: 1-line block ×7, first 2 shown]
	scratch_store_dwordx4 off, v[16:19], off offset:4 ; 16-byte Folded Spill
	s_nop 0
	scratch_store_dwordx4 off, v[20:23], off offset:20 ; 16-byte Folded Spill
	scratch_store_dwordx4 off, v[24:27], off offset:36 ; 16-byte Folded Spill
	;; [unrolled: 1-line block ×7, first 2 shown]
	v_mov_b32_e32 v24, v62
	v_mov_b32_e32 v25, v63
	;; [unrolled: 1-line block ×3, first 2 shown]
	scratch_store_dwordx4 off, v[24:27], s2 ; 16-byte Folded Spill
	s_nop 0
	scratch_store_dwordx4 off, v[28:31], s2 offset:16 ; 16-byte Folded Spill
	scratch_store_dwordx4 off, v[32:35], s2 offset:32 ; 16-byte Folded Spill
	;; [unrolled: 1-line block ×7, first 2 shown]
	scratch_load_dwordx4 v[28:31], off, off offset:3464 ; 16-byte Folded Reload
	s_nop 0
	scratch_load_dwordx4 v[32:35], off, off offset:3480 ; 16-byte Folded Reload
	scratch_load_dwordx4 v[36:39], off, off offset:3496 ; 16-byte Folded Reload
	;; [unrolled: 1-line block ×7, first 2 shown]
	s_movk_i32 s2, 0x12e0
	s_waitcnt vmcnt(43)
	v_mov_b32_e32 v154, v242
	v_mov_b32_e32 v186, v242
	;; [unrolled: 1-line block ×4, first 2 shown]
	s_waitcnt vmcnt(7)
	v_mov_b64_e32 v[4:5], v[28:29]
	v_mov_b64_e32 v[6:7], v[30:31]
	scratch_load_dwordx4 v[30:33], off, off offset:2184 ; 16-byte Folded Reload
	scratch_load_dwordx4 v[34:37], off, off offset:2200 ; 16-byte Folded Reload
	;; [unrolled: 1-line block ×8, first 2 shown]
	v_mov_b32_e32 v0, v106
	v_mov_b32_e32 v1, v107
	;; [unrolled: 1-line block ×11, first 2 shown]
	s_waitcnt vmcnt(6)
	v_mov_b32_e32 v172, v34
	scratch_load_dwordx4 v[28:31], off, off offset:3080 ; 16-byte Folded Reload
	scratch_load_dwordx4 v[32:35], off, off offset:3096 ; 16-byte Folded Reload
	;; [unrolled: 1-line block ×8, first 2 shown]
	s_waitcnt vmcnt(6)
	v_mov_b64_e32 v[20:21], v[28:29]
	v_mov_b64_e32 v[22:23], v[30:31]
	;; [unrolled: 1-line block ×3, first 2 shown]
	v_mov_b32_e32 v173, v25
	scratch_store_dwordx4 off, v[0:3], s2   ; 16-byte Folded Spill
	s_nop 0
	scratch_store_dwordx4 off, v[4:7], s2 offset:16 ; 16-byte Folded Spill
	scratch_store_dwordx4 off, v[8:11], s2 offset:32 ; 16-byte Folded Spill
	;; [unrolled: 1-line block ×7, first 2 shown]
	scratch_load_dwordx4 v[28:31], off, off offset:2696 ; 16-byte Folded Reload
	s_nop 0
	scratch_load_dwordx4 v[32:35], off, off offset:2712 ; 16-byte Folded Reload
	scratch_load_dwordx4 v[36:39], off, off offset:2728 ; 16-byte Folded Reload
	;; [unrolled: 1-line block ×7, first 2 shown]
	v_mov_b64_e32 v[12:13], v[76:77]
	v_mov_b64_e32 v[14:15], v[78:79]
	;; [unrolled: 1-line block ×6, first 2 shown]
	v_mov_b32_e32 v24, v88
	s_movk_i32 s2, 0x11dc
	v_mov_b32_e32 v174, v6
	s_waitcnt vmcnt(5)
	v_mov_b32_e32 v176, v36
	scratch_load_dwordx4 v[30:33], off, off offset:2440 ; 16-byte Folded Reload
	scratch_load_dwordx4 v[34:37], off, off offset:2456 ; 16-byte Folded Reload
	;; [unrolled: 1-line block ×16, first 2 shown]
	s_waitcnt vmcnt(13)
	v_mov_b64_e32 v[28:29], v[30:31]
	s_waitcnt vmcnt(5)
	v_mov_b32_e32 v102, v50
	v_mov_b32_e32 v101, v49
	;; [unrolled: 1-line block ×11, first 2 shown]
	scratch_load_dwordx4 v[44:47], off, off offset:2056 ; 16-byte Folded Reload
	scratch_load_dwordx4 v[48:51], off, off offset:2072 ; 16-byte Folded Reload
	;; [unrolled: 1-line block ×8, first 2 shown]
	v_mov_b64_e32 v[30:31], v[32:33]
	v_mov_b64_e32 v[32:33], v[34:35]
	;; [unrolled: 1-line block ×4, first 2 shown]
	v_mov_b32_e32 v177, v37
	v_mov_b32_e32 v178, v102
	s_waitcnt vmcnt(5)
	v_mov_b32_e32 v179, v55
	scratch_load_dwordx4 v[40:43], off, off offset:264 ; 16-byte Folded Reload
	scratch_load_dwordx4 v[44:47], off, off offset:280 ; 16-byte Folded Reload
	;; [unrolled: 1-line block ×8, first 2 shown]
	s_waitcnt vmcnt(4)
	v_mov_b32_e32 v181, v53
	scratch_load_dwordx4 v[40:43], off, off offset:1160 ; 16-byte Folded Reload
	scratch_load_dwordx4 v[44:47], off, off offset:1176 ; 16-byte Folded Reload
	;; [unrolled: 1-line block ×16, first 2 shown]
	s_waitcnt vmcnt(2)
	v_mov_b32_e32 v93, v7
	s_waitcnt vmcnt(1)
	v_mov_b32_e32 v96, v6
	v_mov_b32_e32 v92, v26
	s_waitcnt vmcnt(0)
	v_mov_b32_e32 v99, v37
	v_mov_b32_e32 v95, v25
	;; [unrolled: 1-line block ×5, first 2 shown]
	scratch_load_dwordx4 v[40:43], off, off offset:136 ; 16-byte Folded Reload
	scratch_load_dwordx4 v[44:47], off, off offset:152 ; 16-byte Folded Reload
	;; [unrolled: 1-line block ×8, first 2 shown]
	v_mov_b32_e32 v183, v85
	s_waitcnt vmcnt(3)
	v_mov_b32_e32 v185, v57
	scratch_load_dwordx4 v[40:43], off, off offset:520 ; 16-byte Folded Reload
	scratch_load_dwordx4 v[44:47], off, off offset:536 ; 16-byte Folded Reload
	;; [unrolled: 1-line block ×8, first 2 shown]
	s_nop 0
	scratch_store_dwordx4 off, v[136:139], off offset:392 ; 16-byte Folded Spill
	s_nop 0
	scratch_store_dwordx4 off, v[140:143], off offset:408 ; 16-byte Folded Spill
	scratch_store_dwordx4 off, v[144:147], off offset:424 ; 16-byte Folded Spill
	;; [unrolled: 1-line block ×7, first 2 shown]
	scratch_load_dwordx4 v[224:227], off, off offset:4 ; 16-byte Folded Reload
	scratch_load_dwordx4 v[228:231], off, off offset:20 ; 16-byte Folded Reload
	;; [unrolled: 1-line block ×8, first 2 shown]
	s_waitcnt vmcnt(7)
	v_mov_b32_e32 v90, v224
	v_mov_b32_e32 v91, v225
	;; [unrolled: 1-line block ×3, first 2 shown]
	scratch_load_dwordx4 v[40:43], off, off offset:2184 ; 16-byte Folded Reload
	scratch_load_dwordx4 v[44:47], off, off offset:2200 ; 16-byte Folded Reload
	scratch_load_dwordx4 v[48:51], off, off offset:2216 ; 16-byte Folded Reload
	scratch_load_dwordx4 v[52:55], off, off offset:2232 ; 16-byte Folded Reload
	scratch_load_dwordx4 v[56:59], off, off offset:2248 ; 16-byte Folded Reload
	scratch_load_dwordx4 v[60:63], off, off offset:2264 ; 16-byte Folded Reload
	scratch_load_dwordx4 v[64:67], off, off offset:2280 ; 16-byte Folded Reload
	scratch_load_dwordx4 v[68:71], off, off offset:2296 ; 16-byte Folded Reload
	s_waitcnt vmcnt(6)
	v_mov_b32_e32 v94, v44
	scratch_load_dwordx4 v[40:43], off, off offset:3848 ; 16-byte Folded Reload
	scratch_load_dwordx4 v[44:47], off, off offset:3864 ; 16-byte Folded Reload
	scratch_load_dwordx4 v[48:51], off, off offset:3880 ; 16-byte Folded Reload
	scratch_load_dwordx4 v[52:55], off, off offset:3896 ; 16-byte Folded Reload
	scratch_load_dwordx4 v[56:59], off, off offset:3912 ; 16-byte Folded Reload
	scratch_load_dwordx4 v[60:63], off, off offset:3928 ; 16-byte Folded Reload
	scratch_load_dwordx4 v[64:67], off, off offset:3944 ; 16-byte Folded Reload
	scratch_load_dwordx4 v[68:71], off, off offset:3960 ; 16-byte Folded Reload
	s_waitcnt vmcnt(6)
	v_mov_b32_e32 v97, v47
	;; [unrolled: 10-line block ×3, first 2 shown]
	v_mov_b32_e32 v1, v41
	v_mov_b32_e32 v2, v42
	;; [unrolled: 1-line block ×8, first 2 shown]
	scratch_load_dwordx4 v[26:29], off, off offset:2056 ; 16-byte Folded Reload
	scratch_load_dwordx4 v[30:33], off, off offset:2072 ; 16-byte Folded Reload
	;; [unrolled: 1-line block ×8, first 2 shown]
	v_mov_b32_e32 v98, v8
	scratch_load_dwordx4 v[224:227], off, off offset:264 ; 16-byte Folded Reload
	scratch_load_dwordx4 v[228:231], off, off offset:280 ; 16-byte Folded Reload
	;; [unrolled: 1-line block ×8, first 2 shown]
	s_waitcnt vmcnt(0)
	v_mov_b32_e32 v252, v135
	v_mov_b32_e32 v250, v200
	v_cmp_lt_u32_e32 vcc, 1, v250
	v_mov_b64_e32 v[0:1], v[26:27]
	v_mov_b64_e32 v[2:3], v[28:29]
	v_mov_b64_e32 v[4:5], v[30:31]
	v_mov_b64_e32 v[6:7], v[32:33]
	v_mov_b64_e32 v[8:9], v[34:35]
	v_mov_b64_e32 v[10:11], v[36:37]
	scratch_load_dwordx4 v[26:29], off, off offset:1160 ; 16-byte Folded Reload
	scratch_load_dwordx4 v[30:33], off, off offset:1176 ; 16-byte Folded Reload
	;; [unrolled: 1-line block ×16, first 2 shown]
	v_mov_b32_e32 v101, v11
	v_mov_b32_e32 v103, v237
	s_waitcnt vmcnt(12)
	v_mov_b32_e32 v104, v40
	scratch_load_dwordx4 v[26:29], off, off offset:136 ; 16-byte Folded Reload
	scratch_load_dwordx4 v[30:33], off, off offset:152 ; 16-byte Folded Reload
	;; [unrolled: 1-line block ×16, first 2 shown]
	s_waitcnt vmcnt(20)
	v_mov_b32_e32 v105, v151
	s_waitcnt vmcnt(11)
	v_mov_b64_e32 v[44:45], v[42:43]
	s_waitcnt vmcnt(3)
	v_mov_b32_e32 v108, v64
	scratch_load_dwordx4 v[46:49], off, off offset:520 ; 16-byte Folded Reload
	scratch_load_dwordx4 v[50:53], off, off offset:536 ; 16-byte Folded Reload
	;; [unrolled: 1-line block ×8, first 2 shown]
	v_mov_b64_e32 v[42:43], v[40:41]
	v_mov_b64_e32 v[40:41], v[38:39]
	;; [unrolled: 1-line block ×8, first 2 shown]
	v_mov_b32_e32 v107, v45
	s_waitcnt vmcnt(3)
	v_mov_b32_e32 v109, v65
	scratch_load_dwordx4 v[46:49], off, off offset:392 ; 16-byte Folded Reload
	scratch_load_dwordx4 v[50:53], off, off offset:408 ; 16-byte Folded Reload
	;; [unrolled: 1-line block ×8, first 2 shown]
	s_waitcnt lgkmcnt(0)
	s_barrier
	ds_read_b32 v26, v135
	s_waitcnt lgkmcnt(0)
	scratch_store_dword off, v26, s2        ; 4-byte Folded Spill
	v_mov_b32_e32 v26, v190
	s_movk_i32 s2, 0x1008
	s_waitcnt vmcnt(5)
	v_mov_b64_e32 v[150:151], v[60:61]
	v_mov_b64_e32 v[148:149], v[58:59]
	v_mov_b64_e32 v[146:147], v[56:57]
	v_mov_b64_e32 v[144:145], v[54:55]
	v_mov_b64_e32 v[142:143], v[52:53]
	v_mov_b64_e32 v[140:141], v[50:51]
	v_mov_b64_e32 v[138:139], v[48:49]
	v_mov_b64_e32 v[136:137], v[46:47]
	s_waitcnt vmcnt(3)
	v_mov_b64_e32 v[156:157], v[66:67]
	v_mov_b64_e32 v[46:47], v[44:45]
	;; [unrolled: 1-line block ×5, first 2 shown]
	v_mov_b32_e32 v111, v157
	v_mov_b64_e32 v[42:43], v[40:41]
	v_mov_b64_e32 v[40:41], v[38:39]
	;; [unrolled: 1-line block ×8, first 2 shown]
	scratch_store_dwordx4 off, v[90:93], off offset:264 ; 16-byte Folded Spill
	s_nop 0
	scratch_store_dwordx4 off, v[94:97], off offset:280 ; 16-byte Folded Spill
	scratch_store_dwordx4 off, v[98:101], off offset:296 ; 16-byte Folded Spill
	;; [unrolled: 1-line block ×8, first 2 shown]
	s_nop 0
	scratch_store_dwordx4 off, v[8:11], off offset:152 ; 16-byte Folded Spill
	scratch_store_dwordx4 off, v[12:15], off offset:168 ; 16-byte Folded Spill
	;; [unrolled: 1-line block ×7, first 2 shown]
	scratch_store_dwordx4 off, v[168:171], s2 ; 16-byte Folded Spill
	s_nop 0
	scratch_store_dwordx4 off, v[172:175], s2 offset:16 ; 16-byte Folded Spill
	scratch_store_dwordx4 off, v[176:179], s2 offset:32 ; 16-byte Folded Spill
	;; [unrolled: 1-line block ×7, first 2 shown]
	scratch_store_dwordx4 off, v[136:139], off offset:392 ; 16-byte Folded Spill
	s_nop 0
	scratch_store_dwordx4 off, v[140:143], off offset:408 ; 16-byte Folded Spill
	scratch_store_dwordx4 off, v[144:147], off offset:424 ; 16-byte Folded Spill
	;; [unrolled: 1-line block ×7, first 2 shown]
	v_mov_b32_e32 v59, v205
	v_mov_b32_e32 v67, v47
	;; [unrolled: 1-line block ×3, first 2 shown]
	s_movk_i32 s2, 0x12e0
	v_mov_b32_e32 v178, v24
	v_mov_b32_e32 v135, v157
	scratch_store_dwordx4 off, v[114:117], off offset:3976 ; 16-byte Folded Spill
	s_nop 0
	scratch_store_dwordx4 off, v[118:121], off offset:3992 ; 16-byte Folded Spill
	scratch_store_dwordx4 off, v[122:125], off offset:4008 ; 16-byte Folded Spill
	;; [unrolled: 1-line block ×7, first 2 shown]
	scratch_load_dwordx4 v[88:91], off, off offset:520 ; 16-byte Folded Reload
	s_nop 0
	scratch_load_dwordx4 v[92:95], off, off offset:536 ; 16-byte Folded Reload
	scratch_load_dwordx4 v[96:99], off, off offset:552 ; 16-byte Folded Reload
	;; [unrolled: 1-line block ×7, first 2 shown]
	s_waitcnt vmcnt(3)
	v_mov_b32_e32 v65, v107
	scratch_store_dwordx4 off, v[88:91], off offset:520 ; 16-byte Folded Spill
	s_nop 0
	scratch_store_dwordx4 off, v[92:95], off offset:536 ; 16-byte Folded Spill
	scratch_store_dwordx4 off, v[96:99], off offset:552 ; 16-byte Folded Spill
	;; [unrolled: 1-line block ×4, first 2 shown]
	s_waitcnt vmcnt(7)
	scratch_store_dwordx4 off, v[108:111], off offset:600 ; 16-byte Folded Spill
	s_waitcnt vmcnt(7)
	scratch_store_dwordx4 off, v[112:115], off offset:616 ; 16-byte Folded Spill
	;; [unrolled: 2-line block ×3, first 2 shown]
	scratch_load_dwordx4 v[88:91], off, off offset:2312 ; 16-byte Folded Reload
	s_nop 0
	scratch_load_dwordx4 v[92:95], off, off offset:2328 ; 16-byte Folded Reload
	scratch_load_dwordx4 v[96:99], off, off offset:2344 ; 16-byte Folded Reload
	;; [unrolled: 1-line block ×7, first 2 shown]
	s_waitcnt vmcnt(4)
	v_mov_b64_e32 v[200:201], v[102:103]
	s_waitcnt vmcnt(3)
	v_mov_b32_e32 v204, v106
	v_mov_b64_e32 v[198:199], v[100:101]
	v_mov_b64_e32 v[196:197], v[98:99]
	;; [unrolled: 1-line block ×7, first 2 shown]
	v_mov_b32_e32 v203, v105
	v_mov_b32_e32 v202, v104
	v_mov_b32_e32 v64, v204
	scratch_store_dwordx4 off, v[186:189], off offset:648 ; 16-byte Folded Spill
	s_nop 0
	scratch_store_dwordx4 off, v[190:193], off offset:664 ; 16-byte Folded Spill
	scratch_store_dwordx4 off, v[194:197], off offset:680 ; 16-byte Folded Spill
	scratch_store_dwordx4 off, v[198:201], off offset:696 ; 16-byte Folded Spill
	scratch_store_dwordx4 off, v[202:205], off offset:712 ; 16-byte Folded Spill
	scratch_store_dwordx4 off, v[206:209], off offset:728 ; 16-byte Folded Spill
	scratch_store_dwordx4 off, v[210:213], off offset:744 ; 16-byte Folded Spill
	scratch_store_dwordx4 off, v[214:217], off offset:760 ; 16-byte Folded Spill
	scratch_store_dwordx4 off, v[30:33], off offset:776 ; 16-byte Folded Spill
	s_nop 0
	scratch_store_dwordx4 off, v[34:37], off offset:792 ; 16-byte Folded Spill
	scratch_store_dwordx4 off, v[38:41], off offset:808 ; 16-byte Folded Spill
	scratch_store_dwordx4 off, v[42:45], off offset:824 ; 16-byte Folded Spill
	scratch_store_dwordx4 off, v[46:49], off offset:840 ; 16-byte Folded Spill
	scratch_store_dwordx4 off, v[50:53], off offset:856 ; 16-byte Folded Spill
	scratch_store_dwordx4 off, v[54:57], off offset:872 ; 16-byte Folded Spill
	scratch_store_dwordx4 off, v[58:61], off offset:888 ; 16-byte Folded Spill
	;; [unrolled: 9-line block ×3, first 2 shown]
	scratch_load_dwordx4 v[26:29], off, off offset:2952 ; 16-byte Folded Reload
	scratch_load_dwordx4 v[30:33], off, off offset:2968 ; 16-byte Folded Reload
	;; [unrolled: 1-line block ×8, first 2 shown]
	v_mov_b32_e32 v217, v11
	v_mov_b32_e32 v179, v237
	s_waitcnt vmcnt(4)
	v_mov_b32_e32 v69, v41
	scratch_store_dwordx4 off, v[26:29], off offset:1032 ; 16-byte Folded Spill
	s_nop 0
	scratch_store_dwordx4 off, v[30:33], off offset:1048 ; 16-byte Folded Spill
	scratch_store_dwordx4 off, v[34:37], off offset:1064 ; 16-byte Folded Spill
	;; [unrolled: 1-line block ×3, first 2 shown]
	s_waitcnt vmcnt(7)
	scratch_store_dwordx4 off, v[42:45], off offset:1096 ; 16-byte Folded Spill
	s_waitcnt vmcnt(7)
	scratch_store_dwordx4 off, v[46:49], off offset:1112 ; 16-byte Folded Spill
	;; [unrolled: 2-line block ×4, first 2 shown]
	scratch_load_dwordx4 v[26:29], off, off offset:1160 ; 16-byte Folded Reload
	s_nop 0
	scratch_load_dwordx4 v[30:33], off, off offset:1176 ; 16-byte Folded Reload
	scratch_load_dwordx4 v[34:37], off, off offset:1192 ; 16-byte Folded Reload
	;; [unrolled: 1-line block ×7, first 2 shown]
	s_waitcnt vmcnt(4)
	v_mov_b32_e32 v80, v40
	scratch_store_dwordx4 off, v[26:29], off offset:1160 ; 16-byte Folded Spill
	s_nop 0
	scratch_store_dwordx4 off, v[30:33], off offset:1176 ; 16-byte Folded Spill
	scratch_store_dwordx4 off, v[34:37], off offset:1192 ; 16-byte Folded Spill
	;; [unrolled: 1-line block ×3, first 2 shown]
	s_waitcnt vmcnt(7)
	scratch_store_dwordx4 off, v[42:45], off offset:1224 ; 16-byte Folded Spill
	s_waitcnt vmcnt(7)
	scratch_store_dwordx4 off, v[46:49], off offset:1240 ; 16-byte Folded Spill
	;; [unrolled: 2-line block ×4, first 2 shown]
	v_mov_b64_e32 v[36:37], v[22:23]
	v_mov_b64_e32 v[34:35], v[20:21]
	;; [unrolled: 1-line block ×6, first 2 shown]
	v_mov_b32_e32 v38, v24
	scratch_store_dwordx4 off, v[224:227], off offset:1288 ; 16-byte Folded Spill
	s_nop 0
	scratch_store_dwordx4 off, v[228:231], off offset:1304 ; 16-byte Folded Spill
	scratch_store_dwordx4 off, v[232:235], off offset:1320 ; 16-byte Folded Spill
	scratch_store_dwordx4 off, v[236:239], off offset:1336 ; 16-byte Folded Spill
	scratch_store_dwordx4 off, v[240:243], off offset:1352 ; 16-byte Folded Spill
	scratch_store_dwordx4 off, v[244:247], off offset:1368 ; 16-byte Folded Spill
	scratch_store_dwordx4 off, v[248:251], off offset:1384 ; 16-byte Folded Spill
	scratch_store_dwordx4 off, v[252:255], off offset:1400 ; 16-byte Folded Spill
	scratch_store_dwordx4 off, v[26:29], off offset:1416 ; 16-byte Folded Spill
	s_nop 0
	scratch_store_dwordx4 off, v[30:33], off offset:1432 ; 16-byte Folded Spill
	scratch_store_dwordx4 off, v[34:37], off offset:1448 ; 16-byte Folded Spill
	scratch_store_dwordx4 off, v[38:41], off offset:1464 ; 16-byte Folded Spill
	scratch_store_dwordx4 off, v[42:45], off offset:1480 ; 16-byte Folded Spill
	scratch_store_dwordx4 off, v[46:49], off offset:1496 ; 16-byte Folded Spill
	scratch_store_dwordx4 off, v[50:53], off offset:1512 ; 16-byte Folded Spill
	scratch_store_dwordx4 off, v[54:57], off offset:1528 ; 16-byte Folded Spill
	;; [unrolled: 9-line block ×3, first 2 shown]
	scratch_load_dwordx4 v[26:29], off, off offset:2568 ; 16-byte Folded Reload
	s_nop 0
	scratch_load_dwordx4 v[30:33], off, off offset:2584 ; 16-byte Folded Reload
	scratch_load_dwordx4 v[34:37], off, off offset:2600 ; 16-byte Folded Reload
	scratch_load_dwordx4 v[38:41], off, off offset:2616 ; 16-byte Folded Reload
	scratch_load_dwordx4 v[42:45], off, off offset:2632 ; 16-byte Folded Reload
	scratch_load_dwordx4 v[46:49], off, off offset:2648 ; 16-byte Folded Reload
	scratch_load_dwordx4 v[50:53], off, off offset:2664 ; 16-byte Folded Reload
	scratch_load_dwordx4 v[54:57], off, off offset:2680 ; 16-byte Folded Reload
	s_waitcnt vmcnt(5)
	v_mov_b32_e32 v76, v36
	scratch_store_dwordx4 off, v[26:29], off offset:1672 ; 16-byte Folded Spill
	s_nop 0
	scratch_store_dwordx4 off, v[30:33], off offset:1688 ; 16-byte Folded Spill
	scratch_store_dwordx4 off, v[34:37], off offset:1704 ; 16-byte Folded Spill
	s_waitcnt vmcnt(7)
	scratch_store_dwordx4 off, v[38:41], off offset:1720 ; 16-byte Folded Spill
	s_waitcnt vmcnt(7)
	scratch_store_dwordx4 off, v[42:45], off offset:1736 ; 16-byte Folded Spill
	s_waitcnt vmcnt(7)
	scratch_store_dwordx4 off, v[46:49], off offset:1752 ; 16-byte Folded Spill
	s_waitcnt vmcnt(7)
	scratch_store_dwordx4 off, v[50:53], off offset:1768 ; 16-byte Folded Spill
	s_waitcnt vmcnt(7)
	scratch_store_dwordx4 off, v[54:57], off offset:1784 ; 16-byte Folded Spill
	scratch_load_dwordx4 v[26:29], off, off offset:2440 ; 16-byte Folded Reload
	s_nop 0
	scratch_load_dwordx4 v[30:33], off, off offset:2456 ; 16-byte Folded Reload
	scratch_load_dwordx4 v[34:37], off, off offset:2472 ; 16-byte Folded Reload
	scratch_load_dwordx4 v[38:41], off, off offset:2488 ; 16-byte Folded Reload
	scratch_load_dwordx4 v[42:45], off, off offset:2504 ; 16-byte Folded Reload
	scratch_load_dwordx4 v[46:49], off, off offset:2520 ; 16-byte Folded Reload
	scratch_load_dwordx4 v[50:53], off, off offset:2536 ; 16-byte Folded Reload
	scratch_load_dwordx4 v[54:57], off, off offset:2552 ; 16-byte Folded Reload
	s_waitcnt vmcnt(5)
	v_mov_b32_e32 v77, v35
	scratch_store_dwordx4 off, v[26:29], off offset:1928 ; 16-byte Folded Spill
	s_nop 0
	scratch_store_dwordx4 off, v[30:33], off offset:1944 ; 16-byte Folded Spill
	scratch_store_dwordx4 off, v[34:37], off offset:1960 ; 16-byte Folded Spill
	s_waitcnt vmcnt(7)
	scratch_store_dwordx4 off, v[38:41], off offset:1976 ; 16-byte Folded Spill
	s_waitcnt vmcnt(7)
	scratch_store_dwordx4 off, v[42:45], off offset:1992 ; 16-byte Folded Spill
	s_waitcnt vmcnt(7)
	scratch_store_dwordx4 off, v[46:49], off offset:2008 ; 16-byte Folded Spill
	s_waitcnt vmcnt(7)
	scratch_store_dwordx4 off, v[50:53], off offset:2024 ; 16-byte Folded Spill
	s_waitcnt vmcnt(7)
	scratch_store_dwordx4 off, v[54:57], off offset:2040 ; 16-byte Folded Spill
	;; [unrolled: 25-line block ×3, first 2 shown]
	scratch_load_dwordx4 v[26:29], off, off offset:3848 ; 16-byte Folded Reload
	s_nop 0
	scratch_load_dwordx4 v[30:33], off, off offset:3864 ; 16-byte Folded Reload
	scratch_load_dwordx4 v[34:37], off, off offset:3880 ; 16-byte Folded Reload
	;; [unrolled: 1-line block ×7, first 2 shown]
	s_waitcnt vmcnt(6)
	v_mov_b32_e32 v185, v33
	scratch_store_dwordx4 off, v[26:29], off offset:2824 ; 16-byte Folded Spill
	s_nop 0
	scratch_store_dwordx4 off, v[30:33], off offset:2840 ; 16-byte Folded Spill
	s_waitcnt vmcnt(7)
	scratch_store_dwordx4 off, v[34:37], off offset:2856 ; 16-byte Folded Spill
	s_waitcnt vmcnt(7)
	;; [unrolled: 2-line block ×6, first 2 shown]
	scratch_store_dwordx4 off, v[54:57], off offset:2936 ; 16-byte Folded Spill
	scratch_load_dwordx4 v[26:29], off, s2  ; 16-byte Folded Reload
	s_nop 0
	scratch_load_dwordx4 v[30:33], off, s2 offset:16 ; 16-byte Folded Reload
	scratch_load_dwordx4 v[34:37], off, s2 offset:32 ; 16-byte Folded Reload
	;; [unrolled: 1-line block ×7, first 2 shown]
	s_movk_i32 s2, 0x1260
	s_waitcnt vmcnt(6)
	v_mov_b32_e32 v90, v32
	scratch_store_dwordx4 off, v[26:29], off offset:3208 ; 16-byte Folded Spill
	s_nop 0
	scratch_store_dwordx4 off, v[30:33], off offset:3224 ; 16-byte Folded Spill
	s_waitcnt vmcnt(7)
	scratch_store_dwordx4 off, v[34:37], off offset:3240 ; 16-byte Folded Spill
	s_waitcnt vmcnt(7)
	scratch_store_dwordx4 off, v[38:41], off offset:3256 ; 16-byte Folded Spill
	s_waitcnt vmcnt(7)
	scratch_store_dwordx4 off, v[42:45], off offset:3272 ; 16-byte Folded Spill
	s_waitcnt vmcnt(7)
	scratch_store_dwordx4 off, v[46:49], off offset:3288 ; 16-byte Folded Spill
	s_waitcnt vmcnt(7)
	scratch_store_dwordx4 off, v[50:53], off offset:3304 ; 16-byte Folded Spill
	s_waitcnt vmcnt(7)
	scratch_store_dwordx4 off, v[54:57], off offset:3320 ; 16-byte Folded Spill
	scratch_load_dwordx4 v[26:29], off, off offset:3080 ; 16-byte Folded Reload
	s_nop 0
	scratch_load_dwordx4 v[30:33], off, off offset:3096 ; 16-byte Folded Reload
	scratch_load_dwordx4 v[34:37], off, off offset:3112 ; 16-byte Folded Reload
	scratch_load_dwordx4 v[38:41], off, off offset:3128 ; 16-byte Folded Reload
	scratch_load_dwordx4 v[42:45], off, off offset:3144 ; 16-byte Folded Reload
	scratch_load_dwordx4 v[46:49], off, off offset:3160 ; 16-byte Folded Reload
	scratch_load_dwordx4 v[50:53], off, off offset:3176 ; 16-byte Folded Reload
	scratch_load_dwordx4 v[54:57], off, off offset:3192 ; 16-byte Folded Reload
	s_waitcnt vmcnt(6)
	v_mov_b32_e32 v81, v31
	scratch_store_dwordx4 off, v[26:29], off offset:3336 ; 16-byte Folded Spill
	s_nop 0
	scratch_store_dwordx4 off, v[30:33], off offset:3352 ; 16-byte Folded Spill
	s_waitcnt vmcnt(7)
	scratch_store_dwordx4 off, v[34:37], off offset:3368 ; 16-byte Folded Spill
	s_waitcnt vmcnt(7)
	scratch_store_dwordx4 off, v[38:41], off offset:3384 ; 16-byte Folded Spill
	s_waitcnt vmcnt(7)
	scratch_store_dwordx4 off, v[42:45], off offset:3400 ; 16-byte Folded Spill
	s_waitcnt vmcnt(7)
	scratch_store_dwordx4 off, v[46:49], off offset:3416 ; 16-byte Folded Spill
	s_waitcnt vmcnt(7)
	scratch_store_dwordx4 off, v[50:53], off offset:3432 ; 16-byte Folded Spill
	s_waitcnt vmcnt(7)
	scratch_store_dwordx4 off, v[54:57], off offset:3448 ; 16-byte Folded Spill
	scratch_load_dwordx4 v[26:29], off, off offset:2184 ; 16-byte Folded Reload
	s_nop 0
	scratch_load_dwordx4 v[30:33], off, off offset:2200 ; 16-byte Folded Reload
	scratch_load_dwordx4 v[34:37], off, off offset:2216 ; 16-byte Folded Reload
	scratch_load_dwordx4 v[38:41], off, off offset:2232 ; 16-byte Folded Reload
	scratch_load_dwordx4 v[42:45], off, off offset:2248 ; 16-byte Folded Reload
	scratch_load_dwordx4 v[46:49], off, off offset:2264 ; 16-byte Folded Reload
	scratch_load_dwordx4 v[50:53], off, off offset:2280 ; 16-byte Folded Reload
	scratch_load_dwordx4 v[54:57], off, off offset:2296 ; 16-byte Folded Reload
	;; [unrolled: 26-line block ×3, first 2 shown]
	s_waitcnt vmcnt(7)
	v_mov_b32_e32 v87, v29
	scratch_store_dwordx4 off, v[26:29], off offset:3720 ; 16-byte Folded Spill
	s_waitcnt vmcnt(7)
	scratch_store_dwordx4 off, v[30:33], off offset:3736 ; 16-byte Folded Spill
	s_waitcnt vmcnt(7)
	;; [unrolled: 2-line block ×7, first 2 shown]
	scratch_store_dwordx4 off, v[54:57], off offset:3832 ; 16-byte Folded Spill
	scratch_load_dwordx4 v[26:29], off, s2  ; 16-byte Folded Reload
	s_nop 0
	scratch_load_dwordx4 v[30:33], off, s2 offset:16 ; 16-byte Folded Reload
	scratch_load_dwordx4 v[34:37], off, s2 offset:32 ; 16-byte Folded Reload
	;; [unrolled: 1-line block ×7, first 2 shown]
	s_movk_i32 s2, 0x1088
	s_waitcnt vmcnt(7)
	v_mov_b32_e32 v84, v28
	scratch_store_dwordx4 off, v[26:29], s2 ; 16-byte Folded Spill
	s_waitcnt vmcnt(7)
	scratch_store_dwordx4 off, v[30:33], s2 offset:16 ; 16-byte Folded Spill
	s_waitcnt vmcnt(7)
	scratch_store_dwordx4 off, v[34:37], s2 offset:32 ; 16-byte Folded Spill
	;; [unrolled: 2-line block ×7, first 2 shown]
	scratch_load_dwordx4 v[26:29], off, off offset:4 ; 16-byte Folded Reload
	s_nop 0
	scratch_load_dwordx4 v[30:33], off, off offset:20 ; 16-byte Folded Reload
	scratch_load_dwordx4 v[34:37], off, off offset:36 ; 16-byte Folded Reload
	;; [unrolled: 1-line block ×7, first 2 shown]
	s_movk_i32 s2, 0x11e0
	s_waitcnt vmcnt(7)
	scratch_store_dwordx4 off, v[26:29], s2 ; 16-byte Folded Spill
	s_waitcnt vmcnt(7)
	scratch_store_dwordx4 off, v[30:33], s2 offset:16 ; 16-byte Folded Spill
	s_waitcnt vmcnt(7)
	scratch_store_dwordx4 off, v[34:37], s2 offset:32 ; 16-byte Folded Spill
	s_waitcnt vmcnt(7)
	scratch_store_dwordx4 off, v[38:41], s2 offset:48 ; 16-byte Folded Spill
	s_waitcnt vmcnt(7)
	scratch_store_dwordx4 off, v[42:45], s2 offset:64 ; 16-byte Folded Spill
	s_waitcnt vmcnt(7)
	scratch_store_dwordx4 off, v[46:49], s2 offset:80 ; 16-byte Folded Spill
	s_waitcnt vmcnt(7)
	scratch_store_dwordx4 off, v[50:53], s2 offset:96 ; 16-byte Folded Spill
	s_waitcnt vmcnt(7)
	scratch_store_dwordx4 off, v[54:57], s2 offset:112 ; 16-byte Folded Spill
	s_and_saveexec_b64 s[2:3], vcc
	s_cbranch_execz .LBB51_13
; %bb.12:
	scratch_load_dwordx4 v[2:5], off, off offset:136 ; 16-byte Folded Reload
	scratch_load_dwordx4 v[6:9], off, off offset:152 ; 16-byte Folded Reload
	;; [unrolled: 1-line block ×8, first 2 shown]
	s_movk_i32 s4, 0x11dc
	v_mov_b32_e32 v85, v87
	v_mov_b32_e32 v82, v124
	;; [unrolled: 1-line block ×10, first 2 shown]
	s_waitcnt vmcnt(2)
	v_mov_b32_e32 v58, v24
	s_waitcnt vmcnt(1)
	v_mov_b64_e32 v[60:61], v[26:27]
	scratch_load_dword v2, off, s4          ; 4-byte Folded Reload
	scratch_load_dwordx4 v[4:7], off, off offset:4 ; 16-byte Folded Reload
	scratch_load_dwordx4 v[8:11], off, off offset:20 ; 16-byte Folded Reload
	;; [unrolled: 1-line block ×8, first 2 shown]
	s_movk_i32 s4, 0x11e0
	s_waitcnt vmcnt(7)
	v_mov_b64_e32 v[0:1], v[4:5]
	s_waitcnt vmcnt(2)
	v_mul_f32_e32 v24, v1, v2
	scratch_load_dword v1, off, off offset:132 ; 4-byte Folded Reload
	s_waitcnt vmcnt(0)
	ds_read2_b64 v[2:5], v1 offset0:1 offset1:2
	ds_read2_b64 v[6:9], v1 offset0:3 offset1:4
	s_waitcnt lgkmcnt(1)
	v_pk_fma_f32 v[84:85], v[24:25], v[2:3], v[84:85] op_sel_hi:[0,1,1] neg_lo:[1,0,0] neg_hi:[1,0,0]
	v_pk_fma_f32 v[82:83], v[24:25], v[4:5], v[82:83] op_sel_hi:[0,1,1] neg_lo:[1,0,0] neg_hi:[1,0,0]
	s_waitcnt lgkmcnt(0)
	v_pk_fma_f32 v[74:75], v[24:25], v[6:7], v[74:75] op_sel_hi:[0,1,1] neg_lo:[1,0,0] neg_hi:[1,0,0]
	v_pk_fma_f32 v[72:73], v[24:25], v[8:9], v[72:73] op_sel_hi:[0,1,1] neg_lo:[1,0,0] neg_hi:[1,0,0]
	ds_read2_b64 v[2:5], v1 offset0:5 offset1:6
	ds_read2_b64 v[6:9], v1 offset0:7 offset1:8
	v_mov_b32_e32 v87, v85
	v_mov_b32_e32 v124, v82
	;; [unrolled: 1-line block ×3, first 2 shown]
	s_waitcnt lgkmcnt(1)
	v_pk_fma_f32 v[70:71], v[24:25], v[2:3], v[70:71] op_sel_hi:[0,1,1] neg_lo:[1,0,0] neg_hi:[1,0,0]
	v_pk_fma_f32 v[178:179], v[24:25], v[4:5], v[178:179] op_sel_hi:[0,1,1] neg_lo:[1,0,0] neg_hi:[1,0,0]
	s_waitcnt lgkmcnt(0)
	v_pk_fma_f32 v[68:69], v[24:25], v[6:7], v[68:69] op_sel_hi:[0,1,1] neg_lo:[1,0,0] neg_hi:[1,0,0]
	v_pk_fma_f32 v[66:67], v[24:25], v[8:9], v[66:67] op_sel_hi:[0,1,1] neg_lo:[1,0,0] neg_hi:[1,0,0]
	ds_read2_b64 v[2:5], v1 offset0:9 offset1:10
	ds_read2_b64 v[6:9], v1 offset0:11 offset1:12
	v_mov_b32_e32 v1, v24
	v_mov_b32_e32 v90, v74
	;; [unrolled: 1-line block ×3, first 2 shown]
	s_waitcnt lgkmcnt(1)
	v_pk_fma_f32 v[64:65], v[24:25], v[2:3], v[64:65] op_sel_hi:[0,1,1] neg_lo:[1,0,0] neg_hi:[1,0,0]
	v_pk_fma_f32 v[134:135], v[24:25], v[4:5], v[134:135] op_sel_hi:[0,1,1] neg_lo:[1,0,0] neg_hi:[1,0,0]
	s_waitcnt lgkmcnt(0)
	v_pk_fma_f32 v[58:59], v[24:25], v[6:7], v[58:59] op_sel_hi:[0,1,1] neg_lo:[1,0,0] neg_hi:[1,0,0]
	v_pk_fma_f32 v[60:61], v[24:25], v[8:9], v[60:61] op_sel_hi:[0,1,1] neg_lo:[1,0,0] neg_hi:[1,0,0]
	scratch_store_dwordx4 off, v[0:3], s4   ; 16-byte Folded Spill
	s_nop 0
	scratch_store_dwordx4 off, v[4:7], s4 offset:16 ; 16-byte Folded Spill
	scratch_store_dwordx4 off, v[8:11], s4 offset:32 ; 16-byte Folded Spill
	;; [unrolled: 1-line block ×7, first 2 shown]
	v_mov_b32_e32 v2, v84
	s_movk_i32 s4, 0x1088
	v_mov_b32_e32 v78, v72
	v_mov_b32_e32 v77, v73
	;; [unrolled: 1-line block ×5, first 2 shown]
	scratch_store_dwordx4 off, v[0:3], s4   ; 16-byte Folded Spill
	s_nop 0
	scratch_store_dwordx4 off, v[4:7], s4 offset:16 ; 16-byte Folded Spill
	scratch_store_dwordx4 off, v[8:11], s4 offset:32 ; 16-byte Folded Spill
	;; [unrolled: 1-line block ×7, first 2 shown]
	v_mov_b32_e32 v3, v85
	s_movk_i32 s4, 0x1008
	scratch_store_dwordx4 off, v[0:3], off offset:3720 ; 16-byte Folded Spill
	s_nop 0
	scratch_store_dwordx4 off, v[4:7], off offset:3736 ; 16-byte Folded Spill
	scratch_store_dwordx4 off, v[8:11], off offset:3752 ; 16-byte Folded Spill
	scratch_store_dwordx4 off, v[12:15], off offset:3768 ; 16-byte Folded Spill
	scratch_store_dwordx4 off, v[16:19], off offset:3784 ; 16-byte Folded Spill
	scratch_store_dwordx4 off, v[20:23], off offset:3800 ; 16-byte Folded Spill
	scratch_store_dwordx4 off, v[24:27], off offset:3816 ; 16-byte Folded Spill
	scratch_store_dwordx4 off, v[28:31], off offset:3832 ; 16-byte Folded Spill
	v_mov_b32_e32 v4, v82
	scratch_store_dwordx4 off, v[0:3], off offset:3592 ; 16-byte Folded Spill
	s_nop 0
	scratch_store_dwordx4 off, v[4:7], off offset:3608 ; 16-byte Folded Spill
	scratch_store_dwordx4 off, v[8:11], off offset:3624 ; 16-byte Folded Spill
	scratch_store_dwordx4 off, v[12:15], off offset:3640 ; 16-byte Folded Spill
	scratch_store_dwordx4 off, v[16:19], off offset:3656 ; 16-byte Folded Spill
	scratch_store_dwordx4 off, v[20:23], off offset:3672 ; 16-byte Folded Spill
	scratch_store_dwordx4 off, v[24:27], off offset:3688 ; 16-byte Folded Spill
	scratch_store_dwordx4 off, v[28:31], off offset:3704 ; 16-byte Folded Spill
	v_mov_b32_e32 v5, v83
	;; [unrolled: 10-line block ×19, first 2 shown]
	scratch_store_dwordx4 off, v[0:3], s4   ; 16-byte Folded Spill
	s_nop 0
	scratch_store_dwordx4 off, v[4:7], s4 offset:16 ; 16-byte Folded Spill
	scratch_store_dwordx4 off, v[8:11], s4 offset:32 ; 16-byte Folded Spill
	;; [unrolled: 1-line block ×7, first 2 shown]
	v_mov_b32_e32 v23, v59
	scratch_store_dwordx4 off, v[0:3], off offset:264 ; 16-byte Folded Spill
	s_nop 0
	scratch_store_dwordx4 off, v[4:7], off offset:280 ; 16-byte Folded Spill
	scratch_store_dwordx4 off, v[8:11], off offset:296 ; 16-byte Folded Spill
	;; [unrolled: 1-line block ×7, first 2 shown]
	s_nop 0
	v_mov_b32_e32 v24, v60
	v_mov_b32_e32 v25, v61
	scratch_store_dwordx4 off, v[0:3], off offset:4 ; 16-byte Folded Spill
	s_nop 0
	scratch_store_dwordx4 off, v[4:7], off offset:20 ; 16-byte Folded Spill
	scratch_store_dwordx4 off, v[8:11], off offset:36 ; 16-byte Folded Spill
	;; [unrolled: 1-line block ×8, first 2 shown]
	s_nop 0
	scratch_store_dwordx4 off, v[40:43], off offset:152 ; 16-byte Folded Spill
	scratch_store_dwordx4 off, v[44:47], off offset:168 ; 16-byte Folded Spill
	;; [unrolled: 1-line block ×7, first 2 shown]
.LBB51_13:
	s_or_b64 exec, exec, s[2:3]
	v_cmp_eq_u32_e32 vcc, 2, v250
	s_waitcnt vmcnt(63) expcnt(7) lgkmcnt(15)
	s_barrier
	s_and_saveexec_b64 s[2:3], vcc
	s_cbranch_execz .LBB51_16
; %bb.14:
	ds_write_b32 v252, v84
	scratch_load_dwordx4 v[0:3], off, off offset:4 ; 16-byte Folded Reload
	scratch_load_dwordx4 v[4:7], off, off offset:20 ; 16-byte Folded Reload
	;; [unrolled: 1-line block ×8, first 2 shown]
	scratch_load_dword v0, off, off offset:132 ; 4-byte Folded Reload
	s_waitcnt vmcnt(0)
	ds_write2_b32 v0, v3, v4 offset0:3 offset1:4
	ds_write2_b32 v0, v5, v6 offset0:5 offset1:6
	;; [unrolled: 1-line block ×11, first 2 shown]
	scratch_load_dwordx4 v[26:29], off, off offset:136 ; 16-byte Folded Reload
	scratch_load_dwordx4 v[30:33], off, off offset:152 ; 16-byte Folded Reload
	;; [unrolled: 1-line block ×8, first 2 shown]
	s_waitcnt vmcnt(1)
	ds_write_b32 v0, v51 offset:100
	ds_read_b32 v43, v252
	s_waitcnt lgkmcnt(0)
	v_cmp_neq_f32_e32 vcc, 0, v43
	s_and_b64 exec, exec, vcc
	s_cbranch_execz .LBB51_16
; %bb.15:
	v_div_scale_f32 v44, s[4:5], v43, v43, 1.0
	v_rcp_f32_e32 v45, v44
	v_div_scale_f32 v46, vcc, 1.0, v43, 1.0
	v_fma_f32 v47, -v44, v45, 1.0
	v_fmac_f32_e32 v45, v47, v45
	v_mul_f32_e32 v47, v46, v45
	v_fma_f32 v48, -v44, v47, v46
	v_fmac_f32_e32 v47, v48, v45
	v_fma_f32 v44, -v44, v47, v46
	v_div_fmas_f32 v44, v44, v45, v47
	v_div_fixup_f32 v43, v44, v43, 1.0
	ds_write_b32 v252, v43
.LBB51_16:
	s_or_b64 exec, exec, s[2:3]
	s_waitcnt lgkmcnt(0)
	s_barrier
	ds_read_b32 v146, v252
	v_cmp_lt_u32_e32 vcc, 2, v250
	s_mov_b64 s[2:3], exec
	scratch_load_dwordx4 v[218:221], off, off offset:3976 ; 16-byte Folded Reload
	scratch_load_dwordx4 v[222:225], off, off offset:3992 ; 16-byte Folded Reload
	;; [unrolled: 1-line block ×8, first 2 shown]
	s_movk_i32 s8, 0x1008
	scratch_load_dwordx4 v[92:95], off, s8  ; 16-byte Folded Reload
	scratch_load_dwordx4 v[96:99], off, s8 offset:16 ; 16-byte Folded Reload
	scratch_load_dwordx4 v[100:103], off, s8 offset:32 ; 16-byte Folded Reload
	;; [unrolled: 1-line block ×7, first 2 shown]
	s_and_b64 s[4:5], s[2:3], vcc
	s_waitcnt vmcnt(4)
	v_mov_b64_e32 v[168:169], v[106:107]
	v_mov_b64_e32 v[166:167], v[104:105]
	s_waitcnt vmcnt(2)
	v_mov_b32_e32 v176, v114
	v_mov_b64_e32 v[164:165], v[102:103]
	v_mov_b64_e32 v[162:163], v[100:101]
	v_mov_b64_e32 v[160:161], v[98:99]
	v_mov_b64_e32 v[158:159], v[96:97]
	v_mov_b64_e32 v[156:157], v[94:95]
	v_mov_b64_e32 v[154:155], v[92:93]
	v_mov_b32_e32 v175, v113
	v_mov_b32_e32 v174, v112
	;; [unrolled: 1-line block ×6, first 2 shown]
	s_mov_b64 exec, s[4:5]
	s_cbranch_execz .LBB51_18
; %bb.17:
	s_movk_i32 s4, 0x11e0
	scratch_load_dwordx4 v[26:29], off, s4  ; 16-byte Folded Reload
	scratch_load_dwordx4 v[30:33], off, s4 offset:16 ; 16-byte Folded Reload
	scratch_load_dwordx4 v[34:37], off, s4 offset:32 ; 16-byte Folded Reload
	;; [unrolled: 1-line block ×7, first 2 shown]
	scratch_load_dword v34, off, off offset:132 ; 4-byte Folded Reload
	s_waitcnt lgkmcnt(0)
	v_mul_f32_e32 v60, v84, v146
	v_mov_b32_e32 v220, v60
	v_mov_b32_e32 v156, v60
	s_movk_i32 s4, 0x1088
	s_waitcnt vmcnt(8)
	v_mov_b64_e32 v[58:59], v[26:27]
	v_mov_b32_e32 v218, v58
	v_mov_b32_e32 v219, v59
	;; [unrolled: 1-line block ×4, first 2 shown]
	s_waitcnt vmcnt(0)
	ds_read2_b32 v[0:1], v34 offset0:3 offset1:4
	scratch_load_dwordx4 v[2:5], off, off offset:4 ; 16-byte Folded Reload
	scratch_load_dwordx4 v[6:9], off, off offset:20 ; 16-byte Folded Reload
	;; [unrolled: 1-line block ×8, first 2 shown]
	s_waitcnt vmcnt(3)
	v_mov_b32_e32 v3, v5
	v_mov_b32_e32 v4, v6
	;; [unrolled: 1-line block ×16, first 2 shown]
	s_waitcnt vmcnt(1)
	v_mov_b32_e32 v19, v21
	v_mov_b32_e32 v20, v22
	v_mov_b32_e32 v21, v23
	v_mov_b32_e32 v22, v24
	v_mov_b32_e32 v23, v25
	v_mov_b32_e32 v24, v26
	ds_read2_b32 v[26:27], v34 offset0:5 offset1:6
	ds_read2_b32 v[28:29], v34 offset0:7 offset1:8
	s_waitcnt vmcnt(0)
	ds_read2_b32 v[30:31], v34 offset0:9 offset1:10
	v_mov_b32_e32 v2, v3
	v_mov_b32_e32 v3, v4
	s_waitcnt lgkmcnt(3)
	v_pk_fma_f32 v[44:45], v[60:61], v[0:1], v[2:3] op_sel_hi:[0,1,1] neg_lo:[1,0,0] neg_hi:[1,0,0]
	v_mov_b32_e32 v0, v5
	v_mov_b32_e32 v1, v6
	s_waitcnt lgkmcnt(2)
	v_pk_fma_f32 v[46:47], v[60:61], v[26:27], v[0:1] op_sel_hi:[0,1,1] neg_lo:[1,0,0] neg_hi:[1,0,0]
	;; [unrolled: 4-line block ×4, first 2 shown]
	ds_read2_b32 v[0:1], v34 offset0:11 offset1:12
	ds_read2_b32 v[4:5], v34 offset0:13 offset1:14
	ds_read2_b32 v[6:7], v34 offset0:15 offset1:16
	ds_read2_b32 v[8:9], v34 offset0:17 offset1:18
	v_mov_b32_e32 v2, v11
	v_mov_b32_e32 v3, v12
	;; [unrolled: 1-line block ×3, first 2 shown]
	s_waitcnt lgkmcnt(3)
	v_pk_fma_f32 v[52:53], v[60:61], v[0:1], v[2:3] op_sel_hi:[0,1,1] neg_lo:[1,0,0] neg_hi:[1,0,0]
	v_mov_b32_e32 v0, v13
	v_mov_b32_e32 v1, v14
	s_waitcnt lgkmcnt(2)
	v_pk_fma_f32 v[54:55], v[60:61], v[4:5], v[0:1] op_sel_hi:[0,1,1] neg_lo:[1,0,0] neg_hi:[1,0,0]
	v_mov_b32_e32 v0, v15
	v_mov_b32_e32 v1, v16
	;; [unrolled: 4-line block ×3, first 2 shown]
	s_waitcnt lgkmcnt(0)
	v_pk_fma_f32 v[82:83], v[60:61], v[8:9], v[0:1] op_sel_hi:[0,1,1] neg_lo:[1,0,0] neg_hi:[1,0,0]
	ds_read2_b32 v[0:1], v34 offset0:19 offset1:20
	ds_read2_b32 v[4:5], v34 offset0:21 offset1:22
	;; [unrolled: 1-line block ×3, first 2 shown]
	ds_read_b32 v8, v34 offset:100
	v_mov_b32_e32 v2, v19
	v_mov_b32_e32 v3, v20
	;; [unrolled: 1-line block ×3, first 2 shown]
	s_waitcnt lgkmcnt(3)
	v_pk_fma_f32 v[84:85], v[60:61], v[0:1], v[2:3] op_sel_hi:[0,1,1] neg_lo:[1,0,0] neg_hi:[1,0,0]
	v_mov_b32_e32 v0, v21
	v_mov_b32_e32 v1, v22
	s_waitcnt lgkmcnt(2)
	v_pk_fma_f32 v[86:87], v[60:61], v[4:5], v[0:1] op_sel_hi:[0,1,1] neg_lo:[1,0,0] neg_hi:[1,0,0]
	v_mov_b32_e32 v0, v23
	v_mov_b32_e32 v1, v24
	scratch_load_dwordx4 v[10:13], off, off offset:136 ; 16-byte Folded Reload
	scratch_load_dwordx4 v[14:17], off, off offset:152 ; 16-byte Folded Reload
	;; [unrolled: 1-line block ×8, first 2 shown]
	s_waitcnt lgkmcnt(1)
	v_pk_fma_f32 v[88:89], v[60:61], v[6:7], v[0:1] op_sel_hi:[0,1,1] neg_lo:[1,0,0] neg_hi:[1,0,0]
	v_mov_b32_e32 v0, v58
	v_mov_b32_e32 v1, v59
	;; [unrolled: 1-line block ×42, first 2 shown]
	s_waitcnt vmcnt(1) lgkmcnt(0)
	v_fma_f32 v25, -v60, v8, v35
	scratch_store_dwordx4 off, v[0:3], off offset:3592 ; 16-byte Folded Spill
	s_nop 0
	scratch_store_dwordx4 off, v[4:7], off offset:3608 ; 16-byte Folded Spill
	scratch_store_dwordx4 off, v[8:11], off offset:3624 ; 16-byte Folded Spill
	scratch_store_dwordx4 off, v[12:15], off offset:3640 ; 16-byte Folded Spill
	scratch_store_dwordx4 off, v[16:19], off offset:3656 ; 16-byte Folded Spill
	scratch_store_dwordx4 off, v[20:23], off offset:3672 ; 16-byte Folded Spill
	scratch_store_dwordx4 off, v[24:27], off offset:3688 ; 16-byte Folded Spill
	scratch_store_dwordx4 off, v[28:31], off offset:3704 ; 16-byte Folded Spill
	v_mov_b32_e32 v5, v46
	scratch_store_dwordx4 off, v[0:3], off offset:3336 ; 16-byte Folded Spill
	s_nop 0
	scratch_store_dwordx4 off, v[4:7], off offset:3352 ; 16-byte Folded Spill
	scratch_store_dwordx4 off, v[8:11], off offset:3368 ; 16-byte Folded Spill
	scratch_store_dwordx4 off, v[12:15], off offset:3384 ; 16-byte Folded Spill
	scratch_store_dwordx4 off, v[16:19], off offset:3400 ; 16-byte Folded Spill
	scratch_store_dwordx4 off, v[20:23], off offset:3416 ; 16-byte Folded Spill
	scratch_store_dwordx4 off, v[24:27], off offset:3432 ; 16-byte Folded Spill
	scratch_store_dwordx4 off, v[28:31], off offset:3448 ; 16-byte Folded Spill
	v_mov_b32_e32 v6, v47
	;; [unrolled: 10-line block ×16, first 2 shown]
	v_mov_b32_e32 v21, v86
	scratch_store_dwordx4 off, v[0:3], off offset:392 ; 16-byte Folded Spill
	s_nop 0
	scratch_store_dwordx4 off, v[4:7], off offset:408 ; 16-byte Folded Spill
	scratch_store_dwordx4 off, v[8:11], off offset:424 ; 16-byte Folded Spill
	;; [unrolled: 1-line block ×7, first 2 shown]
	v_mov_b32_e32 v22, v87
	v_mov_b32_e32 v23, v88
	scratch_store_dwordx4 off, v[0:3], off offset:264 ; 16-byte Folded Spill
	s_nop 0
	scratch_store_dwordx4 off, v[4:7], off offset:280 ; 16-byte Folded Spill
	scratch_store_dwordx4 off, v[8:11], off offset:296 ; 16-byte Folded Spill
	scratch_store_dwordx4 off, v[12:15], off offset:312 ; 16-byte Folded Spill
	scratch_store_dwordx4 off, v[16:19], off offset:328 ; 16-byte Folded Spill
	scratch_store_dwordx4 off, v[20:23], off offset:344 ; 16-byte Folded Spill
	scratch_store_dwordx4 off, v[24:27], off offset:360 ; 16-byte Folded Spill
	scratch_store_dwordx4 off, v[28:31], off offset:376 ; 16-byte Folded Spill
	s_nop 0
	v_mov_b32_e32 v24, v89
	scratch_store_dwordx4 off, v[58:61], off offset:3720 ; 16-byte Folded Spill
	s_nop 0
	scratch_store_dwordx4 off, v[62:65], off offset:3736 ; 16-byte Folded Spill
	scratch_store_dwordx4 off, v[66:69], off offset:3752 ; 16-byte Folded Spill
	;; [unrolled: 1-line block ×7, first 2 shown]
	scratch_store_dwordx4 off, v[58:61], s4 ; 16-byte Folded Spill
	s_nop 0
	scratch_store_dwordx4 off, v[62:65], s4 offset:16 ; 16-byte Folded Spill
	scratch_store_dwordx4 off, v[66:69], s4 offset:32 ; 16-byte Folded Spill
	;; [unrolled: 1-line block ×7, first 2 shown]
	v_mov_b64_e32 v[104:105], v[14:15]
	v_mov_b64_e32 v[114:115], v[24:25]
	v_mov_b64_e32 v[102:103], v[12:13]
	v_mov_b64_e32 v[100:101], v[10:11]
	v_mov_b64_e32 v[98:99], v[8:9]
	v_mov_b64_e32 v[96:97], v[6:7]
	v_mov_b64_e32 v[94:95], v[4:5]
	v_mov_b64_e32 v[92:93], v[2:3]
	v_mov_b64_e32 v[90:91], v[0:1]
	v_mov_b64_e32 v[112:113], v[22:23]
	v_mov_b64_e32 v[110:111], v[20:21]
	v_mov_b64_e32 v[108:109], v[18:19]
	v_mov_b64_e32 v[106:107], v[16:17]
	v_mov_b32_e32 v61, v25
	scratch_store_dwordx4 off, v[90:93], off offset:4 ; 16-byte Folded Spill
	s_nop 0
	scratch_store_dwordx4 off, v[94:97], off offset:20 ; 16-byte Folded Spill
	scratch_store_dwordx4 off, v[98:101], off offset:36 ; 16-byte Folded Spill
	;; [unrolled: 1-line block ×7, first 2 shown]
	v_mov_b32_e32 v58, v87
	v_mov_b32_e32 v60, v89
	s_waitcnt vmcnt(62)
	scratch_store_dwordx4 off, v[36:39], off offset:136 ; 16-byte Folded Spill
	s_nop 0
	scratch_store_dwordx4 off, v[40:43], off offset:152 ; 16-byte Folded Spill
	scratch_store_dwordx4 off, v[44:47], off offset:168 ; 16-byte Folded Spill
	;; [unrolled: 1-line block ×7, first 2 shown]
	v_mov_b32_e32 v134, v85
	v_mov_b32_e32 v135, v86
	;; [unrolled: 1-line block ×20, first 2 shown]
.LBB51_18:
	s_or_b64 exec, exec, s[2:3]
	v_cmp_eq_u32_e32 vcc, 3, v250
	s_waitcnt lgkmcnt(0)
	s_barrier
	s_and_saveexec_b64 s[2:3], vcc
	s_cbranch_execz .LBB51_21
; %bb.19:
	ds_write_b32 v252, v87
	scratch_load_dwordx4 v[0:3], off, off offset:4 ; 16-byte Folded Reload
	scratch_load_dwordx4 v[4:7], off, off offset:20 ; 16-byte Folded Reload
	;; [unrolled: 1-line block ×8, first 2 shown]
	scratch_load_dword v0, off, off offset:132 ; 4-byte Folded Reload
	s_waitcnt vmcnt(0)
	ds_write2_b64 v0, v[4:5], v[6:7] offset0:2 offset1:3
	ds_write2_b64 v0, v[8:9], v[10:11] offset0:4 offset1:5
	;; [unrolled: 1-line block ×5, first 2 shown]
	ds_write_b64 v0, v[24:25] offset:96
	ds_read_b32 v43, v252
	s_waitcnt lgkmcnt(0)
	v_cmp_neq_f32_e32 vcc, 0, v43
	s_and_b64 exec, exec, vcc
	s_cbranch_execz .LBB51_21
; %bb.20:
	v_div_scale_f32 v44, s[4:5], v43, v43, 1.0
	v_rcp_f32_e32 v45, v44
	v_div_scale_f32 v46, vcc, 1.0, v43, 1.0
	v_fma_f32 v47, -v44, v45, 1.0
	v_fmac_f32_e32 v45, v47, v45
	v_mul_f32_e32 v47, v46, v45
	v_fma_f32 v48, -v44, v47, v46
	v_fmac_f32_e32 v47, v48, v45
	v_fma_f32 v44, -v44, v47, v46
	v_div_fmas_f32 v44, v44, v45, v47
	v_div_fixup_f32 v43, v44, v43, 1.0
	ds_write_b32 v252, v43
.LBB51_21:
	s_or_b64 exec, exec, s[2:3]
	s_waitcnt lgkmcnt(0)
	s_barrier
	ds_read_b32 v147, v252
	v_cmp_lt_u32_e32 vcc, 3, v250
	s_and_saveexec_b64 s[2:3], vcc
	s_cbranch_execz .LBB51_23
; %bb.22:
	scratch_load_dword v22, off, off offset:132 ; 4-byte Folded Reload
	s_movk_i32 s4, 0x1088
	s_waitcnt lgkmcnt(0)
	v_mul_f32_e32 v44, v87, v147
	v_mov_b32_e32 v109, v44
	v_mov_b32_e32 v103, v44
	s_waitcnt vmcnt(0)
	ds_read2_b64 v[28:31], v22 offset0:2 offset1:3
	ds_read2_b64 v[0:3], v22 offset0:4 offset1:5
	ds_read_b64 v[26:27], v22 offset:96
	scratch_load_dwordx4 v[112:115], off, off offset:4 ; 16-byte Folded Reload
	scratch_load_dwordx4 v[116:119], off, off offset:20 ; 16-byte Folded Reload
	;; [unrolled: 1-line block ×8, first 2 shown]
	ds_read2_b64 v[4:7], v22 offset0:10 offset1:11
	scratch_load_dwordx4 v[46:49], off, s4  ; 16-byte Folded Reload
	scratch_load_dwordx4 v[50:53], off, s4 offset:16 ; 16-byte Folded Reload
	scratch_load_dwordx4 v[54:57], off, s4 offset:32 ; 16-byte Folded Reload
	;; [unrolled: 1-line block ×7, first 2 shown]
	s_waitcnt vmcnt(14) lgkmcnt(3)
	v_pk_fma_f32 v[104:105], v[44:45], v[28:29], v[116:117] op_sel_hi:[0,1,1] neg_lo:[1,0,0] neg_hi:[1,0,0]
	s_waitcnt vmcnt(7)
	v_mov_b32_e32 v108, v48
	v_mov_b32_e32 v107, v47
	;; [unrolled: 1-line block ×3, first 2 shown]
	v_pk_fma_f32 v[184:185], v[44:45], v[30:31], v[118:119] op_sel_hi:[0,1,1] neg_lo:[1,0,0] neg_hi:[1,0,0]
	s_waitcnt lgkmcnt(1)
	v_pk_fma_f32 v[136:137], v[44:45], v[26:27], v[136:137] op_sel_hi:[0,1,1] neg_lo:[1,0,0] neg_hi:[1,0,0]
	v_mov_b32_e32 v26, v106
	v_mov_b32_e32 v27, v107
	;; [unrolled: 1-line block ×6, first 2 shown]
	v_pk_fma_f32 v[16:17], v[44:45], v[0:1], v[120:121] op_sel_hi:[0,1,1] neg_lo:[1,0,0] neg_hi:[1,0,0]
	scratch_store_dwordx4 off, v[26:29], off offset:3336 ; 16-byte Folded Spill
	s_nop 0
	scratch_store_dwordx4 off, v[30:33], off offset:3352 ; 16-byte Folded Spill
	scratch_store_dwordx4 off, v[34:37], off offset:3368 ; 16-byte Folded Spill
	;; [unrolled: 1-line block ×5, first 2 shown]
	s_waitcnt vmcnt(12)
	scratch_store_dwordx4 off, v[50:53], off offset:3432 ; 16-byte Folded Spill
	s_waitcnt vmcnt(12)
	scratch_store_dwordx4 off, v[54:57], off offset:3448 ; 16-byte Folded Spill
	v_mov_b32_e32 v32, v184
	v_mov_b32_e32 v33, v185
	;; [unrolled: 1-line block ×12, first 2 shown]
	s_waitcnt vmcnt(8)
	v_mov_b32_e32 v76, v106
	v_mov_b32_e32 v77, v107
	;; [unrolled: 1-line block ×39, first 2 shown]
	scratch_store_dwordx4 off, v[26:29], off offset:2824 ; 16-byte Folded Spill
	s_nop 0
	scratch_store_dwordx4 off, v[30:33], off offset:2840 ; 16-byte Folded Spill
	scratch_store_dwordx4 off, v[34:37], off offset:2856 ; 16-byte Folded Spill
	;; [unrolled: 1-line block ×7, first 2 shown]
	v_mov_b32_e32 v11, v44
	v_mov_b64_e32 v[20:21], v[16:17]
	v_mov_b32_e32 v34, v20
	v_mov_b32_e32 v35, v21
	scratch_store_dwordx4 off, v[26:29], off offset:1928 ; 16-byte Folded Spill
	s_nop 0
	scratch_store_dwordx4 off, v[30:33], off offset:1944 ; 16-byte Folded Spill
	scratch_store_dwordx4 off, v[34:37], off offset:1960 ; 16-byte Folded Spill
	scratch_store_dwordx4 off, v[38:41], off offset:1976 ; 16-byte Folded Spill
	scratch_store_dwordx4 off, v[42:45], off offset:1992 ; 16-byte Folded Spill
	scratch_store_dwordx4 off, v[46:49], off offset:2008 ; 16-byte Folded Spill
	scratch_store_dwordx4 off, v[50:53], off offset:2024 ; 16-byte Folded Spill
	scratch_store_dwordx4 off, v[54:57], off offset:2040 ; 16-byte Folded Spill
	v_mov_b64_e32 v[18:19], v[14:15]
	v_mov_b64_e32 v[16:17], v[12:13]
	;; [unrolled: 1-line block ×4, first 2 shown]
	v_mov_b32_e32 v84, v20
	v_mov_b32_e32 v85, v21
	;; [unrolled: 1-line block ×12, first 2 shown]
	v_pk_fma_f32 v[216:217], v[44:45], v[2:3], v[122:123] op_sel_hi:[0,1,1] neg_lo:[1,0,0] neg_hi:[1,0,0]
	v_mov_b32_e32 v36, v216
	v_mov_b32_e32 v37, v217
	;; [unrolled: 1-line block ×3, first 2 shown]
	scratch_store_dwordx4 off, v[26:29], off offset:1544 ; 16-byte Folded Spill
	s_nop 0
	scratch_store_dwordx4 off, v[30:33], off offset:1560 ; 16-byte Folded Spill
	scratch_store_dwordx4 off, v[34:37], off offset:1576 ; 16-byte Folded Spill
	;; [unrolled: 1-line block ×7, first 2 shown]
	ds_read2_b64 v[0:3], v22 offset0:6 offset1:7
	ds_read2_b64 v[8:11], v22 offset0:8 offset1:9
	v_mov_b32_e32 v86, v216
	v_mov_b32_e32 v87, v217
	;; [unrolled: 1-line block ×12, first 2 shown]
	s_waitcnt lgkmcnt(1)
	v_pk_fma_f32 v[74:75], v[44:45], v[0:1], v[124:125] op_sel_hi:[0,1,1] neg_lo:[1,0,0] neg_hi:[1,0,0]
	v_mov_b32_e32 v38, v74
	v_mov_b32_e32 v39, v75
	;; [unrolled: 1-line block ×3, first 2 shown]
	scratch_store_dwordx4 off, v[26:29], off offset:1288 ; 16-byte Folded Spill
	s_nop 0
	scratch_store_dwordx4 off, v[30:33], off offset:1304 ; 16-byte Folded Spill
	scratch_store_dwordx4 off, v[34:37], off offset:1320 ; 16-byte Folded Spill
	;; [unrolled: 1-line block ×7, first 2 shown]
	v_mov_b32_e32 v88, v74
	v_mov_b32_e32 v50, v104
	;; [unrolled: 1-line block ×20, first 2 shown]
	v_pk_fma_f32 v[60:61], v[44:45], v[2:3], v[126:127] op_sel_hi:[0,1,1] neg_lo:[1,0,0] neg_hi:[1,0,0]
	v_mov_b32_e32 v49, v44
	v_mov_b32_e32 v40, v60
	;; [unrolled: 1-line block ×3, first 2 shown]
	scratch_store_dwordx4 off, v[26:29], off offset:1032 ; 16-byte Folded Spill
	s_nop 0
	scratch_store_dwordx4 off, v[30:33], off offset:1048 ; 16-byte Folded Spill
	scratch_store_dwordx4 off, v[34:37], off offset:1064 ; 16-byte Folded Spill
	;; [unrolled: 1-line block ×7, first 2 shown]
	v_mov_b32_e32 v90, v60
	v_mov_b32_e32 v91, v61
	;; [unrolled: 1-line block ×10, first 2 shown]
	s_waitcnt lgkmcnt(0)
	v_pk_fma_f32 v[42:43], v[44:45], v[8:9], v[128:129] op_sel_hi:[0,1,1] neg_lo:[1,0,0] neg_hi:[1,0,0]
	v_mov_b32_e32 v79, v44
	v_mov_b32_e32 v92, v42
	;; [unrolled: 1-line block ×3, first 2 shown]
	scratch_store_dwordx4 off, v[76:79], off offset:776 ; 16-byte Folded Spill
	s_nop 0
	scratch_store_dwordx4 off, v[80:83], off offset:792 ; 16-byte Folded Spill
	scratch_store_dwordx4 off, v[84:87], off offset:808 ; 16-byte Folded Spill
	;; [unrolled: 1-line block ×7, first 2 shown]
	v_pk_fma_f32 v[204:205], v[44:45], v[10:11], v[130:131] op_sel_hi:[0,1,1] neg_lo:[1,0,0] neg_hi:[1,0,0]
	v_mov_b32_e32 v94, v204
	v_mov_b32_e32 v95, v205
	v_pk_fma_f32 v[238:239], v[44:45], v[4:5], v[132:133] op_sel_hi:[0,1,1] neg_lo:[1,0,0] neg_hi:[1,0,0]
	v_pk_fma_f32 v[176:177], v[44:45], v[6:7], v[134:135] op_sel_hi:[0,1,1] neg_lo:[1,0,0] neg_hi:[1,0,0]
	v_mov_b32_e32 v202, v42
	v_mov_b32_e32 v203, v43
	;; [unrolled: 1-line block ×26, first 2 shown]
	scratch_store_dwordx4 off, v[76:79], off offset:520 ; 16-byte Folded Spill
	s_nop 0
	scratch_store_dwordx4 off, v[80:83], off offset:536 ; 16-byte Folded Spill
	scratch_store_dwordx4 off, v[84:87], off offset:552 ; 16-byte Folded Spill
	;; [unrolled: 1-line block ×7, first 2 shown]
	v_mov_b32_e32 v96, v238
	v_mov_b32_e32 v97, v239
	v_mov_b32_e32 v218, v106
	v_mov_b32_e32 v219, v107
	v_mov_b32_e32 v222, v104
	v_mov_b32_e32 v223, v105
	scratch_store_dwordx4 off, v[76:79], off offset:392 ; 16-byte Folded Spill
	s_nop 0
	scratch_store_dwordx4 off, v[80:83], off offset:408 ; 16-byte Folded Spill
	scratch_store_dwordx4 off, v[84:87], off offset:424 ; 16-byte Folded Spill
	;; [unrolled: 1-line block ×7, first 2 shown]
	v_mov_b32_e32 v98, v176
	v_mov_b32_e32 v99, v177
	;; [unrolled: 1-line block ×6, first 2 shown]
	scratch_store_dwordx4 off, v[76:79], off offset:264 ; 16-byte Folded Spill
	s_nop 0
	scratch_store_dwordx4 off, v[80:83], off offset:280 ; 16-byte Folded Spill
	scratch_store_dwordx4 off, v[84:87], off offset:296 ; 16-byte Folded Spill
	;; [unrolled: 1-line block ×8, first 2 shown]
	s_nop 0
	scratch_store_dwordx4 off, v[16:19], off offset:1816 ; 16-byte Folded Spill
	scratch_store_dwordx4 off, v[20:23], off offset:1832 ; 16-byte Folded Spill
	;; [unrolled: 1-line block ×7, first 2 shown]
	v_mov_b32_e32 v76, v176
	v_mov_b32_e32 v90, v184
	;; [unrolled: 1-line block ×10, first 2 shown]
	scratch_store_dwordx4 off, v[106:109], off offset:3720 ; 16-byte Folded Spill
	s_nop 0
	scratch_store_dwordx4 off, v[110:113], off offset:3736 ; 16-byte Folded Spill
	scratch_store_dwordx4 off, v[114:117], off offset:3752 ; 16-byte Folded Spill
	;; [unrolled: 1-line block ×7, first 2 shown]
	v_mov_b64_e32 v[0:1], v[112:113]
	v_mov_b64_e32 v[16:17], v[128:129]
	v_mov_b32_e32 v78, v136
	v_mov_b64_e32 v[2:3], v[114:115]
	v_mov_b64_e32 v[4:5], v[116:117]
	;; [unrolled: 1-line block ×11, first 2 shown]
	v_mov_b32_e32 v79, v137
	v_mov_b32_e32 v124, v104
	scratch_store_dwordx4 off, v[0:3], off offset:4 ; 16-byte Folded Spill
	s_nop 0
	scratch_store_dwordx4 off, v[4:7], off offset:20 ; 16-byte Folded Spill
	scratch_store_dwordx4 off, v[8:11], off offset:36 ; 16-byte Folded Spill
	scratch_store_dwordx4 off, v[12:15], off offset:52 ; 16-byte Folded Spill
	scratch_store_dwordx4 off, v[16:19], off offset:68 ; 16-byte Folded Spill
	scratch_store_dwordx4 off, v[20:23], off offset:84 ; 16-byte Folded Spill
	scratch_store_dwordx4 off, v[24:27], off offset:100 ; 16-byte Folded Spill
	scratch_store_dwordx4 off, v[28:31], off offset:116 ; 16-byte Folded Spill
	scratch_store_dwordx4 off, v[54:57], off offset:136 ; 16-byte Folded Spill
	s_nop 0
	scratch_store_dwordx4 off, v[58:61], off offset:152 ; 16-byte Folded Spill
	scratch_store_dwordx4 off, v[62:65], off offset:168 ; 16-byte Folded Spill
	scratch_store_dwordx4 off, v[66:69], off offset:184 ; 16-byte Folded Spill
	scratch_store_dwordx4 off, v[70:73], off offset:200 ; 16-byte Folded Spill
	scratch_store_dwordx4 off, v[74:77], off offset:216 ; 16-byte Folded Spill
	scratch_store_dwordx4 off, v[78:81], off offset:232 ; 16-byte Folded Spill
	scratch_store_dwordx4 off, v[82:85], off offset:248 ; 16-byte Folded Spill
	;; [unrolled: 9-line block ×4, first 2 shown]
	scratch_load_dwordx4 v[92:95], off, off offset:1800 ; 16-byte Folded Reload
	scratch_load_dwordx4 v[96:99], off, off offset:1816 ; 16-byte Folded Reload
	;; [unrolled: 1-line block ×8, first 2 shown]
	v_mov_b32_e32 v76, v216
	v_mov_b32_e32 v134, v238
	;; [unrolled: 1-line block ×3, first 2 shown]
	scratch_store_dwordx4 off, v[206:209], off offset:1672 ; 16-byte Folded Spill
	s_nop 0
	scratch_store_dwordx4 off, v[210:213], off offset:1688 ; 16-byte Folded Spill
	scratch_store_dwordx4 off, v[214:217], off offset:1704 ; 16-byte Folded Spill
	scratch_store_dwordx4 off, v[218:221], off offset:1720 ; 16-byte Folded Spill
	scratch_store_dwordx4 off, v[222:225], off offset:1736 ; 16-byte Folded Spill
	scratch_store_dwordx4 off, v[226:229], off offset:1752 ; 16-byte Folded Spill
	scratch_store_dwordx4 off, v[230:233], off offset:1768 ; 16-byte Folded Spill
	scratch_store_dwordx4 off, v[234:237], off offset:1784 ; 16-byte Folded Spill
	v_mov_b32_e32 v178, v74
	s_waitcnt vmcnt(13)
	v_mov_b64_e32 v[0:1], v[92:93]
	v_mov_b64_e32 v[8:9], v[100:101]
	v_mov_b32_e32 v78, v8
	v_mov_b32_e32 v77, v9
	v_mov_b64_e32 v[2:3], v[94:95]
	v_mov_b64_e32 v[4:5], v[96:97]
	;; [unrolled: 1-line block ×3, first 2 shown]
	scratch_store_dwordx4 off, v[62:65], off offset:1416 ; 16-byte Folded Spill
	s_nop 0
	scratch_store_dwordx4 off, v[66:69], off offset:1432 ; 16-byte Folded Spill
	scratch_store_dwordx4 off, v[70:73], off offset:1448 ; 16-byte Folded Spill
	;; [unrolled: 1-line block ×7, first 2 shown]
	v_mov_b32_e32 v80, v60
	v_mov_b32_e32 v179, v75
	scratch_store_dwordx4 off, v[46:49], off offset:1160 ; 16-byte Folded Spill
	s_nop 0
	scratch_store_dwordx4 off, v[50:53], off offset:1176 ; 16-byte Folded Spill
	scratch_store_dwordx4 off, v[54:57], off offset:1192 ; 16-byte Folded Spill
	scratch_store_dwordx4 off, v[58:61], off offset:1208 ; 16-byte Folded Spill
	scratch_store_dwordx4 off, v[62:65], off offset:1224 ; 16-byte Folded Spill
	scratch_store_dwordx4 off, v[66:69], off offset:1240 ; 16-byte Folded Spill
	scratch_store_dwordx4 off, v[70:73], off offset:1256 ; 16-byte Folded Spill
	scratch_store_dwordx4 off, v[74:77], off offset:1272 ; 16-byte Folded Spill
	v_mov_b32_e32 v66, v42
	v_mov_b32_e32 v64, v204
	;; [unrolled: 1-line block ×3, first 2 shown]
	scratch_store_dwordx4 off, v[26:29], off offset:904 ; 16-byte Folded Spill
	s_nop 0
	scratch_store_dwordx4 off, v[30:33], off offset:920 ; 16-byte Folded Spill
	scratch_store_dwordx4 off, v[34:37], off offset:936 ; 16-byte Folded Spill
	;; [unrolled: 1-line block ×8, first 2 shown]
	s_nop 0
	scratch_store_dwordx4 off, v[190:193], off offset:664 ; 16-byte Folded Spill
	scratch_store_dwordx4 off, v[194:197], off offset:680 ; 16-byte Folded Spill
	;; [unrolled: 1-line block ×7, first 2 shown]
	v_mov_b32_e32 v69, v61
	v_mov_b32_e32 v67, v43
	;; [unrolled: 1-line block ×3, first 2 shown]
.LBB51_23:
	s_or_b64 exec, exec, s[2:3]
	v_cmp_eq_u32_e32 vcc, 4, v250
	s_waitcnt lgkmcnt(0)
	s_barrier
	s_and_saveexec_b64 s[2:3], vcc
	s_cbranch_execz .LBB51_26
; %bb.24:
	ds_write_b32 v252, v124
	scratch_load_dwordx4 v[0:3], off, off offset:4 ; 16-byte Folded Reload
	scratch_load_dwordx4 v[4:7], off, off offset:20 ; 16-byte Folded Reload
	;; [unrolled: 1-line block ×8, first 2 shown]
	scratch_load_dword v0, off, off offset:132 ; 4-byte Folded Reload
	s_waitcnt vmcnt(0)
	ds_write2_b32 v0, v5, v6 offset0:5 offset1:6
	ds_write2_b32 v0, v7, v8 offset0:7 offset1:8
	;; [unrolled: 1-line block ×10, first 2 shown]
	scratch_load_dwordx4 v[26:29], off, off offset:136 ; 16-byte Folded Reload
	scratch_load_dwordx4 v[30:33], off, off offset:152 ; 16-byte Folded Reload
	;; [unrolled: 1-line block ×8, first 2 shown]
	s_waitcnt vmcnt(1)
	ds_write_b32 v0, v51 offset:100
	ds_read_b32 v43, v252
	s_waitcnt lgkmcnt(0)
	v_cmp_neq_f32_e32 vcc, 0, v43
	s_and_b64 exec, exec, vcc
	s_cbranch_execz .LBB51_26
; %bb.25:
	v_div_scale_f32 v44, s[4:5], v43, v43, 1.0
	v_rcp_f32_e32 v45, v44
	v_div_scale_f32 v46, vcc, 1.0, v43, 1.0
	v_fma_f32 v47, -v44, v45, 1.0
	v_fmac_f32_e32 v45, v47, v45
	v_mul_f32_e32 v47, v46, v45
	v_fma_f32 v48, -v44, v47, v46
	v_fmac_f32_e32 v47, v48, v45
	v_fma_f32 v44, -v44, v47, v46
	v_div_fmas_f32 v44, v44, v45, v47
	v_div_fixup_f32 v43, v44, v43, 1.0
	ds_write_b32 v252, v43
.LBB51_26:
	s_or_b64 exec, exec, s[2:3]
	s_waitcnt lgkmcnt(0)
	s_barrier
	ds_read_b32 v148, v252
	v_cmp_lt_u32_e32 vcc, 4, v250
	s_and_saveexec_b64 s[2:3], vcc
	s_cbranch_execz .LBB51_28
; %bb.27:
	scratch_load_dwordx4 v[26:29], off, off offset:3720 ; 16-byte Folded Reload
	scratch_load_dwordx4 v[30:33], off, off offset:3736 ; 16-byte Folded Reload
	;; [unrolled: 1-line block ×8, first 2 shown]
	scratch_load_dword v34, off, off offset:132 ; 4-byte Folded Reload
	s_waitcnt lgkmcnt(0)
	v_mul_f32_e32 v62, v124, v148
	v_mov_b32_e32 v222, v62
	v_mov_b32_e32 v158, v62
	s_waitcnt vmcnt(8)
	v_mov_b64_e32 v[60:61], v[28:29]
	v_mov_b64_e32 v[58:59], v[26:27]
	v_mov_b32_e32 v218, v58
	v_mov_b32_e32 v219, v59
	v_mov_b32_e32 v220, v60
	v_mov_b32_e32 v221, v61
	v_mov_b32_e32 v154, v58
	v_mov_b32_e32 v155, v59
	s_waitcnt vmcnt(0)
	ds_read2_b32 v[0:1], v34 offset0:5 offset1:6
	scratch_load_dwordx4 v[2:5], off, off offset:4 ; 16-byte Folded Reload
	scratch_load_dwordx4 v[6:9], off, off offset:20 ; 16-byte Folded Reload
	;; [unrolled: 1-line block ×8, first 2 shown]
	v_mov_b32_e32 v156, v60
	v_mov_b32_e32 v157, v61
	s_waitcnt vmcnt(2)
	v_mov_b32_e32 v5, v7
	v_mov_b32_e32 v6, v8
	;; [unrolled: 1-line block ×16, first 2 shown]
	s_waitcnt vmcnt(1)
	v_mov_b32_e32 v21, v23
	v_mov_b32_e32 v22, v24
	;; [unrolled: 1-line block ×5, first 2 shown]
	ds_read2_b32 v[4:5], v34 offset0:7 offset1:8
	ds_read2_b32 v[26:27], v34 offset0:9 offset1:10
	;; [unrolled: 1-line block ×3, first 2 shown]
	v_mov_b32_e32 v3, v6
	s_waitcnt lgkmcnt(3)
	v_pk_fma_f32 v[44:45], v[62:63], v[0:1], v[2:3] op_sel_hi:[0,1,1] neg_lo:[1,0,0] neg_hi:[1,0,0]
	v_mov_b32_e32 v0, v7
	v_mov_b32_e32 v1, v8
	s_waitcnt lgkmcnt(2)
	v_pk_fma_f32 v[46:47], v[62:63], v[4:5], v[0:1] op_sel_hi:[0,1,1] neg_lo:[1,0,0] neg_hi:[1,0,0]
	v_mov_b32_e32 v0, v9
	;; [unrolled: 4-line block ×3, first 2 shown]
	v_mov_b32_e32 v1, v12
	s_waitcnt lgkmcnt(0)
	v_pk_fma_f32 v[50:51], v[62:63], v[28:29], v[0:1] op_sel_hi:[0,1,1] neg_lo:[1,0,0] neg_hi:[1,0,0]
	ds_read2_b32 v[0:1], v34 offset0:13 offset1:14
	ds_read2_b32 v[4:5], v34 offset0:15 offset1:16
	;; [unrolled: 1-line block ×4, first 2 shown]
	v_mov_b32_e32 v2, v13
	v_mov_b32_e32 v3, v14
	;; [unrolled: 1-line block ×3, first 2 shown]
	s_waitcnt lgkmcnt(3)
	v_pk_fma_f32 v[52:53], v[62:63], v[0:1], v[2:3] op_sel_hi:[0,1,1] neg_lo:[1,0,0] neg_hi:[1,0,0]
	v_mov_b32_e32 v0, v15
	v_mov_b32_e32 v1, v16
	s_waitcnt lgkmcnt(2)
	v_pk_fma_f32 v[54:55], v[62:63], v[4:5], v[0:1] op_sel_hi:[0,1,1] neg_lo:[1,0,0] neg_hi:[1,0,0]
	v_mov_b32_e32 v0, v17
	v_mov_b32_e32 v1, v18
	;; [unrolled: 4-line block ×3, first 2 shown]
	s_waitcnt lgkmcnt(0)
	v_pk_fma_f32 v[82:83], v[62:63], v[8:9], v[0:1] op_sel_hi:[0,1,1] neg_lo:[1,0,0] neg_hi:[1,0,0]
	ds_read2_b32 v[0:1], v34 offset0:21 offset1:22
	v_mov_b32_e32 v2, v21
	v_mov_b32_e32 v3, v22
	ds_read2_b32 v[4:5], v34 offset0:23 offset1:24
	ds_read_b32 v6, v34 offset:100
	v_mov_b32_e32 v237, v82
	s_waitcnt lgkmcnt(2)
	v_pk_fma_f32 v[84:85], v[62:63], v[0:1], v[2:3] op_sel_hi:[0,1,1] neg_lo:[1,0,0] neg_hi:[1,0,0]
	v_mov_b32_e32 v0, v23
	v_mov_b32_e32 v1, v24
	scratch_load_dwordx4 v[8:11], off, off offset:136 ; 16-byte Folded Reload
	scratch_load_dwordx4 v[12:15], off, off offset:152 ; 16-byte Folded Reload
	scratch_load_dwordx4 v[16:19], off, off offset:168 ; 16-byte Folded Reload
	scratch_load_dwordx4 v[20:23], off, off offset:184 ; 16-byte Folded Reload
	scratch_load_dwordx4 v[24:27], off, off offset:200 ; 16-byte Folded Reload
	scratch_load_dwordx4 v[28:31], off, off offset:216 ; 16-byte Folded Reload
	scratch_load_dwordx4 v[32:35], off, off offset:232 ; 16-byte Folded Reload
	scratch_load_dwordx4 v[36:39], off, off offset:248 ; 16-byte Folded Reload
	s_waitcnt lgkmcnt(1)
	v_pk_fma_f32 v[86:87], v[62:63], v[4:5], v[0:1] op_sel_hi:[0,1,1] neg_lo:[1,0,0] neg_hi:[1,0,0]
	v_mov_b32_e32 v0, v58
	v_mov_b32_e32 v1, v59
	;; [unrolled: 1-line block ×39, first 2 shown]
	s_waitcnt vmcnt(1) lgkmcnt(0)
	v_fma_f32 v25, -v62, v6, v33
	v_mov_b32_e32 v6, v45
	scratch_store_dwordx4 off, v[0:3], off offset:3208 ; 16-byte Folded Spill
	s_nop 0
	scratch_store_dwordx4 off, v[4:7], off offset:3224 ; 16-byte Folded Spill
	scratch_store_dwordx4 off, v[8:11], off offset:3240 ; 16-byte Folded Spill
	scratch_store_dwordx4 off, v[12:15], off offset:3256 ; 16-byte Folded Spill
	scratch_store_dwordx4 off, v[16:19], off offset:3272 ; 16-byte Folded Spill
	scratch_store_dwordx4 off, v[20:23], off offset:3288 ; 16-byte Folded Spill
	scratch_store_dwordx4 off, v[24:27], off offset:3304 ; 16-byte Folded Spill
	scratch_store_dwordx4 off, v[28:31], off offset:3320 ; 16-byte Folded Spill
	v_mov_b32_e32 v7, v46
	scratch_store_dwordx4 off, v[0:3], off offset:2824 ; 16-byte Folded Spill
	s_nop 0
	scratch_store_dwordx4 off, v[4:7], off offset:2840 ; 16-byte Folded Spill
	scratch_store_dwordx4 off, v[8:11], off offset:2856 ; 16-byte Folded Spill
	scratch_store_dwordx4 off, v[12:15], off offset:2872 ; 16-byte Folded Spill
	scratch_store_dwordx4 off, v[16:19], off offset:2888 ; 16-byte Folded Spill
	scratch_store_dwordx4 off, v[20:23], off offset:2904 ; 16-byte Folded Spill
	scratch_store_dwordx4 off, v[24:27], off offset:2920 ; 16-byte Folded Spill
	scratch_store_dwordx4 off, v[28:31], off offset:2936 ; 16-byte Folded Spill
	;; [unrolled: 10-line block ×14, first 2 shown]
	v_mov_b32_e32 v20, v83
	v_mov_b32_e32 v21, v84
	scratch_store_dwordx4 off, v[0:3], off offset:392 ; 16-byte Folded Spill
	s_nop 0
	scratch_store_dwordx4 off, v[4:7], off offset:408 ; 16-byte Folded Spill
	scratch_store_dwordx4 off, v[8:11], off offset:424 ; 16-byte Folded Spill
	;; [unrolled: 1-line block ×7, first 2 shown]
	v_mov_b32_e32 v22, v85
	v_mov_b32_e32 v23, v86
	scratch_store_dwordx4 off, v[0:3], off offset:264 ; 16-byte Folded Spill
	s_nop 0
	scratch_store_dwordx4 off, v[4:7], off offset:280 ; 16-byte Folded Spill
	scratch_store_dwordx4 off, v[8:11], off offset:296 ; 16-byte Folded Spill
	;; [unrolled: 1-line block ×7, first 2 shown]
	s_nop 0
	v_mov_b32_e32 v24, v87
	scratch_store_dwordx4 off, v[58:61], off offset:3336 ; 16-byte Folded Spill
	s_nop 0
	scratch_store_dwordx4 off, v[62:65], off offset:3352 ; 16-byte Folded Spill
	scratch_store_dwordx4 off, v[66:69], off offset:3368 ; 16-byte Folded Spill
	;; [unrolled: 1-line block ×8, first 2 shown]
	s_nop 0
	scratch_store_dwordx4 off, v[62:65], off offset:3608 ; 16-byte Folded Spill
	scratch_store_dwordx4 off, v[66:69], off offset:3624 ; 16-byte Folded Spill
	;; [unrolled: 1-line block ×7, first 2 shown]
	v_mov_b64_e32 v[102:103], v[14:15]
	v_mov_b64_e32 v[112:113], v[24:25]
	v_mov_b32_e32 v58, v85
	v_mov_b32_e32 v60, v87
	v_mov_b64_e32 v[100:101], v[12:13]
	v_mov_b64_e32 v[98:99], v[10:11]
	v_mov_b64_e32 v[96:97], v[8:9]
	v_mov_b64_e32 v[94:95], v[6:7]
	v_mov_b64_e32 v[92:93], v[4:5]
	v_mov_b64_e32 v[90:91], v[2:3]
	v_mov_b64_e32 v[88:89], v[0:1]
	v_mov_b64_e32 v[110:111], v[22:23]
	v_mov_b64_e32 v[108:109], v[20:21]
	v_mov_b64_e32 v[106:107], v[18:19]
	v_mov_b64_e32 v[104:105], v[16:17]
	v_mov_b32_e32 v61, v25
	scratch_store_dwordx4 off, v[88:91], off offset:4 ; 16-byte Folded Spill
	s_nop 0
	scratch_store_dwordx4 off, v[92:95], off offset:20 ; 16-byte Folded Spill
	scratch_store_dwordx4 off, v[96:99], off offset:36 ; 16-byte Folded Spill
	;; [unrolled: 1-line block ×7, first 2 shown]
	s_waitcnt vmcnt(62)
	scratch_store_dwordx4 off, v[36:39], off offset:136 ; 16-byte Folded Spill
	s_nop 0
	scratch_store_dwordx4 off, v[40:43], off offset:152 ; 16-byte Folded Spill
	scratch_store_dwordx4 off, v[44:47], off offset:168 ; 16-byte Folded Spill
	;; [unrolled: 1-line block ×7, first 2 shown]
	v_mov_b32_e32 v134, v83
	v_mov_b32_e32 v135, v84
	;; [unrolled: 1-line block ×18, first 2 shown]
.LBB51_28:
	s_or_b64 exec, exec, s[2:3]
	v_cmp_eq_u32_e32 vcc, 5, v250
	s_waitcnt lgkmcnt(0)
	s_barrier
	s_and_saveexec_b64 s[2:3], vcc
	s_cbranch_execz .LBB51_31
; %bb.29:
	ds_write_b32 v252, v81
	scratch_load_dwordx4 v[0:3], off, off offset:4 ; 16-byte Folded Reload
	scratch_load_dwordx4 v[4:7], off, off offset:20 ; 16-byte Folded Reload
	;; [unrolled: 1-line block ×8, first 2 shown]
	scratch_load_dword v0, off, off offset:132 ; 4-byte Folded Reload
	s_waitcnt vmcnt(0)
	ds_write2_b64 v0, v[6:7], v[8:9] offset0:3 offset1:4
	ds_write2_b64 v0, v[10:11], v[12:13] offset0:5 offset1:6
	ds_write2_b64 v0, v[14:15], v[16:17] offset0:7 offset1:8
	ds_write2_b64 v0, v[18:19], v[20:21] offset0:9 offset1:10
	ds_write2_b64 v0, v[22:23], v[24:25] offset0:11 offset1:12
	ds_read_b32 v43, v252
	s_waitcnt lgkmcnt(0)
	v_cmp_neq_f32_e32 vcc, 0, v43
	s_and_b64 exec, exec, vcc
	s_cbranch_execz .LBB51_31
; %bb.30:
	v_div_scale_f32 v44, s[4:5], v43, v43, 1.0
	v_rcp_f32_e32 v45, v44
	v_div_scale_f32 v46, vcc, 1.0, v43, 1.0
	v_fma_f32 v47, -v44, v45, 1.0
	v_fmac_f32_e32 v45, v47, v45
	v_mul_f32_e32 v47, v46, v45
	v_fma_f32 v48, -v44, v47, v46
	v_fmac_f32_e32 v47, v48, v45
	v_fma_f32 v44, -v44, v47, v46
	v_div_fmas_f32 v44, v44, v45, v47
	v_div_fixup_f32 v43, v44, v43, 1.0
	ds_write_b32 v252, v43
.LBB51_31:
	s_or_b64 exec, exec, s[2:3]
	s_waitcnt lgkmcnt(0)
	s_barrier
	ds_read_b32 v149, v252
	v_cmp_lt_u32_e32 vcc, 5, v250
	s_and_saveexec_b64 s[2:3], vcc
	s_cbranch_execz .LBB51_33
; %bb.32:
	scratch_load_dword v5, off, off offset:132 ; 4-byte Folded Reload
	s_waitcnt lgkmcnt(0)
	v_mul_f32_e32 v4, v81, v149
	v_mov_b32_e32 v103, v4
	v_mov_b32_e32 v79, v4
	s_waitcnt vmcnt(2)
	v_mov_b32_e32 v117, v4
	v_mov_b32_e32 v183, v4
	v_mov_b32_e32 v211, v4
	v_mov_b32_e32 v191, v4
	v_mov_b32_e32 v223, v4
	v_mov_b32_e32 v159, v4
	s_waitcnt vmcnt(0)
	ds_read2_b64 v[26:29], v5 offset0:3 offset1:4
	ds_read2_b64 v[30:33], v5 offset0:5 offset1:6
	;; [unrolled: 1-line block ×3, first 2 shown]
	scratch_load_dwordx4 v[34:37], off, off offset:4 ; 16-byte Folded Reload
	scratch_load_dwordx4 v[38:41], off, off offset:20 ; 16-byte Folded Reload
	;; [unrolled: 1-line block ×8, first 2 shown]
	s_waitcnt vmcnt(2)
	v_mov_b64_e32 v[6:7], v[40:41]
	s_waitcnt vmcnt(1)
	v_mov_b64_e32 v[22:23], v[56:57]
	v_mov_b64_e32 v[8:9], v[42:43]
	;; [unrolled: 1-line block ×9, first 2 shown]
	scratch_load_dwordx4 v[34:37], off, off offset:3592 ; 16-byte Folded Reload
	scratch_load_dwordx4 v[38:41], off, off offset:3608 ; 16-byte Folded Reload
	;; [unrolled: 1-line block ×8, first 2 shown]
	s_waitcnt lgkmcnt(2)
	v_pk_fma_f32 v[184:185], v[4:5], v[26:27], v[6:7] op_sel_hi:[0,1,1] neg_lo:[1,0,0] neg_hi:[1,0,0]
	s_waitcnt vmcnt(6)
	v_mov_b32_e32 v39, v4
	v_mov_b32_e32 v40, v184
	;; [unrolled: 1-line block ×3, first 2 shown]
	v_pk_fma_f32 v[120:121], v[4:5], v[28:29], v[8:9] op_sel_hi:[0,1,1] neg_lo:[1,0,0] neg_hi:[1,0,0]
	s_waitcnt lgkmcnt(1)
	v_pk_fma_f32 v[216:217], v[4:5], v[30:31], v[10:11] op_sel_hi:[0,1,1] neg_lo:[1,0,0] neg_hi:[1,0,0]
	v_pk_fma_f32 v[72:73], v[4:5], v[32:33], v[12:13] op_sel_hi:[0,1,1] neg_lo:[1,0,0] neg_hi:[1,0,0]
	v_mov_b32_e32 v31, v4
	v_mov_b32_e32 v32, v184
	;; [unrolled: 1-line block ×11, first 2 shown]
	s_waitcnt lgkmcnt(0)
	v_pk_fma_f32 v[176:177], v[4:5], v[0:1], v[22:23] op_sel_hi:[0,1,1] neg_lo:[1,0,0] neg_hi:[1,0,0]
	v_mov_b32_e32 v118, v184
	v_mov_b32_e32 v119, v185
	v_pk_fma_f32 v[24:25], v[4:5], v[2:3], v[24:25] op_sel_hi:[0,1,1] neg_lo:[1,0,0] neg_hi:[1,0,0]
	v_mov_b32_e32 v214, v120
	v_mov_b32_e32 v215, v121
	v_mov_b32_e32 v68, v120
	v_mov_b32_e32 v69, v121
	v_mov_b32_e32 v194, v120
	v_mov_b32_e32 v195, v121
	v_mov_b32_e32 v226, v120
	v_mov_b32_e32 v227, v121
	v_mov_b32_e32 v162, v120
	v_mov_b32_e32 v163, v121
	v_mov_b32_e32 v22, v176
	v_mov_b32_e32 v23, v177
	v_mov_b32_e32 v66, v184
	v_mov_b32_e32 v67, v185
	v_mov_b32_e32 v70, v216
	v_mov_b32_e32 v71, v217
	v_mov_b32_e32 v192, v184
	v_mov_b32_e32 v193, v185
	v_mov_b32_e32 v196, v216
	v_mov_b32_e32 v197, v217
	v_mov_b32_e32 v198, v72
	v_mov_b32_e32 v199, v73
	v_mov_b32_e32 v230, v72
	v_mov_b32_e32 v231, v73
	v_mov_b32_e32 v166, v72
	v_mov_b32_e32 v167, v73
	v_mov_b32_e32 v212, v184
	v_mov_b32_e32 v213, v185
	v_mov_b32_e32 v224, v184
	v_mov_b32_e32 v225, v185
	v_mov_b32_e32 v160, v184
	v_mov_b32_e32 v161, v185
	v_mov_b32_e32 v228, v216
	v_mov_b32_e32 v229, v217
	v_mov_b32_e32 v164, v216
	v_mov_b32_e32 v165, v217
	v_mov_b32_e32 v102, v38
	v_mov_b32_e32 v101, v37
	v_mov_b32_e32 v100, v36
	v_mov_b32_e32 v99, v35
	v_mov_b32_e32 v98, v34
	scratch_store_dwordx4 off, v[34:37], off offset:2824 ; 16-byte Folded Spill
	s_nop 0
	scratch_store_dwordx4 off, v[38:41], off offset:2840 ; 16-byte Folded Spill
	s_waitcnt vmcnt(7)
	scratch_store_dwordx4 off, v[42:45], off offset:2856 ; 16-byte Folded Spill
	s_waitcnt vmcnt(7)
	;; [unrolled: 2-line block ×6, first 2 shown]
	scratch_store_dwordx4 off, v[62:65], off offset:2936 ; 16-byte Folded Spill
	v_mov_b32_e32 v42, v120
	v_mov_b32_e32 v43, v121
	v_mov_b32_e32 v26, v98
	v_mov_b32_e32 v27, v99
	v_mov_b32_e32 v28, v100
	v_mov_b32_e32 v29, v101
	v_mov_b32_e32 v30, v102
	v_mov_b32_e32 v74, v98
	v_mov_b32_e32 v75, v99
	v_mov_b32_e32 v76, v100
	v_mov_b32_e32 v77, v101
	v_mov_b32_e32 v78, v102
	v_mov_b32_e32 v178, v98
	v_mov_b32_e32 v179, v99
	v_mov_b32_e32 v180, v100
	v_mov_b32_e32 v181, v101
	v_mov_b32_e32 v182, v102
	v_mov_b32_e32 v112, v98
	v_mov_b32_e32 v113, v99
	v_mov_b32_e32 v114, v100
	v_mov_b32_e32 v115, v101
	v_mov_b32_e32 v116, v102
	v_mov_b32_e32 v206, v98
	v_mov_b32_e32 v207, v99
	v_mov_b32_e32 v208, v100
	v_mov_b32_e32 v209, v101
	v_mov_b32_e32 v210, v102
	scratch_store_dwordx4 off, v[34:37], off offset:1928 ; 16-byte Folded Spill
	s_nop 0
	scratch_store_dwordx4 off, v[38:41], off offset:1944 ; 16-byte Folded Spill
	scratch_store_dwordx4 off, v[42:45], off offset:1960 ; 16-byte Folded Spill
	scratch_store_dwordx4 off, v[46:49], off offset:1976 ; 16-byte Folded Spill
	scratch_store_dwordx4 off, v[50:53], off offset:1992 ; 16-byte Folded Spill
	scratch_store_dwordx4 off, v[54:57], off offset:2008 ; 16-byte Folded Spill
	scratch_store_dwordx4 off, v[58:61], off offset:2024 ; 16-byte Folded Spill
	scratch_store_dwordx4 off, v[62:65], off offset:2040 ; 16-byte Folded Spill
	v_mov_b32_e32 v44, v216
	v_mov_b32_e32 v45, v217
	scratch_store_dwordx4 off, v[34:37], off offset:1544 ; 16-byte Folded Spill
	s_nop 0
	scratch_store_dwordx4 off, v[38:41], off offset:1560 ; 16-byte Folded Spill
	scratch_store_dwordx4 off, v[42:45], off offset:1576 ; 16-byte Folded Spill
	;; [unrolled: 1-line block ×7, first 2 shown]
	v_mov_b32_e32 v34, v120
	v_mov_b32_e32 v35, v121
	;; [unrolled: 1-line block ×12, first 2 shown]
	scratch_store_dwordx4 off, v[26:29], off offset:1288 ; 16-byte Folded Spill
	s_nop 0
	scratch_store_dwordx4 off, v[30:33], off offset:1304 ; 16-byte Folded Spill
	scratch_store_dwordx4 off, v[34:37], off offset:1320 ; 16-byte Folded Spill
	;; [unrolled: 1-line block ×7, first 2 shown]
	ds_read2_b64 v[6:9], v5 offset0:7 offset1:8
	ds_read2_b64 v[10:13], v5 offset0:9 offset1:10
	v_mov_b32_e32 v44, v98
	v_mov_b32_e32 v45, v99
	;; [unrolled: 1-line block ×3, first 2 shown]
	s_waitcnt lgkmcnt(1)
	v_pk_fma_f32 v[58:59], v[4:5], v[6:7], v[14:15] op_sel_hi:[0,1,1] neg_lo:[1,0,0] neg_hi:[1,0,0]
	v_mov_b32_e32 v47, v101
	v_mov_b32_e32 v48, v102
	;; [unrolled: 1-line block ×15, first 2 shown]
	s_waitcnt lgkmcnt(0)
	v_pk_fma_f32 v[204:205], v[4:5], v[10:11], v[18:19] op_sel_hi:[0,1,1] neg_lo:[1,0,0] neg_hi:[1,0,0]
	v_pk_fma_f32 v[238:239], v[4:5], v[12:13], v[20:21] op_sel_hi:[0,1,1] neg_lo:[1,0,0] neg_hi:[1,0,0]
	v_mov_b32_e32 v14, v58
	v_mov_b32_e32 v15, v59
	;; [unrolled: 1-line block ×24, first 2 shown]
	scratch_store_dwordx4 off, v[26:29], off offset:1032 ; 16-byte Folded Spill
	s_nop 0
	scratch_store_dwordx4 off, v[30:33], off offset:1048 ; 16-byte Folded Spill
	scratch_store_dwordx4 off, v[34:37], off offset:1064 ; 16-byte Folded Spill
	;; [unrolled: 1-line block ×7, first 2 shown]
	v_pk_fma_f32 v[42:43], v[4:5], v[8:9], v[16:17] op_sel_hi:[0,1,1] neg_lo:[1,0,0] neg_hi:[1,0,0]
	v_mov_b32_e32 v90, v42
	v_mov_b32_e32 v91, v43
	scratch_store_dwordx4 off, v[74:77], off offset:776 ; 16-byte Folded Spill
	s_nop 0
	scratch_store_dwordx4 off, v[78:81], off offset:792 ; 16-byte Folded Spill
	scratch_store_dwordx4 off, v[82:85], off offset:808 ; 16-byte Folded Spill
	;; [unrolled: 1-line block ×7, first 2 shown]
	v_mov_b32_e32 v92, v204
	v_mov_b32_e32 v93, v205
	;; [unrolled: 1-line block ×18, first 2 shown]
	scratch_store_dwordx4 off, v[74:77], off offset:520 ; 16-byte Folded Spill
	s_nop 0
	scratch_store_dwordx4 off, v[78:81], off offset:536 ; 16-byte Folded Spill
	scratch_store_dwordx4 off, v[82:85], off offset:552 ; 16-byte Folded Spill
	scratch_store_dwordx4 off, v[86:89], off offset:568 ; 16-byte Folded Spill
	scratch_store_dwordx4 off, v[90:93], off offset:584 ; 16-byte Folded Spill
	scratch_store_dwordx4 off, v[94:97], off offset:600 ; 16-byte Folded Spill
	scratch_store_dwordx4 off, v[98:101], off offset:616 ; 16-byte Folded Spill
	scratch_store_dwordx4 off, v[102:105], off offset:632 ; 16-byte Folded Spill
	v_mov_b32_e32 v94, v238
	v_mov_b32_e32 v95, v239
	v_mov_b32_e32 v218, v98
	v_mov_b32_e32 v219, v99
	v_mov_b32_e32 v220, v100
	v_mov_b32_e32 v221, v101
	v_mov_b32_e32 v222, v102
	scratch_store_dwordx4 off, v[74:77], off offset:392 ; 16-byte Folded Spill
	s_nop 0
	scratch_store_dwordx4 off, v[78:81], off offset:408 ; 16-byte Folded Spill
	scratch_store_dwordx4 off, v[82:85], off offset:424 ; 16-byte Folded Spill
	scratch_store_dwordx4 off, v[86:89], off offset:440 ; 16-byte Folded Spill
	scratch_store_dwordx4 off, v[90:93], off offset:456 ; 16-byte Folded Spill
	scratch_store_dwordx4 off, v[94:97], off offset:472 ; 16-byte Folded Spill
	scratch_store_dwordx4 off, v[98:101], off offset:488 ; 16-byte Folded Spill
	scratch_store_dwordx4 off, v[102:105], off offset:504 ; 16-byte Folded Spill
	v_mov_b32_e32 v96, v176
	v_mov_b32_e32 v97, v177
	v_mov_b32_e32 v154, v98
	v_mov_b32_e32 v155, v99
	v_mov_b32_e32 v156, v100
	v_mov_b32_e32 v157, v101
	v_mov_b32_e32 v158, v102
	;; [unrolled: 16-line block ×3, first 2 shown]
	v_mov_b32_e32 v4, v102
	scratch_store_dwordx4 off, v[98:101], off offset:3336 ; 16-byte Folded Spill
	s_nop 0
	scratch_store_dwordx4 off, v[102:105], off offset:3352 ; 16-byte Folded Spill
	scratch_store_dwordx4 off, v[106:109], off offset:3368 ; 16-byte Folded Spill
	;; [unrolled: 1-line block ×7, first 2 shown]
	v_mov_b64_e32 v[92:93], v[14:15]
	v_mov_b64_e32 v[102:103], v[24:25]
	;; [unrolled: 1-line block ×13, first 2 shown]
	scratch_store_dwordx4 off, v[78:81], off offset:4 ; 16-byte Folded Spill
	s_nop 0
	scratch_store_dwordx4 off, v[82:85], off offset:20 ; 16-byte Folded Spill
	scratch_store_dwordx4 off, v[86:89], off offset:36 ; 16-byte Folded Spill
	;; [unrolled: 1-line block ×7, first 2 shown]
	v_mov_b32_e32 v90, v184
	scratch_store_dwordx4 off, v[52:55], off offset:136 ; 16-byte Folded Spill
	s_nop 0
	scratch_store_dwordx4 off, v[56:59], off offset:152 ; 16-byte Folded Spill
	scratch_store_dwordx4 off, v[60:63], off offset:168 ; 16-byte Folded Spill
	;; [unrolled: 1-line block ×8, first 2 shown]
	s_nop 0
	scratch_store_dwordx4 off, v[182:185], off offset:3224 ; 16-byte Folded Spill
	scratch_store_dwordx4 off, v[186:189], off offset:3240 ; 16-byte Folded Spill
	;; [unrolled: 1-line block ×7, first 2 shown]
	v_mov_b32_e32 v78, v120
	scratch_store_dwordx4 off, v[112:115], off offset:1800 ; 16-byte Folded Spill
	s_nop 0
	scratch_store_dwordx4 off, v[116:119], off offset:1816 ; 16-byte Folded Spill
	scratch_store_dwordx4 off, v[120:123], off offset:1832 ; 16-byte Folded Spill
	;; [unrolled: 1-line block ×7, first 2 shown]
	v_mov_b32_e32 v76, v216
	v_mov_b32_e32 v134, v238
	;; [unrolled: 1-line block ×3, first 2 shown]
	scratch_store_dwordx4 off, v[206:209], off offset:1672 ; 16-byte Folded Spill
	s_nop 0
	scratch_store_dwordx4 off, v[210:213], off offset:1688 ; 16-byte Folded Spill
	scratch_store_dwordx4 off, v[214:217], off offset:1704 ; 16-byte Folded Spill
	scratch_store_dwordx4 off, v[218:221], off offset:1720 ; 16-byte Folded Spill
	scratch_store_dwordx4 off, v[222:225], off offset:1736 ; 16-byte Folded Spill
	scratch_store_dwordx4 off, v[226:229], off offset:1752 ; 16-byte Folded Spill
	scratch_store_dwordx4 off, v[230:233], off offset:1768 ; 16-byte Folded Spill
	scratch_store_dwordx4 off, v[234:237], off offset:1784 ; 16-byte Folded Spill
	v_mov_b32_e32 v178, v72
	v_mov_b32_e32 v77, v121
	scratch_store_dwordx4 off, v[60:63], off offset:1416 ; 16-byte Folded Spill
	s_nop 0
	scratch_store_dwordx4 off, v[64:67], off offset:1432 ; 16-byte Folded Spill
	scratch_store_dwordx4 off, v[68:71], off offset:1448 ; 16-byte Folded Spill
	scratch_store_dwordx4 off, v[72:75], off offset:1464 ; 16-byte Folded Spill
	scratch_store_dwordx4 off, v[76:79], off offset:1480 ; 16-byte Folded Spill
	scratch_store_dwordx4 off, v[80:83], off offset:1496 ; 16-byte Folded Spill
	scratch_store_dwordx4 off, v[84:87], off offset:1512 ; 16-byte Folded Spill
	scratch_store_dwordx4 off, v[88:91], off offset:1528 ; 16-byte Folded Spill
	v_mov_b32_e32 v80, v58
	v_mov_b32_e32 v179, v73
	;; [unrolled: 11-line block ×3, first 2 shown]
	scratch_store_dwordx4 off, v[26:29], off offset:904 ; 16-byte Folded Spill
	s_nop 0
	scratch_store_dwordx4 off, v[30:33], off offset:920 ; 16-byte Folded Spill
	scratch_store_dwordx4 off, v[34:37], off offset:936 ; 16-byte Folded Spill
	;; [unrolled: 1-line block ×8, first 2 shown]
	s_nop 0
	scratch_store_dwordx4 off, v[190:193], off offset:664 ; 16-byte Folded Spill
	scratch_store_dwordx4 off, v[194:197], off offset:680 ; 16-byte Folded Spill
	;; [unrolled: 1-line block ×7, first 2 shown]
	v_mov_b32_e32 v69, v59
	v_mov_b32_e32 v59, v177
	;; [unrolled: 1-line block ×4, first 2 shown]
.LBB51_33:
	s_or_b64 exec, exec, s[2:3]
	v_cmp_eq_u32_e32 vcc, 6, v250
	s_waitcnt lgkmcnt(0)
	s_barrier
	s_and_saveexec_b64 s[2:3], vcc
	s_cbranch_execz .LBB51_36
; %bb.34:
	ds_write_b32 v252, v90
	scratch_load_dwordx4 v[0:3], off, off offset:4 ; 16-byte Folded Reload
	scratch_load_dwordx4 v[4:7], off, off offset:20 ; 16-byte Folded Reload
	;; [unrolled: 1-line block ×8, first 2 shown]
	scratch_load_dword v0, off, off offset:132 ; 4-byte Folded Reload
	s_waitcnt vmcnt(0)
	ds_write2_b32 v0, v7, v8 offset0:7 offset1:8
	ds_write2_b32 v0, v9, v10 offset0:9 offset1:10
	;; [unrolled: 1-line block ×9, first 2 shown]
	scratch_load_dwordx4 v[26:29], off, off offset:136 ; 16-byte Folded Reload
	scratch_load_dwordx4 v[30:33], off, off offset:152 ; 16-byte Folded Reload
	;; [unrolled: 1-line block ×8, first 2 shown]
	s_waitcnt vmcnt(1)
	ds_write_b32 v0, v51 offset:100
	ds_read_b32 v43, v252
	s_waitcnt lgkmcnt(0)
	v_cmp_neq_f32_e32 vcc, 0, v43
	s_and_b64 exec, exec, vcc
	s_cbranch_execz .LBB51_36
; %bb.35:
	v_div_scale_f32 v44, s[4:5], v43, v43, 1.0
	v_rcp_f32_e32 v45, v44
	v_div_scale_f32 v46, vcc, 1.0, v43, 1.0
	v_fma_f32 v47, -v44, v45, 1.0
	v_fmac_f32_e32 v45, v47, v45
	v_mul_f32_e32 v47, v46, v45
	v_fma_f32 v48, -v44, v47, v46
	v_fmac_f32_e32 v47, v48, v45
	v_fma_f32 v44, -v44, v47, v46
	v_div_fmas_f32 v44, v44, v45, v47
	v_div_fixup_f32 v43, v44, v43, 1.0
	ds_write_b32 v252, v43
.LBB51_36:
	s_or_b64 exec, exec, s[2:3]
	s_waitcnt lgkmcnt(0)
	s_barrier
	ds_read_b32 v150, v252
	v_cmp_lt_u32_e32 vcc, 6, v250
	s_and_saveexec_b64 s[2:3], vcc
	s_cbranch_execz .LBB51_38
; %bb.37:
	scratch_load_dwordx4 v[26:29], off, off offset:3336 ; 16-byte Folded Reload
	scratch_load_dwordx4 v[30:33], off, off offset:3352 ; 16-byte Folded Reload
	;; [unrolled: 1-line block ×8, first 2 shown]
	scratch_load_dword v34, off, off offset:132 ; 4-byte Folded Reload
	s_waitcnt lgkmcnt(0)
	v_mul_f32_e32 v64, v90, v150
	v_mov_b32_e32 v224, v64
	v_mov_b32_e32 v160, v64
	s_waitcnt vmcnt(7)
	v_mov_b64_e32 v[62:63], v[30:31]
	v_mov_b64_e32 v[60:61], v[28:29]
	;; [unrolled: 1-line block ×3, first 2 shown]
	v_mov_b32_e32 v218, v58
	v_mov_b32_e32 v219, v59
	;; [unrolled: 1-line block ×4, first 2 shown]
	s_waitcnt vmcnt(0)
	ds_read2_b32 v[0:1], v34 offset0:7 offset1:8
	scratch_load_dwordx4 v[2:5], off, off offset:4 ; 16-byte Folded Reload
	scratch_load_dwordx4 v[6:9], off, off offset:20 ; 16-byte Folded Reload
	;; [unrolled: 1-line block ×8, first 2 shown]
	v_mov_b32_e32 v222, v62
	v_mov_b32_e32 v223, v63
	;; [unrolled: 1-line block ×8, first 2 shown]
	s_waitcnt vmcnt(2)
	v_mov_b32_e32 v7, v9
	v_mov_b32_e32 v8, v10
	;; [unrolled: 1-line block ×16, first 2 shown]
	s_waitcnt vmcnt(1)
	v_mov_b32_e32 v23, v25
	v_mov_b32_e32 v24, v26
	;; [unrolled: 1-line block ×3, first 2 shown]
	ds_read2_b32 v[4:5], v34 offset0:9 offset1:10
	ds_read2_b32 v[6:7], v34 offset0:11 offset1:12
	;; [unrolled: 1-line block ×3, first 2 shown]
	v_mov_b32_e32 v3, v8
	s_waitcnt lgkmcnt(3)
	v_pk_fma_f32 v[44:45], v[64:65], v[0:1], v[2:3] op_sel_hi:[0,1,1] neg_lo:[1,0,0] neg_hi:[1,0,0]
	v_mov_b32_e32 v0, v9
	v_mov_b32_e32 v1, v10
	s_waitcnt lgkmcnt(2)
	v_pk_fma_f32 v[46:47], v[64:65], v[4:5], v[0:1] op_sel_hi:[0,1,1] neg_lo:[1,0,0] neg_hi:[1,0,0]
	v_mov_b32_e32 v0, v11
	;; [unrolled: 4-line block ×3, first 2 shown]
	v_mov_b32_e32 v1, v14
	s_waitcnt lgkmcnt(0)
	v_pk_fma_f32 v[50:51], v[64:65], v[26:27], v[0:1] op_sel_hi:[0,1,1] neg_lo:[1,0,0] neg_hi:[1,0,0]
	ds_read2_b32 v[0:1], v34 offset0:15 offset1:16
	ds_read2_b32 v[4:5], v34 offset0:17 offset1:18
	;; [unrolled: 1-line block ×4, first 2 shown]
	v_mov_b32_e32 v2, v15
	v_mov_b32_e32 v3, v16
	;; [unrolled: 1-line block ×3, first 2 shown]
	s_waitcnt lgkmcnt(3)
	v_pk_fma_f32 v[52:53], v[64:65], v[0:1], v[2:3] op_sel_hi:[0,1,1] neg_lo:[1,0,0] neg_hi:[1,0,0]
	v_mov_b32_e32 v0, v17
	v_mov_b32_e32 v1, v18
	s_waitcnt lgkmcnt(2)
	v_pk_fma_f32 v[54:55], v[64:65], v[4:5], v[0:1] op_sel_hi:[0,1,1] neg_lo:[1,0,0] neg_hi:[1,0,0]
	v_mov_b32_e32 v0, v19
	v_mov_b32_e32 v1, v20
	;; [unrolled: 4-line block ×3, first 2 shown]
	ds_read2_b32 v[2:3], v34 offset0:23 offset1:24
	ds_read_b32 v4, v34 offset:100
	s_waitcnt lgkmcnt(2)
	v_pk_fma_f32 v[82:83], v[64:65], v[8:9], v[0:1] op_sel_hi:[0,1,1] neg_lo:[1,0,0] neg_hi:[1,0,0]
	v_mov_b32_e32 v0, v23
	v_mov_b32_e32 v1, v24
	scratch_load_dwordx4 v[6:9], off, off offset:136 ; 16-byte Folded Reload
	scratch_load_dwordx4 v[10:13], off, off offset:152 ; 16-byte Folded Reload
	;; [unrolled: 1-line block ×8, first 2 shown]
	s_waitcnt lgkmcnt(1)
	v_pk_fma_f32 v[84:85], v[64:65], v[2:3], v[0:1] op_sel_hi:[0,1,1] neg_lo:[1,0,0] neg_hi:[1,0,0]
	v_mov_b32_e32 v0, v58
	v_mov_b32_e32 v1, v59
	;; [unrolled: 1-line block ×5, first 2 shown]
	s_waitcnt vmcnt(7)
	v_mov_b32_e32 v6, v64
	v_mov_b32_e32 v7, v44
	;; [unrolled: 1-line block ×33, first 2 shown]
	s_waitcnt vmcnt(1) lgkmcnt(0)
	v_fma_f32 v25, -v64, v4, v31
	v_mov_b32_e32 v4, v62
	scratch_store_dwordx4 off, v[0:3], off offset:1800 ; 16-byte Folded Spill
	s_nop 0
	scratch_store_dwordx4 off, v[4:7], off offset:1816 ; 16-byte Folded Spill
	scratch_store_dwordx4 off, v[8:11], off offset:1832 ; 16-byte Folded Spill
	scratch_store_dwordx4 off, v[12:15], off offset:1848 ; 16-byte Folded Spill
	scratch_store_dwordx4 off, v[16:19], off offset:1864 ; 16-byte Folded Spill
	scratch_store_dwordx4 off, v[20:23], off offset:1880 ; 16-byte Folded Spill
	scratch_store_dwordx4 off, v[24:27], off offset:1896 ; 16-byte Folded Spill
	scratch_store_dwordx4 off, v[28:31], off offset:1912 ; 16-byte Folded Spill
	v_mov_b32_e32 v9, v46
	scratch_store_dwordx4 off, v[0:3], off offset:1928 ; 16-byte Folded Spill
	s_nop 0
	scratch_store_dwordx4 off, v[4:7], off offset:1944 ; 16-byte Folded Spill
	scratch_store_dwordx4 off, v[8:11], off offset:1960 ; 16-byte Folded Spill
	scratch_store_dwordx4 off, v[12:15], off offset:1976 ; 16-byte Folded Spill
	scratch_store_dwordx4 off, v[16:19], off offset:1992 ; 16-byte Folded Spill
	scratch_store_dwordx4 off, v[20:23], off offset:2008 ; 16-byte Folded Spill
	scratch_store_dwordx4 off, v[24:27], off offset:2024 ; 16-byte Folded Spill
	scratch_store_dwordx4 off, v[28:31], off offset:2040 ; 16-byte Folded Spill
	;; [unrolled: 10-line block ×12, first 2 shown]
	v_mov_b32_e32 v20, v57
	v_mov_b32_e32 v21, v82
	scratch_store_dwordx4 off, v[0:3], off offset:392 ; 16-byte Folded Spill
	s_nop 0
	scratch_store_dwordx4 off, v[4:7], off offset:408 ; 16-byte Folded Spill
	scratch_store_dwordx4 off, v[8:11], off offset:424 ; 16-byte Folded Spill
	;; [unrolled: 1-line block ×7, first 2 shown]
	v_mov_b32_e32 v22, v83
	v_mov_b32_e32 v23, v84
	scratch_store_dwordx4 off, v[0:3], off offset:264 ; 16-byte Folded Spill
	s_nop 0
	scratch_store_dwordx4 off, v[4:7], off offset:280 ; 16-byte Folded Spill
	scratch_store_dwordx4 off, v[8:11], off offset:296 ; 16-byte Folded Spill
	;; [unrolled: 1-line block ×7, first 2 shown]
	s_nop 0
	v_mov_b32_e32 v24, v85
	scratch_store_dwordx4 off, v[58:61], off offset:2824 ; 16-byte Folded Spill
	s_nop 0
	scratch_store_dwordx4 off, v[62:65], off offset:2840 ; 16-byte Folded Spill
	scratch_store_dwordx4 off, v[66:69], off offset:2856 ; 16-byte Folded Spill
	;; [unrolled: 1-line block ×8, first 2 shown]
	s_nop 0
	scratch_store_dwordx4 off, v[62:65], off offset:3224 ; 16-byte Folded Spill
	scratch_store_dwordx4 off, v[66:69], off offset:3240 ; 16-byte Folded Spill
	;; [unrolled: 1-line block ×7, first 2 shown]
	v_mov_b64_e32 v[100:101], v[14:15]
	v_mov_b64_e32 v[110:111], v[24:25]
	v_mov_b32_e32 v58, v83
	v_mov_b32_e32 v60, v85
	v_mov_b64_e32 v[98:99], v[12:13]
	v_mov_b64_e32 v[96:97], v[10:11]
	;; [unrolled: 1-line block ×11, first 2 shown]
	v_mov_b32_e32 v61, v25
	scratch_store_dwordx4 off, v[86:89], off offset:4 ; 16-byte Folded Spill
	s_nop 0
	scratch_store_dwordx4 off, v[90:93], off offset:20 ; 16-byte Folded Spill
	scratch_store_dwordx4 off, v[94:97], off offset:36 ; 16-byte Folded Spill
	scratch_store_dwordx4 off, v[98:101], off offset:52 ; 16-byte Folded Spill
	scratch_store_dwordx4 off, v[102:105], off offset:68 ; 16-byte Folded Spill
	scratch_store_dwordx4 off, v[106:109], off offset:84 ; 16-byte Folded Spill
	scratch_store_dwordx4 off, v[110:113], off offset:100 ; 16-byte Folded Spill
	scratch_store_dwordx4 off, v[114:117], off offset:116 ; 16-byte Folded Spill
	s_waitcnt vmcnt(62)
	scratch_store_dwordx4 off, v[36:39], off offset:136 ; 16-byte Folded Spill
	s_nop 0
	scratch_store_dwordx4 off, v[40:43], off offset:152 ; 16-byte Folded Spill
	scratch_store_dwordx4 off, v[44:47], off offset:168 ; 16-byte Folded Spill
	;; [unrolled: 1-line block ×7, first 2 shown]
	v_mov_b32_e32 v135, v82
	v_mov_b32_e32 v59, v84
	;; [unrolled: 1-line block ×16, first 2 shown]
.LBB51_38:
	s_or_b64 exec, exec, s[2:3]
	v_cmp_eq_u32_e32 vcc, 7, v250
	s_waitcnt lgkmcnt(0)
	s_barrier
	s_and_saveexec_b64 s[2:3], vcc
	s_cbranch_execz .LBB51_41
; %bb.39:
	ds_write_b32 v252, v185
	scratch_load_dwordx4 v[0:3], off, off offset:4 ; 16-byte Folded Reload
	scratch_load_dwordx4 v[4:7], off, off offset:20 ; 16-byte Folded Reload
	;; [unrolled: 1-line block ×8, first 2 shown]
	scratch_load_dword v0, off, off offset:132 ; 4-byte Folded Reload
	s_waitcnt vmcnt(0)
	ds_write2_b64 v0, v[8:9], v[10:11] offset0:4 offset1:5
	ds_write2_b64 v0, v[12:13], v[14:15] offset0:6 offset1:7
	;; [unrolled: 1-line block ×4, first 2 shown]
	ds_write_b64 v0, v[24:25] offset:96
	ds_read_b32 v43, v252
	s_waitcnt lgkmcnt(0)
	v_cmp_neq_f32_e32 vcc, 0, v43
	s_and_b64 exec, exec, vcc
	s_cbranch_execz .LBB51_41
; %bb.40:
	v_div_scale_f32 v44, s[4:5], v43, v43, 1.0
	v_rcp_f32_e32 v45, v44
	v_div_scale_f32 v46, vcc, 1.0, v43, 1.0
	v_fma_f32 v47, -v44, v45, 1.0
	v_fmac_f32_e32 v45, v47, v45
	v_mul_f32_e32 v47, v46, v45
	v_fma_f32 v48, -v44, v47, v46
	v_fmac_f32_e32 v47, v48, v45
	v_fma_f32 v44, -v44, v47, v46
	v_div_fmas_f32 v44, v44, v45, v47
	v_div_fixup_f32 v43, v44, v43, 1.0
	ds_write_b32 v252, v43
.LBB51_41:
	s_or_b64 exec, exec, s[2:3]
	s_waitcnt lgkmcnt(0)
	s_barrier
	ds_read_b32 v151, v252
	v_cmp_lt_u32_e32 vcc, 7, v250
	s_and_saveexec_b64 s[2:3], vcc
	s_cbranch_execz .LBB51_43
; %bb.42:
	scratch_load_dword v1, off, off offset:132 ; 4-byte Folded Reload
	s_waitcnt lgkmcnt(0)
	v_mul_f32_e32 v0, v185, v151
	v_mov_b32_e32 v81, v0
	s_waitcnt vmcnt(2)
	v_mov_b32_e32 v119, v0
	v_mov_b32_e32 v213, v0
	v_mov_b32_e32 v67, v0
	v_mov_b32_e32 v225, v0
	v_mov_b32_e32 v161, v0
	s_waitcnt vmcnt(0)
	ds_read2_b64 v[2:5], v1 offset0:4 offset1:5
	ds_read2_b64 v[26:29], v1 offset0:6 offset1:7
	ds_read_b64 v[6:7], v1 offset:96
	scratch_load_dwordx4 v[30:33], off, off offset:4 ; 16-byte Folded Reload
	scratch_load_dwordx4 v[34:37], off, off offset:20 ; 16-byte Folded Reload
	;; [unrolled: 1-line block ×16, first 2 shown]
	s_waitcnt vmcnt(14)
	v_mov_b32_e32 v37, v0
	s_waitcnt vmcnt(6)
	v_mov_b32_e32 v185, v0
	;; [unrolled: 2-line block ×3, first 2 shown]
	v_mov_b32_e32 v60, v178
	v_mov_b32_e32 v61, v179
	;; [unrolled: 1-line block ×4, first 2 shown]
	v_mov_b64_e32 v[8:9], v[38:39]
	v_mov_b64_e32 v[10:11], v[40:41]
	;; [unrolled: 1-line block ×3, first 2 shown]
	s_waitcnt lgkmcnt(2)
	v_pk_fma_f32 v[120:121], v[0:1], v[2:3], v[8:9] op_sel_hi:[0,1,1] neg_lo:[1,0,0] neg_hi:[1,0,0]
	v_mov_b64_e32 v[12:13], v[42:43]
	v_mov_b64_e32 v[14:15], v[44:45]
	;; [unrolled: 1-line block ×6, first 2 shown]
	v_pk_fma_f32 v[216:217], v[0:1], v[4:5], v[10:11] op_sel_hi:[0,1,1] neg_lo:[1,0,0] neg_hi:[1,0,0]
	s_waitcnt lgkmcnt(0)
	v_pk_fma_f32 v[24:25], v[0:1], v[6:7], v[24:25] op_sel_hi:[0,1,1] neg_lo:[1,0,0] neg_hi:[1,0,0]
	v_mov_b32_e32 v2, v178
	v_mov_b32_e32 v3, v179
	;; [unrolled: 1-line block ×10, first 2 shown]
	v_pk_fma_f32 v[72:73], v[0:1], v[26:27], v[12:13] op_sel_hi:[0,1,1] neg_lo:[1,0,0] neg_hi:[1,0,0]
	scratch_store_dwordx4 off, v[2:5], off offset:1928 ; 16-byte Folded Spill
	s_nop 0
	scratch_store_dwordx4 off, v[6:9], off offset:1944 ; 16-byte Folded Spill
	scratch_store_dwordx4 off, v[10:13], off offset:1960 ; 16-byte Folded Spill
	;; [unrolled: 1-line block ×7, first 2 shown]
	v_mov_b32_e32 v8, v184
	v_mov_b32_e32 v9, v0
	;; [unrolled: 1-line block ×25, first 2 shown]
	s_waitcnt vmcnt(8)
	v_mov_b32_e32 v206, v178
	v_mov_b32_e32 v207, v179
	;; [unrolled: 1-line block ×26, first 2 shown]
	scratch_store_dwordx4 off, v[2:5], off offset:1544 ; 16-byte Folded Spill
	s_nop 0
	scratch_store_dwordx4 off, v[6:9], off offset:1560 ; 16-byte Folded Spill
	scratch_store_dwordx4 off, v[10:13], off offset:1576 ; 16-byte Folded Spill
	;; [unrolled: 1-line block ×7, first 2 shown]
	s_nop 1
	v_mov_b32_e32 v30, v178
	v_mov_b32_e32 v31, v179
	;; [unrolled: 1-line block ×4, first 2 shown]
	scratch_store_dwordx4 off, v[30:33], off offset:1288 ; 16-byte Folded Spill
	s_nop 0
	scratch_store_dwordx4 off, v[34:37], off offset:1304 ; 16-byte Folded Spill
	scratch_store_dwordx4 off, v[38:41], off offset:1320 ; 16-byte Folded Spill
	;; [unrolled: 1-line block ×7, first 2 shown]
	v_mov_b32_e32 v44, v178
	v_mov_b32_e32 v45, v179
	;; [unrolled: 1-line block ×67, first 2 shown]
	v_pk_fma_f32 v[58:59], v[0:1], v[28:29], v[14:15] op_sel_hi:[0,1,1] neg_lo:[1,0,0] neg_hi:[1,0,0]
	v_mov_b32_e32 v28, v180
	v_mov_b32_e32 v29, v181
	;; [unrolled: 1-line block ×4, first 2 shown]
	scratch_store_dwordx4 off, v[26:29], off offset:1032 ; 16-byte Folded Spill
	s_nop 0
	scratch_store_dwordx4 off, v[30:33], off offset:1048 ; 16-byte Folded Spill
	scratch_store_dwordx4 off, v[34:37], off offset:1064 ; 16-byte Folded Spill
	;; [unrolled: 1-line block ×7, first 2 shown]
	ds_read2_b64 v[2:5], v1 offset0:8 offset1:9
	ds_read2_b64 v[6:9], v1 offset0:10 offset1:11
	v_mov_b32_e32 v88, v58
	v_mov_b32_e32 v89, v59
	;; [unrolled: 1-line block ×3, first 2 shown]
	s_waitcnt lgkmcnt(1)
	v_pk_fma_f32 v[42:43], v[0:1], v[2:3], v[16:17] op_sel_hi:[0,1,1] neg_lo:[1,0,0] neg_hi:[1,0,0]
	v_mov_b32_e32 v90, v42
	v_mov_b32_e32 v91, v43
	scratch_store_dwordx4 off, v[74:77], off offset:776 ; 16-byte Folded Spill
	s_nop 0
	scratch_store_dwordx4 off, v[78:81], off offset:792 ; 16-byte Folded Spill
	scratch_store_dwordx4 off, v[82:85], off offset:808 ; 16-byte Folded Spill
	;; [unrolled: 1-line block ×7, first 2 shown]
	v_pk_fma_f32 v[204:205], v[0:1], v[4:5], v[18:19] op_sel_hi:[0,1,1] neg_lo:[1,0,0] neg_hi:[1,0,0]
	v_mov_b32_e32 v92, v204
	v_mov_b32_e32 v93, v205
	s_waitcnt lgkmcnt(0)
	v_pk_fma_f32 v[238:239], v[0:1], v[6:7], v[20:21] op_sel_hi:[0,1,1] neg_lo:[1,0,0] neg_hi:[1,0,0]
	v_pk_fma_f32 v[176:177], v[0:1], v[8:9], v[22:23] op_sel_hi:[0,1,1] neg_lo:[1,0,0] neg_hi:[1,0,0]
	v_mov_b32_e32 v15, v59
	v_mov_b32_e32 v7, v0
	v_mov_b32_e32 v0, v178
	v_mov_b32_e32 v1, v179
	v_mov_b32_e32 v2, v180
	v_mov_b32_e32 v3, v181
	v_mov_b32_e32 v4, v182
	v_mov_b32_e32 v5, v183
	v_mov_b32_e32 v6, v184
	v_mov_b32_e32 v8, v120
	v_mov_b32_e32 v9, v121
	v_mov_b32_e32 v16, v42
	v_mov_b32_e32 v17, v43
	v_mov_b32_e32 v18, v204
	v_mov_b32_e32 v19, v205
	v_mov_b32_e32 v20, v238
	v_mov_b32_e32 v21, v239
	v_mov_b32_e32 v22, v176
	v_mov_b32_e32 v23, v177
	v_mov_b32_e32 v200, v58
	v_mov_b32_e32 v201, v59
	v_mov_b32_e32 v202, v42
	v_mov_b32_e32 v203, v43
	v_mov_b32_e32 v236, v204
	v_mov_b32_e32 v237, v205
	v_mov_b32_e32 v172, v204
	v_mov_b32_e32 v173, v205
	v_mov_b32_e32 v232, v58
	v_mov_b32_e32 v233, v59
	v_mov_b32_e32 v168, v58
	v_mov_b32_e32 v169, v59
	v_mov_b32_e32 v234, v42
	v_mov_b32_e32 v235, v43
	v_mov_b32_e32 v165, v217
	v_mov_b32_e32 v170, v42
	v_mov_b32_e32 v171, v43
	v_mov_b32_e32 v174, v238
	v_mov_b32_e32 v175, v239
	scratch_store_dwordx4 off, v[74:77], off offset:520 ; 16-byte Folded Spill
	s_nop 0
	scratch_store_dwordx4 off, v[78:81], off offset:536 ; 16-byte Folded Spill
	scratch_store_dwordx4 off, v[82:85], off offset:552 ; 16-byte Folded Spill
	;; [unrolled: 1-line block ×7, first 2 shown]
	v_mov_b32_e32 v94, v238
	v_mov_b32_e32 v95, v239
	scratch_store_dwordx4 off, v[74:77], off offset:392 ; 16-byte Folded Spill
	s_nop 0
	scratch_store_dwordx4 off, v[78:81], off offset:408 ; 16-byte Folded Spill
	scratch_store_dwordx4 off, v[82:85], off offset:424 ; 16-byte Folded Spill
	;; [unrolled: 1-line block ×7, first 2 shown]
	v_mov_b32_e32 v96, v176
	v_mov_b32_e32 v97, v177
	scratch_store_dwordx4 off, v[74:77], off offset:264 ; 16-byte Folded Spill
	s_nop 0
	scratch_store_dwordx4 off, v[78:81], off offset:280 ; 16-byte Folded Spill
	scratch_store_dwordx4 off, v[82:85], off offset:296 ; 16-byte Folded Spill
	;; [unrolled: 1-line block ×7, first 2 shown]
	v_mov_b64_e32 v[92:93], v[14:15]
	s_nop 0
	v_mov_b64_e32 v[102:103], v[24:25]
	v_mov_b64_e32 v[90:91], v[12:13]
	;; [unrolled: 1-line block ×12, first 2 shown]
	scratch_store_dwordx4 off, v[178:181], off offset:2824 ; 16-byte Folded Spill
	s_nop 0
	scratch_store_dwordx4 off, v[182:185], off offset:2840 ; 16-byte Folded Spill
	scratch_store_dwordx4 off, v[186:189], off offset:2856 ; 16-byte Folded Spill
	;; [unrolled: 1-line block ×7, first 2 shown]
	v_mov_b32_e32 v74, v176
	v_mov_b32_e32 v76, v24
	;; [unrolled: 1-line block ×3, first 2 shown]
	scratch_store_dwordx4 off, v[78:81], off offset:4 ; 16-byte Folded Spill
	s_nop 0
	scratch_store_dwordx4 off, v[82:85], off offset:20 ; 16-byte Folded Spill
	scratch_store_dwordx4 off, v[86:89], off offset:36 ; 16-byte Folded Spill
	scratch_store_dwordx4 off, v[90:93], off offset:52 ; 16-byte Folded Spill
	scratch_store_dwordx4 off, v[94:97], off offset:68 ; 16-byte Folded Spill
	scratch_store_dwordx4 off, v[98:101], off offset:84 ; 16-byte Folded Spill
	scratch_store_dwordx4 off, v[102:105], off offset:100 ; 16-byte Folded Spill
	scratch_store_dwordx4 off, v[106:109], off offset:116 ; 16-byte Folded Spill
	scratch_store_dwordx4 off, v[52:55], off offset:136 ; 16-byte Folded Spill
	s_nop 0
	scratch_store_dwordx4 off, v[56:59], off offset:152 ; 16-byte Folded Spill
	scratch_store_dwordx4 off, v[60:63], off offset:168 ; 16-byte Folded Spill
	;; [unrolled: 1-line block ×7, first 2 shown]
	s_nop 0
	v_mov_b32_e32 v78, v120
	scratch_store_dwordx4 off, v[112:115], off offset:1800 ; 16-byte Folded Spill
	s_nop 0
	scratch_store_dwordx4 off, v[116:119], off offset:1816 ; 16-byte Folded Spill
	scratch_store_dwordx4 off, v[120:123], off offset:1832 ; 16-byte Folded Spill
	;; [unrolled: 1-line block ×7, first 2 shown]
	v_mov_b32_e32 v76, v216
	scratch_store_dwordx4 off, v[206:209], off offset:1672 ; 16-byte Folded Spill
	s_nop 0
	scratch_store_dwordx4 off, v[210:213], off offset:1688 ; 16-byte Folded Spill
	scratch_store_dwordx4 off, v[214:217], off offset:1704 ; 16-byte Folded Spill
	;; [unrolled: 1-line block ×7, first 2 shown]
	v_mov_b32_e32 v134, v238
	v_mov_b32_e32 v135, v239
	;; [unrolled: 1-line block ×4, first 2 shown]
	scratch_store_dwordx4 off, v[60:63], off offset:1416 ; 16-byte Folded Spill
	s_nop 0
	scratch_store_dwordx4 off, v[64:67], off offset:1432 ; 16-byte Folded Spill
	scratch_store_dwordx4 off, v[68:71], off offset:1448 ; 16-byte Folded Spill
	scratch_store_dwordx4 off, v[72:75], off offset:1464 ; 16-byte Folded Spill
	scratch_store_dwordx4 off, v[76:79], off offset:1480 ; 16-byte Folded Spill
	scratch_store_dwordx4 off, v[80:83], off offset:1496 ; 16-byte Folded Spill
	scratch_store_dwordx4 off, v[84:87], off offset:1512 ; 16-byte Folded Spill
	scratch_store_dwordx4 off, v[88:91], off offset:1528 ; 16-byte Folded Spill
	v_mov_b32_e32 v80, v58
	v_mov_b32_e32 v179, v73
	scratch_store_dwordx4 off, v[44:47], off offset:1160 ; 16-byte Folded Spill
	s_nop 0
	scratch_store_dwordx4 off, v[48:51], off offset:1176 ; 16-byte Folded Spill
	scratch_store_dwordx4 off, v[52:55], off offset:1192 ; 16-byte Folded Spill
	;; [unrolled: 1-line block ×7, first 2 shown]
	v_mov_b32_e32 v66, v42
	v_mov_b32_e32 v64, v204
	scratch_store_dwordx4 off, v[26:29], off offset:904 ; 16-byte Folded Spill
	s_nop 0
	scratch_store_dwordx4 off, v[30:33], off offset:920 ; 16-byte Folded Spill
	scratch_store_dwordx4 off, v[34:37], off offset:936 ; 16-byte Folded Spill
	;; [unrolled: 1-line block ×8, first 2 shown]
	s_nop 0
	scratch_store_dwordx4 off, v[190:193], off offset:664 ; 16-byte Folded Spill
	scratch_store_dwordx4 off, v[194:197], off offset:680 ; 16-byte Folded Spill
	;; [unrolled: 1-line block ×7, first 2 shown]
	v_mov_b32_e32 v69, v59
	v_mov_b32_e32 v59, v177
	;; [unrolled: 1-line block ×4, first 2 shown]
.LBB51_43:
	s_or_b64 exec, exec, s[2:3]
	v_cmp_eq_u32_e32 vcc, 8, v250
	s_waitcnt lgkmcnt(0)
	s_barrier
	s_and_saveexec_b64 s[2:3], vcc
	s_cbranch_execz .LBB51_46
; %bb.44:
	ds_write_b32 v252, v78
	scratch_load_dwordx4 v[0:3], off, off offset:4 ; 16-byte Folded Reload
	scratch_load_dwordx4 v[4:7], off, off offset:20 ; 16-byte Folded Reload
	;; [unrolled: 1-line block ×8, first 2 shown]
	scratch_load_dword v0, off, off offset:132 ; 4-byte Folded Reload
	s_waitcnt vmcnt(0)
	ds_write2_b32 v0, v9, v10 offset0:9 offset1:10
	ds_write2_b32 v0, v11, v12 offset0:11 offset1:12
	;; [unrolled: 1-line block ×8, first 2 shown]
	scratch_load_dwordx4 v[26:29], off, off offset:136 ; 16-byte Folded Reload
	scratch_load_dwordx4 v[30:33], off, off offset:152 ; 16-byte Folded Reload
	scratch_load_dwordx4 v[34:37], off, off offset:168 ; 16-byte Folded Reload
	scratch_load_dwordx4 v[38:41], off, off offset:184 ; 16-byte Folded Reload
	scratch_load_dwordx4 v[42:45], off, off offset:200 ; 16-byte Folded Reload
	scratch_load_dwordx4 v[46:49], off, off offset:216 ; 16-byte Folded Reload
	scratch_load_dwordx4 v[50:53], off, off offset:232 ; 16-byte Folded Reload
	scratch_load_dwordx4 v[54:57], off, off offset:248 ; 16-byte Folded Reload
	s_waitcnt vmcnt(1)
	ds_write_b32 v0, v51 offset:100
	ds_read_b32 v43, v252
	s_waitcnt lgkmcnt(0)
	v_cmp_neq_f32_e32 vcc, 0, v43
	s_and_b64 exec, exec, vcc
	s_cbranch_execz .LBB51_46
; %bb.45:
	v_div_scale_f32 v44, s[4:5], v43, v43, 1.0
	v_rcp_f32_e32 v45, v44
	v_div_scale_f32 v46, vcc, 1.0, v43, 1.0
	v_fma_f32 v47, -v44, v45, 1.0
	v_fmac_f32_e32 v45, v47, v45
	v_mul_f32_e32 v47, v46, v45
	v_fma_f32 v48, -v44, v47, v46
	v_fmac_f32_e32 v47, v48, v45
	v_fma_f32 v44, -v44, v47, v46
	v_div_fmas_f32 v44, v44, v45, v47
	v_div_fixup_f32 v43, v44, v43, 1.0
	ds_write_b32 v252, v43
.LBB51_46:
	s_or_b64 exec, exec, s[2:3]
	s_waitcnt lgkmcnt(0)
	s_barrier
	ds_read_b32 v60, v252
	v_cmp_lt_u32_e32 vcc, 8, v250
	s_and_saveexec_b64 s[2:3], vcc
	s_cbranch_execz .LBB51_48
; %bb.47:
	scratch_load_dwordx4 v[26:29], off, off offset:2824 ; 16-byte Folded Reload
	scratch_load_dwordx4 v[30:33], off, off offset:2840 ; 16-byte Folded Reload
	;; [unrolled: 1-line block ×8, first 2 shown]
	scratch_load_dword v34, off, off offset:132 ; 4-byte Folded Reload
	s_waitcnt lgkmcnt(0)
	v_mul_f32_e32 v70, v78, v60
	v_mov_b32_e32 v226, v70
	v_mov_b32_e32 v162, v70
	s_waitcnt vmcnt(7)
	v_mov_b64_e32 v[68:69], v[32:33]
	v_mov_b64_e32 v[66:67], v[30:31]
	;; [unrolled: 1-line block ×4, first 2 shown]
	v_mov_b32_e32 v218, v62
	v_mov_b32_e32 v219, v63
	v_mov_b32_e32 v220, v64
	s_waitcnt vmcnt(0)
	ds_read2_b32 v[0:1], v34 offset0:9 offset1:10
	scratch_load_dwordx4 v[2:5], off, off offset:4 ; 16-byte Folded Reload
	scratch_load_dwordx4 v[6:9], off, off offset:20 ; 16-byte Folded Reload
	;; [unrolled: 1-line block ×8, first 2 shown]
	v_mov_b32_e32 v221, v65
	v_mov_b32_e32 v222, v66
	;; [unrolled: 1-line block ×13, first 2 shown]
	s_waitcnt vmcnt(1)
	v_mov_b32_e32 v9, v11
	v_mov_b32_e32 v10, v12
	v_mov_b32_e32 v2, v9
	ds_read2_b32 v[4:5], v34 offset0:11 offset1:12
	ds_read2_b32 v[6:7], v34 offset0:13 offset1:14
	;; [unrolled: 1-line block ×3, first 2 shown]
	v_mov_b32_e32 v11, v13
	v_mov_b32_e32 v12, v14
	v_mov_b32_e32 v3, v10
	v_mov_b32_e32 v13, v15
	v_mov_b32_e32 v14, v16
	s_waitcnt lgkmcnt(3)
	v_pk_fma_f32 v[44:45], v[70:71], v[0:1], v[2:3] op_sel_hi:[0,1,1] neg_lo:[1,0,0] neg_hi:[1,0,0]
	v_mov_b32_e32 v0, v11
	v_mov_b32_e32 v1, v12
	v_mov_b32_e32 v15, v17
	v_mov_b32_e32 v16, v18
	s_waitcnt lgkmcnt(2)
	v_pk_fma_f32 v[46:47], v[70:71], v[4:5], v[0:1] op_sel_hi:[0,1,1] neg_lo:[1,0,0] neg_hi:[1,0,0]
	v_mov_b32_e32 v0, v13
	v_mov_b32_e32 v1, v14
	s_waitcnt lgkmcnt(1)
	v_pk_fma_f32 v[48:49], v[70:71], v[6:7], v[0:1] op_sel_hi:[0,1,1] neg_lo:[1,0,0] neg_hi:[1,0,0]
	v_mov_b32_e32 v0, v15
	v_mov_b32_e32 v1, v16
	s_waitcnt lgkmcnt(0)
	v_pk_fma_f32 v[50:51], v[70:71], v[8:9], v[0:1] op_sel_hi:[0,1,1] neg_lo:[1,0,0] neg_hi:[1,0,0]
	ds_read2_b32 v[0:1], v34 offset0:17 offset1:18
	v_mov_b32_e32 v17, v19
	v_mov_b32_e32 v18, v20
	ds_read2_b32 v[4:5], v34 offset0:19 offset1:20
	ds_read2_b32 v[6:7], v34 offset0:21 offset1:22
	;; [unrolled: 1-line block ×3, first 2 shown]
	v_mov_b32_e32 v19, v21
	v_mov_b32_e32 v20, v22
	;; [unrolled: 1-line block ×6, first 2 shown]
	s_waitcnt lgkmcnt(3)
	v_pk_fma_f32 v[52:53], v[70:71], v[0:1], v[2:3] op_sel_hi:[0,1,1] neg_lo:[1,0,0] neg_hi:[1,0,0]
	v_mov_b32_e32 v0, v19
	v_mov_b32_e32 v1, v20
	;; [unrolled: 1-line block ×4, first 2 shown]
	s_waitcnt lgkmcnt(2)
	v_pk_fma_f32 v[54:55], v[70:71], v[4:5], v[0:1] op_sel_hi:[0,1,1] neg_lo:[1,0,0] neg_hi:[1,0,0]
	v_mov_b32_e32 v0, v21
	v_mov_b32_e32 v1, v22
	s_waitcnt lgkmcnt(1)
	v_pk_fma_f32 v[56:57], v[70:71], v[6:7], v[0:1] op_sel_hi:[0,1,1] neg_lo:[1,0,0] neg_hi:[1,0,0]
	v_mov_b32_e32 v0, v23
	v_mov_b32_e32 v1, v24
	ds_read_b32 v2, v34 offset:100
	s_waitcnt lgkmcnt(1)
	v_pk_fma_f32 v[82:83], v[70:71], v[8:9], v[0:1] op_sel_hi:[0,1,1] neg_lo:[1,0,0] neg_hi:[1,0,0]
	scratch_load_dwordx4 v[4:7], off, off offset:136 ; 16-byte Folded Reload
	scratch_load_dwordx4 v[8:11], off, off offset:152 ; 16-byte Folded Reload
	;; [unrolled: 1-line block ×8, first 2 shown]
	v_mov_b32_e32 v0, v62
	v_mov_b32_e32 v1, v63
	;; [unrolled: 1-line block ×3, first 2 shown]
	s_waitcnt vmcnt(7)
	v_mov_b32_e32 v4, v66
	v_mov_b32_e32 v5, v67
	;; [unrolled: 1-line block ×4, first 2 shown]
	s_waitcnt vmcnt(6)
	v_mov_b32_e32 v8, v70
	v_mov_b32_e32 v9, v44
	;; [unrolled: 1-line block ×30, first 2 shown]
	s_waitcnt vmcnt(1) lgkmcnt(0)
	v_fma_f32 v25, -v70, v2, v29
	v_mov_b32_e32 v2, v64
	scratch_store_dwordx4 off, v[0:3], off offset:1672 ; 16-byte Folded Spill
	s_nop 0
	scratch_store_dwordx4 off, v[4:7], off offset:1688 ; 16-byte Folded Spill
	scratch_store_dwordx4 off, v[8:11], off offset:1704 ; 16-byte Folded Spill
	scratch_store_dwordx4 off, v[12:15], off offset:1720 ; 16-byte Folded Spill
	scratch_store_dwordx4 off, v[16:19], off offset:1736 ; 16-byte Folded Spill
	scratch_store_dwordx4 off, v[20:23], off offset:1752 ; 16-byte Folded Spill
	scratch_store_dwordx4 off, v[24:27], off offset:1768 ; 16-byte Folded Spill
	scratch_store_dwordx4 off, v[28:31], off offset:1784 ; 16-byte Folded Spill
	v_mov_b32_e32 v11, v46
	scratch_store_dwordx4 off, v[0:3], off offset:1544 ; 16-byte Folded Spill
	s_nop 0
	scratch_store_dwordx4 off, v[4:7], off offset:1560 ; 16-byte Folded Spill
	scratch_store_dwordx4 off, v[8:11], off offset:1576 ; 16-byte Folded Spill
	scratch_store_dwordx4 off, v[12:15], off offset:1592 ; 16-byte Folded Spill
	scratch_store_dwordx4 off, v[16:19], off offset:1608 ; 16-byte Folded Spill
	scratch_store_dwordx4 off, v[20:23], off offset:1624 ; 16-byte Folded Spill
	scratch_store_dwordx4 off, v[24:27], off offset:1640 ; 16-byte Folded Spill
	scratch_store_dwordx4 off, v[28:31], off offset:1656 ; 16-byte Folded Spill
	;; [unrolled: 10-line block ×10, first 2 shown]
	v_mov_b32_e32 v20, v55
	v_mov_b32_e32 v21, v56
	scratch_store_dwordx4 off, v[0:3], off offset:392 ; 16-byte Folded Spill
	s_nop 0
	scratch_store_dwordx4 off, v[4:7], off offset:408 ; 16-byte Folded Spill
	scratch_store_dwordx4 off, v[8:11], off offset:424 ; 16-byte Folded Spill
	;; [unrolled: 1-line block ×7, first 2 shown]
	v_mov_b32_e32 v22, v57
	v_mov_b32_e32 v23, v82
	scratch_store_dwordx4 off, v[0:3], off offset:264 ; 16-byte Folded Spill
	s_nop 0
	scratch_store_dwordx4 off, v[4:7], off offset:280 ; 16-byte Folded Spill
	scratch_store_dwordx4 off, v[8:11], off offset:296 ; 16-byte Folded Spill
	;; [unrolled: 1-line block ×7, first 2 shown]
	s_nop 0
	v_mov_b32_e32 v24, v83
	scratch_store_dwordx4 off, v[62:65], off offset:1928 ; 16-byte Folded Spill
	s_nop 0
	scratch_store_dwordx4 off, v[66:69], off offset:1944 ; 16-byte Folded Spill
	scratch_store_dwordx4 off, v[70:73], off offset:1960 ; 16-byte Folded Spill
	;; [unrolled: 1-line block ×8, first 2 shown]
	s_nop 0
	scratch_store_dwordx4 off, v[66:69], off offset:1816 ; 16-byte Folded Spill
	scratch_store_dwordx4 off, v[70:73], off offset:1832 ; 16-byte Folded Spill
	;; [unrolled: 1-line block ×7, first 2 shown]
	v_mov_b32_e32 v62, v57
	v_mov_b64_e32 v[98:99], v[14:15]
	v_mov_b64_e32 v[108:109], v[24:25]
	v_mov_b32_e32 v64, v83
	v_mov_b64_e32 v[96:97], v[12:13]
	v_mov_b64_e32 v[94:95], v[10:11]
	v_mov_b64_e32 v[92:93], v[8:9]
	v_mov_b64_e32 v[90:91], v[6:7]
	v_mov_b64_e32 v[88:89], v[4:5]
	v_mov_b64_e32 v[86:87], v[2:3]
	v_mov_b64_e32 v[84:85], v[0:1]
	v_mov_b64_e32 v[106:107], v[22:23]
	v_mov_b64_e32 v[104:105], v[20:21]
	v_mov_b64_e32 v[102:103], v[18:19]
	v_mov_b64_e32 v[100:101], v[16:17]
	v_mov_b32_e32 v65, v25
	scratch_store_dwordx4 off, v[84:87], off offset:4 ; 16-byte Folded Spill
	s_nop 0
	scratch_store_dwordx4 off, v[88:91], off offset:20 ; 16-byte Folded Spill
	scratch_store_dwordx4 off, v[92:95], off offset:36 ; 16-byte Folded Spill
	;; [unrolled: 1-line block ×8, first 2 shown]
	s_nop 0
	scratch_store_dwordx4 off, v[44:47], off offset:152 ; 16-byte Folded Spill
	scratch_store_dwordx4 off, v[48:51], off offset:168 ; 16-byte Folded Spill
	;; [unrolled: 1-line block ×7, first 2 shown]
	v_mov_b32_e32 v59, v82
	v_mov_b32_e32 v77, v44
	;; [unrolled: 1-line block ×14, first 2 shown]
.LBB51_48:
	s_or_b64 exec, exec, s[2:3]
	v_cmp_eq_u32_e32 vcc, 9, v250
	s_waitcnt lgkmcnt(0)
	s_barrier
	s_and_saveexec_b64 s[2:3], vcc
	s_cbranch_execz .LBB51_51
; %bb.49:
	ds_write_b32 v252, v77
	scratch_load_dwordx4 v[0:3], off, off offset:4 ; 16-byte Folded Reload
	scratch_load_dwordx4 v[4:7], off, off offset:20 ; 16-byte Folded Reload
	;; [unrolled: 1-line block ×8, first 2 shown]
	scratch_load_dword v0, off, off offset:132 ; 4-byte Folded Reload
	s_waitcnt vmcnt(0)
	ds_write2_b64 v0, v[10:11], v[12:13] offset0:5 offset1:6
	ds_write2_b64 v0, v[14:15], v[16:17] offset0:7 offset1:8
	;; [unrolled: 1-line block ×4, first 2 shown]
	ds_read_b32 v43, v252
	s_waitcnt lgkmcnt(0)
	v_cmp_neq_f32_e32 vcc, 0, v43
	s_and_b64 exec, exec, vcc
	s_cbranch_execz .LBB51_51
; %bb.50:
	v_div_scale_f32 v44, s[4:5], v43, v43, 1.0
	v_rcp_f32_e32 v45, v44
	v_div_scale_f32 v46, vcc, 1.0, v43, 1.0
	v_fma_f32 v47, -v44, v45, 1.0
	v_fmac_f32_e32 v45, v47, v45
	v_mul_f32_e32 v47, v46, v45
	v_fma_f32 v48, -v44, v47, v46
	v_fmac_f32_e32 v47, v48, v45
	v_fma_f32 v44, -v44, v47, v46
	v_div_fmas_f32 v44, v44, v45, v47
	v_div_fixup_f32 v43, v44, v43, 1.0
	ds_write_b32 v252, v43
.LBB51_51:
	s_or_b64 exec, exec, s[2:3]
	s_waitcnt lgkmcnt(0)
	s_barrier
	ds_read_b32 v61, v252
	v_cmp_lt_u32_e32 vcc, 9, v250
	s_and_saveexec_b64 s[2:3], vcc
	s_cbranch_execz .LBB51_53
; %bb.52:
	scratch_load_dword v9, off, off offset:132 ; 4-byte Folded Reload
	s_waitcnt lgkmcnt(0)
	v_mul_f32_e32 v8, v77, v61
	v_mov_b32_e32 v35, v8
	v_mov_b32_e32 v215, v8
	;; [unrolled: 1-line block ×5, first 2 shown]
	s_waitcnt vmcnt(0)
	ds_read2_b64 v[26:29], v9 offset0:5 offset1:6
	ds_read2_b64 v[4:7], v9 offset0:7 offset1:8
	;; [unrolled: 1-line block ×3, first 2 shown]
	scratch_load_dwordx4 v[62:65], off, off offset:4 ; 16-byte Folded Reload
	scratch_load_dwordx4 v[66:69], off, off offset:20 ; 16-byte Folded Reload
	scratch_load_dwordx4 v[70:73], off, off offset:36 ; 16-byte Folded Reload
	scratch_load_dwordx4 v[74:77], off, off offset:52 ; 16-byte Folded Reload
	scratch_load_dwordx4 v[78:81], off, off offset:68 ; 16-byte Folded Reload
	scratch_load_dwordx4 v[82:85], off, off offset:84 ; 16-byte Folded Reload
	scratch_load_dwordx4 v[86:89], off, off offset:100 ; 16-byte Folded Reload
	scratch_load_dwordx4 v[90:93], off, off offset:116 ; 16-byte Folded Reload
	s_waitcnt vmcnt(5)
	v_mov_b32_e32 v71, v8
	s_waitcnt vmcnt(1)
	v_mov_b64_e32 v[10:11], v[72:73]
	v_mov_b64_e32 v[12:13], v[74:75]
	;; [unrolled: 1-line block ×8, first 2 shown]
	s_waitcnt lgkmcnt(2)
	v_pk_fma_f32 v[216:217], v[8:9], v[26:27], v[10:11] op_sel_hi:[0,1,1] neg_lo:[1,0,0] neg_hi:[1,0,0]
	v_pk_fma_f32 v[74:75], v[8:9], v[28:29], v[12:13] op_sel_hi:[0,1,1] neg_lo:[1,0,0] neg_hi:[1,0,0]
	ds_read2_b64 v[10:13], v9 offset0:9 offset1:10
	scratch_load_dwordx4 v[112:115], off, off offset:1800 ; 16-byte Folded Reload
	scratch_load_dwordx4 v[116:119], off, off offset:1816 ; 16-byte Folded Reload
	scratch_load_dwordx4 v[120:123], off, off offset:1832 ; 16-byte Folded Reload
	scratch_load_dwordx4 v[124:127], off, off offset:1848 ; 16-byte Folded Reload
	scratch_load_dwordx4 v[128:131], off, off offset:1864 ; 16-byte Folded Reload
	scratch_load_dwordx4 v[132:135], off, off offset:1880 ; 16-byte Folded Reload
	scratch_load_dwordx4 v[136:139], off, off offset:1896 ; 16-byte Folded Reload
	scratch_load_dwordx4 v[140:143], off, off offset:1912 ; 16-byte Folded Reload
	v_mov_b32_e32 v36, v216
	v_mov_b32_e32 v37, v217
	s_waitcnt lgkmcnt(2)
	v_pk_fma_f32 v[58:59], v[8:9], v[4:5], v[14:15] op_sel_hi:[0,1,1] neg_lo:[1,0,0] neg_hi:[1,0,0]
	v_mov_b32_e32 v85, v8
	v_mov_b32_e32 v86, v216
	v_mov_b32_e32 v87, v217
	v_mov_b32_e32 v88, v74
	v_mov_b32_e32 v89, v75
	s_waitcnt vmcnt(8)
	v_mov_b32_e32 v90, v58
	v_mov_b32_e32 v91, v59
	s_waitcnt lgkmcnt(0)
	v_pk_fma_f32 v[198:199], v[8:9], v[10:11], v[18:19] op_sel_hi:[0,1,1] neg_lo:[1,0,0] neg_hi:[1,0,0]
	v_pk_fma_f32 v[238:239], v[8:9], v[12:13], v[20:21] op_sel_hi:[0,1,1] neg_lo:[1,0,0] neg_hi:[1,0,0]
	;; [unrolled: 1-line block ×4, first 2 shown]
	v_mov_b32_e32 v14, v58
	v_mov_b32_e32 v15, v59
	s_waitcnt vmcnt(5)
	v_mov_b32_e32 v121, v8
	v_mov_b32_e32 v10, v216
	;; [unrolled: 1-line block ×46, first 2 shown]
	scratch_store_dwordx4 off, v[26:29], off offset:1544 ; 16-byte Folded Spill
	s_nop 0
	scratch_store_dwordx4 off, v[30:33], off offset:1560 ; 16-byte Folded Spill
	scratch_store_dwordx4 off, v[34:37], off offset:1576 ; 16-byte Folded Spill
	;; [unrolled: 1-line block ×7, first 2 shown]
	v_mov_b32_e32 v38, v74
	v_mov_b32_e32 v39, v75
	;; [unrolled: 1-line block ×56, first 2 shown]
	scratch_store_dwordx4 off, v[26:29], off offset:1288 ; 16-byte Folded Spill
	s_nop 0
	scratch_store_dwordx4 off, v[30:33], off offset:1304 ; 16-byte Folded Spill
	scratch_store_dwordx4 off, v[34:37], off offset:1320 ; 16-byte Folded Spill
	;; [unrolled: 1-line block ×7, first 2 shown]
	v_mov_b32_e32 v44, v112
	v_mov_b32_e32 v45, v113
	;; [unrolled: 1-line block ×22, first 2 shown]
	scratch_store_dwordx4 off, v[26:29], off offset:1032 ; 16-byte Folded Spill
	s_nop 0
	scratch_store_dwordx4 off, v[30:33], off offset:1048 ; 16-byte Folded Spill
	scratch_store_dwordx4 off, v[34:37], off offset:1064 ; 16-byte Folded Spill
	;; [unrolled: 1-line block ×7, first 2 shown]
	v_pk_fma_f32 v[42:43], v[8:9], v[6:7], v[16:17] op_sel_hi:[0,1,1] neg_lo:[1,0,0] neg_hi:[1,0,0]
	v_mov_b32_e32 v92, v42
	v_mov_b32_e32 v93, v43
	scratch_store_dwordx4 off, v[76:79], off offset:776 ; 16-byte Folded Spill
	s_nop 0
	scratch_store_dwordx4 off, v[80:83], off offset:792 ; 16-byte Folded Spill
	scratch_store_dwordx4 off, v[84:87], off offset:808 ; 16-byte Folded Spill
	;; [unrolled: 1-line block ×7, first 2 shown]
	v_mov_b32_e32 v94, v198
	v_mov_b32_e32 v95, v199
	;; [unrolled: 1-line block ×14, first 2 shown]
	scratch_store_dwordx4 off, v[76:79], off offset:520 ; 16-byte Folded Spill
	s_nop 0
	scratch_store_dwordx4 off, v[80:83], off offset:536 ; 16-byte Folded Spill
	scratch_store_dwordx4 off, v[84:87], off offset:552 ; 16-byte Folded Spill
	;; [unrolled: 1-line block ×7, first 2 shown]
	v_mov_b32_e32 v96, v238
	v_mov_b32_e32 v97, v239
	scratch_store_dwordx4 off, v[76:79], off offset:392 ; 16-byte Folded Spill
	s_nop 0
	scratch_store_dwordx4 off, v[80:83], off offset:408 ; 16-byte Folded Spill
	scratch_store_dwordx4 off, v[84:87], off offset:424 ; 16-byte Folded Spill
	;; [unrolled: 1-line block ×7, first 2 shown]
	v_mov_b32_e32 v98, v176
	v_mov_b32_e32 v99, v177
	scratch_store_dwordx4 off, v[76:79], off offset:264 ; 16-byte Folded Spill
	s_nop 0
	scratch_store_dwordx4 off, v[80:83], off offset:280 ; 16-byte Folded Spill
	scratch_store_dwordx4 off, v[84:87], off offset:296 ; 16-byte Folded Spill
	;; [unrolled: 1-line block ×7, first 2 shown]
	v_mov_b64_e32 v[94:95], v[14:15]
	s_nop 0
	v_mov_b64_e32 v[104:105], v[24:25]
	v_mov_b64_e32 v[92:93], v[12:13]
	;; [unrolled: 1-line block ×12, first 2 shown]
	scratch_store_dwordx4 off, v[112:115], off offset:1928 ; 16-byte Folded Spill
	s_nop 0
	scratch_store_dwordx4 off, v[116:119], off offset:1944 ; 16-byte Folded Spill
	scratch_store_dwordx4 off, v[120:123], off offset:1960 ; 16-byte Folded Spill
	s_waitcnt vmcnt(62)
	scratch_store_dwordx4 off, v[124:127], off offset:1976 ; 16-byte Folded Spill
	scratch_store_dwordx4 off, v[128:131], off offset:1992 ; 16-byte Folded Spill
	s_waitcnt vmcnt(62)
	;; [unrolled: 3-line block ×3, first 2 shown]
	scratch_store_dwordx4 off, v[140:143], off offset:2040 ; 16-byte Folded Spill
	v_mov_b32_e32 v76, v176
	v_mov_b32_e32 v78, v24
	;; [unrolled: 1-line block ×5, first 2 shown]
	scratch_store_dwordx4 off, v[80:83], off offset:4 ; 16-byte Folded Spill
	s_nop 0
	scratch_store_dwordx4 off, v[84:87], off offset:20 ; 16-byte Folded Spill
	scratch_store_dwordx4 off, v[88:91], off offset:36 ; 16-byte Folded Spill
	;; [unrolled: 1-line block ×8, first 2 shown]
	s_nop 0
	scratch_store_dwordx4 off, v[58:61], off offset:152 ; 16-byte Folded Spill
	scratch_store_dwordx4 off, v[62:65], off offset:168 ; 16-byte Folded Spill
	;; [unrolled: 1-line block ×7, first 2 shown]
	v_mov_b32_e32 v76, v216
	scratch_store_dwordx4 off, v[206:209], off offset:1672 ; 16-byte Folded Spill
	s_nop 0
	scratch_store_dwordx4 off, v[210:213], off offset:1688 ; 16-byte Folded Spill
	scratch_store_dwordx4 off, v[214:217], off offset:1704 ; 16-byte Folded Spill
	;; [unrolled: 1-line block ×7, first 2 shown]
	v_mov_b32_e32 v178, v74
	scratch_store_dwordx4 off, v[62:65], off offset:1416 ; 16-byte Folded Spill
	s_nop 0
	scratch_store_dwordx4 off, v[66:69], off offset:1432 ; 16-byte Folded Spill
	scratch_store_dwordx4 off, v[70:73], off offset:1448 ; 16-byte Folded Spill
	;; [unrolled: 1-line block ×7, first 2 shown]
	v_mov_b32_e32 v80, v58
	v_mov_b32_e32 v179, v75
	scratch_store_dwordx4 off, v[44:47], off offset:1160 ; 16-byte Folded Spill
	s_nop 0
	scratch_store_dwordx4 off, v[48:51], off offset:1176 ; 16-byte Folded Spill
	scratch_store_dwordx4 off, v[52:55], off offset:1192 ; 16-byte Folded Spill
	scratch_store_dwordx4 off, v[56:59], off offset:1208 ; 16-byte Folded Spill
	scratch_store_dwordx4 off, v[60:63], off offset:1224 ; 16-byte Folded Spill
	scratch_store_dwordx4 off, v[64:67], off offset:1240 ; 16-byte Folded Spill
	scratch_store_dwordx4 off, v[68:71], off offset:1256 ; 16-byte Folded Spill
	scratch_store_dwordx4 off, v[72:75], off offset:1272 ; 16-byte Folded Spill
	v_mov_b32_e32 v66, v42
	v_mov_b32_e32 v64, v198
	scratch_store_dwordx4 off, v[26:29], off offset:904 ; 16-byte Folded Spill
	s_nop 0
	scratch_store_dwordx4 off, v[30:33], off offset:920 ; 16-byte Folded Spill
	scratch_store_dwordx4 off, v[34:37], off offset:936 ; 16-byte Folded Spill
	;; [unrolled: 1-line block ×8, first 2 shown]
	s_nop 0
	scratch_store_dwordx4 off, v[184:187], off offset:664 ; 16-byte Folded Spill
	scratch_store_dwordx4 off, v[188:191], off offset:680 ; 16-byte Folded Spill
	;; [unrolled: 1-line block ×7, first 2 shown]
	v_mov_b32_e32 v69, v59
	v_mov_b32_e32 v59, v177
	;; [unrolled: 1-line block ×4, first 2 shown]
.LBB51_53:
	s_or_b64 exec, exec, s[2:3]
	v_cmp_eq_u32_e32 vcc, 10, v250
	s_waitcnt lgkmcnt(0)
	s_barrier
	s_and_saveexec_b64 s[2:3], vcc
	s_cbranch_execz .LBB51_56
; %bb.54:
	ds_write_b32 v252, v76
	scratch_load_dwordx4 v[0:3], off, off offset:4 ; 16-byte Folded Reload
	scratch_load_dwordx4 v[4:7], off, off offset:20 ; 16-byte Folded Reload
	;; [unrolled: 1-line block ×8, first 2 shown]
	scratch_load_dword v0, off, off offset:132 ; 4-byte Folded Reload
	s_waitcnt vmcnt(0)
	ds_write2_b32 v0, v11, v12 offset0:11 offset1:12
	ds_write2_b32 v0, v13, v14 offset0:13 offset1:14
	;; [unrolled: 1-line block ×7, first 2 shown]
	scratch_load_dwordx4 v[26:29], off, off offset:136 ; 16-byte Folded Reload
	scratch_load_dwordx4 v[30:33], off, off offset:152 ; 16-byte Folded Reload
	scratch_load_dwordx4 v[34:37], off, off offset:168 ; 16-byte Folded Reload
	scratch_load_dwordx4 v[38:41], off, off offset:184 ; 16-byte Folded Reload
	scratch_load_dwordx4 v[42:45], off, off offset:200 ; 16-byte Folded Reload
	scratch_load_dwordx4 v[46:49], off, off offset:216 ; 16-byte Folded Reload
	scratch_load_dwordx4 v[50:53], off, off offset:232 ; 16-byte Folded Reload
	scratch_load_dwordx4 v[54:57], off, off offset:248 ; 16-byte Folded Reload
	s_waitcnt vmcnt(1)
	ds_write_b32 v0, v51 offset:100
	ds_read_b32 v43, v252
	s_waitcnt lgkmcnt(0)
	v_cmp_neq_f32_e32 vcc, 0, v43
	s_and_b64 exec, exec, vcc
	s_cbranch_execz .LBB51_56
; %bb.55:
	v_div_scale_f32 v44, s[4:5], v43, v43, 1.0
	v_rcp_f32_e32 v45, v44
	v_div_scale_f32 v46, vcc, 1.0, v43, 1.0
	v_fma_f32 v47, -v44, v45, 1.0
	v_fmac_f32_e32 v45, v47, v45
	v_mul_f32_e32 v47, v46, v45
	v_fma_f32 v48, -v44, v47, v46
	v_fmac_f32_e32 v47, v48, v45
	v_fma_f32 v44, -v44, v47, v46
	v_div_fmas_f32 v44, v44, v45, v47
	v_div_fixup_f32 v43, v44, v43, 1.0
	ds_write_b32 v252, v43
.LBB51_56:
	s_or_b64 exec, exec, s[2:3]
	s_waitcnt lgkmcnt(0)
	s_barrier
	ds_read_b32 v152, v252
	v_cmp_lt_u32_e32 vcc, 10, v250
	s_and_saveexec_b64 s[2:3], vcc
	s_cbranch_execz .LBB51_58
; %bb.57:
	scratch_load_dwordx4 v[26:29], off, off offset:1928 ; 16-byte Folded Reload
	scratch_load_dwordx4 v[30:33], off, off offset:1944 ; 16-byte Folded Reload
	;; [unrolled: 1-line block ×8, first 2 shown]
	s_waitcnt lgkmcnt(0)
	v_mul_f32_e32 v72, v76, v152
	v_mov_b32_e32 v228, v72
	v_mov_b32_e32 v164, v72
	s_waitcnt vmcnt(5)
	v_mov_b64_e32 v[70:71], v[34:35]
	v_mov_b64_e32 v[68:69], v[32:33]
	;; [unrolled: 1-line block ×5, first 2 shown]
	scratch_load_dword v34, off, off offset:132 ; 4-byte Folded Reload
	v_mov_b32_e32 v218, v62
	v_mov_b32_e32 v219, v63
	;; [unrolled: 1-line block ×20, first 2 shown]
	s_waitcnt vmcnt(0)
	ds_read2_b32 v[0:1], v34 offset0:11 offset1:12
	scratch_load_dwordx4 v[2:5], off, off offset:4 ; 16-byte Folded Reload
	scratch_load_dwordx4 v[6:9], off, off offset:20 ; 16-byte Folded Reload
	;; [unrolled: 1-line block ×8, first 2 shown]
	s_waitcnt vmcnt(7)
	ds_read2_b32 v[4:5], v34 offset0:13 offset1:14
	s_waitcnt vmcnt(6)
	ds_read2_b32 v[6:7], v34 offset0:15 offset1:16
	ds_read2_b32 v[8:9], v34 offset0:17 offset1:18
	s_waitcnt vmcnt(2)
	v_mov_b32_e32 v11, v13
	v_mov_b32_e32 v12, v14
	;; [unrolled: 1-line block ×8, first 2 shown]
	s_waitcnt lgkmcnt(3)
	v_pk_fma_f32 v[44:45], v[72:73], v[0:1], v[2:3] op_sel_hi:[0,1,1] neg_lo:[1,0,0] neg_hi:[1,0,0]
	v_mov_b32_e32 v0, v13
	v_mov_b32_e32 v1, v14
	;; [unrolled: 1-line block ×4, first 2 shown]
	s_waitcnt lgkmcnt(2)
	v_pk_fma_f32 v[46:47], v[72:73], v[4:5], v[0:1] op_sel_hi:[0,1,1] neg_lo:[1,0,0] neg_hi:[1,0,0]
	v_mov_b32_e32 v0, v15
	v_mov_b32_e32 v1, v16
	s_waitcnt lgkmcnt(1)
	v_pk_fma_f32 v[48:49], v[72:73], v[6:7], v[0:1] op_sel_hi:[0,1,1] neg_lo:[1,0,0] neg_hi:[1,0,0]
	v_mov_b32_e32 v0, v17
	v_mov_b32_e32 v1, v18
	s_waitcnt lgkmcnt(0)
	v_pk_fma_f32 v[50:51], v[72:73], v[8:9], v[0:1] op_sel_hi:[0,1,1] neg_lo:[1,0,0] neg_hi:[1,0,0]
	ds_read2_b32 v[0:1], v34 offset0:19 offset1:20
	v_mov_b32_e32 v19, v21
	v_mov_b32_e32 v20, v22
	ds_read2_b32 v[4:5], v34 offset0:21 offset1:22
	ds_read2_b32 v[6:7], v34 offset0:23 offset1:24
	ds_read_b32 v8, v34 offset:100
	v_mov_b32_e32 v21, v23
	v_mov_b32_e32 v22, v24
	s_waitcnt vmcnt(1)
	v_mov_b32_e32 v23, v25
	v_mov_b32_e32 v2, v19
	;; [unrolled: 1-line block ×4, first 2 shown]
	s_waitcnt lgkmcnt(3)
	v_pk_fma_f32 v[52:53], v[72:73], v[0:1], v[2:3] op_sel_hi:[0,1,1] neg_lo:[1,0,0] neg_hi:[1,0,0]
	v_mov_b32_e32 v0, v21
	v_mov_b32_e32 v1, v22
	s_waitcnt lgkmcnt(2)
	v_pk_fma_f32 v[54:55], v[72:73], v[4:5], v[0:1] op_sel_hi:[0,1,1] neg_lo:[1,0,0] neg_hi:[1,0,0]
	v_mov_b32_e32 v0, v23
	v_mov_b32_e32 v1, v24
	scratch_load_dwordx4 v[10:13], off, off offset:136 ; 16-byte Folded Reload
	scratch_load_dwordx4 v[14:17], off, off offset:152 ; 16-byte Folded Reload
	;; [unrolled: 1-line block ×8, first 2 shown]
	s_waitcnt lgkmcnt(1)
	v_pk_fma_f32 v[56:57], v[72:73], v[6:7], v[0:1] op_sel_hi:[0,1,1] neg_lo:[1,0,0] neg_hi:[1,0,0]
	v_mov_b32_e32 v0, v62
	v_mov_b32_e32 v1, v63
	;; [unrolled: 1-line block ×9, first 2 shown]
	s_waitcnt vmcnt(7)
	v_mov_b32_e32 v10, v72
	v_mov_b32_e32 v11, v44
	;; [unrolled: 1-line block ×26, first 2 shown]
	s_waitcnt vmcnt(1) lgkmcnt(0)
	v_fma_f32 v25, -v72, v8, v35
	v_mov_b32_e32 v8, v70
	scratch_store_dwordx4 off, v[0:3], off offset:1416 ; 16-byte Folded Spill
	s_nop 0
	scratch_store_dwordx4 off, v[4:7], off offset:1432 ; 16-byte Folded Spill
	scratch_store_dwordx4 off, v[8:11], off offset:1448 ; 16-byte Folded Spill
	scratch_store_dwordx4 off, v[12:15], off offset:1464 ; 16-byte Folded Spill
	scratch_store_dwordx4 off, v[16:19], off offset:1480 ; 16-byte Folded Spill
	scratch_store_dwordx4 off, v[20:23], off offset:1496 ; 16-byte Folded Spill
	scratch_store_dwordx4 off, v[24:27], off offset:1512 ; 16-byte Folded Spill
	scratch_store_dwordx4 off, v[28:31], off offset:1528 ; 16-byte Folded Spill
	v_mov_b32_e32 v13, v46
	scratch_store_dwordx4 off, v[0:3], off offset:1288 ; 16-byte Folded Spill
	s_nop 0
	scratch_store_dwordx4 off, v[4:7], off offset:1304 ; 16-byte Folded Spill
	scratch_store_dwordx4 off, v[8:11], off offset:1320 ; 16-byte Folded Spill
	scratch_store_dwordx4 off, v[12:15], off offset:1336 ; 16-byte Folded Spill
	scratch_store_dwordx4 off, v[16:19], off offset:1352 ; 16-byte Folded Spill
	scratch_store_dwordx4 off, v[20:23], off offset:1368 ; 16-byte Folded Spill
	scratch_store_dwordx4 off, v[24:27], off offset:1384 ; 16-byte Folded Spill
	scratch_store_dwordx4 off, v[28:31], off offset:1400 ; 16-byte Folded Spill
	;; [unrolled: 10-line block ×8, first 2 shown]
	v_mov_b32_e32 v20, v53
	v_mov_b32_e32 v21, v54
	scratch_store_dwordx4 off, v[0:3], off offset:392 ; 16-byte Folded Spill
	s_nop 0
	scratch_store_dwordx4 off, v[4:7], off offset:408 ; 16-byte Folded Spill
	scratch_store_dwordx4 off, v[8:11], off offset:424 ; 16-byte Folded Spill
	;; [unrolled: 1-line block ×7, first 2 shown]
	v_mov_b32_e32 v22, v55
	v_mov_b32_e32 v23, v56
	scratch_store_dwordx4 off, v[0:3], off offset:264 ; 16-byte Folded Spill
	s_nop 0
	scratch_store_dwordx4 off, v[4:7], off offset:280 ; 16-byte Folded Spill
	scratch_store_dwordx4 off, v[8:11], off offset:296 ; 16-byte Folded Spill
	scratch_store_dwordx4 off, v[12:15], off offset:312 ; 16-byte Folded Spill
	scratch_store_dwordx4 off, v[16:19], off offset:328 ; 16-byte Folded Spill
	scratch_store_dwordx4 off, v[20:23], off offset:344 ; 16-byte Folded Spill
	scratch_store_dwordx4 off, v[24:27], off offset:360 ; 16-byte Folded Spill
	scratch_store_dwordx4 off, v[28:31], off offset:376 ; 16-byte Folded Spill
	scratch_store_dwordx4 off, v[62:65], off offset:1544 ; 16-byte Folded Spill
	s_nop 0
	scratch_store_dwordx4 off, v[66:69], off offset:1560 ; 16-byte Folded Spill
	scratch_store_dwordx4 off, v[70:73], off offset:1576 ; 16-byte Folded Spill
	scratch_store_dwordx4 off, v[74:77], off offset:1592 ; 16-byte Folded Spill
	scratch_store_dwordx4 off, v[78:81], off offset:1608 ; 16-byte Folded Spill
	scratch_store_dwordx4 off, v[82:85], off offset:1624 ; 16-byte Folded Spill
	scratch_store_dwordx4 off, v[86:89], off offset:1640 ; 16-byte Folded Spill
	scratch_store_dwordx4 off, v[90:93], off offset:1656 ; 16-byte Folded Spill
	;; [unrolled: 9-line block ×3, first 2 shown]
	v_mov_b32_e32 v24, v57
	v_mov_b32_e32 v62, v55
	;; [unrolled: 1-line block ×3, first 2 shown]
	v_mov_b64_e32 v[80:81], v[14:15]
	v_mov_b64_e32 v[90:91], v[24:25]
	;; [unrolled: 1-line block ×13, first 2 shown]
	scratch_store_dwordx4 off, v[66:69], off offset:4 ; 16-byte Folded Spill
	s_nop 0
	scratch_store_dwordx4 off, v[70:73], off offset:20 ; 16-byte Folded Spill
	scratch_store_dwordx4 off, v[74:77], off offset:36 ; 16-byte Folded Spill
	;; [unrolled: 1-line block ×7, first 2 shown]
	v_mov_b32_e32 v65, v25
	s_waitcnt vmcnt(62)
	scratch_store_dwordx4 off, v[40:43], off offset:136 ; 16-byte Folded Spill
	s_nop 0
	scratch_store_dwordx4 off, v[44:47], off offset:152 ; 16-byte Folded Spill
	scratch_store_dwordx4 off, v[48:51], off offset:168 ; 16-byte Folded Spill
	;; [unrolled: 1-line block ×7, first 2 shown]
	v_mov_b32_e32 v217, v44
	v_mov_b32_e32 v178, v45
	v_mov_b32_e32 v179, v46
	v_mov_b32_e32 v80, v47
	v_mov_b32_e32 v69, v48
	v_mov_b32_e32 v66, v49
	v_mov_b32_e32 v67, v50
	v_mov_b32_e32 v64, v51
	v_mov_b32_e32 v65, v52
	v_mov_b32_e32 v134, v53
	v_mov_b32_e32 v135, v54
	v_mov_b32_e32 v59, v56
.LBB51_58:
	s_or_b64 exec, exec, s[2:3]
	v_cmp_eq_u32_e32 vcc, 11, v250
	s_waitcnt lgkmcnt(0)
	s_barrier
	s_and_saveexec_b64 s[2:3], vcc
	s_cbranch_execz .LBB51_61
; %bb.59:
	ds_write_b32 v252, v217
	scratch_load_dwordx4 v[0:3], off, off offset:4 ; 16-byte Folded Reload
	scratch_load_dwordx4 v[4:7], off, off offset:20 ; 16-byte Folded Reload
	scratch_load_dwordx4 v[8:11], off, off offset:36 ; 16-byte Folded Reload
	scratch_load_dwordx4 v[12:15], off, off offset:52 ; 16-byte Folded Reload
	scratch_load_dwordx4 v[16:19], off, off offset:68 ; 16-byte Folded Reload
	scratch_load_dwordx4 v[20:23], off, off offset:84 ; 16-byte Folded Reload
	scratch_load_dwordx4 v[24:27], off, off offset:100 ; 16-byte Folded Reload
	scratch_load_dwordx4 v[28:31], off, off offset:116 ; 16-byte Folded Reload
	scratch_load_dword v0, off, off offset:132 ; 4-byte Folded Reload
	s_waitcnt vmcnt(0)
	ds_write2_b64 v0, v[12:13], v[14:15] offset0:6 offset1:7
	ds_write2_b64 v0, v[16:17], v[18:19] offset0:8 offset1:9
	ds_write2_b64 v0, v[20:21], v[22:23] offset0:10 offset1:11
	ds_write_b64 v0, v[24:25] offset:96
	ds_read_b32 v43, v252
	s_waitcnt lgkmcnt(0)
	v_cmp_neq_f32_e32 vcc, 0, v43
	s_and_b64 exec, exec, vcc
	s_cbranch_execz .LBB51_61
; %bb.60:
	v_div_scale_f32 v44, s[4:5], v43, v43, 1.0
	v_rcp_f32_e32 v45, v44
	v_div_scale_f32 v46, vcc, 1.0, v43, 1.0
	v_fma_f32 v47, -v44, v45, 1.0
	v_fmac_f32_e32 v45, v47, v45
	v_mul_f32_e32 v47, v46, v45
	v_fma_f32 v48, -v44, v47, v46
	v_fmac_f32_e32 v47, v48, v45
	v_fma_f32 v44, -v44, v47, v46
	v_div_fmas_f32 v44, v44, v45, v47
	v_div_fixup_f32 v43, v44, v43, 1.0
	ds_write_b32 v252, v43
.LBB51_61:
	s_or_b64 exec, exec, s[2:3]
	s_waitcnt lgkmcnt(0)
	s_barrier
	ds_read_b32 v153, v252
	v_cmp_lt_u32_e32 vcc, 11, v250
	s_and_saveexec_b64 s[2:3], vcc
	s_cbranch_execz .LBB51_63
; %bb.62:
	scratch_load_dword v5, off, off offset:132 ; 4-byte Folded Reload
	s_waitcnt lgkmcnt(0)
	v_mul_f32_e32 v4, v217, v153
	v_mov_b32_e32 v87, v4
	v_mov_b32_e32 v73, v4
	s_waitcnt vmcnt(2)
	v_mov_b32_e32 v117, v4
	v_mov_b32_e32 v165, v4
	s_waitcnt vmcnt(0)
	ds_read2_b64 v[6:9], v5 offset0:6 offset1:7
	ds_read2_b64 v[0:3], v5 offset0:8 offset1:9
	ds_read_b64 v[10:11], v5 offset:96
	scratch_load_dwordx4 v[12:15], off, off offset:4 ; 16-byte Folded Reload
	scratch_load_dwordx4 v[16:19], off, off offset:20 ; 16-byte Folded Reload
	;; [unrolled: 1-line block ×8, first 2 shown]
	s_waitcnt vmcnt(2)
	v_mov_b64_e32 v[12:13], v[24:25]
	v_mov_b64_e32 v[14:15], v[26:27]
	s_waitcnt lgkmcnt(2)
	v_pk_fma_f32 v[74:75], v[4:5], v[6:7], v[12:13] op_sel_hi:[0,1,1] neg_lo:[1,0,0] neg_hi:[1,0,0]
	v_pk_fma_f32 v[58:59], v[4:5], v[8:9], v[14:15] op_sel_hi:[0,1,1] neg_lo:[1,0,0] neg_hi:[1,0,0]
	ds_read2_b64 v[6:9], v5 offset0:10 offset1:11
	scratch_load_dwordx4 v[206:209], off, off offset:1672 ; 16-byte Folded Reload
	scratch_load_dwordx4 v[210:213], off, off offset:1688 ; 16-byte Folded Reload
	scratch_load_dwordx4 v[214:217], off, off offset:1704 ; 16-byte Folded Reload
	scratch_load_dwordx4 v[218:221], off, off offset:1720 ; 16-byte Folded Reload
	scratch_load_dwordx4 v[222:225], off, off offset:1736 ; 16-byte Folded Reload
	scratch_load_dwordx4 v[226:229], off, off offset:1752 ; 16-byte Folded Reload
	scratch_load_dwordx4 v[230:233], off, off offset:1768 ; 16-byte Folded Reload
	scratch_load_dwordx4 v[234:237], off, off offset:1784 ; 16-byte Folded Reload
	v_mov_b64_e32 v[16:17], v[28:29]
	v_mov_b64_e32 v[18:19], v[30:31]
	;; [unrolled: 1-line block ×4, first 2 shown]
	s_waitcnt vmcnt(9)
	v_mov_b64_e32 v[24:25], v[36:37]
	s_waitcnt vmcnt(8) lgkmcnt(2)
	v_pk_fma_f32 v[42:43], v[4:5], v[0:1], v[16:17] op_sel_hi:[0,1,1] neg_lo:[1,0,0] neg_hi:[1,0,0]
	v_mov_b32_e32 v37, v4
	v_mov_b32_e32 v38, v74
	;; [unrolled: 1-line block ×7, first 2 shown]
	v_pk_fma_f32 v[124:125], v[4:5], v[2:3], v[18:19] op_sel_hi:[0,1,1] neg_lo:[1,0,0] neg_hi:[1,0,0]
	s_waitcnt lgkmcnt(0)
	v_pk_fma_f32 v[238:239], v[4:5], v[6:7], v[20:21] op_sel_hi:[0,1,1] neg_lo:[1,0,0] neg_hi:[1,0,0]
	v_pk_fma_f32 v[176:177], v[4:5], v[8:9], v[22:23] op_sel_hi:[0,1,1] neg_lo:[1,0,0] neg_hi:[1,0,0]
	;; [unrolled: 1-line block ×3, first 2 shown]
	v_mov_b32_e32 v14, v58
	v_mov_b32_e32 v15, v59
	s_waitcnt vmcnt(5)
	v_mov_b32_e32 v217, v4
	s_waitcnt vmcnt(2)
	v_mov_b32_e32 v229, v4
	v_mov_b32_e32 v11, v4
	v_mov_b32_e32 v12, v74
	v_mov_b32_e32 v13, v75
	v_mov_b32_e32 v18, v124
	v_mov_b32_e32 v19, v125
	v_mov_b32_e32 v20, v238
	v_mov_b32_e32 v21, v239
	v_mov_b32_e32 v22, v176
	v_mov_b32_e32 v23, v177
	s_waitcnt vmcnt(1)
	v_mov_b32_e32 v230, v74
	v_mov_b32_e32 v231, v75
	v_mov_b32_e32 v232, v58
	v_mov_b32_e32 v233, v59
	s_waitcnt vmcnt(0)
	v_mov_b32_e32 v236, v124
	v_mov_b32_e32 v237, v125
	;; [unrolled: 1-line block ×25, first 2 shown]
	scratch_store_dwordx4 off, v[26:29], off offset:1288 ; 16-byte Folded Spill
	s_nop 0
	scratch_store_dwordx4 off, v[30:33], off offset:1304 ; 16-byte Folded Spill
	scratch_store_dwordx4 off, v[34:37], off offset:1320 ; 16-byte Folded Spill
	;; [unrolled: 1-line block ×7, first 2 shown]
	v_mov_b32_e32 v44, v206
	v_mov_b32_e32 v45, v207
	;; [unrolled: 1-line block ×60, first 2 shown]
	scratch_store_dwordx4 off, v[26:29], off offset:1032 ; 16-byte Folded Spill
	s_nop 0
	scratch_store_dwordx4 off, v[30:33], off offset:1048 ; 16-byte Folded Spill
	scratch_store_dwordx4 off, v[34:37], off offset:1064 ; 16-byte Folded Spill
	;; [unrolled: 1-line block ×7, first 2 shown]
	v_mov_b32_e32 v69, v213
	v_mov_b32_e32 v70, v214
	;; [unrolled: 1-line block ×22, first 2 shown]
	scratch_store_dwordx4 off, v[76:79], off offset:776 ; 16-byte Folded Spill
	s_nop 0
	scratch_store_dwordx4 off, v[80:83], off offset:792 ; 16-byte Folded Spill
	scratch_store_dwordx4 off, v[84:87], off offset:808 ; 16-byte Folded Spill
	;; [unrolled: 1-line block ×7, first 2 shown]
	v_mov_b32_e32 v94, v124
	v_mov_b32_e32 v95, v125
	;; [unrolled: 1-line block ×12, first 2 shown]
	scratch_store_dwordx4 off, v[76:79], off offset:520 ; 16-byte Folded Spill
	s_nop 0
	scratch_store_dwordx4 off, v[80:83], off offset:536 ; 16-byte Folded Spill
	scratch_store_dwordx4 off, v[84:87], off offset:552 ; 16-byte Folded Spill
	;; [unrolled: 1-line block ×7, first 2 shown]
	v_mov_b32_e32 v96, v238
	v_mov_b32_e32 v97, v239
	scratch_store_dwordx4 off, v[76:79], off offset:392 ; 16-byte Folded Spill
	s_nop 0
	scratch_store_dwordx4 off, v[80:83], off offset:408 ; 16-byte Folded Spill
	scratch_store_dwordx4 off, v[84:87], off offset:424 ; 16-byte Folded Spill
	;; [unrolled: 1-line block ×7, first 2 shown]
	v_mov_b32_e32 v98, v176
	v_mov_b32_e32 v99, v177
	scratch_store_dwordx4 off, v[76:79], off offset:264 ; 16-byte Folded Spill
	s_nop 0
	scratch_store_dwordx4 off, v[80:83], off offset:280 ; 16-byte Folded Spill
	scratch_store_dwordx4 off, v[84:87], off offset:296 ; 16-byte Folded Spill
	;; [unrolled: 1-line block ×7, first 2 shown]
	v_mov_b64_e32 v[94:95], v[14:15]
	s_nop 0
	v_mov_b64_e32 v[104:105], v[24:25]
	v_mov_b64_e32 v[92:93], v[12:13]
	;; [unrolled: 1-line block ×12, first 2 shown]
	scratch_store_dwordx4 off, v[206:209], off offset:1544 ; 16-byte Folded Spill
	s_nop 0
	scratch_store_dwordx4 off, v[210:213], off offset:1560 ; 16-byte Folded Spill
	scratch_store_dwordx4 off, v[214:217], off offset:1576 ; 16-byte Folded Spill
	;; [unrolled: 1-line block ×7, first 2 shown]
	v_mov_b32_e32 v76, v176
	v_mov_b32_e32 v78, v24
	;; [unrolled: 1-line block ×3, first 2 shown]
	scratch_store_dwordx4 off, v[80:83], off offset:4 ; 16-byte Folded Spill
	s_nop 0
	scratch_store_dwordx4 off, v[84:87], off offset:20 ; 16-byte Folded Spill
	scratch_store_dwordx4 off, v[88:91], off offset:36 ; 16-byte Folded Spill
	;; [unrolled: 1-line block ×8, first 2 shown]
	s_nop 0
	scratch_store_dwordx4 off, v[58:61], off offset:152 ; 16-byte Folded Spill
	scratch_store_dwordx4 off, v[62:65], off offset:168 ; 16-byte Folded Spill
	;; [unrolled: 1-line block ×7, first 2 shown]
	v_mov_b32_e32 v178, v74
	scratch_store_dwordx4 off, v[62:65], off offset:1416 ; 16-byte Folded Spill
	s_nop 0
	scratch_store_dwordx4 off, v[66:69], off offset:1432 ; 16-byte Folded Spill
	scratch_store_dwordx4 off, v[70:73], off offset:1448 ; 16-byte Folded Spill
	;; [unrolled: 1-line block ×7, first 2 shown]
	v_mov_b32_e32 v80, v58
	v_mov_b32_e32 v179, v75
	scratch_store_dwordx4 off, v[44:47], off offset:1160 ; 16-byte Folded Spill
	s_nop 0
	scratch_store_dwordx4 off, v[48:51], off offset:1176 ; 16-byte Folded Spill
	scratch_store_dwordx4 off, v[52:55], off offset:1192 ; 16-byte Folded Spill
	;; [unrolled: 1-line block ×7, first 2 shown]
	v_mov_b32_e32 v66, v42
	v_mov_b32_e32 v64, v124
	scratch_store_dwordx4 off, v[26:29], off offset:904 ; 16-byte Folded Spill
	s_nop 0
	scratch_store_dwordx4 off, v[30:33], off offset:920 ; 16-byte Folded Spill
	scratch_store_dwordx4 off, v[34:37], off offset:936 ; 16-byte Folded Spill
	;; [unrolled: 1-line block ×8, first 2 shown]
	s_nop 0
	scratch_store_dwordx4 off, v[110:113], off offset:664 ; 16-byte Folded Spill
	scratch_store_dwordx4 off, v[114:117], off offset:680 ; 16-byte Folded Spill
	scratch_store_dwordx4 off, v[118:121], off offset:696 ; 16-byte Folded Spill
	scratch_store_dwordx4 off, v[122:125], off offset:712 ; 16-byte Folded Spill
	scratch_store_dwordx4 off, v[126:129], off offset:728 ; 16-byte Folded Spill
	scratch_store_dwordx4 off, v[130:133], off offset:744 ; 16-byte Folded Spill
	scratch_store_dwordx4 off, v[134:137], off offset:760 ; 16-byte Folded Spill
	v_mov_b32_e32 v69, v59
	v_mov_b32_e32 v59, v177
	;; [unrolled: 1-line block ×6, first 2 shown]
.LBB51_63:
	s_or_b64 exec, exec, s[2:3]
	v_cmp_eq_u32_e32 vcc, 12, v250
	s_waitcnt lgkmcnt(0)
	s_barrier
	s_and_saveexec_b64 s[2:3], vcc
	s_cbranch_execz .LBB51_66
; %bb.64:
	ds_write_b32 v252, v178
	scratch_load_dwordx4 v[0:3], off, off offset:4 ; 16-byte Folded Reload
	scratch_load_dwordx4 v[4:7], off, off offset:20 ; 16-byte Folded Reload
	;; [unrolled: 1-line block ×8, first 2 shown]
	scratch_load_dword v0, off, off offset:132 ; 4-byte Folded Reload
	s_waitcnt vmcnt(0)
	ds_write2_b32 v0, v13, v14 offset0:13 offset1:14
	ds_write2_b32 v0, v15, v16 offset0:15 offset1:16
	;; [unrolled: 1-line block ×6, first 2 shown]
	scratch_load_dwordx4 v[26:29], off, off offset:136 ; 16-byte Folded Reload
	scratch_load_dwordx4 v[30:33], off, off offset:152 ; 16-byte Folded Reload
	;; [unrolled: 1-line block ×8, first 2 shown]
	s_waitcnt vmcnt(1)
	ds_write_b32 v0, v51 offset:100
	ds_read_b32 v43, v252
	s_waitcnt lgkmcnt(0)
	v_cmp_neq_f32_e32 vcc, 0, v43
	s_and_b64 exec, exec, vcc
	s_cbranch_execz .LBB51_66
; %bb.65:
	v_div_scale_f32 v44, s[4:5], v43, v43, 1.0
	v_rcp_f32_e32 v45, v44
	v_div_scale_f32 v46, vcc, 1.0, v43, 1.0
	v_fma_f32 v47, -v44, v45, 1.0
	v_fmac_f32_e32 v45, v47, v45
	v_mul_f32_e32 v47, v46, v45
	v_fma_f32 v48, -v44, v47, v46
	v_fmac_f32_e32 v47, v48, v45
	v_fma_f32 v44, -v44, v47, v46
	v_div_fmas_f32 v44, v44, v45, v47
	v_div_fixup_f32 v43, v44, v43, 1.0
	ds_write_b32 v252, v43
.LBB51_66:
	s_or_b64 exec, exec, s[2:3]
	s_waitcnt lgkmcnt(0)
	s_barrier
	ds_read_b32 v206, v252
	v_cmp_lt_u32_e32 vcc, 12, v250
	s_and_saveexec_b64 s[2:3], vcc
	s_cbranch_execz .LBB51_68
; %bb.67:
	scratch_load_dwordx4 v[26:29], off, off offset:1544 ; 16-byte Folded Reload
	scratch_load_dwordx4 v[30:33], off, off offset:1560 ; 16-byte Folded Reload
	;; [unrolled: 1-line block ×8, first 2 shown]
	s_waitcnt lgkmcnt(0)
	v_mul_f32_e32 v74, v178, v206
	v_mov_b32_e32 v230, v74
	v_mov_b32_e32 v166, v74
	s_waitcnt vmcnt(5)
	v_mov_b64_e32 v[72:73], v[36:37]
	v_mov_b64_e32 v[70:71], v[34:35]
	;; [unrolled: 1-line block ×6, first 2 shown]
	scratch_load_dword v34, off, off offset:132 ; 4-byte Folded Reload
	v_mov_b32_e32 v218, v62
	v_mov_b32_e32 v219, v63
	;; [unrolled: 1-line block ×24, first 2 shown]
	s_waitcnt vmcnt(0)
	ds_read2_b32 v[0:1], v34 offset0:13 offset1:14
	scratch_load_dwordx4 v[2:5], off, off offset:4 ; 16-byte Folded Reload
	scratch_load_dwordx4 v[6:9], off, off offset:20 ; 16-byte Folded Reload
	;; [unrolled: 1-line block ×8, first 2 shown]
	s_waitcnt vmcnt(7)
	ds_read2_b32 v[4:5], v34 offset0:15 offset1:16
	s_waitcnt vmcnt(6)
	ds_read2_b32 v[6:7], v34 offset0:17 offset1:18
	ds_read2_b32 v[8:9], v34 offset0:19 offset1:20
	s_waitcnt vmcnt(1)
	v_mov_b32_e32 v13, v15
	v_mov_b32_e32 v14, v16
	;; [unrolled: 1-line block ×8, first 2 shown]
	s_waitcnt lgkmcnt(3)
	v_pk_fma_f32 v[44:45], v[74:75], v[0:1], v[2:3] op_sel_hi:[0,1,1] neg_lo:[1,0,0] neg_hi:[1,0,0]
	v_mov_b32_e32 v0, v15
	v_mov_b32_e32 v1, v16
	;; [unrolled: 1-line block ×4, first 2 shown]
	s_waitcnt lgkmcnt(2)
	v_pk_fma_f32 v[46:47], v[74:75], v[4:5], v[0:1] op_sel_hi:[0,1,1] neg_lo:[1,0,0] neg_hi:[1,0,0]
	v_mov_b32_e32 v0, v17
	v_mov_b32_e32 v1, v18
	s_waitcnt lgkmcnt(1)
	v_pk_fma_f32 v[48:49], v[74:75], v[6:7], v[0:1] op_sel_hi:[0,1,1] neg_lo:[1,0,0] neg_hi:[1,0,0]
	v_mov_b32_e32 v0, v19
	v_mov_b32_e32 v1, v20
	s_waitcnt lgkmcnt(0)
	v_pk_fma_f32 v[50:51], v[74:75], v[8:9], v[0:1] op_sel_hi:[0,1,1] neg_lo:[1,0,0] neg_hi:[1,0,0]
	ds_read2_b32 v[0:1], v34 offset0:21 offset1:22
	v_mov_b32_e32 v21, v23
	v_mov_b32_e32 v22, v24
	v_mov_b32_e32 v23, v25
	v_mov_b32_e32 v24, v26
	v_mov_b32_e32 v2, v21
	v_mov_b32_e32 v3, v22
	ds_read2_b32 v[4:5], v34 offset0:23 offset1:24
	ds_read_b32 v6, v34 offset:100
	s_waitcnt lgkmcnt(2)
	v_pk_fma_f32 v[52:53], v[74:75], v[0:1], v[2:3] op_sel_hi:[0,1,1] neg_lo:[1,0,0] neg_hi:[1,0,0]
	v_mov_b32_e32 v0, v23
	v_mov_b32_e32 v1, v24
	scratch_load_dwordx4 v[8:11], off, off offset:136 ; 16-byte Folded Reload
	scratch_load_dwordx4 v[12:15], off, off offset:152 ; 16-byte Folded Reload
	;; [unrolled: 1-line block ×8, first 2 shown]
	s_waitcnt lgkmcnt(1)
	v_pk_fma_f32 v[54:55], v[74:75], v[4:5], v[0:1] op_sel_hi:[0,1,1] neg_lo:[1,0,0] neg_hi:[1,0,0]
	v_mov_b32_e32 v0, v62
	v_mov_b32_e32 v1, v63
	;; [unrolled: 1-line block ×7, first 2 shown]
	s_waitcnt vmcnt(7)
	v_mov_b32_e32 v8, v70
	v_mov_b32_e32 v9, v71
	;; [unrolled: 1-line block ×4, first 2 shown]
	s_waitcnt vmcnt(6)
	v_mov_b32_e32 v12, v74
	v_mov_b32_e32 v13, v44
	;; [unrolled: 1-line block ×24, first 2 shown]
	s_waitcnt vmcnt(1) lgkmcnt(0)
	v_fma_f32 v25, -v74, v6, v33
	v_mov_b32_e32 v6, v68
	scratch_store_dwordx4 off, v[0:3], off offset:1160 ; 16-byte Folded Spill
	s_nop 0
	scratch_store_dwordx4 off, v[4:7], off offset:1176 ; 16-byte Folded Spill
	scratch_store_dwordx4 off, v[8:11], off offset:1192 ; 16-byte Folded Spill
	scratch_store_dwordx4 off, v[12:15], off offset:1208 ; 16-byte Folded Spill
	scratch_store_dwordx4 off, v[16:19], off offset:1224 ; 16-byte Folded Spill
	scratch_store_dwordx4 off, v[20:23], off offset:1240 ; 16-byte Folded Spill
	scratch_store_dwordx4 off, v[24:27], off offset:1256 ; 16-byte Folded Spill
	scratch_store_dwordx4 off, v[28:31], off offset:1272 ; 16-byte Folded Spill
	v_mov_b32_e32 v15, v46
	scratch_store_dwordx4 off, v[0:3], off offset:1032 ; 16-byte Folded Spill
	s_nop 0
	scratch_store_dwordx4 off, v[4:7], off offset:1048 ; 16-byte Folded Spill
	scratch_store_dwordx4 off, v[8:11], off offset:1064 ; 16-byte Folded Spill
	scratch_store_dwordx4 off, v[12:15], off offset:1080 ; 16-byte Folded Spill
	scratch_store_dwordx4 off, v[16:19], off offset:1096 ; 16-byte Folded Spill
	scratch_store_dwordx4 off, v[20:23], off offset:1112 ; 16-byte Folded Spill
	scratch_store_dwordx4 off, v[24:27], off offset:1128 ; 16-byte Folded Spill
	scratch_store_dwordx4 off, v[28:31], off offset:1144 ; 16-byte Folded Spill
	;; [unrolled: 10-line block ×6, first 2 shown]
	v_mov_b32_e32 v20, v51
	v_mov_b32_e32 v21, v52
	scratch_store_dwordx4 off, v[0:3], off offset:392 ; 16-byte Folded Spill
	s_nop 0
	scratch_store_dwordx4 off, v[4:7], off offset:408 ; 16-byte Folded Spill
	scratch_store_dwordx4 off, v[8:11], off offset:424 ; 16-byte Folded Spill
	;; [unrolled: 1-line block ×7, first 2 shown]
	v_mov_b32_e32 v22, v53
	v_mov_b32_e32 v23, v54
	scratch_store_dwordx4 off, v[0:3], off offset:264 ; 16-byte Folded Spill
	s_nop 0
	scratch_store_dwordx4 off, v[4:7], off offset:280 ; 16-byte Folded Spill
	scratch_store_dwordx4 off, v[8:11], off offset:296 ; 16-byte Folded Spill
	scratch_store_dwordx4 off, v[12:15], off offset:312 ; 16-byte Folded Spill
	scratch_store_dwordx4 off, v[16:19], off offset:328 ; 16-byte Folded Spill
	scratch_store_dwordx4 off, v[20:23], off offset:344 ; 16-byte Folded Spill
	scratch_store_dwordx4 off, v[24:27], off offset:360 ; 16-byte Folded Spill
	scratch_store_dwordx4 off, v[28:31], off offset:376 ; 16-byte Folded Spill
	scratch_store_dwordx4 off, v[62:65], off offset:1288 ; 16-byte Folded Spill
	s_nop 0
	scratch_store_dwordx4 off, v[66:69], off offset:1304 ; 16-byte Folded Spill
	scratch_store_dwordx4 off, v[70:73], off offset:1320 ; 16-byte Folded Spill
	scratch_store_dwordx4 off, v[74:77], off offset:1336 ; 16-byte Folded Spill
	scratch_store_dwordx4 off, v[78:81], off offset:1352 ; 16-byte Folded Spill
	scratch_store_dwordx4 off, v[82:85], off offset:1368 ; 16-byte Folded Spill
	scratch_store_dwordx4 off, v[86:89], off offset:1384 ; 16-byte Folded Spill
	scratch_store_dwordx4 off, v[90:93], off offset:1400 ; 16-byte Folded Spill
	;; [unrolled: 9-line block ×3, first 2 shown]
	v_mov_b32_e32 v24, v55
	v_mov_b64_e32 v[76:77], v[14:15]
	v_mov_b64_e32 v[86:87], v[24:25]
	v_mov_b64_e32 v[74:75], v[12:13]
	v_mov_b64_e32 v[72:73], v[10:11]
	v_mov_b64_e32 v[70:71], v[8:9]
	v_mov_b64_e32 v[68:69], v[6:7]
	v_mov_b64_e32 v[66:67], v[4:5]
	v_mov_b64_e32 v[64:65], v[2:3]
	v_mov_b64_e32 v[62:63], v[0:1]
	v_mov_b64_e32 v[84:85], v[22:23]
	v_mov_b64_e32 v[82:83], v[20:21]
	v_mov_b64_e32 v[80:81], v[18:19]
	v_mov_b64_e32 v[78:79], v[16:17]
	scratch_store_dwordx4 off, v[62:65], off offset:4 ; 16-byte Folded Spill
	s_nop 0
	scratch_store_dwordx4 off, v[66:69], off offset:20 ; 16-byte Folded Spill
	scratch_store_dwordx4 off, v[70:73], off offset:36 ; 16-byte Folded Spill
	;; [unrolled: 1-line block ×7, first 2 shown]
	v_mov_b32_e32 v59, v25
	s_waitcnt vmcnt(62)
	scratch_store_dwordx4 off, v[34:37], off offset:136 ; 16-byte Folded Spill
	s_nop 0
	scratch_store_dwordx4 off, v[38:41], off offset:152 ; 16-byte Folded Spill
	scratch_store_dwordx4 off, v[42:45], off offset:168 ; 16-byte Folded Spill
	;; [unrolled: 1-line block ×7, first 2 shown]
	v_mov_b32_e32 v179, v44
	v_mov_b32_e32 v80, v45
	;; [unrolled: 1-line block ×10, first 2 shown]
.LBB51_68:
	s_or_b64 exec, exec, s[2:3]
	v_cmp_eq_u32_e32 vcc, 13, v250
	s_waitcnt lgkmcnt(0)
	s_barrier
	s_and_saveexec_b64 s[2:3], vcc
	s_cbranch_execz .LBB51_71
; %bb.69:
	ds_write_b32 v252, v179
	scratch_load_dwordx4 v[0:3], off, off offset:4 ; 16-byte Folded Reload
	scratch_load_dwordx4 v[4:7], off, off offset:20 ; 16-byte Folded Reload
	;; [unrolled: 1-line block ×8, first 2 shown]
	scratch_load_dword v0, off, off offset:132 ; 4-byte Folded Reload
	s_waitcnt vmcnt(0)
	ds_write2_b64 v0, v[14:15], v[16:17] offset0:7 offset1:8
	ds_write2_b64 v0, v[18:19], v[20:21] offset0:9 offset1:10
	;; [unrolled: 1-line block ×3, first 2 shown]
	ds_read_b32 v43, v252
	s_waitcnt lgkmcnt(0)
	v_cmp_neq_f32_e32 vcc, 0, v43
	s_and_b64 exec, exec, vcc
	s_cbranch_execz .LBB51_71
; %bb.70:
	v_div_scale_f32 v44, s[4:5], v43, v43, 1.0
	v_rcp_f32_e32 v45, v44
	v_div_scale_f32 v46, vcc, 1.0, v43, 1.0
	v_fma_f32 v47, -v44, v45, 1.0
	v_fmac_f32_e32 v45, v47, v45
	v_mul_f32_e32 v47, v46, v45
	v_fma_f32 v48, -v44, v47, v46
	v_fmac_f32_e32 v47, v48, v45
	v_fma_f32 v44, -v44, v47, v46
	v_div_fmas_f32 v44, v44, v45, v47
	v_div_fixup_f32 v43, v44, v43, 1.0
	ds_write_b32 v252, v43
.LBB51_71:
	s_or_b64 exec, exec, s[2:3]
	s_waitcnt lgkmcnt(0)
	s_barrier
	ds_read_b32 v207, v252
	v_cmp_lt_u32_e32 vcc, 13, v250
	s_and_saveexec_b64 s[2:3], vcc
	s_cbranch_execz .LBB51_73
; %bb.72:
	scratch_load_dword v0, off, off offset:132 ; 4-byte Folded Reload
	s_waitcnt vmcnt(0)
	ds_read2_b64 v[2:5], v0 offset0:7 offset1:8
	ds_read2_b64 v[6:9], v0 offset0:9 offset1:10
	;; [unrolled: 1-line block ×3, first 2 shown]
	scratch_load_dwordx4 v[14:17], off, off offset:4 ; 16-byte Folded Reload
	scratch_load_dwordx4 v[18:21], off, off offset:20 ; 16-byte Folded Reload
	;; [unrolled: 1-line block ×16, first 2 shown]
	s_waitcnt lgkmcnt(3)
	v_mul_f32_e32 v0, v179, v207
	v_mov_b32_e32 v57, v0
	s_waitcnt vmcnt(1)
	v_mov_b32_e32 v89, v0
	v_mov_b32_e32 v75, v0
	;; [unrolled: 1-line block ×10, first 2 shown]
	v_mov_b64_e32 v[14:15], v[28:29]
	v_mov_b64_e32 v[16:17], v[30:31]
	s_waitcnt lgkmcnt(2)
	v_pk_fma_f32 v[58:59], v[0:1], v[2:3], v[14:15] op_sel_hi:[0,1,1] neg_lo:[1,0,0] neg_hi:[1,0,0]
	v_mov_b64_e32 v[18:19], v[32:33]
	v_mov_b64_e32 v[20:21], v[34:35]
	;; [unrolled: 1-line block ×4, first 2 shown]
	v_pk_fma_f32 v[42:43], v[0:1], v[4:5], v[16:17] op_sel_hi:[0,1,1] neg_lo:[1,0,0] neg_hi:[1,0,0]
	v_mov_b32_e32 v49, v67
	v_mov_b32_e32 v50, v68
	;; [unrolled: 1-line block ×24, first 2 shown]
	scratch_store_dwordx4 off, v[26:29], off offset:1032 ; 16-byte Folded Spill
	s_nop 0
	scratch_store_dwordx4 off, v[30:33], off offset:1048 ; 16-byte Folded Spill
	scratch_store_dwordx4 off, v[34:37], off offset:1064 ; 16-byte Folded Spill
	;; [unrolled: 1-line block ×7, first 2 shown]
	v_mov_b32_e32 v76, v62
	v_mov_b32_e32 v77, v63
	;; [unrolled: 1-line block ×13, first 2 shown]
	s_waitcnt vmcnt(8)
	v_mov_b32_e32 v90, v58
	v_mov_b32_e32 v91, v59
	s_waitcnt lgkmcnt(1)
	v_pk_fma_f32 v[124:125], v[0:1], v[6:7], v[18:19] op_sel_hi:[0,1,1] neg_lo:[1,0,0] neg_hi:[1,0,0]
	v_pk_fma_f32 v[238:239], v[0:1], v[8:9], v[20:21] op_sel_hi:[0,1,1] neg_lo:[1,0,0] neg_hi:[1,0,0]
	s_waitcnt lgkmcnt(0)
	v_pk_fma_f32 v[176:177], v[0:1], v[10:11], v[22:23] op_sel_hi:[0,1,1] neg_lo:[1,0,0] neg_hi:[1,0,0]
	v_pk_fma_f32 v[24:25], v[0:1], v[12:13], v[24:25] op_sel_hi:[0,1,1] neg_lo:[1,0,0] neg_hi:[1,0,0]
	v_mov_b32_e32 v108, v64
	v_mov_b32_e32 v109, v65
	;; [unrolled: 1-line block ×55, first 2 shown]
	scratch_store_dwordx4 off, v[76:79], off offset:776 ; 16-byte Folded Spill
	s_nop 0
	scratch_store_dwordx4 off, v[80:83], off offset:792 ; 16-byte Folded Spill
	scratch_store_dwordx4 off, v[84:87], off offset:808 ; 16-byte Folded Spill
	;; [unrolled: 1-line block ×7, first 2 shown]
	v_mov_b32_e32 v94, v124
	v_mov_b32_e32 v95, v125
	;; [unrolled: 1-line block ×30, first 2 shown]
	scratch_store_dwordx4 off, v[76:79], off offset:520 ; 16-byte Folded Spill
	s_nop 0
	scratch_store_dwordx4 off, v[80:83], off offset:536 ; 16-byte Folded Spill
	scratch_store_dwordx4 off, v[84:87], off offset:552 ; 16-byte Folded Spill
	;; [unrolled: 1-line block ×7, first 2 shown]
	v_mov_b32_e32 v96, v238
	v_mov_b32_e32 v97, v239
	scratch_store_dwordx4 off, v[76:79], off offset:392 ; 16-byte Folded Spill
	s_nop 0
	scratch_store_dwordx4 off, v[80:83], off offset:408 ; 16-byte Folded Spill
	scratch_store_dwordx4 off, v[84:87], off offset:424 ; 16-byte Folded Spill
	;; [unrolled: 1-line block ×7, first 2 shown]
	v_mov_b32_e32 v98, v176
	v_mov_b32_e32 v99, v177
	scratch_store_dwordx4 off, v[76:79], off offset:264 ; 16-byte Folded Spill
	s_nop 0
	scratch_store_dwordx4 off, v[80:83], off offset:280 ; 16-byte Folded Spill
	scratch_store_dwordx4 off, v[84:87], off offset:296 ; 16-byte Folded Spill
	;; [unrolled: 1-line block ×8, first 2 shown]
	s_nop 0
	scratch_store_dwordx4 off, v[66:69], off offset:1304 ; 16-byte Folded Spill
	scratch_store_dwordx4 off, v[70:73], off offset:1320 ; 16-byte Folded Spill
	;; [unrolled: 1-line block ×7, first 2 shown]
	v_mov_b64_e32 v[80:81], v[14:15]
	s_nop 0
	v_mov_b64_e32 v[90:91], v[24:25]
	v_mov_b64_e32 v[78:79], v[12:13]
	;; [unrolled: 1-line block ×12, first 2 shown]
	v_mov_b32_e32 v62, v176
	v_mov_b32_e32 v64, v24
	;; [unrolled: 1-line block ×3, first 2 shown]
	scratch_store_dwordx4 off, v[66:69], off offset:4 ; 16-byte Folded Spill
	s_nop 0
	scratch_store_dwordx4 off, v[70:73], off offset:20 ; 16-byte Folded Spill
	scratch_store_dwordx4 off, v[74:77], off offset:36 ; 16-byte Folded Spill
	;; [unrolled: 1-line block ×8, first 2 shown]
	s_nop 0
	scratch_store_dwordx4 off, v[44:47], off offset:152 ; 16-byte Folded Spill
	scratch_store_dwordx4 off, v[48:51], off offset:168 ; 16-byte Folded Spill
	;; [unrolled: 1-line block ×7, first 2 shown]
	v_mov_b32_e32 v80, v58
	scratch_store_dwordx4 off, v[44:47], off offset:1160 ; 16-byte Folded Spill
	s_nop 0
	scratch_store_dwordx4 off, v[48:51], off offset:1176 ; 16-byte Folded Spill
	scratch_store_dwordx4 off, v[52:55], off offset:1192 ; 16-byte Folded Spill
	;; [unrolled: 1-line block ×7, first 2 shown]
	v_mov_b32_e32 v66, v42
	v_mov_b32_e32 v64, v124
	scratch_store_dwordx4 off, v[26:29], off offset:904 ; 16-byte Folded Spill
	s_nop 0
	scratch_store_dwordx4 off, v[30:33], off offset:920 ; 16-byte Folded Spill
	scratch_store_dwordx4 off, v[34:37], off offset:936 ; 16-byte Folded Spill
	;; [unrolled: 1-line block ×8, first 2 shown]
	s_nop 0
	scratch_store_dwordx4 off, v[110:113], off offset:664 ; 16-byte Folded Spill
	scratch_store_dwordx4 off, v[114:117], off offset:680 ; 16-byte Folded Spill
	;; [unrolled: 1-line block ×7, first 2 shown]
	v_mov_b32_e32 v69, v59
	v_mov_b32_e32 v59, v177
	;; [unrolled: 1-line block ×6, first 2 shown]
.LBB51_73:
	s_or_b64 exec, exec, s[2:3]
	v_cmp_eq_u32_e32 vcc, 14, v250
	s_waitcnt lgkmcnt(0)
	s_barrier
	s_and_saveexec_b64 s[2:3], vcc
	s_cbranch_execz .LBB51_76
; %bb.74:
	ds_write_b32 v252, v80
	scratch_load_dwordx4 v[0:3], off, off offset:4 ; 16-byte Folded Reload
	scratch_load_dwordx4 v[4:7], off, off offset:20 ; 16-byte Folded Reload
	;; [unrolled: 1-line block ×8, first 2 shown]
	scratch_load_dword v0, off, off offset:132 ; 4-byte Folded Reload
	s_waitcnt vmcnt(0)
	ds_write2_b32 v0, v15, v16 offset0:15 offset1:16
	ds_write2_b32 v0, v17, v18 offset0:17 offset1:18
	;; [unrolled: 1-line block ×5, first 2 shown]
	scratch_load_dwordx4 v[26:29], off, off offset:136 ; 16-byte Folded Reload
	scratch_load_dwordx4 v[30:33], off, off offset:152 ; 16-byte Folded Reload
	scratch_load_dwordx4 v[34:37], off, off offset:168 ; 16-byte Folded Reload
	scratch_load_dwordx4 v[38:41], off, off offset:184 ; 16-byte Folded Reload
	scratch_load_dwordx4 v[42:45], off, off offset:200 ; 16-byte Folded Reload
	scratch_load_dwordx4 v[46:49], off, off offset:216 ; 16-byte Folded Reload
	scratch_load_dwordx4 v[50:53], off, off offset:232 ; 16-byte Folded Reload
	scratch_load_dwordx4 v[54:57], off, off offset:248 ; 16-byte Folded Reload
	s_waitcnt vmcnt(1)
	ds_write_b32 v0, v51 offset:100
	ds_read_b32 v43, v252
	s_waitcnt lgkmcnt(0)
	v_cmp_neq_f32_e32 vcc, 0, v43
	s_and_b64 exec, exec, vcc
	s_cbranch_execz .LBB51_76
; %bb.75:
	v_div_scale_f32 v44, s[4:5], v43, v43, 1.0
	v_rcp_f32_e32 v45, v44
	v_div_scale_f32 v46, vcc, 1.0, v43, 1.0
	v_fma_f32 v47, -v44, v45, 1.0
	v_fmac_f32_e32 v45, v47, v45
	v_mul_f32_e32 v47, v46, v45
	v_fma_f32 v48, -v44, v47, v46
	v_fmac_f32_e32 v47, v48, v45
	v_fma_f32 v44, -v44, v47, v46
	v_div_fmas_f32 v44, v44, v45, v47
	v_div_fixup_f32 v43, v44, v43, 1.0
	ds_write_b32 v252, v43
.LBB51_76:
	s_or_b64 exec, exec, s[2:3]
	s_waitcnt lgkmcnt(0)
	s_barrier
	s_waitcnt vmcnt(0)
	ds_read_b32 v120, v252
	v_cmp_lt_u32_e32 vcc, 14, v250
	s_and_saveexec_b64 s[2:3], vcc
	s_cbranch_execz .LBB51_78
; %bb.77:
	scratch_load_dwordx4 v[26:29], off, off offset:1288 ; 16-byte Folded Reload
	scratch_load_dwordx4 v[30:33], off, off offset:1304 ; 16-byte Folded Reload
	;; [unrolled: 1-line block ×8, first 2 shown]
	s_waitcnt lgkmcnt(0)
	v_mul_f32_e32 v76, v80, v120
	v_mov_b32_e32 v232, v76
	v_mov_b32_e32 v168, v76
	s_waitcnt vmcnt(5)
	v_mov_b64_e32 v[72:73], v[36:37]
	v_mov_b64_e32 v[70:71], v[34:35]
	;; [unrolled: 1-line block ×6, first 2 shown]
	scratch_load_dword v34, off, off offset:132 ; 4-byte Folded Reload
	s_waitcnt vmcnt(5)
	v_mov_b64_e32 v[74:75], v[38:39]
	v_mov_b32_e32 v218, v62
	v_mov_b32_e32 v219, v63
	;; [unrolled: 1-line block ×28, first 2 shown]
	s_waitcnt vmcnt(0)
	ds_read2_b32 v[0:1], v34 offset0:15 offset1:16
	scratch_load_dwordx4 v[2:5], off, off offset:4 ; 16-byte Folded Reload
	scratch_load_dwordx4 v[6:9], off, off offset:20 ; 16-byte Folded Reload
	;; [unrolled: 1-line block ×8, first 2 shown]
	s_waitcnt vmcnt(7)
	ds_read2_b32 v[4:5], v34 offset0:17 offset1:18
	s_waitcnt vmcnt(6)
	ds_read2_b32 v[6:7], v34 offset0:19 offset1:20
	ds_read2_b32 v[8:9], v34 offset0:21 offset1:22
	s_waitcnt vmcnt(1)
	v_mov_b32_e32 v15, v17
	v_mov_b32_e32 v16, v18
	;; [unrolled: 1-line block ×8, first 2 shown]
	s_waitcnt lgkmcnt(3)
	v_pk_fma_f32 v[44:45], v[76:77], v[0:1], v[2:3] op_sel_hi:[0,1,1] neg_lo:[1,0,0] neg_hi:[1,0,0]
	v_mov_b32_e32 v0, v17
	v_mov_b32_e32 v1, v18
	;; [unrolled: 1-line block ×4, first 2 shown]
	s_waitcnt lgkmcnt(2)
	v_pk_fma_f32 v[46:47], v[76:77], v[4:5], v[0:1] op_sel_hi:[0,1,1] neg_lo:[1,0,0] neg_hi:[1,0,0]
	v_mov_b32_e32 v0, v19
	v_mov_b32_e32 v1, v20
	;; [unrolled: 1-line block ×4, first 2 shown]
	s_waitcnt lgkmcnt(1)
	v_pk_fma_f32 v[48:49], v[76:77], v[6:7], v[0:1] op_sel_hi:[0,1,1] neg_lo:[1,0,0] neg_hi:[1,0,0]
	v_mov_b32_e32 v0, v21
	v_mov_b32_e32 v1, v22
	ds_read2_b32 v[2:3], v34 offset0:23 offset1:24
	ds_read_b32 v4, v34 offset:100
	s_waitcnt lgkmcnt(2)
	v_pk_fma_f32 v[50:51], v[76:77], v[8:9], v[0:1] op_sel_hi:[0,1,1] neg_lo:[1,0,0] neg_hi:[1,0,0]
	v_mov_b32_e32 v0, v23
	v_mov_b32_e32 v1, v24
	scratch_load_dwordx4 v[6:9], off, off offset:136 ; 16-byte Folded Reload
	scratch_load_dwordx4 v[10:13], off, off offset:152 ; 16-byte Folded Reload
	;; [unrolled: 1-line block ×8, first 2 shown]
	s_waitcnt lgkmcnt(1)
	v_pk_fma_f32 v[52:53], v[76:77], v[2:3], v[0:1] op_sel_hi:[0,1,1] neg_lo:[1,0,0] neg_hi:[1,0,0]
	v_mov_b32_e32 v0, v62
	v_mov_b32_e32 v1, v63
	;; [unrolled: 1-line block ×5, first 2 shown]
	s_waitcnt vmcnt(7)
	v_mov_b32_e32 v6, v68
	v_mov_b32_e32 v7, v69
	v_mov_b32_e32 v8, v70
	v_mov_b32_e32 v9, v71
	s_waitcnt vmcnt(6)
	v_mov_b32_e32 v10, v72
	v_mov_b32_e32 v11, v73
	v_mov_b32_e32 v12, v74
	v_mov_b32_e32 v13, v75
	;; [unrolled: 5-line block ×3, first 2 shown]
	v_mov_b32_e32 v54, v51
	v_mov_b32_e32 v56, v53
	;; [unrolled: 1-line block ×16, first 2 shown]
	s_waitcnt vmcnt(1) lgkmcnt(0)
	v_fma_f32 v25, -v76, v4, v31
	v_mov_b32_e32 v4, v66
	scratch_store_dwordx4 off, v[0:3], off offset:904 ; 16-byte Folded Spill
	s_nop 0
	scratch_store_dwordx4 off, v[4:7], off offset:920 ; 16-byte Folded Spill
	scratch_store_dwordx4 off, v[8:11], off offset:936 ; 16-byte Folded Spill
	scratch_store_dwordx4 off, v[12:15], off offset:952 ; 16-byte Folded Spill
	scratch_store_dwordx4 off, v[16:19], off offset:968 ; 16-byte Folded Spill
	scratch_store_dwordx4 off, v[20:23], off offset:984 ; 16-byte Folded Spill
	scratch_store_dwordx4 off, v[24:27], off offset:1000 ; 16-byte Folded Spill
	scratch_store_dwordx4 off, v[28:31], off offset:1016 ; 16-byte Folded Spill
	v_mov_b32_e32 v17, v46
	scratch_store_dwordx4 off, v[0:3], off offset:776 ; 16-byte Folded Spill
	s_nop 0
	scratch_store_dwordx4 off, v[4:7], off offset:792 ; 16-byte Folded Spill
	scratch_store_dwordx4 off, v[8:11], off offset:808 ; 16-byte Folded Spill
	scratch_store_dwordx4 off, v[12:15], off offset:824 ; 16-byte Folded Spill
	scratch_store_dwordx4 off, v[16:19], off offset:840 ; 16-byte Folded Spill
	scratch_store_dwordx4 off, v[20:23], off offset:856 ; 16-byte Folded Spill
	scratch_store_dwordx4 off, v[24:27], off offset:872 ; 16-byte Folded Spill
	scratch_store_dwordx4 off, v[28:31], off offset:888 ; 16-byte Folded Spill
	;; [unrolled: 10-line block ×4, first 2 shown]
	v_mov_b32_e32 v20, v49
	v_mov_b32_e32 v21, v50
	scratch_store_dwordx4 off, v[0:3], off offset:392 ; 16-byte Folded Spill
	s_nop 0
	scratch_store_dwordx4 off, v[4:7], off offset:408 ; 16-byte Folded Spill
	scratch_store_dwordx4 off, v[8:11], off offset:424 ; 16-byte Folded Spill
	;; [unrolled: 1-line block ×7, first 2 shown]
	v_mov_b32_e32 v22, v51
	v_mov_b32_e32 v23, v52
	scratch_store_dwordx4 off, v[0:3], off offset:264 ; 16-byte Folded Spill
	s_nop 0
	scratch_store_dwordx4 off, v[4:7], off offset:280 ; 16-byte Folded Spill
	scratch_store_dwordx4 off, v[8:11], off offset:296 ; 16-byte Folded Spill
	scratch_store_dwordx4 off, v[12:15], off offset:312 ; 16-byte Folded Spill
	scratch_store_dwordx4 off, v[16:19], off offset:328 ; 16-byte Folded Spill
	scratch_store_dwordx4 off, v[20:23], off offset:344 ; 16-byte Folded Spill
	scratch_store_dwordx4 off, v[24:27], off offset:360 ; 16-byte Folded Spill
	scratch_store_dwordx4 off, v[28:31], off offset:376 ; 16-byte Folded Spill
	scratch_store_dwordx4 off, v[62:65], off offset:1032 ; 16-byte Folded Spill
	s_nop 0
	scratch_store_dwordx4 off, v[66:69], off offset:1048 ; 16-byte Folded Spill
	scratch_store_dwordx4 off, v[70:73], off offset:1064 ; 16-byte Folded Spill
	scratch_store_dwordx4 off, v[74:77], off offset:1080 ; 16-byte Folded Spill
	scratch_store_dwordx4 off, v[78:81], off offset:1096 ; 16-byte Folded Spill
	scratch_store_dwordx4 off, v[82:85], off offset:1112 ; 16-byte Folded Spill
	scratch_store_dwordx4 off, v[86:89], off offset:1128 ; 16-byte Folded Spill
	scratch_store_dwordx4 off, v[90:93], off offset:1144 ; 16-byte Folded Spill
	;; [unrolled: 9-line block ×3, first 2 shown]
	v_mov_b32_e32 v24, v53
	v_mov_b64_e32 v[76:77], v[14:15]
	v_mov_b64_e32 v[86:87], v[24:25]
	;; [unrolled: 1-line block ×13, first 2 shown]
	scratch_store_dwordx4 off, v[62:65], off offset:4 ; 16-byte Folded Spill
	s_nop 0
	scratch_store_dwordx4 off, v[66:69], off offset:20 ; 16-byte Folded Spill
	scratch_store_dwordx4 off, v[70:73], off offset:36 ; 16-byte Folded Spill
	;; [unrolled: 1-line block ×7, first 2 shown]
	v_mov_b32_e32 v57, v25
	s_waitcnt vmcnt(62)
	scratch_store_dwordx4 off, v[32:35], off offset:136 ; 16-byte Folded Spill
	s_nop 0
	scratch_store_dwordx4 off, v[36:39], off offset:152 ; 16-byte Folded Spill
	scratch_store_dwordx4 off, v[40:43], off offset:168 ; 16-byte Folded Spill
	;; [unrolled: 1-line block ×7, first 2 shown]
	v_mov_b32_e32 v69, v44
	v_mov_b32_e32 v66, v45
	;; [unrolled: 1-line block ×8, first 2 shown]
.LBB51_78:
	s_or_b64 exec, exec, s[2:3]
	v_cmp_eq_u32_e32 vcc, 15, v250
	s_waitcnt lgkmcnt(0)
	s_barrier
	s_and_saveexec_b64 s[2:3], vcc
	s_cbranch_execz .LBB51_81
; %bb.79:
	ds_write_b32 v252, v69
	scratch_load_dwordx4 v[0:3], off, off offset:4 ; 16-byte Folded Reload
	scratch_load_dwordx4 v[4:7], off, off offset:20 ; 16-byte Folded Reload
	;; [unrolled: 1-line block ×8, first 2 shown]
	scratch_load_dword v0, off, off offset:132 ; 4-byte Folded Reload
	s_waitcnt vmcnt(0)
	ds_write2_b64 v0, v[16:17], v[18:19] offset0:8 offset1:9
	ds_write2_b64 v0, v[20:21], v[22:23] offset0:10 offset1:11
	ds_write_b64 v0, v[24:25] offset:96
	ds_read_b32 v43, v252
	s_waitcnt lgkmcnt(0)
	v_cmp_neq_f32_e32 vcc, 0, v43
	s_and_b64 exec, exec, vcc
	s_cbranch_execz .LBB51_81
; %bb.80:
	v_div_scale_f32 v44, s[4:5], v43, v43, 1.0
	v_rcp_f32_e32 v45, v44
	v_div_scale_f32 v46, vcc, 1.0, v43, 1.0
	v_fma_f32 v47, -v44, v45, 1.0
	v_fmac_f32_e32 v45, v47, v45
	v_mul_f32_e32 v47, v46, v45
	v_fma_f32 v48, -v44, v47, v46
	v_fmac_f32_e32 v47, v48, v45
	v_fma_f32 v44, -v44, v47, v46
	v_div_fmas_f32 v44, v44, v45, v47
	v_div_fixup_f32 v43, v44, v43, 1.0
	ds_write_b32 v252, v43
.LBB51_81:
	s_or_b64 exec, exec, s[2:3]
	s_waitcnt lgkmcnt(0)
	s_barrier
	ds_read_b32 v121, v252
	v_cmp_lt_u32_e32 vcc, 15, v250
	s_and_saveexec_b64 s[2:3], vcc
	s_cbranch_execz .LBB51_83
; %bb.82:
	scratch_load_dword v8, off, off offset:132 ; 4-byte Folded Reload
	s_waitcnt lgkmcnt(0)
	v_mul_f32_e32 v10, v69, v121
	v_mov_b32_e32 v44, v60
	v_mov_b32_e32 v45, v61
	;; [unrolled: 1-line block ×5, first 2 shown]
	s_waitcnt vmcnt(0)
	ds_read2_b64 v[0:3], v8 offset0:8 offset1:9
	ds_read2_b64 v[4:7], v8 offset0:10 offset1:11
	ds_read_b64 v[8:9], v8 offset:96
	scratch_load_dwordx4 v[12:15], off, off offset:4 ; 16-byte Folded Reload
	scratch_load_dwordx4 v[16:19], off, off offset:20 ; 16-byte Folded Reload
	;; [unrolled: 1-line block ×16, first 2 shown]
	s_waitcnt vmcnt(0)
	v_mov_b32_e32 v89, v10
	v_mov_b32_e32 v73, v10
	;; [unrolled: 1-line block ×9, first 2 shown]
	v_mov_b64_e32 v[16:17], v[28:29]
	s_waitcnt lgkmcnt(2)
	v_pk_fma_f32 v[42:43], v[10:11], v[0:1], v[16:17] op_sel_hi:[0,1,1] neg_lo:[1,0,0] neg_hi:[1,0,0]
	v_mov_b32_e32 v79, v63
	v_mov_b32_e32 v80, v64
	;; [unrolled: 1-line block ×12, first 2 shown]
	scratch_store_dwordx4 off, v[74:77], off offset:776 ; 16-byte Folded Spill
	s_nop 0
	scratch_store_dwordx4 off, v[78:81], off offset:792 ; 16-byte Folded Spill
	scratch_store_dwordx4 off, v[82:85], off offset:808 ; 16-byte Folded Spill
	;; [unrolled: 1-line block ×7, first 2 shown]
	v_mov_b64_e32 v[18:19], v[30:31]
	v_pk_fma_f32 v[116:117], v[10:11], v[2:3], v[18:19] op_sel_hi:[0,1,1] neg_lo:[1,0,0] neg_hi:[1,0,0]
	v_mov_b32_e32 v98, v58
	v_mov_b32_e32 v99, v59
	;; [unrolled: 1-line block ×10, first 2 shown]
	v_mov_b64_e32 v[20:21], v[32:33]
	s_waitcnt lgkmcnt(1)
	v_pk_fma_f32 v[238:239], v[10:11], v[4:5], v[20:21] op_sel_hi:[0,1,1] neg_lo:[1,0,0] neg_hi:[1,0,0]
	v_mov_b64_e32 v[22:23], v[34:35]
	v_pk_fma_f32 v[176:177], v[10:11], v[6:7], v[22:23] op_sel_hi:[0,1,1] neg_lo:[1,0,0] neg_hi:[1,0,0]
	v_mov_b64_e32 v[24:25], v[36:37]
	s_waitcnt lgkmcnt(0)
	v_pk_fma_f32 v[24:25], v[10:11], v[8:9], v[24:25] op_sel_hi:[0,1,1] neg_lo:[1,0,0] neg_hi:[1,0,0]
	v_mov_b32_e32 v26, v58
	v_mov_b32_e32 v27, v59
	;; [unrolled: 1-line block ×42, first 2 shown]
	scratch_store_dwordx4 off, v[74:77], off offset:520 ; 16-byte Folded Spill
	s_nop 0
	scratch_store_dwordx4 off, v[78:81], off offset:536 ; 16-byte Folded Spill
	scratch_store_dwordx4 off, v[82:85], off offset:552 ; 16-byte Folded Spill
	;; [unrolled: 1-line block ×7, first 2 shown]
	v_mov_b32_e32 v94, v238
	v_mov_b32_e32 v95, v239
	;; [unrolled: 1-line block ×51, first 2 shown]
	scratch_store_dwordx4 off, v[74:77], off offset:392 ; 16-byte Folded Spill
	s_nop 0
	scratch_store_dwordx4 off, v[78:81], off offset:408 ; 16-byte Folded Spill
	scratch_store_dwordx4 off, v[82:85], off offset:424 ; 16-byte Folded Spill
	;; [unrolled: 1-line block ×7, first 2 shown]
	v_mov_b32_e32 v96, v176
	v_mov_b32_e32 v97, v177
	scratch_store_dwordx4 off, v[74:77], off offset:264 ; 16-byte Folded Spill
	s_nop 0
	scratch_store_dwordx4 off, v[78:81], off offset:280 ; 16-byte Folded Spill
	scratch_store_dwordx4 off, v[82:85], off offset:296 ; 16-byte Folded Spill
	;; [unrolled: 1-line block ×8, first 2 shown]
	s_nop 0
	scratch_store_dwordx4 off, v[62:65], off offset:1048 ; 16-byte Folded Spill
	scratch_store_dwordx4 off, v[66:69], off offset:1064 ; 16-byte Folded Spill
	;; [unrolled: 1-line block ×7, first 2 shown]
	v_mov_b64_e32 v[76:77], v[14:15]
	s_nop 0
	v_mov_b64_e32 v[86:87], v[24:25]
	v_mov_b32_e32 v60, v44
	v_mov_b32_e32 v44, v176
	v_mov_b64_e32 v[74:75], v[12:13]
	v_mov_b64_e32 v[72:73], v[10:11]
	;; [unrolled: 1-line block ×11, first 2 shown]
	v_mov_b32_e32 v61, v45
	v_mov_b32_e32 v59, v177
	scratch_store_dwordx4 off, v[62:65], off offset:4 ; 16-byte Folded Spill
	s_nop 0
	scratch_store_dwordx4 off, v[66:69], off offset:20 ; 16-byte Folded Spill
	scratch_store_dwordx4 off, v[70:73], off offset:36 ; 16-byte Folded Spill
	;; [unrolled: 1-line block ×8, first 2 shown]
	s_nop 0
	scratch_store_dwordx4 off, v[26:29], off offset:152 ; 16-byte Folded Spill
	scratch_store_dwordx4 off, v[30:33], off offset:168 ; 16-byte Folded Spill
	;; [unrolled: 1-line block ×7, first 2 shown]
	v_mov_b32_e32 v64, v116
	v_mov_b32_e32 v66, v42
	scratch_store_dwordx4 off, v[26:29], off offset:904 ; 16-byte Folded Spill
	s_nop 0
	scratch_store_dwordx4 off, v[30:33], off offset:920 ; 16-byte Folded Spill
	scratch_store_dwordx4 off, v[34:37], off offset:936 ; 16-byte Folded Spill
	;; [unrolled: 1-line block ×8, first 2 shown]
	s_nop 0
	scratch_store_dwordx4 off, v[102:105], off offset:664 ; 16-byte Folded Spill
	scratch_store_dwordx4 off, v[106:109], off offset:680 ; 16-byte Folded Spill
	;; [unrolled: 1-line block ×7, first 2 shown]
	v_mov_b32_e32 v67, v43
	v_mov_b32_e32 v65, v117
.LBB51_83:
	s_or_b64 exec, exec, s[2:3]
	v_cmp_eq_u32_e32 vcc, 16, v250
	s_waitcnt lgkmcnt(0)
	s_barrier
	s_and_saveexec_b64 s[2:3], vcc
	s_cbranch_execz .LBB51_86
; %bb.84:
	ds_write_b32 v252, v66
	scratch_load_dwordx4 v[0:3], off, off offset:4 ; 16-byte Folded Reload
	scratch_load_dwordx4 v[4:7], off, off offset:20 ; 16-byte Folded Reload
	;; [unrolled: 1-line block ×8, first 2 shown]
	scratch_load_dword v0, off, off offset:132 ; 4-byte Folded Reload
	s_waitcnt vmcnt(0)
	ds_write2_b32 v0, v17, v18 offset0:17 offset1:18
	ds_write2_b32 v0, v19, v20 offset0:19 offset1:20
	;; [unrolled: 1-line block ×4, first 2 shown]
	scratch_load_dwordx4 v[26:29], off, off offset:136 ; 16-byte Folded Reload
	scratch_load_dwordx4 v[30:33], off, off offset:152 ; 16-byte Folded Reload
	;; [unrolled: 1-line block ×8, first 2 shown]
	s_waitcnt vmcnt(1)
	ds_write_b32 v0, v51 offset:100
	ds_read_b32 v43, v252
	s_waitcnt lgkmcnt(0)
	v_cmp_neq_f32_e32 vcc, 0, v43
	s_and_b64 exec, exec, vcc
	s_cbranch_execz .LBB51_86
; %bb.85:
	v_div_scale_f32 v44, s[4:5], v43, v43, 1.0
	v_rcp_f32_e32 v45, v44
	v_div_scale_f32 v46, vcc, 1.0, v43, 1.0
	v_fma_f32 v47, -v44, v45, 1.0
	v_fmac_f32_e32 v45, v47, v45
	v_mul_f32_e32 v47, v46, v45
	v_fma_f32 v48, -v44, v47, v46
	v_fmac_f32_e32 v47, v48, v45
	v_fma_f32 v44, -v44, v47, v46
	v_div_fmas_f32 v44, v44, v45, v47
	v_div_fixup_f32 v43, v44, v43, 1.0
	ds_write_b32 v252, v43
.LBB51_86:
	s_or_b64 exec, exec, s[2:3]
	s_waitcnt lgkmcnt(0)
	s_barrier
	ds_read_b32 v251, v252
	v_cmp_lt_u32_e32 vcc, 16, v250
	s_and_saveexec_b64 s[2:3], vcc
	s_cbranch_execz .LBB51_88
; %bb.87:
	scratch_load_dwordx4 v[26:29], off, off offset:1032 ; 16-byte Folded Reload
	scratch_load_dwordx4 v[30:33], off, off offset:1048 ; 16-byte Folded Reload
	;; [unrolled: 1-line block ×8, first 2 shown]
	scratch_load_dword v10, off, off offset:132 ; 4-byte Folded Reload
	s_waitcnt vmcnt(4) lgkmcnt(0)
	v_mul_f32_e32 v42, v66, v251
	v_mov_b32_e32 v16, v42
	v_mov_b32_e32 v234, v42
	;; [unrolled: 1-line block ×9, first 2 shown]
	s_waitcnt vmcnt(0)
	ds_read2_b32 v[0:1], v10 offset0:17 offset1:18
	scratch_load_dwordx4 v[62:65], off, off offset:4 ; 16-byte Folded Reload
	scratch_load_dwordx4 v[66:69], off, off offset:20 ; 16-byte Folded Reload
	;; [unrolled: 1-line block ×8, first 2 shown]
	ds_read2_b32 v[4:5], v10 offset0:19 offset1:20
	ds_read2_b32 v[6:7], v10 offset0:21 offset1:22
	;; [unrolled: 1-line block ×3, first 2 shown]
	v_mov_b32_e32 v226, v34
	v_mov_b32_e32 v227, v35
	;; [unrolled: 1-line block ×8, first 2 shown]
	s_waitcnt vmcnt(1)
	v_mov_b32_e32 v17, v79
	v_mov_b32_e32 v18, v80
	;; [unrolled: 1-line block ×10, first 2 shown]
	s_waitcnt lgkmcnt(3)
	v_pk_fma_f32 v[82:83], v[42:43], v[0:1], v[2:3] op_sel_hi:[0,1,1] neg_lo:[1,0,0] neg_hi:[1,0,0]
	ds_read_b32 v2, v10 offset:100
	scratch_load_dwordx4 v[154:157], off, off offset:136 ; 16-byte Folded Reload
	scratch_load_dwordx4 v[158:161], off, off offset:152 ; 16-byte Folded Reload
	;; [unrolled: 1-line block ×8, first 2 shown]
	v_mov_b32_e32 v0, v19
	v_mov_b32_e32 v1, v20
	s_waitcnt lgkmcnt(3)
	v_pk_fma_f32 v[84:85], v[42:43], v[4:5], v[0:1] op_sel_hi:[0,1,1] neg_lo:[1,0,0] neg_hi:[1,0,0]
	v_mov_b32_e32 v0, v21
	v_mov_b32_e32 v1, v22
	s_waitcnt lgkmcnt(2)
	v_pk_fma_f32 v[86:87], v[42:43], v[6:7], v[0:1] op_sel_hi:[0,1,1] neg_lo:[1,0,0] neg_hi:[1,0,0]
	;; [unrolled: 4-line block ×3, first 2 shown]
	v_mov_b32_e32 v0, v26
	v_mov_b32_e32 v1, v27
	;; [unrolled: 1-line block ×13, first 2 shown]
	s_waitcnt vmcnt(6)
	v_mov_b32_e32 v160, v32
	v_mov_b32_e32 v161, v33
	s_waitcnt vmcnt(5)
	v_mov_b32_e32 v162, v34
	v_mov_b32_e32 v163, v35
	v_mov_b32_e32 v164, v36
	v_mov_b32_e32 v165, v37
	s_waitcnt vmcnt(4)
	v_mov_b32_e32 v166, v38
	v_mov_b32_e32 v167, v39
	;; [unrolled: 5-line block ×3, first 2 shown]
	v_mov_b32_e32 v236, v83
	v_mov_b32_e32 v237, v84
	;; [unrolled: 1-line block ×6, first 2 shown]
	s_waitcnt vmcnt(2)
	v_mov_b32_e32 v174, v85
	v_mov_b32_e32 v175, v86
	v_mov_b32_e32 v176, v87
	v_mov_b32_e32 v67, v82
	v_mov_b32_e32 v64, v83
	v_mov_b32_e32 v65, v84
	v_mov_b32_e32 v134, v85
	v_mov_b32_e32 v135, v86
	v_mov_b32_e32 v59, v88
	s_waitcnt vmcnt(1) lgkmcnt(0)
	v_fma_f32 v25, -v42, v2, v179
	v_mov_b32_e32 v2, v28
	scratch_store_dwordx4 off, v[0:3], off offset:648 ; 16-byte Folded Spill
	s_nop 0
	scratch_store_dwordx4 off, v[4:7], off offset:664 ; 16-byte Folded Spill
	scratch_store_dwordx4 off, v[8:11], off offset:680 ; 16-byte Folded Spill
	;; [unrolled: 1-line block ×7, first 2 shown]
	v_mov_b32_e32 v17, v82
	v_mov_b32_e32 v19, v84
	scratch_store_dwordx4 off, v[0:3], off offset:520 ; 16-byte Folded Spill
	s_nop 0
	scratch_store_dwordx4 off, v[4:7], off offset:536 ; 16-byte Folded Spill
	scratch_store_dwordx4 off, v[8:11], off offset:552 ; 16-byte Folded Spill
	;; [unrolled: 1-line block ×7, first 2 shown]
	v_mov_b32_e32 v17, v82
	v_mov_b32_e32 v18, v83
	;; [unrolled: 1-line block ×10, first 2 shown]
	scratch_store_dwordx4 off, v[0:3], off offset:392 ; 16-byte Folded Spill
	s_nop 0
	scratch_store_dwordx4 off, v[4:7], off offset:408 ; 16-byte Folded Spill
	scratch_store_dwordx4 off, v[8:11], off offset:424 ; 16-byte Folded Spill
	;; [unrolled: 1-line block ×7, first 2 shown]
	v_mov_b32_e32 v17, v82
	v_mov_b32_e32 v18, v83
	;; [unrolled: 1-line block ×12, first 2 shown]
	scratch_store_dwordx4 off, v[0:3], off offset:264 ; 16-byte Folded Spill
	s_nop 0
	scratch_store_dwordx4 off, v[4:7], off offset:280 ; 16-byte Folded Spill
	scratch_store_dwordx4 off, v[8:11], off offset:296 ; 16-byte Folded Spill
	scratch_store_dwordx4 off, v[12:15], off offset:312 ; 16-byte Folded Spill
	scratch_store_dwordx4 off, v[16:19], off offset:328 ; 16-byte Folded Spill
	scratch_store_dwordx4 off, v[20:23], off offset:344 ; 16-byte Folded Spill
	scratch_store_dwordx4 off, v[24:27], off offset:360 ; 16-byte Folded Spill
	scratch_store_dwordx4 off, v[28:31], off offset:376 ; 16-byte Folded Spill
	v_mov_b32_e32 v17, v82
	v_mov_b32_e32 v24, v89
	;; [unrolled: 1-line block ×7, first 2 shown]
	scratch_store_dwordx4 off, v[26:29], off offset:776 ; 16-byte Folded Spill
	s_nop 0
	scratch_store_dwordx4 off, v[30:33], off offset:792 ; 16-byte Folded Spill
	scratch_store_dwordx4 off, v[34:37], off offset:808 ; 16-byte Folded Spill
	scratch_store_dwordx4 off, v[38:41], off offset:824 ; 16-byte Folded Spill
	scratch_store_dwordx4 off, v[42:45], off offset:840 ; 16-byte Folded Spill
	scratch_store_dwordx4 off, v[46:49], off offset:856 ; 16-byte Folded Spill
	scratch_store_dwordx4 off, v[50:53], off offset:872 ; 16-byte Folded Spill
	scratch_store_dwordx4 off, v[54:57], off offset:888 ; 16-byte Folded Spill
	scratch_store_dwordx4 off, v[26:29], off offset:904 ; 16-byte Folded Spill
	s_nop 0
	scratch_store_dwordx4 off, v[30:33], off offset:920 ; 16-byte Folded Spill
	scratch_store_dwordx4 off, v[34:37], off offset:936 ; 16-byte Folded Spill
	;; [unrolled: 1-line block ×7, first 2 shown]
	v_mov_b64_e32 v[104:105], v[14:15]
	v_mov_b64_e32 v[114:115], v[24:25]
	v_mov_b32_e32 v44, v87
	v_mov_b32_e32 v46, v89
	v_mov_b64_e32 v[102:103], v[12:13]
	v_mov_b64_e32 v[100:101], v[10:11]
	;; [unrolled: 1-line block ×11, first 2 shown]
	v_mov_b32_e32 v47, v25
	scratch_store_dwordx4 off, v[90:93], off offset:4 ; 16-byte Folded Spill
	s_nop 0
	scratch_store_dwordx4 off, v[94:97], off offset:20 ; 16-byte Folded Spill
	scratch_store_dwordx4 off, v[98:101], off offset:36 ; 16-byte Folded Spill
	;; [unrolled: 1-line block ×8, first 2 shown]
	s_nop 0
	scratch_store_dwordx4 off, v[26:29], off offset:152 ; 16-byte Folded Spill
	scratch_store_dwordx4 off, v[30:33], off offset:168 ; 16-byte Folded Spill
	;; [unrolled: 1-line block ×7, first 2 shown]
.LBB51_88:
	s_or_b64 exec, exec, s[2:3]
	v_cmp_eq_u32_e32 vcc, 17, v250
	s_waitcnt lgkmcnt(0)
	s_barrier
	s_and_saveexec_b64 s[2:3], vcc
	s_cbranch_execz .LBB51_91
; %bb.89:
	ds_write_b32 v252, v67
	scratch_load_dwordx4 v[0:3], off, off offset:4 ; 16-byte Folded Reload
	scratch_load_dwordx4 v[4:7], off, off offset:20 ; 16-byte Folded Reload
	;; [unrolled: 1-line block ×8, first 2 shown]
	scratch_load_dword v0, off, off offset:132 ; 4-byte Folded Reload
	s_waitcnt vmcnt(0)
	ds_write2_b64 v0, v[18:19], v[20:21] offset0:9 offset1:10
	ds_write2_b64 v0, v[22:23], v[24:25] offset0:11 offset1:12
	ds_read_b32 v43, v252
	s_waitcnt lgkmcnt(0)
	v_cmp_neq_f32_e32 vcc, 0, v43
	s_and_b64 exec, exec, vcc
	s_cbranch_execz .LBB51_91
; %bb.90:
	v_div_scale_f32 v44, s[4:5], v43, v43, 1.0
	v_rcp_f32_e32 v45, v44
	v_div_scale_f32 v46, vcc, 1.0, v43, 1.0
	v_fma_f32 v47, -v44, v45, 1.0
	v_fmac_f32_e32 v45, v47, v45
	v_mul_f32_e32 v47, v46, v45
	v_fma_f32 v48, -v44, v47, v46
	v_fmac_f32_e32 v47, v48, v45
	v_fma_f32 v44, -v44, v47, v46
	v_div_fmas_f32 v44, v44, v45, v47
	v_div_fixup_f32 v43, v44, v43, 1.0
	ds_write_b32 v252, v43
.LBB51_91:
	s_or_b64 exec, exec, s[2:3]
	s_waitcnt lgkmcnt(0)
	s_barrier
	ds_read_b32 v44, v252
	v_cmp_lt_u32_e32 vcc, 17, v250
	s_and_saveexec_b64 s[2:3], vcc
	s_cbranch_execz .LBB51_93
; %bb.92:
	scratch_load_dword v4, off, off offset:132 ; 4-byte Folded Reload
	s_waitcnt lgkmcnt(0)
	v_mul_f32_e32 v8, v67, v44
	v_mov_b32_e32 v43, v8
	v_mov_b32_e32 v103, v8
	;; [unrolled: 1-line block ×4, first 2 shown]
	s_waitcnt vmcnt(0)
	ds_read2_b64 v[0:3], v4 offset0:9 offset1:10
	ds_read2_b64 v[4:7], v4 offset0:11 offset1:12
	scratch_load_dwordx4 v[10:13], off, off offset:4 ; 16-byte Folded Reload
	scratch_load_dwordx4 v[14:17], off, off offset:20 ; 16-byte Folded Reload
	;; [unrolled: 1-line block ×16, first 2 shown]
	s_waitcnt vmcnt(3)
	v_mov_b32_e32 v79, v8
	v_mov_b32_e32 v17, v8
	;; [unrolled: 1-line block ×3, first 2 shown]
	v_mov_b64_e32 v[18:19], v[28:29]
	v_mov_b64_e32 v[20:21], v[30:31]
	v_mov_b64_e32 v[22:23], v[32:33]
	v_mov_b64_e32 v[24:25], v[34:35]
	v_mov_b64_e32 v[26:27], v[62:63]
	s_waitcnt lgkmcnt(1)
	v_pk_fma_f32 v[104:105], v[8:9], v[0:1], v[18:19] op_sel_hi:[0,1,1] neg_lo:[1,0,0] neg_hi:[1,0,0]
	v_mov_b64_e32 v[28:29], v[64:65]
	v_mov_b64_e32 v[30:31], v[66:67]
	;; [unrolled: 1-line block ×3, first 2 shown]
	s_waitcnt vmcnt(1)
	v_mov_b32_e32 v86, v26
	v_mov_b32_e32 v87, v27
	;; [unrolled: 1-line block ×4, first 2 shown]
	s_waitcnt vmcnt(0)
	v_mov_b32_e32 v90, v30
	v_mov_b32_e32 v91, v31
	;; [unrolled: 1-line block ×6, first 2 shown]
	v_mov_b64_e32 v[34:35], v[70:71]
	v_mov_b64_e32 v[36:37], v[72:73]
	;; [unrolled: 1-line block ×4, first 2 shown]
	v_mov_b32_e32 v102, v78
	scratch_store_dwordx4 off, v[62:65], off offset:520 ; 16-byte Folded Spill
	s_nop 0
	scratch_store_dwordx4 off, v[66:69], off offset:536 ; 16-byte Folded Spill
	scratch_store_dwordx4 off, v[70:73], off offset:552 ; 16-byte Folded Spill
	;; [unrolled: 1-line block ×7, first 2 shown]
	v_pk_fma_f32 v[238:239], v[8:9], v[2:3], v[20:21] op_sel_hi:[0,1,1] neg_lo:[1,0,0] neg_hi:[1,0,0]
	v_mov_b32_e32 v82, v238
	v_mov_b32_e32 v83, v239
	s_waitcnt lgkmcnt(0)
	v_pk_fma_f32 v[176:177], v[8:9], v[4:5], v[22:23] op_sel_hi:[0,1,1] neg_lo:[1,0,0] neg_hi:[1,0,0]
	v_pk_fma_f32 v[24:25], v[8:9], v[6:7], v[24:25] op_sel_hi:[0,1,1] neg_lo:[1,0,0] neg_hi:[1,0,0]
	v_mov_b32_e32 v94, v34
	v_mov_b32_e32 v95, v35
	;; [unrolled: 1-line block ×62, first 2 shown]
	v_mov_b64_e32 v[192:193], v[14:15]
	v_mov_b64_e32 v[190:191], v[12:13]
	;; [unrolled: 1-line block ×5, first 2 shown]
	v_mov_b32_e32 v234, v78
	scratch_store_dwordx4 off, v[62:65], off offset:392 ; 16-byte Folded Spill
	s_nop 0
	scratch_store_dwordx4 off, v[66:69], off offset:408 ; 16-byte Folded Spill
	scratch_store_dwordx4 off, v[70:73], off offset:424 ; 16-byte Folded Spill
	scratch_store_dwordx4 off, v[74:77], off offset:440 ; 16-byte Folded Spill
	scratch_store_dwordx4 off, v[78:81], off offset:456 ; 16-byte Folded Spill
	scratch_store_dwordx4 off, v[82:85], off offset:472 ; 16-byte Folded Spill
	scratch_store_dwordx4 off, v[86:89], off offset:488 ; 16-byte Folded Spill
	scratch_store_dwordx4 off, v[90:93], off offset:504 ; 16-byte Folded Spill
	v_mov_b32_e32 v84, v176
	v_mov_b32_e32 v85, v177
	v_mov_b64_e32 v[182:183], v[4:5]
	v_mov_b64_e32 v[180:181], v[2:3]
	;; [unrolled: 1-line block ×3, first 2 shown]
	v_mov_b32_e32 v236, v104
	v_mov_b32_e32 v237, v105
	;; [unrolled: 1-line block ×10, first 2 shown]
	scratch_store_dwordx4 off, v[62:65], off offset:264 ; 16-byte Folded Spill
	s_nop 0
	scratch_store_dwordx4 off, v[66:69], off offset:280 ; 16-byte Folded Spill
	scratch_store_dwordx4 off, v[70:73], off offset:296 ; 16-byte Folded Spill
	;; [unrolled: 1-line block ×8, first 2 shown]
	s_nop 0
	scratch_store_dwordx4 off, v[30:33], off offset:792 ; 16-byte Folded Spill
	scratch_store_dwordx4 off, v[34:37], off offset:808 ; 16-byte Folded Spill
	scratch_store_dwordx4 off, v[38:41], off offset:824 ; 16-byte Folded Spill
	scratch_store_dwordx4 off, v[42:45], off offset:840 ; 16-byte Folded Spill
	scratch_store_dwordx4 off, v[46:49], off offset:856 ; 16-byte Folded Spill
	scratch_store_dwordx4 off, v[50:53], off offset:872 ; 16-byte Folded Spill
	scratch_store_dwordx4 off, v[54:57], off offset:888 ; 16-byte Folded Spill
	v_mov_b32_e32 v26, v176
	v_mov_b32_e32 v28, v24
	;; [unrolled: 1-line block ×5, first 2 shown]
	v_mov_b64_e32 v[202:203], v[24:25]
	v_mov_b64_e32 v[200:201], v[22:23]
	;; [unrolled: 1-line block ×5, first 2 shown]
	scratch_store_dwordx4 off, v[178:181], off offset:4 ; 16-byte Folded Spill
	s_nop 0
	scratch_store_dwordx4 off, v[182:185], off offset:20 ; 16-byte Folded Spill
	scratch_store_dwordx4 off, v[186:189], off offset:36 ; 16-byte Folded Spill
	scratch_store_dwordx4 off, v[190:193], off offset:52 ; 16-byte Folded Spill
	scratch_store_dwordx4 off, v[194:197], off offset:68 ; 16-byte Folded Spill
	scratch_store_dwordx4 off, v[198:201], off offset:84 ; 16-byte Folded Spill
	scratch_store_dwordx4 off, v[202:205], off offset:100 ; 16-byte Folded Spill
	scratch_store_dwordx4 off, v[206:209], off offset:116 ; 16-byte Folded Spill
	scratch_store_dwordx4 off, v[4:7], off offset:136 ; 16-byte Folded Spill
	s_nop 0
	scratch_store_dwordx4 off, v[8:11], off offset:152 ; 16-byte Folded Spill
	scratch_store_dwordx4 off, v[12:15], off offset:168 ; 16-byte Folded Spill
	scratch_store_dwordx4 off, v[16:19], off offset:184 ; 16-byte Folded Spill
	scratch_store_dwordx4 off, v[20:23], off offset:200 ; 16-byte Folded Spill
	scratch_store_dwordx4 off, v[24:27], off offset:216 ; 16-byte Folded Spill
	scratch_store_dwordx4 off, v[28:31], off offset:232 ; 16-byte Folded Spill
	scratch_store_dwordx4 off, v[32:35], off offset:248 ; 16-byte Folded Spill
	;; [unrolled: 9-line block ×3, first 2 shown]
	v_mov_b32_e32 v65, v105
.LBB51_93:
	s_or_b64 exec, exec, s[2:3]
	v_cmp_eq_u32_e32 vcc, 18, v250
	s_waitcnt lgkmcnt(0)
	s_barrier
	s_and_saveexec_b64 s[2:3], vcc
	s_cbranch_execz .LBB51_96
; %bb.94:
	ds_write_b32 v252, v64
	scratch_load_dwordx4 v[0:3], off, off offset:4 ; 16-byte Folded Reload
	scratch_load_dwordx4 v[4:7], off, off offset:20 ; 16-byte Folded Reload
	;; [unrolled: 1-line block ×8, first 2 shown]
	scratch_load_dword v0, off, off offset:132 ; 4-byte Folded Reload
	s_waitcnt vmcnt(0)
	ds_write2_b32 v0, v19, v20 offset0:19 offset1:20
	ds_write2_b32 v0, v21, v22 offset0:21 offset1:22
	;; [unrolled: 1-line block ×3, first 2 shown]
	scratch_load_dwordx4 v[66:69], off, off offset:136 ; 16-byte Folded Reload
	scratch_load_dwordx4 v[70:73], off, off offset:152 ; 16-byte Folded Reload
	;; [unrolled: 1-line block ×8, first 2 shown]
	s_waitcnt vmcnt(1)
	ds_write_b32 v0, v91 offset:100
	ds_read_b32 v26, v252
	s_waitcnt lgkmcnt(0)
	v_cmp_neq_f32_e32 vcc, 0, v26
	s_and_b64 exec, exec, vcc
	s_cbranch_execz .LBB51_96
; %bb.95:
	v_div_scale_f32 v27, s[4:5], v26, v26, 1.0
	v_rcp_f32_e32 v28, v27
	v_div_scale_f32 v29, vcc, 1.0, v26, 1.0
	v_fma_f32 v30, -v27, v28, 1.0
	v_fmac_f32_e32 v28, v30, v28
	v_mul_f32_e32 v30, v29, v28
	v_fma_f32 v31, -v27, v30, v29
	v_fmac_f32_e32 v30, v31, v28
	v_fma_f32 v27, -v27, v30, v29
	v_div_fmas_f32 v27, v27, v28, v30
	v_div_fixup_f32 v26, v27, v26, 1.0
	ds_write_b32 v252, v26
.LBB51_96:
	s_or_b64 exec, exec, s[2:3]
	s_waitcnt lgkmcnt(0)
	s_barrier
	ds_read_b32 v32, v252
	v_cmp_lt_u32_e32 vcc, 18, v250
	s_and_saveexec_b64 s[2:3], vcc
	s_cbranch_execz .LBB51_98
; %bb.97:
	v_mov_b32_e32 v33, v206
	v_mov_b32_e32 v34, v207
	scratch_load_dwordx4 v[186:189], off, off offset:776 ; 16-byte Folded Reload
	scratch_load_dwordx4 v[190:193], off, off offset:792 ; 16-byte Folded Reload
	;; [unrolled: 1-line block ×8, first 2 shown]
	scratch_load_dword v8, off, off offset:132 ; 4-byte Folded Reload
	s_waitcnt vmcnt(4) lgkmcnt(0)
	v_mul_f32_e32 v204, v64, v32
	v_mov_b32_e32 v18, v204
	v_mov_b32_e32 v236, v204
	;; [unrolled: 1-line block ×11, first 2 shown]
	s_waitcnt vmcnt(0)
	ds_read2_b32 v[0:1], v8 offset0:19 offset1:20
	scratch_load_dwordx4 v[62:65], off, off offset:4 ; 16-byte Folded Reload
	scratch_load_dwordx4 v[66:69], off, off offset:20 ; 16-byte Folded Reload
	;; [unrolled: 1-line block ×8, first 2 shown]
	ds_read2_b32 v[4:5], v8 offset0:21 offset1:22
	ds_read2_b32 v[6:7], v8 offset0:23 offset1:24
	ds_read_b32 v8, v8 offset:100
	v_mov_b32_e32 v15, v201
	v_mov_b32_e32 v16, v202
	;; [unrolled: 1-line block ×37, first 2 shown]
	s_waitcnt vmcnt(1)
	v_mov_b32_e32 v19, v81
	v_mov_b32_e32 v20, v82
	;; [unrolled: 1-line block ×6, first 2 shown]
	scratch_load_dwordx4 v[62:65], off, off offset:136 ; 16-byte Folded Reload
	scratch_load_dwordx4 v[66:69], off, off offset:152 ; 16-byte Folded Reload
	;; [unrolled: 1-line block ×8, first 2 shown]
	v_mov_b32_e32 v2, v19
	v_mov_b32_e32 v3, v20
	s_waitcnt lgkmcnt(3)
	v_pk_fma_f32 v[26:27], v[204:205], v[0:1], v[2:3] op_sel_hi:[0,1,1] neg_lo:[1,0,0] neg_hi:[1,0,0]
	v_mov_b32_e32 v0, v21
	v_mov_b32_e32 v1, v22
	s_waitcnt lgkmcnt(2)
	v_pk_fma_f32 v[28:29], v[204:205], v[4:5], v[0:1] op_sel_hi:[0,1,1] neg_lo:[1,0,0] neg_hi:[1,0,0]
	;; [unrolled: 4-line block ×3, first 2 shown]
	v_mov_b32_e32 v0, v186
	v_mov_b32_e32 v1, v187
	;; [unrolled: 1-line block ×14, first 2 shown]
	s_waitcnt vmcnt(1) lgkmcnt(0)
	v_fma_f32 v25, -v204, v8, v87
	v_mov_b32_e32 v8, v194
	scratch_store_dwordx4 off, v[0:3], off offset:392 ; 16-byte Folded Spill
	s_nop 0
	scratch_store_dwordx4 off, v[4:7], off offset:408 ; 16-byte Folded Spill
	scratch_store_dwordx4 off, v[8:11], off offset:424 ; 16-byte Folded Spill
	;; [unrolled: 1-line block ×7, first 2 shown]
	v_mov_b32_e32 v19, v26
	v_mov_b32_e32 v20, v27
	;; [unrolled: 1-line block ×8, first 2 shown]
	scratch_store_dwordx4 off, v[0:3], off offset:264 ; 16-byte Folded Spill
	s_nop 0
	scratch_store_dwordx4 off, v[4:7], off offset:280 ; 16-byte Folded Spill
	scratch_store_dwordx4 off, v[8:11], off offset:296 ; 16-byte Folded Spill
	scratch_store_dwordx4 off, v[12:15], off offset:312 ; 16-byte Folded Spill
	scratch_store_dwordx4 off, v[16:19], off offset:328 ; 16-byte Folded Spill
	scratch_store_dwordx4 off, v[20:23], off offset:344 ; 16-byte Folded Spill
	scratch_store_dwordx4 off, v[24:27], off offset:360 ; 16-byte Folded Spill
	scratch_store_dwordx4 off, v[28:31], off offset:376 ; 16-byte Folded Spill
	scratch_store_dwordx4 off, v[186:189], off offset:520 ; 16-byte Folded Spill
	s_nop 0
	scratch_store_dwordx4 off, v[190:193], off offset:536 ; 16-byte Folded Spill
	scratch_store_dwordx4 off, v[194:197], off offset:552 ; 16-byte Folded Spill
	scratch_store_dwordx4 off, v[198:201], off offset:568 ; 16-byte Folded Spill
	scratch_store_dwordx4 off, v[202:205], off offset:584 ; 16-byte Folded Spill
	scratch_store_dwordx4 off, v[206:209], off offset:600 ; 16-byte Folded Spill
	scratch_store_dwordx4 off, v[210:213], off offset:616 ; 16-byte Folded Spill
	scratch_store_dwordx4 off, v[214:217], off offset:632 ; 16-byte Folded Spill
	;; [unrolled: 9-line block ×3, first 2 shown]
	v_mov_b32_e32 v207, v34
	v_mov_b32_e32 v206, v33
	;; [unrolled: 1-line block ×7, first 2 shown]
	v_mov_b64_e32 v[76:77], v[14:15]
	v_mov_b64_e32 v[86:87], v[24:25]
	v_mov_b32_e32 v34, v29
	v_mov_b32_e32 v36, v31
	v_mov_b64_e32 v[74:75], v[12:13]
	v_mov_b64_e32 v[72:73], v[10:11]
	;; [unrolled: 1-line block ×11, first 2 shown]
	v_mov_b32_e32 v37, v25
	scratch_store_dwordx4 off, v[62:65], off offset:4 ; 16-byte Folded Spill
	s_nop 0
	scratch_store_dwordx4 off, v[66:69], off offset:20 ; 16-byte Folded Spill
	scratch_store_dwordx4 off, v[70:73], off offset:36 ; 16-byte Folded Spill
	;; [unrolled: 1-line block ×6, first 2 shown]
	s_waitcnt vmcnt(39)
	scratch_store_dwordx4 off, v[90:93], off offset:116 ; 16-byte Folded Spill
	scratch_store_dwordx4 off, v[12:15], off offset:136 ; 16-byte Folded Spill
	s_nop 0
	scratch_store_dwordx4 off, v[16:19], off offset:152 ; 16-byte Folded Spill
	scratch_store_dwordx4 off, v[20:23], off offset:168 ; 16-byte Folded Spill
	;; [unrolled: 1-line block ×7, first 2 shown]
	v_mov_b32_e32 v65, v26
	v_mov_b32_e32 v134, v27
	;; [unrolled: 1-line block ×4, first 2 shown]
.LBB51_98:
	s_or_b64 exec, exec, s[2:3]
	v_cmp_eq_u32_e32 vcc, 19, v250
	s_waitcnt lgkmcnt(0)
	s_barrier
	s_and_saveexec_b64 s[2:3], vcc
	s_cbranch_execz .LBB51_101
; %bb.99:
	ds_write_b32 v252, v65
	scratch_load_dwordx4 v[0:3], off, off offset:4 ; 16-byte Folded Reload
	scratch_load_dwordx4 v[4:7], off, off offset:20 ; 16-byte Folded Reload
	;; [unrolled: 1-line block ×8, first 2 shown]
	scratch_load_dword v0, off, off offset:132 ; 4-byte Folded Reload
	s_waitcnt vmcnt(0)
	ds_write2_b64 v0, v[20:21], v[22:23] offset0:10 offset1:11
	ds_write_b64 v0, v[24:25] offset:96
	ds_read_b32 v26, v252
	s_waitcnt lgkmcnt(0)
	v_cmp_neq_f32_e32 vcc, 0, v26
	s_and_b64 exec, exec, vcc
	s_cbranch_execz .LBB51_101
; %bb.100:
	v_div_scale_f32 v27, s[4:5], v26, v26, 1.0
	v_rcp_f32_e32 v28, v27
	v_div_scale_f32 v29, vcc, 1.0, v26, 1.0
	v_fma_f32 v30, -v27, v28, 1.0
	v_fmac_f32_e32 v28, v30, v28
	v_mul_f32_e32 v30, v29, v28
	v_fma_f32 v31, -v27, v30, v29
	v_fmac_f32_e32 v30, v31, v28
	v_fma_f32 v27, -v27, v30, v29
	v_div_fmas_f32 v27, v27, v28, v30
	v_div_fixup_f32 v26, v27, v26, 1.0
	ds_write_b32 v252, v26
.LBB51_101:
	s_or_b64 exec, exec, s[2:3]
	s_waitcnt lgkmcnt(0)
	s_barrier
	ds_read_b32 v33, v252
	v_cmp_lt_u32_e32 vcc, 19, v250
	s_and_saveexec_b64 s[2:3], vcc
	s_cbranch_execz .LBB51_103
; %bb.102:
	scratch_load_dword v4, off, off offset:132 ; 4-byte Folded Reload
	s_waitcnt lgkmcnt(0)
	v_mul_f32_e32 v6, v65, v33
	v_mov_b32_e32 v27, v6
	v_mov_b32_e32 v237, v6
	;; [unrolled: 1-line block ×3, first 2 shown]
	s_waitcnt vmcnt(0)
	ds_read2_b64 v[0:3], v4 offset0:10 offset1:11
	ds_read_b64 v[4:5], v4 offset:96
	scratch_load_dwordx4 v[62:65], off, off offset:4 ; 16-byte Folded Reload
	scratch_load_dwordx4 v[66:69], off, off offset:20 ; 16-byte Folded Reload
	;; [unrolled: 1-line block ×16, first 2 shown]
	s_waitcnt vmcnt(3)
	v_mov_b32_e32 v107, v6
	v_mov_b32_e32 v81, v6
	;; [unrolled: 1-line block ×7, first 2 shown]
	v_mov_b64_e32 v[20:21], v[82:83]
	v_mov_b64_e32 v[22:23], v[84:85]
	;; [unrolled: 1-line block ×3, first 2 shown]
	s_waitcnt lgkmcnt(1)
	v_pk_fma_f32 v[238:239], v[6:7], v[0:1], v[20:21] op_sel_hi:[0,1,1] neg_lo:[1,0,0] neg_hi:[1,0,0]
	v_pk_fma_f32 v[176:177], v[6:7], v[2:3], v[22:23] op_sel_hi:[0,1,1] neg_lo:[1,0,0] neg_hi:[1,0,0]
	s_waitcnt lgkmcnt(0)
	v_pk_fma_f32 v[86:87], v[6:7], v[4:5], v[24:25] op_sel_hi:[0,1,1] neg_lo:[1,0,0] neg_hi:[1,0,0]
	v_mov_b32_e32 v13, v93
	v_mov_b32_e32 v14, v94
	;; [unrolled: 1-line block ×16, first 2 shown]
	scratch_store_dwordx4 off, v[8:11], off offset:392 ; 16-byte Folded Spill
	s_nop 0
	scratch_store_dwordx4 off, v[12:15], off offset:408 ; 16-byte Folded Spill
	scratch_store_dwordx4 off, v[16:19], off offset:424 ; 16-byte Folded Spill
	;; [unrolled: 1-line block ×7, first 2 shown]
	v_mov_b32_e32 v218, v88
	v_mov_b32_e32 v219, v89
	;; [unrolled: 1-line block ×73, first 2 shown]
	scratch_store_dwordx4 off, v[8:11], off offset:264 ; 16-byte Folded Spill
	s_nop 0
	scratch_store_dwordx4 off, v[12:15], off offset:280 ; 16-byte Folded Spill
	scratch_store_dwordx4 off, v[16:19], off offset:296 ; 16-byte Folded Spill
	;; [unrolled: 1-line block ×8, first 2 shown]
	s_nop 0
	scratch_store_dwordx4 off, v[66:69], off offset:20 ; 16-byte Folded Spill
	scratch_store_dwordx4 off, v[70:73], off offset:36 ; 16-byte Folded Spill
	;; [unrolled: 1-line block ×8, first 2 shown]
	s_nop 0
	scratch_store_dwordx4 off, v[92:95], off offset:536 ; 16-byte Folded Spill
	scratch_store_dwordx4 off, v[96:99], off offset:552 ; 16-byte Folded Spill
	scratch_store_dwordx4 off, v[100:103], off offset:568 ; 16-byte Folded Spill
	scratch_store_dwordx4 off, v[104:107], off offset:584 ; 16-byte Folded Spill
	s_waitcnt vmcnt(31)
	scratch_store_dwordx4 off, v[108:111], off offset:600 ; 16-byte Folded Spill
	s_waitcnt vmcnt(31)
	scratch_store_dwordx4 off, v[112:115], off offset:616 ; 16-byte Folded Spill
	;; [unrolled: 2-line block ×3, first 2 shown]
	scratch_store_dwordx4 off, v[62:65], off offset:136 ; 16-byte Folded Spill
	s_nop 0
	scratch_store_dwordx4 off, v[66:69], off offset:152 ; 16-byte Folded Spill
	scratch_store_dwordx4 off, v[70:73], off offset:168 ; 16-byte Folded Spill
	;; [unrolled: 1-line block ×7, first 2 shown]
.LBB51_103:
	s_or_b64 exec, exec, s[2:3]
	v_cmp_eq_u32_e32 vcc, 20, v250
	s_waitcnt lgkmcnt(0)
	s_barrier
	s_and_saveexec_b64 s[2:3], vcc
	s_cbranch_execz .LBB51_106
; %bb.104:
	ds_write_b32 v252, v134
	scratch_load_dwordx4 v[0:3], off, off offset:4 ; 16-byte Folded Reload
	scratch_load_dwordx4 v[4:7], off, off offset:20 ; 16-byte Folded Reload
	;; [unrolled: 1-line block ×8, first 2 shown]
	scratch_load_dword v0, off, off offset:132 ; 4-byte Folded Reload
	s_waitcnt vmcnt(0)
	ds_write2_b32 v0, v21, v22 offset0:21 offset1:22
	ds_write2_b32 v0, v23, v24 offset0:23 offset1:24
	scratch_load_dwordx4 v[64:67], off, off offset:136 ; 16-byte Folded Reload
	scratch_load_dwordx4 v[68:71], off, off offset:152 ; 16-byte Folded Reload
	;; [unrolled: 1-line block ×8, first 2 shown]
	s_waitcnt vmcnt(1)
	ds_write_b32 v0, v89 offset:100
	ds_read_b32 v26, v252
	s_waitcnt lgkmcnt(0)
	v_cmp_neq_f32_e32 vcc, 0, v26
	s_and_b64 exec, exec, vcc
	s_cbranch_execz .LBB51_106
; %bb.105:
	v_div_scale_f32 v27, s[4:5], v26, v26, 1.0
	v_rcp_f32_e32 v28, v27
	v_div_scale_f32 v29, vcc, 1.0, v26, 1.0
	v_fma_f32 v30, -v27, v28, 1.0
	v_fmac_f32_e32 v28, v30, v28
	v_mul_f32_e32 v30, v29, v28
	v_fma_f32 v31, -v27, v30, v29
	v_fmac_f32_e32 v30, v31, v28
	v_fma_f32 v27, -v27, v30, v29
	v_div_fmas_f32 v27, v27, v28, v30
	v_div_fixup_f32 v26, v27, v26, 1.0
	ds_write_b32 v252, v26
.LBB51_106:
	s_or_b64 exec, exec, s[2:3]
	s_waitcnt lgkmcnt(0)
	s_barrier
	ds_read_b32 v34, v252
	v_cmp_lt_u32_e32 vcc, 20, v250
	s_and_saveexec_b64 s[2:3], vcc
	s_cbranch_execz .LBB51_108
; %bb.107:
	scratch_load_dwordx4 v[218:221], off, off offset:520 ; 16-byte Folded Reload
	scratch_load_dwordx4 v[222:225], off, off offset:536 ; 16-byte Folded Reload
	;; [unrolled: 1-line block ×8, first 2 shown]
	scratch_load_dword v6, off, off offset:132 ; 4-byte Folded Reload
	s_waitcnt vmcnt(3) lgkmcnt(0)
	v_mul_f32_e32 v238, v134, v34
	v_mov_b32_e32 v20, v238
	v_mov_b32_e32 v174, v238
	;; [unrolled: 1-line block ×10, first 2 shown]
	s_waitcnt vmcnt(0)
	ds_read2_b32 v[0:1], v6 offset0:21 offset1:22
	scratch_load_dwordx4 v[62:65], off, off offset:4 ; 16-byte Folded Reload
	scratch_load_dwordx4 v[66:69], off, off offset:20 ; 16-byte Folded Reload
	;; [unrolled: 1-line block ×8, first 2 shown]
	ds_read2_b32 v[4:5], v6 offset0:23 offset1:24
	ds_read_b32 v6, v6 offset:100
	v_mov_b32_e32 v14, v232
	v_mov_b32_e32 v15, v233
	;; [unrolled: 1-line block ×25, first 2 shown]
	s_waitcnt vmcnt(1)
	v_mov_b32_e32 v21, v83
	v_mov_b32_e32 v22, v84
	;; [unrolled: 1-line block ×4, first 2 shown]
	scratch_load_dwordx4 v[62:65], off, off offset:136 ; 16-byte Folded Reload
	scratch_load_dwordx4 v[66:69], off, off offset:152 ; 16-byte Folded Reload
	scratch_load_dwordx4 v[70:73], off, off offset:168 ; 16-byte Folded Reload
	scratch_load_dwordx4 v[74:77], off, off offset:184 ; 16-byte Folded Reload
	scratch_load_dwordx4 v[78:81], off, off offset:200 ; 16-byte Folded Reload
	scratch_load_dwordx4 v[82:85], off, off offset:216 ; 16-byte Folded Reload
	scratch_load_dwordx4 v[86:89], off, off offset:232 ; 16-byte Folded Reload
	scratch_load_dwordx4 v[90:93], off, off offset:248 ; 16-byte Folded Reload
	v_mov_b32_e32 v3, v22
	v_mov_b32_e32 v2, v21
	s_waitcnt lgkmcnt(2)
	v_pk_fma_f32 v[36:37], v[238:239], v[0:1], v[2:3] op_sel_hi:[0,1,1] neg_lo:[1,0,0] neg_hi:[1,0,0]
	v_mov_b32_e32 v1, v24
	v_mov_b32_e32 v0, v23
	s_waitcnt lgkmcnt(1)
	v_pk_fma_f32 v[38:39], v[238:239], v[4:5], v[0:1] op_sel_hi:[0,1,1] neg_lo:[1,0,0] neg_hi:[1,0,0]
	v_mov_b32_e32 v239, v36
	v_mov_b32_e32 v0, v218
	;; [unrolled: 1-line block ×10, first 2 shown]
	s_waitcnt vmcnt(7)
	v_mov_b32_e32 v62, v218
	v_mov_b32_e32 v63, v219
	v_mov_b32_e32 v64, v220
	v_mov_b32_e32 v65, v221
	s_waitcnt vmcnt(6)
	v_mov_b32_e32 v66, v222
	v_mov_b32_e32 v67, v223
	v_mov_b32_e32 v68, v224
	v_mov_b32_e32 v69, v225
	;; [unrolled: 5-line block ×7, first 2 shown]
	v_mov_b32_e32 v59, v38
	s_waitcnt lgkmcnt(0)
	v_fma_f32 v87, -v238, v6, v87
	v_mov_b32_e32 v6, v224
	scratch_store_dwordx4 off, v[0:3], off offset:264 ; 16-byte Folded Spill
	s_nop 0
	scratch_store_dwordx4 off, v[4:7], off offset:280 ; 16-byte Folded Spill
	scratch_store_dwordx4 off, v[8:11], off offset:296 ; 16-byte Folded Spill
	;; [unrolled: 1-line block ×8, first 2 shown]
	s_nop 0
	scratch_store_dwordx4 off, v[66:69], off offset:20 ; 16-byte Folded Spill
	scratch_store_dwordx4 off, v[70:73], off offset:36 ; 16-byte Folded Spill
	;; [unrolled: 1-line block ×6, first 2 shown]
	s_waitcnt vmcnt(15)
	scratch_store_dwordx4 off, v[90:93], off offset:116 ; 16-byte Folded Spill
	scratch_store_dwordx4 off, v[218:221], off offset:392 ; 16-byte Folded Spill
	s_nop 0
	scratch_store_dwordx4 off, v[222:225], off offset:408 ; 16-byte Folded Spill
	scratch_store_dwordx4 off, v[226:229], off offset:424 ; 16-byte Folded Spill
	;; [unrolled: 1-line block ×8, first 2 shown]
	s_nop 0
	scratch_store_dwordx4 off, v[66:69], off offset:152 ; 16-byte Folded Spill
	scratch_store_dwordx4 off, v[70:73], off offset:168 ; 16-byte Folded Spill
	;; [unrolled: 1-line block ×7, first 2 shown]
.LBB51_108:
	s_or_b64 exec, exec, s[2:3]
	v_cmp_eq_u32_e32 vcc, 21, v250
	s_waitcnt lgkmcnt(0)
	s_barrier
	s_and_saveexec_b64 s[2:3], vcc
	s_cbranch_execz .LBB51_111
; %bb.109:
	ds_write_b32 v252, v135
	scratch_load_dwordx4 v[0:3], off, off offset:4 ; 16-byte Folded Reload
	scratch_load_dwordx4 v[4:7], off, off offset:20 ; 16-byte Folded Reload
	;; [unrolled: 1-line block ×8, first 2 shown]
	scratch_load_dword v0, off, off offset:132 ; 4-byte Folded Reload
	s_waitcnt vmcnt(0)
	ds_write2_b64 v0, v[22:23], v[24:25] offset0:11 offset1:12
	ds_read_b32 v26, v252
	s_waitcnt lgkmcnt(0)
	v_cmp_neq_f32_e32 vcc, 0, v26
	s_and_b64 exec, exec, vcc
	s_cbranch_execz .LBB51_111
; %bb.110:
	v_div_scale_f32 v27, s[4:5], v26, v26, 1.0
	v_rcp_f32_e32 v28, v27
	v_div_scale_f32 v29, vcc, 1.0, v26, 1.0
	v_fma_f32 v30, -v27, v28, 1.0
	v_fmac_f32_e32 v28, v30, v28
	v_mul_f32_e32 v30, v29, v28
	v_fma_f32 v31, -v27, v30, v29
	v_fmac_f32_e32 v30, v31, v28
	v_fma_f32 v27, -v27, v30, v29
	v_div_fmas_f32 v27, v27, v28, v30
	v_div_fixup_f32 v26, v27, v26, 1.0
	ds_write_b32 v252, v26
.LBB51_111:
	s_or_b64 exec, exec, s[2:3]
	s_waitcnt lgkmcnt(0)
	s_barrier
	ds_read_b32 v35, v252
	v_cmp_lt_u32_e32 vcc, 21, v250
	s_and_saveexec_b64 s[2:3], vcc
	s_cbranch_execz .LBB51_113
; %bb.112:
	scratch_load_dword v0, off, off offset:132 ; 4-byte Folded Reload
	s_waitcnt lgkmcnt(0)
	v_mul_f32_e32 v4, v135, v35
	v_mov_b32_e32 v239, v4
	v_mov_b32_e32 v154, v218
	;; [unrolled: 1-line block ×37, first 2 shown]
	s_waitcnt vmcnt(0)
	ds_read2_b64 v[0:3], v0 offset0:11 offset1:12
	scratch_load_dwordx4 v[62:65], off, off offset:4 ; 16-byte Folded Reload
	scratch_load_dwordx4 v[66:69], off, off offset:20 ; 16-byte Folded Reload
	;; [unrolled: 1-line block ×8, first 2 shown]
	s_waitcnt vmcnt(7)
	v_mov_b32_e32 v62, v218
	v_mov_b32_e32 v63, v219
	v_mov_b32_e32 v64, v220
	v_mov_b32_e32 v65, v221
	s_waitcnt vmcnt(6)
	v_mov_b32_e32 v66, v222
	v_mov_b32_e32 v67, v223
	v_mov_b32_e32 v68, v224
	v_mov_b32_e32 v69, v225
	;; [unrolled: 5-line block ×5, first 2 shown]
	s_waitcnt vmcnt(2)
	v_mov_b32_e32 v82, v238
	v_mov_b32_e32 v83, v4
	s_waitcnt vmcnt(1)
	v_mov_b64_e32 v[22:23], v[84:85]
	v_mov_b64_e32 v[24:25], v[86:87]
	v_mov_b32_e32 v6, v22
	v_mov_b32_e32 v7, v23
	;; [unrolled: 1-line block ×3, first 2 shown]
	s_waitcnt lgkmcnt(0)
	v_pk_fma_f32 v[176:177], v[4:5], v[0:1], v[6:7] op_sel_hi:[0,1,1] neg_lo:[1,0,0] neg_hi:[1,0,0]
	v_mov_b32_e32 v9, v25
	v_pk_fma_f32 v[86:87], v[4:5], v[2:3], v[8:9] op_sel_hi:[0,1,1] neg_lo:[1,0,0] neg_hi:[1,0,0]
	v_mov_b32_e32 v6, v218
	v_mov_b32_e32 v7, v219
	;; [unrolled: 1-line block ×13, first 2 shown]
	scratch_store_dwordx4 off, v[6:9], off offset:264 ; 16-byte Folded Spill
	s_nop 0
	scratch_store_dwordx4 off, v[10:13], off offset:280 ; 16-byte Folded Spill
	scratch_store_dwordx4 off, v[14:17], off offset:296 ; 16-byte Folded Spill
	;; [unrolled: 1-line block ×8, first 2 shown]
	s_nop 0
	scratch_store_dwordx4 off, v[66:69], off offset:20 ; 16-byte Folded Spill
	scratch_store_dwordx4 off, v[70:73], off offset:36 ; 16-byte Folded Spill
	;; [unrolled: 1-line block ×6, first 2 shown]
	s_waitcnt vmcnt(15)
	scratch_store_dwordx4 off, v[90:93], off offset:116 ; 16-byte Folded Spill
	scratch_store_dwordx4 off, v[218:221], off offset:392 ; 16-byte Folded Spill
	s_nop 0
	scratch_store_dwordx4 off, v[222:225], off offset:408 ; 16-byte Folded Spill
	scratch_store_dwordx4 off, v[226:229], off offset:424 ; 16-byte Folded Spill
	;; [unrolled: 1-line block ×8, first 2 shown]
	s_nop 0
	scratch_store_dwordx4 off, v[66:69], off offset:152 ; 16-byte Folded Spill
	scratch_store_dwordx4 off, v[70:73], off offset:168 ; 16-byte Folded Spill
	;; [unrolled: 1-line block ×7, first 2 shown]
.LBB51_113:
	s_or_b64 exec, exec, s[2:3]
	v_cmp_eq_u32_e32 vcc, 22, v250
	s_waitcnt lgkmcnt(0)
	s_barrier
	s_and_saveexec_b64 s[2:3], vcc
	s_cbranch_execz .LBB51_116
; %bb.114:
	scratch_load_dwordx4 v[62:65], off, off offset:136 ; 16-byte Folded Reload
	scratch_load_dwordx4 v[66:69], off, off offset:152 ; 16-byte Folded Reload
	;; [unrolled: 1-line block ×8, first 2 shown]
	s_waitcnt vmcnt(2)
	ds_write_b32 v252, v84
	s_waitcnt vmcnt(1)
	v_mov_b64_e32 v[28:29], v[86:87]
	scratch_load_dwordx4 v[62:65], off, off offset:4 ; 16-byte Folded Reload
	scratch_load_dwordx4 v[66:69], off, off offset:20 ; 16-byte Folded Reload
	scratch_load_dwordx4 v[70:73], off, off offset:36 ; 16-byte Folded Reload
	scratch_load_dwordx4 v[74:77], off, off offset:52 ; 16-byte Folded Reload
	scratch_load_dwordx4 v[78:81], off, off offset:68 ; 16-byte Folded Reload
	scratch_load_dwordx4 v[82:85], off, off offset:84 ; 16-byte Folded Reload
	scratch_load_dwordx4 v[86:89], off, off offset:100 ; 16-byte Folded Reload
	scratch_load_dwordx4 v[90:93], off, off offset:116 ; 16-byte Folded Reload
	scratch_load_dword v0, off, off offset:132 ; 4-byte Folded Reload
	s_waitcnt vmcnt(0)
	ds_write2_b32 v0, v85, v86 offset0:23 offset1:24
	ds_write_b32 v0, v29 offset:100
	ds_read_b32 v26, v252
	s_waitcnt lgkmcnt(0)
	v_cmp_neq_f32_e32 vcc, 0, v26
	s_and_b64 exec, exec, vcc
	s_cbranch_execz .LBB51_116
; %bb.115:
	v_div_scale_f32 v27, s[4:5], v26, v26, 1.0
	v_rcp_f32_e32 v28, v27
	v_div_scale_f32 v29, vcc, 1.0, v26, 1.0
	v_fma_f32 v30, -v27, v28, 1.0
	v_fmac_f32_e32 v28, v30, v28
	v_mul_f32_e32 v30, v29, v28
	v_fma_f32 v31, -v27, v30, v29
	v_fmac_f32_e32 v30, v31, v28
	v_fma_f32 v27, -v27, v30, v29
	v_div_fmas_f32 v27, v27, v28, v30
	v_div_fixup_f32 v26, v27, v26, 1.0
	ds_write_b32 v252, v26
.LBB51_116:
	s_or_b64 exec, exec, s[2:3]
	s_waitcnt lgkmcnt(0)
	s_barrier
	ds_read_b32 v36, v252
	v_cmp_lt_u32_e32 vcc, 22, v250
	s_mov_b64 s[2:3], exec
	scratch_load_dwordx4 v[208:211], off, off offset:264 ; 16-byte Folded Reload
	scratch_load_dwordx4 v[212:215], off, off offset:280 ; 16-byte Folded Reload
	;; [unrolled: 1-line block ×8, first 2 shown]
	s_and_b64 s[4:5], s[2:3], vcc
                                        ; kill: def $vgpr208_vgpr209_vgpr210_vgpr211_vgpr212_vgpr213_vgpr214_vgpr215_vgpr216_vgpr217_vgpr218_vgpr219_vgpr220_vgpr221_vgpr222_vgpr223 killed $vgpr208_vgpr209_vgpr210_vgpr211_vgpr212_vgpr213_vgpr214_vgpr215_vgpr216_vgpr217_vgpr218_vgpr219_vgpr220_vgpr221_vgpr222_vgpr223 def $vgpr234_vgpr235_vgpr236_vgpr237_vgpr238_vgpr239
	s_mov_b64 exec, s[4:5]
	s_cbranch_execz .LBB51_118
; %bb.117:
	scratch_load_dword v2, off, off offset:132 ; 4-byte Folded Reload
	s_waitcnt vmcnt(0)
	ds_read2_b32 v[0:1], v2 offset0:23 offset1:24
	ds_read_b32 v4, v2 offset:100
	scratch_load_dwordx4 v[62:65], off, off offset:136 ; 16-byte Folded Reload
	scratch_load_dwordx4 v[66:69], off, off offset:152 ; 16-byte Folded Reload
	;; [unrolled: 1-line block ×16, first 2 shown]
	s_waitcnt vmcnt(4)
	v_mov_b64_e32 v[136:137], v[102:103]
	v_mov_b64_e32 v[134:135], v[100:101]
	s_waitcnt vmcnt(2)
	v_mov_b64_e32 v[142:143], v[108:109]
	v_mov_b64_e32 v[132:133], v[98:99]
	;; [unrolled: 1-line block ×9, first 2 shown]
	scratch_load_dwordx4 v[88:91], off, off offset:4 ; 16-byte Folded Reload
	scratch_load_dwordx4 v[92:95], off, off offset:20 ; 16-byte Folded Reload
	;; [unrolled: 1-line block ×8, first 2 shown]
	s_waitcnt lgkmcnt(2)
	v_mul_f32_e32 v144, v84, v36
	s_waitcnt lgkmcnt(0)
	v_fma_f32 v87, -v144, v4, v87
	v_mov_b32_e32 v62, v122
	v_mov_b32_e32 v63, v123
	;; [unrolled: 1-line block ×23, first 2 shown]
	s_waitcnt vmcnt(1)
	v_mov_b32_e32 v23, v111
	v_mov_b32_e32 v24, v112
	;; [unrolled: 1-line block ×4, first 2 shown]
	v_pk_fma_f32 v[38:39], v[144:145], v[0:1], v[2:3] op_sel_hi:[0,1,1] neg_lo:[1,0,0] neg_hi:[1,0,0]
	v_mov_b32_e32 v85, v38
	v_mov_b32_e32 v86, v39
	scratch_store_dwordx4 off, v[62:65], off offset:4 ; 16-byte Folded Spill
	s_nop 0
	scratch_store_dwordx4 off, v[66:69], off offset:20 ; 16-byte Folded Spill
	scratch_store_dwordx4 off, v[70:73], off offset:36 ; 16-byte Folded Spill
	;; [unrolled: 1-line block ×7, first 2 shown]
	v_mov_b32_e32 v145, v38
	v_mov_b64_e32 v[238:239], v[152:153]
	v_mov_b64_e32 v[184:185], v[152:153]
	;; [unrolled: 1-line block ×31, first 2 shown]
	v_mov_b32_e32 v59, v38
	v_mov_b64_e32 v[232:233], v[146:147]
	scratch_store_dwordx4 off, v[62:65], off offset:136 ; 16-byte Folded Spill
	s_nop 0
	scratch_store_dwordx4 off, v[66:69], off offset:152 ; 16-byte Folded Spill
	scratch_store_dwordx4 off, v[70:73], off offset:168 ; 16-byte Folded Spill
	;; [unrolled: 1-line block ×7, first 2 shown]
.LBB51_118:
	s_or_b64 exec, exec, s[2:3]
	v_cmp_eq_u32_e32 vcc, 23, v250
	s_waitcnt lgkmcnt(0)
	s_barrier
	s_and_saveexec_b64 s[2:3], vcc
	s_cbranch_execz .LBB51_121
; %bb.119:
	ds_write_b32 v252, v59
	scratch_load_dwordx4 v[0:3], off, off offset:4 ; 16-byte Folded Reload
	scratch_load_dwordx4 v[4:7], off, off offset:20 ; 16-byte Folded Reload
	;; [unrolled: 1-line block ×8, first 2 shown]
	scratch_load_dword v0, off, off offset:132 ; 4-byte Folded Reload
	s_waitcnt vmcnt(0)
	ds_write_b64 v0, v[24:25] offset:96
	ds_read_b32 v26, v252
	s_waitcnt lgkmcnt(0)
	v_cmp_neq_f32_e32 vcc, 0, v26
	s_and_b64 exec, exec, vcc
	s_cbranch_execz .LBB51_121
; %bb.120:
	v_div_scale_f32 v27, s[4:5], v26, v26, 1.0
	v_rcp_f32_e32 v28, v27
	v_div_scale_f32 v29, vcc, 1.0, v26, 1.0
	v_fma_f32 v30, -v27, v28, 1.0
	v_fmac_f32_e32 v28, v30, v28
	v_mul_f32_e32 v30, v29, v28
	v_fma_f32 v31, -v27, v30, v29
	v_fmac_f32_e32 v30, v31, v28
	v_fma_f32 v27, -v27, v30, v29
	v_div_fmas_f32 v27, v27, v28, v30
	v_div_fixup_f32 v26, v27, v26, 1.0
	ds_write_b32 v252, v26
.LBB51_121:
	s_or_b64 exec, exec, s[2:3]
	s_waitcnt lgkmcnt(0)
	s_barrier
	ds_read_b32 v37, v252
	v_cmp_lt_u32_e32 vcc, 23, v250
	s_mov_b64 s[2:3], exec
	scratch_load_dwordx4 v[62:65], off, off offset:136 ; 16-byte Folded Reload
	scratch_load_dwordx4 v[66:69], off, off offset:152 ; 16-byte Folded Reload
	scratch_load_dwordx4 v[70:73], off, off offset:168 ; 16-byte Folded Reload
	scratch_load_dwordx4 v[74:77], off, off offset:184 ; 16-byte Folded Reload
	scratch_load_dwordx4 v[78:81], off, off offset:200 ; 16-byte Folded Reload
	scratch_load_dwordx4 v[82:85], off, off offset:216 ; 16-byte Folded Reload
	scratch_load_dwordx4 v[86:89], off, off offset:232 ; 16-byte Folded Reload
	scratch_load_dwordx4 v[90:93], off, off offset:248 ; 16-byte Folded Reload
	s_and_b64 s[4:5], s[2:3], vcc
	s_mov_b64 exec, s[4:5]
	s_cbranch_execz .LBB51_123
; %bb.122:
	scratch_load_dword v0, off, off offset:132 ; 4-byte Folded Reload
	s_waitcnt lgkmcnt(0)
	v_mul_f32_e32 v2, v59, v37
	v_mov_b32_e32 v177, v2
	s_waitcnt vmcnt(9)
	v_mov_b64_e32 v[238:239], v[184:185]
	v_mov_b64_e32 v[236:237], v[182:183]
	;; [unrolled: 1-line block ×16, first 2 shown]
	s_waitcnt vmcnt(0)
	ds_read_b64 v[0:1], v0 offset:96
	scratch_load_dwordx4 v[62:65], off, off offset:4 ; 16-byte Folded Reload
	scratch_load_dwordx4 v[66:69], off, off offset:20 ; 16-byte Folded Reload
	;; [unrolled: 1-line block ×8, first 2 shown]
	s_waitcnt vmcnt(7)
	v_mov_b32_e32 v62, v154
	v_mov_b32_e32 v63, v155
	v_mov_b32_e32 v64, v156
	v_mov_b32_e32 v65, v157
	s_waitcnt vmcnt(6)
	v_mov_b32_e32 v66, v158
	v_mov_b32_e32 v67, v159
	v_mov_b32_e32 v68, v160
	v_mov_b32_e32 v69, v161
	;; [unrolled: 5-line block ×6, first 2 shown]
	s_waitcnt vmcnt(1)
	v_mov_b64_e32 v[24:25], v[86:87]
	v_mov_b32_e32 v4, v24
	v_mov_b32_e32 v5, v25
	s_waitcnt lgkmcnt(0)
	v_pk_fma_f32 v[86:87], v[2:3], v[0:1], v[4:5] op_sel_hi:[0,1,1] neg_lo:[1,0,0] neg_hi:[1,0,0]
	scratch_store_dwordx4 off, v[62:65], off offset:4 ; 16-byte Folded Spill
	s_nop 0
	scratch_store_dwordx4 off, v[66:69], off offset:20 ; 16-byte Folded Spill
	scratch_store_dwordx4 off, v[70:73], off offset:36 ; 16-byte Folded Spill
	;; [unrolled: 1-line block ×6, first 2 shown]
	s_waitcnt vmcnt(7)
	scratch_store_dwordx4 off, v[90:93], off offset:116 ; 16-byte Folded Spill
.LBB51_123:
	s_or_b64 exec, exec, s[2:3]
	v_cmp_eq_u32_e32 vcc, 24, v250
	s_waitcnt lgkmcnt(0)
	s_barrier
	s_and_saveexec_b64 s[2:3], vcc
	s_cbranch_execz .LBB51_126
; %bb.124:
	scratch_load_dword v0, off, off offset:132 ; 4-byte Folded Reload
	s_waitcnt vmcnt(2)
	ds_write_b32 v252, v86
	s_waitcnt vmcnt(0)
	ds_write_b32 v0, v87 offset:100
	ds_read_b32 v26, v252
	s_waitcnt lgkmcnt(0)
	v_cmp_neq_f32_e32 vcc, 0, v26
	s_and_b64 exec, exec, vcc
	s_cbranch_execz .LBB51_126
; %bb.125:
	v_div_scale_f32 v27, s[4:5], v26, v26, 1.0
	v_rcp_f32_e32 v28, v27
	v_div_scale_f32 v29, vcc, 1.0, v26, 1.0
	v_fma_f32 v30, -v27, v28, 1.0
	v_fmac_f32_e32 v28, v30, v28
	v_mul_f32_e32 v30, v29, v28
	v_fma_f32 v31, -v27, v30, v29
	v_fmac_f32_e32 v30, v31, v28
	v_fma_f32 v27, -v27, v30, v29
	v_div_fmas_f32 v27, v27, v28, v30
	v_div_fixup_f32 v26, v27, v26, 1.0
	ds_write_b32 v252, v26
.LBB51_126:
	s_or_b64 exec, exec, s[2:3]
	s_waitcnt lgkmcnt(0)
	s_barrier
	ds_read_b32 v38, v252
	v_cmp_lt_u32_e32 vcc, 24, v250
	s_mov_b64 s[2:3], exec
	scratch_load_dwordx4 v[0:3], off, off offset:4 ; 16-byte Folded Reload
	scratch_load_dwordx4 v[4:7], off, off offset:20 ; 16-byte Folded Reload
	;; [unrolled: 1-line block ×8, first 2 shown]
	s_and_b64 s[4:5], s[2:3], vcc
	s_mov_b64 exec, s[4:5]
	s_cbranch_execz .LBB51_128
; %bb.127:
	scratch_load_dword v0, off, off offset:132 ; 4-byte Folded Reload
	s_waitcnt vmcnt(10) lgkmcnt(0)
	v_mul_f32_e32 v232, v86, v38
	s_waitcnt vmcnt(0)
	ds_read_b32 v0, v0 offset:100
	s_waitcnt lgkmcnt(0)
	v_fma_f32 v233, -v232, v0, v87
	v_mov_b64_e32 v[0:1], v[208:209]
	v_mov_b64_e32 v[2:3], v[210:211]
	;; [unrolled: 1-line block ×13, first 2 shown]
	v_mov_b32_e32 v87, v233
	v_mov_b64_e32 v[26:27], v[234:235]
	v_mov_b64_e32 v[28:29], v[236:237]
	;; [unrolled: 1-line block ×3, first 2 shown]
.LBB51_128:
	s_or_b64 exec, exec, s[2:3]
	v_cmp_eq_u32_e32 vcc, 25, v250
	s_waitcnt lgkmcnt(0)
	s_barrier
	s_and_saveexec_b64 s[2:3], vcc
	s_cbranch_execz .LBB51_131
; %bb.129:
	s_waitcnt vmcnt(9)
	v_cmp_neq_f32_e32 vcc, 0, v87
	ds_write_b32 v252, v87
	s_and_b64 exec, exec, vcc
	s_cbranch_execz .LBB51_131
; %bb.130:
	s_waitcnt vmcnt(1)
	v_div_scale_f32 v26, s[4:5], v87, v87, 1.0
	v_rcp_f32_e32 v27, v26
	s_waitcnt vmcnt(0)
	v_div_scale_f32 v28, vcc, 1.0, v87, 1.0
	v_fma_f32 v29, -v26, v27, 1.0
	v_fmac_f32_e32 v27, v29, v27
	v_mul_f32_e32 v29, v28, v27
	v_fma_f32 v30, -v26, v29, v28
	v_fmac_f32_e32 v29, v30, v27
	v_fma_f32 v26, -v26, v29, v28
	v_div_fmas_f32 v26, v26, v27, v29
	v_div_fixup_f32 v26, v26, v87, 1.0
	ds_write_b32 v252, v26
.LBB51_131:
	s_or_b64 exec, exec, s[2:3]
	s_waitcnt lgkmcnt(0)
	s_barrier
	s_waitcnt vmcnt(0)
	ds_read_b32 v28, v252
	s_waitcnt lgkmcnt(0)
	s_barrier
	s_and_saveexec_b64 s[2:3], s[0:1]
	s_cbranch_execz .LBB51_134
; %bb.132:
	s_movk_i32 s0, 0x11d8
	scratch_load_dword v26, off, s0         ; 4-byte Folded Reload
	s_movk_i32 s0, 0x11dc
	scratch_load_dword v27, off, s0         ; 4-byte Folded Reload
	s_waitcnt vmcnt(1)
	v_cmp_eq_f32_e32 vcc, 0, v26
	s_nop 1
	v_cndmask_b32_e64 v26, 0, 1, vcc
	s_waitcnt vmcnt(0)
	v_cmp_neq_f32_e64 s[0:1], 0, v27
	s_or_b64 vcc, s[0:1], vcc
	v_cndmask_b32_e32 v26, 2, v26, vcc
	v_cmp_eq_f32_e32 vcc, 0, v146
	v_cmp_eq_u32_e64 s[0:1], 0, v26
	s_and_b64 s[0:1], vcc, s[0:1]
	v_cmp_eq_f32_e32 vcc, 0, v147
	v_cndmask_b32_e64 v26, v26, 3, s[0:1]
	v_cmp_eq_u32_e64 s[0:1], 0, v26
	s_and_b64 s[0:1], vcc, s[0:1]
	v_cmp_eq_f32_e32 vcc, 0, v148
	v_cndmask_b32_e64 v26, v26, 4, s[0:1]
	;; [unrolled: 4-line block ×3, first 2 shown]
	v_cmp_eq_u32_e64 s[0:1], 0, v26
	s_and_b64 s[0:1], vcc, s[0:1]
	v_mov_b32_e32 v27, s7
	v_cndmask_b32_e64 v29, v26, 6, s[0:1]
	s_movk_i32 s0, 0x1360
	v_mov_b32_e32 v26, s6
	scratch_load_dwordx2 v[30:31], off, s0  ; 8-byte Folded Reload
	v_cmp_eq_f32_e32 vcc, 0, v150
	v_cmp_eq_u32_e64 s[0:1], 0, v29
	s_and_b64 s[0:1], vcc, s[0:1]
	v_cmp_eq_f32_e32 vcc, 0, v151
	v_cndmask_b32_e64 v29, v29, 7, s[0:1]
	v_cmp_eq_u32_e64 s[0:1], 0, v29
	s_and_b64 s[0:1], vcc, s[0:1]
	v_cmp_eq_f32_e32 vcc, 0, v60
	v_cndmask_b32_e64 v29, v29, 8, s[0:1]
	;; [unrolled: 4-line block ×19, first 2 shown]
	v_cmp_eq_u32_e64 s[0:1], 0, v29
	s_and_b64 s[0:1], vcc, s[0:1]
	s_waitcnt vmcnt(0)
	v_lshl_add_u64 v[26:27], v[30:31], 2, v[26:27]
	global_load_dword v30, v[26:27], off
	v_cndmask_b32_e64 v29, v29, 26, s[0:1]
	v_cmp_ne_u32_e64 s[0:1], 0, v29
	s_waitcnt vmcnt(0)
	v_cmp_eq_u32_e32 vcc, 0, v30
	s_and_b64 s[0:1], vcc, s[0:1]
	s_and_b64 exec, exec, s[0:1]
	s_cbranch_execz .LBB51_134
; %bb.133:
	v_add_u32_e32 v29, s9, v29
	global_store_dword v[26:27], v29, off
.LBB51_134:
	s_or_b64 exec, exec, s[2:3]
	v_mul_f32_e32 v26, v87, v28
	v_cmp_lt_u32_e32 vcc, 25, v250
	s_movk_i32 s0, 0x1108
	s_nop 0
	v_cndmask_b32_e32 v25, v25, v26, vcc
	scratch_load_dwordx2 v[26:27], off, s0  ; 8-byte Folded Reload
	s_movk_i32 s0, 0x1110
	s_waitcnt vmcnt(0)
	global_store_dword v[26:27], v0, off
	scratch_load_dwordx2 v[26:27], off, s0  ; 8-byte Folded Reload
	s_movk_i32 s0, 0x1118
	s_waitcnt vmcnt(0)
	global_store_dword v[26:27], v1, off
	scratch_load_dwordx2 v[0:1], off, s0    ; 8-byte Folded Reload
	s_movk_i32 s0, 0x1120
	s_waitcnt vmcnt(0)
	global_store_dword v[0:1], v2, off
	scratch_load_dwordx2 v[0:1], off, s0    ; 8-byte Folded Reload
	;; [unrolled: 4-line block ×24, first 2 shown]
	s_waitcnt vmcnt(0)
	global_store_dword v[0:1], v25, off
.LBB51_135:
	s_endpgm
	.section	.rodata,"a",@progbits
	.p2align	6, 0x0
	.amdhsa_kernel _ZN9rocsolver6v33100L23getf2_npvt_small_kernelILi26EfiiPfEEvT1_T3_lS3_lPT2_S3_S3_
		.amdhsa_group_segment_fixed_size 0
		.amdhsa_private_segment_fixed_size 4968
		.amdhsa_kernarg_size 312
		.amdhsa_user_sgpr_count 2
		.amdhsa_user_sgpr_dispatch_ptr 0
		.amdhsa_user_sgpr_queue_ptr 0
		.amdhsa_user_sgpr_kernarg_segment_ptr 1
		.amdhsa_user_sgpr_dispatch_id 0
		.amdhsa_user_sgpr_kernarg_preload_length 0
		.amdhsa_user_sgpr_kernarg_preload_offset 0
		.amdhsa_user_sgpr_private_segment_size 0
		.amdhsa_uses_dynamic_stack 0
		.amdhsa_enable_private_segment 1
		.amdhsa_system_sgpr_workgroup_id_x 1
		.amdhsa_system_sgpr_workgroup_id_y 1
		.amdhsa_system_sgpr_workgroup_id_z 0
		.amdhsa_system_sgpr_workgroup_info 0
		.amdhsa_system_vgpr_workitem_id 1
		.amdhsa_next_free_vgpr 256
		.amdhsa_next_free_sgpr 16
		.amdhsa_accum_offset 256
		.amdhsa_reserve_vcc 1
		.amdhsa_float_round_mode_32 0
		.amdhsa_float_round_mode_16_64 0
		.amdhsa_float_denorm_mode_32 3
		.amdhsa_float_denorm_mode_16_64 3
		.amdhsa_dx10_clamp 1
		.amdhsa_ieee_mode 1
		.amdhsa_fp16_overflow 0
		.amdhsa_tg_split 0
		.amdhsa_exception_fp_ieee_invalid_op 0
		.amdhsa_exception_fp_denorm_src 0
		.amdhsa_exception_fp_ieee_div_zero 0
		.amdhsa_exception_fp_ieee_overflow 0
		.amdhsa_exception_fp_ieee_underflow 0
		.amdhsa_exception_fp_ieee_inexact 0
		.amdhsa_exception_int_div_zero 0
	.end_amdhsa_kernel
	.section	.text._ZN9rocsolver6v33100L23getf2_npvt_small_kernelILi26EfiiPfEEvT1_T3_lS3_lPT2_S3_S3_,"axG",@progbits,_ZN9rocsolver6v33100L23getf2_npvt_small_kernelILi26EfiiPfEEvT1_T3_lS3_lPT2_S3_S3_,comdat
.Lfunc_end51:
	.size	_ZN9rocsolver6v33100L23getf2_npvt_small_kernelILi26EfiiPfEEvT1_T3_lS3_lPT2_S3_S3_, .Lfunc_end51-_ZN9rocsolver6v33100L23getf2_npvt_small_kernelILi26EfiiPfEEvT1_T3_lS3_lPT2_S3_S3_
                                        ; -- End function
	.set _ZN9rocsolver6v33100L23getf2_npvt_small_kernelILi26EfiiPfEEvT1_T3_lS3_lPT2_S3_S3_.num_vgpr, 256
	.set _ZN9rocsolver6v33100L23getf2_npvt_small_kernelILi26EfiiPfEEvT1_T3_lS3_lPT2_S3_S3_.num_agpr, 0
	.set _ZN9rocsolver6v33100L23getf2_npvt_small_kernelILi26EfiiPfEEvT1_T3_lS3_lPT2_S3_S3_.numbered_sgpr, 16
	.set _ZN9rocsolver6v33100L23getf2_npvt_small_kernelILi26EfiiPfEEvT1_T3_lS3_lPT2_S3_S3_.num_named_barrier, 0
	.set _ZN9rocsolver6v33100L23getf2_npvt_small_kernelILi26EfiiPfEEvT1_T3_lS3_lPT2_S3_S3_.private_seg_size, 4968
	.set _ZN9rocsolver6v33100L23getf2_npvt_small_kernelILi26EfiiPfEEvT1_T3_lS3_lPT2_S3_S3_.uses_vcc, 1
	.set _ZN9rocsolver6v33100L23getf2_npvt_small_kernelILi26EfiiPfEEvT1_T3_lS3_lPT2_S3_S3_.uses_flat_scratch, 0
	.set _ZN9rocsolver6v33100L23getf2_npvt_small_kernelILi26EfiiPfEEvT1_T3_lS3_lPT2_S3_S3_.has_dyn_sized_stack, 0
	.set _ZN9rocsolver6v33100L23getf2_npvt_small_kernelILi26EfiiPfEEvT1_T3_lS3_lPT2_S3_S3_.has_recursion, 0
	.set _ZN9rocsolver6v33100L23getf2_npvt_small_kernelILi26EfiiPfEEvT1_T3_lS3_lPT2_S3_S3_.has_indirect_call, 0
	.section	.AMDGPU.csdata,"",@progbits
; Kernel info:
; codeLenInByte = 60112
; TotalNumSgprs: 22
; NumVgprs: 256
; NumAgprs: 0
; TotalNumVgprs: 256
; ScratchSize: 4968
; MemoryBound: 0
; FloatMode: 240
; IeeeMode: 1
; LDSByteSize: 0 bytes/workgroup (compile time only)
; SGPRBlocks: 2
; VGPRBlocks: 31
; NumSGPRsForWavesPerEU: 22
; NumVGPRsForWavesPerEU: 256
; AccumOffset: 256
; Occupancy: 2
; WaveLimiterHint : 0
; COMPUTE_PGM_RSRC2:SCRATCH_EN: 1
; COMPUTE_PGM_RSRC2:USER_SGPR: 2
; COMPUTE_PGM_RSRC2:TRAP_HANDLER: 0
; COMPUTE_PGM_RSRC2:TGID_X_EN: 1
; COMPUTE_PGM_RSRC2:TGID_Y_EN: 1
; COMPUTE_PGM_RSRC2:TGID_Z_EN: 0
; COMPUTE_PGM_RSRC2:TIDIG_COMP_CNT: 1
; COMPUTE_PGM_RSRC3_GFX90A:ACCUM_OFFSET: 63
; COMPUTE_PGM_RSRC3_GFX90A:TG_SPLIT: 0
	.section	.text._ZN9rocsolver6v33100L18getf2_small_kernelILi27EfiiPfEEvT1_T3_lS3_lPS3_llPT2_S3_S3_S5_l,"axG",@progbits,_ZN9rocsolver6v33100L18getf2_small_kernelILi27EfiiPfEEvT1_T3_lS3_lPS3_llPT2_S3_S3_S5_l,comdat
	.globl	_ZN9rocsolver6v33100L18getf2_small_kernelILi27EfiiPfEEvT1_T3_lS3_lPS3_llPT2_S3_S3_S5_l ; -- Begin function _ZN9rocsolver6v33100L18getf2_small_kernelILi27EfiiPfEEvT1_T3_lS3_lPS3_llPT2_S3_S3_S5_l
	.p2align	8
	.type	_ZN9rocsolver6v33100L18getf2_small_kernelILi27EfiiPfEEvT1_T3_lS3_lPS3_llPT2_S3_S3_S5_l,@function
_ZN9rocsolver6v33100L18getf2_small_kernelILi27EfiiPfEEvT1_T3_lS3_lPS3_llPT2_S3_S3_S5_l: ; @_ZN9rocsolver6v33100L18getf2_small_kernelILi27EfiiPfEEvT1_T3_lS3_lPS3_llPT2_S3_S3_S5_l
; %bb.0:
	s_load_dword s2, s[0:1], 0x6c
	s_load_dwordx2 s[14:15], s[0:1], 0x48
	v_bfe_u32 v4, v0, 10, 10
	s_waitcnt lgkmcnt(0)
	s_lshr_b32 s2, s2, 16
	s_mul_i32 s3, s3, s2
	v_add_u32_e32 v6, s3, v4
	v_cmp_gt_i32_e32 vcc, s14, v6
	s_and_saveexec_b64 s[2:3], vcc
	s_cbranch_execz .LBB52_447
; %bb.1:
	s_load_dwordx4 s[4:7], s[0:1], 0x50
	v_ashrrev_i32_e32 v7, 31, v6
	v_mov_b64_e32 v[2:3], 0
	scratch_store_dwordx2 off, v[2:3], off offset:3608 ; 8-byte Folded Spill
	s_waitcnt lgkmcnt(0)
	s_cmp_eq_u64 s[4:5], 0
	s_cselect_b64 s[16:17], -1, 0
	s_and_b64 vcc, exec, s[16:17]
	s_cbranch_vccnz .LBB52_3
; %bb.2:
	v_mul_lo_u32 v1, s7, v6
	v_mul_lo_u32 v5, s6, v7
	v_mad_u64_u32 v[2:3], s[2:3], s6, v6, 0
	v_add3_u32 v3, v3, v5, v1
	v_lshl_add_u64 v[2:3], v[2:3], 2, s[4:5]
	scratch_store_dwordx2 off, v[2:3], off offset:3608 ; 8-byte Folded Spill
.LBB52_3:
	s_load_dwordx4 s[20:23], s[0:1], 0x8
	s_load_dwordx8 s[4:11], s[0:1], 0x20
	s_load_dword s12, s[0:1], 0x18
	s_load_dword s14, s[0:1], 0x0
	s_movk_i32 s2, 0x1128
	scratch_store_dwordx2 off, v[6:7], s2   ; 8-byte Folded Spill
	s_waitcnt lgkmcnt(0)
	v_mul_lo_u32 v1, s5, v6
	v_mul_lo_u32 v5, s4, v7
	v_mad_u64_u32 v[6:7], s[2:3], s4, v6, 0
	v_mov_b32_e32 v2, s20
	v_mov_b32_e32 v3, s21
	v_add3_u32 v7, v7, v5, v1
	v_lshl_add_u64 v[2:3], v[6:7], 2, v[2:3]
	v_lshl_add_u64 v[60:61], s[22:23], 2, v[2:3]
	v_and_b32_e32 v1, 0x3ff, v0
	s_max_i32 s2, s14, 27
	s_add_i32 s22, s12, s12
	v_mul_lo_u32 v58, s2, v4
	v_add_u32_e32 v4, s22, v1
	v_add_u32_e32 v8, s12, v4
	;; [unrolled: 1-line block ×24, first 2 shown]
	v_lshlrev_b32_e32 v2, 2, v1
	v_mov_b32_e32 v3, 0
	v_ashrrev_i32_e32 v31, 31, v30
	v_add_u32_e32 v54, s12, v30
	v_lshl_add_u64 v[6:7], v[60:61], 0, v[2:3]
	v_lshl_add_u64 v[56:57], v[30:31], 2, v[60:61]
	v_ashrrev_i32_e32 v55, 31, v54
	global_load_dword v0, v[6:7], off
	v_lshl_add_u64 v[54:55], v[54:55], 2, v[60:61]
	global_load_dword v62, v[56:57], off
	global_load_dword v63, v[54:55], off
	s_ashr_i32 s13, s12, 31
	v_lshl_add_u32 v19, v58, 2, 0
	v_ashrrev_i32_e32 v9, 31, v8
	v_ashrrev_i32_e32 v13, 31, v12
	;; [unrolled: 1-line block ×3, first 2 shown]
	v_add_u32_e32 v2, v19, v2
	v_lshl_add_u64 v[8:9], v[8:9], 2, v[60:61]
	v_ashrrev_i32_e32 v11, 31, v10
	v_lshl_add_u64 v[6:7], s[12:13], 2, v[6:7]
	v_lshl_add_u64 v[12:13], v[12:13], 2, v[60:61]
	v_ashrrev_i32_e32 v15, 31, v14
	v_ashrrev_i32_e32 v17, 31, v16
	s_load_dwordx2 s[4:5], s[0:1], 0x40
	v_ashrrev_i32_e32 v23, 31, v22
	v_ashrrev_i32_e32 v27, 31, v26
	;; [unrolled: 1-line block ×5, first 2 shown]
	s_movk_i32 s0, 0x1120
	v_lshl_add_u64 v[4:5], v[4:5], 2, v[60:61]
	v_lshl_add_u64 v[10:11], v[10:11], 2, v[60:61]
	;; [unrolled: 1-line block ×4, first 2 shown]
	v_mov_b32_e32 v250, v19
	v_ashrrev_i32_e32 v19, 31, v18
	v_ashrrev_i32_e32 v21, 31, v20
	;; [unrolled: 1-line block ×12, first 2 shown]
                                        ; kill: killed $vgpr56_vgpr57
                                        ; kill: killed $vgpr16_vgpr17
	s_cmp_lt_i32 s14, 2
                                        ; kill: killed $vgpr54_vgpr55
	s_waitcnt vmcnt(0)
	scratch_store_dwordx2 off, v[62:63], off offset:8 ; 8-byte Folded Spill
	global_load_dword v31, v[6:7], off
	global_load_dword v30, v[4:5], off
	s_nop 0
	global_load_dword v63, v[8:9], off
	global_load_dword v62, v[10:11], off
	;; [unrolled: 1-line block ×5, first 2 shown]
	ds_write_b32 v2, v0
	v_lshl_add_u64 v[8:9], v[22:23], 2, v[60:61]
	v_lshl_add_u64 v[12:13], v[26:27], 2, v[60:61]
	;; [unrolled: 1-line block ×4, first 2 shown]
	scratch_store_dwordx2 off, v[60:61], s0 ; 8-byte Folded Spill
	v_lshl_add_u64 v[38:39], v[52:53], 2, v[60:61]
	v_lshl_add_u64 v[4:5], v[18:19], 2, v[60:61]
	;; [unrolled: 1-line block ×13, first 2 shown]
	global_load_dword v90, v[38:39], off
	global_load_dword v88, v[4:5], off
	global_load_dword v113, v[6:7], off
	global_load_dword v124, v[8:9], off
	global_load_dword v103, v[10:11], off
	global_load_dword v56, v[12:13], off
	global_load_dword v217, v[14:15], off
	global_load_dword v68, v[16:17], off
	global_load_dword v41, v[18:19], off
	global_load_dword v66, v[20:21], off
	global_load_dword v65, v[22:23], off
	global_load_dword v152, v[24:25], off
	global_load_dword v153, v[26:27], off
	global_load_dword v60, v[28:29], off
	global_load_dword v133, v[32:33], off
                                        ; kill: killed $vgpr26_vgpr27
                                        ; kill: killed $vgpr8_vgpr9
                                        ; kill: killed $vgpr28_vgpr29
                                        ; kill: killed $vgpr10_vgpr11
                                        ; kill: killed $vgpr32_vgpr33
                                        ; kill: killed $vgpr12_vgpr13
                                        ; kill: killed $vgpr14_vgpr15
                                        ; kill: killed $vgpr16_vgpr17
                                        ; kill: killed $vgpr38_vgpr39
                                        ; kill: killed $vgpr18_vgpr19
                                        ; kill: killed $vgpr20_vgpr21
                                        ; kill: killed $vgpr22_vgpr23
                                        ; kill: killed $vgpr4_vgpr5
                                        ; kill: killed $vgpr24_vgpr25
                                        ; kill: killed $vgpr6_vgpr7
	s_nop 0
	global_load_dword v26, v[34:35], off
	global_load_dword v61, v[36:37], off
	s_waitcnt lgkmcnt(0)
	s_barrier
	ds_read_b32 v2, v250
	v_lshlrev_b32_e32 v7, 2, v58
                                        ; kill: killed $vgpr34_vgpr35
                                        ; kill: killed $vgpr36_vgpr37
	s_cbranch_scc1 .LBB52_6
; %bb.4:
	v_add3_u32 v4, v7, 0, 4
	v_mov_b32_e32 v3, 0
	s_mov_b32 s0, 1
.LBB52_5:                               ; =>This Inner Loop Header: Depth=1
	ds_read_b32 v5, v4
	v_mov_b32_e32 v6, s0
	s_add_i32 s0, s0, 1
	v_add_u32_e32 v4, 4, v4
	s_cmp_eq_u32 s14, s0
	s_waitcnt lgkmcnt(0)
	v_cmp_lt_f32_e64 vcc, |v2|, |v5|
	s_nop 1
	v_cndmask_b32_e32 v2, v2, v5, vcc
	v_cndmask_b32_e32 v3, v3, v6, vcc
	s_cbranch_scc0 .LBB52_5
.LBB52_6:
	v_cmp_ne_u32_e32 vcc, v1, v3
	scratch_store_dword off, v7, off offset:1300 ; 4-byte Folded Spill
                                        ; implicit-def: $vgpr252
	s_and_saveexec_b64 s[0:1], vcc
	s_xor_b64 s[0:1], exec, s[0:1]
	s_cbranch_execz .LBB52_12
; %bb.7:
	v_cmp_eq_u32_e32 vcc, 0, v1
	s_and_saveexec_b64 s[2:3], vcc
	s_cbranch_execz .LBB52_11
; %bb.8:
	v_cmp_ne_u32_e32 vcc, 0, v3
	s_xor_b64 s[18:19], s[16:17], -1
	s_and_b64 s[20:21], s[18:19], vcc
	s_and_saveexec_b64 s[18:19], s[20:21]
	s_cbranch_execz .LBB52_10
; %bb.9:
	scratch_load_dwordx2 v[8:9], off, off offset:3608 ; 8-byte Folded Reload
	v_ashrrev_i32_e32 v5, 31, v3
	v_mov_b32_e32 v4, v3
	s_waitcnt vmcnt(0)
	v_lshl_add_u64 v[4:5], v[4:5], 2, v[8:9]
	global_load_dword v1, v[4:5], off
	global_load_dword v6, v[8:9], off
	s_waitcnt vmcnt(1)
	global_store_dword v[8:9], v1, off
	s_waitcnt vmcnt(1)
	global_store_dword v[4:5], v6, off
.LBB52_10:
	s_or_b64 exec, exec, s[18:19]
	v_mov_b32_e32 v1, v3
.LBB52_11:
	s_or_b64 exec, exec, s[2:3]
	v_mov_b32_e32 v252, v1
                                        ; implicit-def: $vgpr1
.LBB52_12:
	s_or_saveexec_b64 s[0:1], s[0:1]
	scratch_store_dword off, v252, off offset:1296 ; 4-byte Folded Spill
	s_xor_b64 exec, exec, s[0:1]
	s_cbranch_execz .LBB52_14
; %bb.13:
	s_waitcnt vmcnt(25)
	ds_write2_b32 v250, v31, v30 offset0:1 offset1:2
	s_waitcnt vmcnt(23)
	ds_write2_b32 v250, v63, v62 offset0:3 offset1:4
	;; [unrolled: 2-line block ×12, first 2 shown]
	scratch_load_dwordx2 v[4:5], off, off offset:8 ; 8-byte Folded Reload
	v_mov_b32_e32 v252, 0
	scratch_store_dword off, v1, off offset:1296 ; 4-byte Folded Spill
	s_waitcnt vmcnt(1)
	ds_write2_b32 v250, v4, v5 offset0:25 offset1:26
.LBB52_14:
	s_or_b64 exec, exec, s[0:1]
	s_waitcnt lgkmcnt(0)
	v_cmp_eq_f32_e64 s[0:1], 0, v2
	v_cmp_gt_i32_e32 vcc, 1, v252
	s_barrier
	s_and_saveexec_b64 s[2:3], vcc
	s_xor_b64 s[2:3], exec, s[2:3]
; %bb.15:
                                        ; implicit-def: $vgpr2
; %bb.16:
	s_or_saveexec_b64 s[2:3], s[2:3]
	scratch_store_dword off, v250, off offset:4 ; 4-byte Folded Spill
	s_xor_b64 exec, exec, s[2:3]
	s_cbranch_execz .LBB52_18
; %bb.17:
	v_div_scale_f32 v1, s[18:19], v2, v2, 1.0
	v_rcp_f32_e32 v3, v1
	s_waitcnt vmcnt(26)
	v_mov_b32_e32 v5, v30
	v_mov_b32_e32 v4, v31
	s_waitcnt vmcnt(25)
	v_mov_b32_e32 v6, v63
	v_fma_f32 v28, -v1, v3, 1.0
	v_fmac_f32_e32 v3, v28, v3
	v_div_scale_f32 v28, vcc, 1.0, v2, 1.0
	v_mul_f32_e32 v29, v28, v3
	v_fma_f32 v30, -v1, v29, v28
	v_fmac_f32_e32 v29, v30, v3
	v_fma_f32 v1, -v1, v29, v28
	v_div_fmas_f32 v1, v1, v3, v29
	v_div_fixup_f32 v1, v1, v2, 1.0
	v_cndmask_b32_e64 v1, v1, v2, s[0:1]
	ds_read2_b32 v[2:3], v250 offset0:1 offset1:2
	ds_read2_b32 v[28:29], v250 offset0:3 offset1:4
	scratch_load_dword v30, off, off offset:4 ; 4-byte Folded Reload
	scratch_load_dword v250, off, off offset:4 ; 4-byte Folded Reload
	v_mul_f32_e32 v0, v0, v1
	scratch_load_dword v1, off, off offset:4 ; 4-byte Folded Reload
	s_waitcnt vmcnt(27)
	v_mov_b32_e32 v7, v62
	s_waitcnt vmcnt(26)
	v_mov_b32_e32 v8, v59
	;; [unrolled: 2-line block ×20, first 2 shown]
	v_mov_b32_e32 v27, v90
	s_waitcnt vmcnt(2)
	ds_read2_b32 v[30:31], v30 offset0:5 offset1:6
	s_waitcnt vmcnt(0)
	ds_read2_b32 v[32:33], v1 offset0:7 offset1:8
	s_waitcnt lgkmcnt(3)
	v_pk_fma_f32 v[2:3], v[0:1], v[2:3], v[4:5] op_sel_hi:[0,1,1] neg_lo:[1,0,0] neg_hi:[1,0,0]
	s_waitcnt lgkmcnt(2)
	v_pk_fma_f32 v[4:5], v[0:1], v[28:29], v[6:7] op_sel_hi:[0,1,1] neg_lo:[1,0,0] neg_hi:[1,0,0]
	;; [unrolled: 2-line block ×3, first 2 shown]
	scratch_load_dword v1, off, off offset:4 ; 4-byte Folded Reload
	v_mov_b32_e32 v63, v4
	v_mov_b32_e32 v62, v5
	;; [unrolled: 1-line block ×4, first 2 shown]
	s_waitcnt vmcnt(0)
	ds_read2_b32 v[8:9], v1 offset0:9 offset1:10
	scratch_load_dword v1, off, off offset:4 ; 4-byte Folded Reload
	s_waitcnt vmcnt(0)
	ds_read2_b32 v[28:29], v1 offset0:11 offset1:12
	scratch_load_dword v1, off, off offset:4 ; 4-byte Folded Reload
	;; [unrolled: 3-line block ×3, first 2 shown]
	s_waitcnt vmcnt(0)
	ds_read2_b32 v[34:35], v1 offset0:15 offset1:16
	s_waitcnt lgkmcnt(4)
	v_pk_fma_f32 v[10:11], v[0:1], v[32:33], v[10:11] op_sel_hi:[0,1,1] neg_lo:[1,0,0] neg_hi:[1,0,0]
	s_waitcnt lgkmcnt(3)
	v_pk_fma_f32 v[8:9], v[0:1], v[8:9], v[12:13] op_sel_hi:[0,1,1] neg_lo:[1,0,0] neg_hi:[1,0,0]
	;; [unrolled: 2-line block ×5, first 2 shown]
	scratch_load_dword v1, off, off offset:4 ; 4-byte Folded Reload
	v_mov_b32_e32 v203, v10
	v_mov_b32_e32 v88, v11
	;; [unrolled: 1-line block ×10, first 2 shown]
	s_waitcnt vmcnt(0)
	ds_read2_b32 v[18:19], v1 offset0:17 offset1:18
	scratch_load_dword v1, off, off offset:4 ; 4-byte Folded Reload
	s_waitcnt vmcnt(0)
	ds_read2_b32 v[28:29], v1 offset0:19 offset1:20
	scratch_load_dword v1, off, off offset:4 ; 4-byte Folded Reload
	s_waitcnt vmcnt(0)
	ds_read2_b32 v[30:31], v1 offset0:21 offset1:22
	scratch_load_dword v1, off, off offset:4 ; 4-byte Folded Reload
	s_waitcnt vmcnt(0)
	ds_read2_b32 v[32:33], v1 offset0:23 offset1:24
	scratch_load_dword v1, off, off offset:4 ; 4-byte Folded Reload
	s_waitcnt vmcnt(0) lgkmcnt(3)
	v_pk_fma_f32 v[18:19], v[0:1], v[18:19], v[20:21] op_sel_hi:[0,1,1] neg_lo:[1,0,0] neg_hi:[1,0,0]
	s_waitcnt lgkmcnt(2)
	v_pk_fma_f32 v[20:21], v[0:1], v[28:29], v[22:23] op_sel_hi:[0,1,1] neg_lo:[1,0,0] neg_hi:[1,0,0]
	s_waitcnt lgkmcnt(1)
	;; [unrolled: 2-line block ×3, first 2 shown]
	v_pk_fma_f32 v[24:25], v[0:1], v[32:33], v[26:27] op_sel_hi:[0,1,1] neg_lo:[1,0,0] neg_hi:[1,0,0]
	scratch_load_dwordx2 v[26:27], off, off offset:8 ; 8-byte Folded Reload
	ds_read2_b32 v[34:35], v1 offset0:25 offset1:26
	v_mov_b32_e32 v31, v2
	v_mov_b32_e32 v30, v3
	;; [unrolled: 1-line block ×9, first 2 shown]
	s_waitcnt vmcnt(0) lgkmcnt(0)
	v_pk_fma_f32 v[26:27], v[0:1], v[34:35], v[26:27] op_sel_hi:[0,1,1] neg_lo:[1,0,0] neg_hi:[1,0,0]
	scratch_store_dwordx2 off, v[26:27], off offset:8 ; 8-byte Folded Spill
	v_mov_b32_e32 v26, v23
.LBB52_18:
	s_or_b64 exec, exec, s[2:3]
	v_lshl_add_u32 v1, v252, 2, v250
	s_barrier
	s_waitcnt vmcnt(27)
	ds_write_b32 v1, v31
	s_waitcnt lgkmcnt(0)
	s_barrier
	ds_read_b32 v251, v250 offset:4
	s_mov_b32 s2, 2
	s_cmp_lt_i32 s14, 3
	v_mov_b32_e32 v2, 1
	s_cbranch_scc1 .LBB52_21
; %bb.19:
	scratch_load_dword v1, off, off offset:1300 ; 4-byte Folded Reload
	v_mov_b32_e32 v2, 1
	s_waitcnt vmcnt(0)
	v_add3_u32 v1, v1, 0, 8
.LBB52_20:                              ; =>This Inner Loop Header: Depth=1
	ds_read_b32 v3, v1
	v_mov_b32_e32 v4, s2
	s_add_i32 s2, s2, 1
	v_add_u32_e32 v1, 4, v1
	s_cmp_lg_u32 s14, s2
	s_waitcnt lgkmcnt(0)
	v_cmp_lt_f32_e64 vcc, |v251|, |v3|
	s_nop 1
	v_cndmask_b32_e32 v251, v251, v3, vcc
	v_cndmask_b32_e32 v2, v2, v4, vcc
	s_cbranch_scc1 .LBB52_20
.LBB52_21:
	v_cmp_ne_u32_e32 vcc, v252, v2
	s_and_saveexec_b64 s[2:3], vcc
	s_xor_b64 s[2:3], exec, s[2:3]
	s_cbranch_execz .LBB52_27
; %bb.22:
	v_cmp_eq_u32_e32 vcc, 1, v252
	s_and_saveexec_b64 s[18:19], vcc
	s_cbranch_execz .LBB52_26
; %bb.23:
	v_cmp_ne_u32_e32 vcc, 1, v2
	s_xor_b64 s[20:21], s[16:17], -1
	s_and_b64 s[24:25], s[20:21], vcc
	s_and_saveexec_b64 s[20:21], s[24:25]
	s_cbranch_execz .LBB52_25
; %bb.24:
	scratch_load_dwordx2 v[6:7], off, off offset:3608 ; 8-byte Folded Reload
	v_ashrrev_i32_e32 v3, 31, v2
	s_waitcnt vmcnt(0)
	v_lshl_add_u64 v[4:5], v[2:3], 2, v[6:7]
	global_load_dword v1, v[4:5], off
	global_load_dword v3, v[6:7], off offset:4
	s_waitcnt vmcnt(1)
	global_store_dword v[6:7], v1, off offset:4
	s_waitcnt vmcnt(1)
	global_store_dword v[4:5], v3, off
.LBB52_25:
	s_or_b64 exec, exec, s[20:21]
	v_mov_b32_e32 v1, v2
	v_mov_b32_e32 v252, v2
	scratch_store_dword off, v1, off offset:1296 ; 4-byte Folded Spill
.LBB52_26:
	s_or_b64 exec, exec, s[18:19]
.LBB52_27:
	s_or_saveexec_b64 s[2:3], s[2:3]
	s_waitcnt vmcnt(12)
	v_mov_b32_e32 v14, v68
	s_waitcnt vmcnt(11)
	v_mov_b32_e32 v15, v41
	v_mov_b32_e32 v1, v31
	;; [unrolled: 1-line block ×19, first 2 shown]
	s_waitcnt vmcnt(10)
	v_mov_b32_e32 v16, v66
	s_waitcnt vmcnt(9)
	v_mov_b32_e32 v17, v65
	v_mov_b64_e32 v[52:53], v[14:15]
	s_waitcnt vmcnt(5)
	v_mov_b32_e32 v23, v133
	v_mov_b64_e32 v[50:51], v[12:13]
	v_mov_b64_e32 v[48:49], v[10:11]
	;; [unrolled: 1-line block ×8, first 2 shown]
	scratch_store_dwordx4 off, v[2:5], off offset:528 ; 16-byte Folded Spill
	s_nop 0
	scratch_store_dwordx4 off, v[6:9], off offset:544 ; 16-byte Folded Spill
	scratch_store_dwordx4 off, v[10:13], off offset:560 ; 16-byte Folded Spill
	;; [unrolled: 1-line block ×5, first 2 shown]
	s_waitcnt vmcnt(10)
	scratch_store_dwordx4 off, v[26:29], off offset:624 ; 16-byte Folded Spill
	scratch_store_dwordx4 off, v[30:33], off offset:640 ; 16-byte Folded Spill
	scratch_load_dwordx2 v[28:29], off, off offset:8 ; 8-byte Folded Reload
	v_mov_b32_e32 v56, v152
	v_mov_b32_e32 v128, v152
	;; [unrolled: 1-line block ×6, first 2 shown]
	s_waitcnt vmcnt(12)
	v_mov_b32_e32 v135, v61
	v_mov_b32_e32 v62, v90
	;; [unrolled: 1-line block ×3, first 2 shown]
	s_waitcnt vmcnt(0)
	v_mov_b32_e32 v63, v28
	v_mov_b32_e32 v64, v29
	s_xor_b64 exec, exec, s[2:3]
	s_cbranch_execz .LBB52_29
; %bb.28:
	ds_write2_b32 v250, v18, v19 offset0:2 offset1:3
	ds_write2_b32 v250, v32, v21 offset0:4 offset1:5
	;; [unrolled: 1-line block ×9, first 2 shown]
	scratch_load_dwordx4 v[154:157], off, off offset:528 ; 16-byte Folded Reload
	scratch_load_dwordx4 v[158:161], off, off offset:544 ; 16-byte Folded Reload
	;; [unrolled: 1-line block ×8, first 2 shown]
	v_mov_b32_e32 v252, 1
	s_waitcnt vmcnt(2)
	ds_write2_b32 v250, v194, v175 offset0:20 offset1:21
	ds_write2_b32 v250, v26, v135 offset0:22 offset1:23
	scratch_load_dwordx2 v[28:29], off, off offset:8 ; 8-byte Folded Reload
	s_waitcnt vmcnt(0)
	ds_write2_b32 v250, v90, v28 offset0:24 offset1:25
	ds_write_b32 v250, v29 offset:104
.LBB52_29:
	s_or_b64 exec, exec, s[2:3]
	v_mov_b32_e32 v34, v68
	v_mov_b32_e32 v78, v64
	;; [unrolled: 1-line block ×16, first 2 shown]
	v_mov_b64_e32 v[66:67], v[52:53]
	v_mov_b32_e32 v3, v19
	v_mov_b32_e32 v2, v18
	v_mov_b64_e32 v[14:15], v[10:11]
	v_mov_b64_e32 v[64:65], v[50:51]
	;; [unrolled: 1-line block ×8, first 2 shown]
	v_mov_b32_e32 v150, v34
	v_mov_b32_e32 v146, v124
	;; [unrolled: 1-line block ×27, first 2 shown]
	v_mov_b64_e32 v[162:163], v[146:147]
	v_mov_b32_e32 v166, v150
	v_mov_b64_e32 v[12:13], v[2:3]
	v_mov_b32_e32 v16, v38
	v_mov_b32_e32 v17, v31
	;; [unrolled: 1-line block ×11, first 2 shown]
	v_mov_b64_e32 v[160:161], v[144:145]
	v_mov_b64_e32 v[158:159], v[142:143]
	;; [unrolled: 1-line block ×5, first 2 shown]
	v_mov_b32_e32 v165, v149
	v_mov_b32_e32 v164, v148
	v_mov_b64_e32 v[10:11], v[0:1]
	v_mov_b32_e32 v148, v50
	v_mov_b32_e32 v150, v166
	;; [unrolled: 1-line block ×38, first 2 shown]
	scratch_store_dwordx4 off, v[4:7], off offset:3480 ; 16-byte Folded Spill
	s_nop 0
	scratch_store_dwordx4 off, v[8:11], off offset:3496 ; 16-byte Folded Spill
	scratch_store_dwordx4 off, v[12:15], off offset:3512 ; 16-byte Folded Spill
	scratch_store_dwordx4 off, v[16:19], off offset:3528 ; 16-byte Folded Spill
	scratch_store_dwordx4 off, v[20:23], off offset:3544 ; 16-byte Folded Spill
	scratch_store_dwordx4 off, v[24:27], off offset:3560 ; 16-byte Folded Spill
	scratch_store_dwordx4 off, v[28:31], off offset:3576 ; 16-byte Folded Spill
	scratch_store_dwordx4 off, v[32:35], off offset:3592 ; 16-byte Folded Spill
	scratch_store_dwordx4 off, v[136:139], off offset:3096 ; 16-byte Folded Spill
	s_nop 0
	scratch_store_dwordx4 off, v[140:143], off offset:3112 ; 16-byte Folded Spill
	scratch_store_dwordx4 off, v[144:147], off offset:3128 ; 16-byte Folded Spill
	scratch_store_dwordx4 off, v[148:151], off offset:3144 ; 16-byte Folded Spill
	scratch_store_dwordx4 off, v[152:155], off offset:3160 ; 16-byte Folded Spill
	scratch_store_dwordx4 off, v[156:159], off offset:3176 ; 16-byte Folded Spill
	scratch_store_dwordx4 off, v[160:163], off offset:3192 ; 16-byte Folded Spill
	scratch_store_dwordx4 off, v[164:167], off offset:3208 ; 16-byte Folded Spill
	;; [unrolled: 9-line block ×3, first 2 shown]
	v_mov_b32_e32 v80, v38
	v_mov_b32_e32 v86, v192
	;; [unrolled: 1-line block ×11, first 2 shown]
	v_mov_b64_e32 v[146:147], v[102:103]
	v_mov_b32_e32 v112, v88
	v_mov_b32_e32 v122, v88
	;; [unrolled: 1-line block ×6, first 2 shown]
	v_mov_b64_e32 v[144:145], v[100:101]
	v_mov_b64_e32 v[142:143], v[98:99]
	;; [unrolled: 1-line block ×5, first 2 shown]
	scratch_store_dwordx4 off, v[80:83], off offset:2200 ; 16-byte Folded Spill
	s_nop 0
	scratch_store_dwordx4 off, v[84:87], off offset:2216 ; 16-byte Folded Spill
	scratch_store_dwordx4 off, v[88:91], off offset:2232 ; 16-byte Folded Spill
	scratch_store_dwordx4 off, v[92:95], off offset:2248 ; 16-byte Folded Spill
	scratch_store_dwordx4 off, v[96:99], off offset:2264 ; 16-byte Folded Spill
	scratch_store_dwordx4 off, v[100:103], off offset:2280 ; 16-byte Folded Spill
	scratch_store_dwordx4 off, v[104:107], off offset:2296 ; 16-byte Folded Spill
	scratch_store_dwordx4 off, v[108:111], off offset:2312 ; 16-byte Folded Spill
	scratch_store_dwordx4 off, v[66:69], off offset:656 ; 16-byte Folded Spill
	s_nop 0
	scratch_store_dwordx4 off, v[70:73], off offset:672 ; 16-byte Folded Spill
	scratch_store_dwordx4 off, v[74:77], off offset:688 ; 16-byte Folded Spill
	scratch_store_dwordx4 off, v[78:81], off offset:704 ; 16-byte Folded Spill
	scratch_store_dwordx4 off, v[82:85], off offset:720 ; 16-byte Folded Spill
	scratch_store_dwordx4 off, v[86:89], off offset:736 ; 16-byte Folded Spill
	scratch_store_dwordx4 off, v[90:93], off offset:752 ; 16-byte Folded Spill
	scratch_store_dwordx4 off, v[94:97], off offset:768 ; 16-byte Folded Spill
	;; [unrolled: 9-line block ×3, first 2 shown]
	v_mov_b64_e32 v[172:173], v[112:113]
	v_mov_b32_e32 v114, v38
	v_mov_b32_e32 v123, v113
	;; [unrolled: 1-line block ×4, first 2 shown]
	v_mov_b64_e32 v[170:171], v[110:111]
	v_mov_b64_e32 v[168:169], v[108:109]
	;; [unrolled: 1-line block ×4, first 2 shown]
	v_mov_b32_e32 v120, v192
	v_mov_b32_e32 v121, v203
	;; [unrolled: 1-line block ×21, first 2 shown]
	s_movk_i32 s2, 0xfa0
	s_movk_i32 s18, 0x1130
	v_cmp_lt_i32_e32 vcc, 1, v252
	v_mov_b32_e32 v226, v88
	v_mov_b64_e32 v[82:83], v[104:105]
	v_mov_b64_e32 v[84:85], v[106:107]
	;; [unrolled: 1-line block ×5, first 2 shown]
	scratch_store_dwordx4 off, v[82:85], off offset:2072 ; 16-byte Folded Spill
	s_nop 0
	scratch_store_dwordx4 off, v[86:89], off offset:2088 ; 16-byte Folded Spill
	scratch_store_dwordx4 off, v[90:93], off offset:2104 ; 16-byte Folded Spill
	;; [unrolled: 1-line block ×7, first 2 shown]
	v_mov_b32_e32 v80, v114
	scratch_store_dwordx4 off, v[136:139], off offset:16 ; 16-byte Folded Spill
	s_nop 0
	scratch_store_dwordx4 off, v[140:143], off offset:32 ; 16-byte Folded Spill
	scratch_store_dwordx4 off, v[144:147], off offset:48 ; 16-byte Folded Spill
	;; [unrolled: 1-line block ×7, first 2 shown]
	v_mov_b32_e32 v81, v115
	v_mov_b32_e32 v82, v116
	;; [unrolled: 1-line block ×10, first 2 shown]
	scratch_load_dwordx4 v[92:95], off, off offset:1688 ; 16-byte Folded Reload
	scratch_load_dwordx4 v[96:99], off, off offset:1704 ; 16-byte Folded Reload
	;; [unrolled: 1-line block ×8, first 2 shown]
	v_mov_b64_e32 v[166:167], v[66:67]
	v_mov_b64_e32 v[34:35], v[14:15]
	;; [unrolled: 1-line block ×9, first 2 shown]
	scratch_store_dwordx4 off, v[34:37], off offset:2584 ; 16-byte Folded Spill
	s_nop 0
	scratch_store_dwordx4 off, v[38:41], off offset:2600 ; 16-byte Folded Spill
	scratch_store_dwordx4 off, v[42:45], off offset:2616 ; 16-byte Folded Spill
	;; [unrolled: 1-line block ×7, first 2 shown]
	v_mov_b32_e32 v4, v16
	v_mov_b32_e32 v5, v17
	;; [unrolled: 1-line block ×3, first 2 shown]
	s_waitcnt vmcnt(11)
	v_mov_b32_e32 v108, v24
	v_mov_b32_e32 v17, v23
	v_mov_b64_e32 v[24:25], v[12:13]
	v_mov_b32_e32 v219, v15
	v_mov_b64_e32 v[22:23], v[10:11]
	v_mov_b32_e32 v220, v6
	v_mov_b32_e32 v221, v13
	;; [unrolled: 1-line block ×35, first 2 shown]
	s_waitcnt vmcnt(8)
	v_mov_b32_e32 v123, v217
	v_mov_b32_e32 v116, v192
	;; [unrolled: 1-line block ×14, first 2 shown]
	v_mov_b64_e32 v[92:93], v[218:219]
	v_mov_b64_e32 v[94:95], v[220:221]
	v_mov_b64_e32 v[96:97], v[222:223]
	v_mov_b64_e32 v[98:99], v[224:225]
	v_mov_b64_e32 v[100:101], v[226:227]
	v_mov_b64_e32 v[102:103], v[228:229]
	v_mov_b32_e32 v1, v35
	scratch_store_dwordx4 off, v[22:25], off offset:1944 ; 16-byte Folded Spill
	s_nop 0
	scratch_store_dwordx4 off, v[26:29], off offset:1960 ; 16-byte Folded Spill
	scratch_store_dwordx4 off, v[30:33], off offset:1976 ; 16-byte Folded Spill
	;; [unrolled: 1-line block ×7, first 2 shown]
	v_mov_b64_e32 v[104:105], v[230:231]
	v_mov_b64_e32 v[106:107], v[232:233]
	scratch_load_dwordx4 v[218:221], off, off offset:3480 ; 16-byte Folded Reload
	scratch_load_dwordx4 v[222:225], off, off offset:3496 ; 16-byte Folded Reload
	;; [unrolled: 1-line block ×8, first 2 shown]
	v_mov_b64_e32 v[80:81], v[48:49]
	v_mov_b64_e32 v[78:79], v[46:47]
	;; [unrolled: 1-line block ×4, first 2 shown]
	s_waitcnt vmcnt(6)
	v_mov_b64_e32 v[110:111], v[218:219]
	v_mov_b64_e32 v[112:113], v[220:221]
	;; [unrolled: 1-line block ×3, first 2 shown]
	scratch_load_dwordx4 v[218:221], off, off offset:2200 ; 16-byte Folded Reload
	scratch_load_dwordx4 v[222:225], off, off offset:2216 ; 16-byte Folded Reload
	;; [unrolled: 1-line block ×8, first 2 shown]
	v_mov_b64_e32 v[72:73], v[40:41]
	v_mov_b64_e32 v[70:71], v[38:39]
	v_mov_b32_e32 v82, v50
	v_mov_b32_e32 v12, v50
	scratch_load_dwordx4 v[36:39], off, off offset:1688 ; 16-byte Folded Reload
	scratch_load_dwordx4 v[40:43], off, off offset:1704 ; 16-byte Folded Reload
	scratch_load_dwordx4 v[44:47], off, off offset:1720 ; 16-byte Folded Reload
	scratch_load_dwordx4 v[48:51], off, off offset:1736 ; 16-byte Folded Reload
	scratch_load_dwordx4 v[52:55], off, off offset:1752 ; 16-byte Folded Reload
	scratch_load_dwordx4 v[56:59], off, off offset:1768 ; 16-byte Folded Reload
	scratch_load_dwordx4 v[60:63], off, off offset:1784 ; 16-byte Folded Reload
	scratch_load_dwordx4 v[64:67], off, off offset:1800 ; 16-byte Folded Reload
	v_mov_b32_e32 v111, v35
	v_mov_b32_e32 v3, v25
	;; [unrolled: 1-line block ×4, first 2 shown]
	s_waitcnt vmcnt(11)
	v_mov_b64_e32 v[234:235], v[16:17]
	v_mov_b32_e32 v122, v82
	v_mov_b32_e32 v110, v152
	;; [unrolled: 1-line block ×20, first 2 shown]
	s_waitcnt vmcnt(4)
	v_mov_b32_e32 v14, v50
	scratch_load_dwordx4 v[34:37], off, off offset:2200 ; 16-byte Folded Reload
	scratch_load_dwordx4 v[38:41], off, off offset:2216 ; 16-byte Folded Reload
	;; [unrolled: 1-line block ×8, first 2 shown]
	v_mov_b64_e32 v[232:233], v[14:15]
	v_mov_b64_e32 v[230:231], v[12:13]
	;; [unrolled: 1-line block ×16, first 2 shown]
	v_mov_b32_e32 v174, v0
	s_waitcnt vmcnt(5)
	v_mov_b32_e32 v118, v42
	scratch_load_dwordx4 v[34:37], off, off offset:2072 ; 16-byte Folded Reload
	scratch_load_dwordx4 v[38:41], off, off offset:2088 ; 16-byte Folded Reload
	;; [unrolled: 1-line block ×8, first 2 shown]
	s_waitcnt vmcnt(5)
	v_mov_b32_e32 v119, v43
	scratch_load_dwordx4 v[34:37], off, off offset:16 ; 16-byte Folded Reload
	scratch_load_dwordx4 v[38:41], off, off offset:32 ; 16-byte Folded Reload
	;; [unrolled: 1-line block ×8, first 2 shown]
	s_nop 0
	scratch_store_dwordx4 off, v[70:73], off offset:2328 ; 16-byte Folded Spill
	s_nop 0
	scratch_store_dwordx4 off, v[74:77], off offset:2344 ; 16-byte Folded Spill
	scratch_store_dwordx4 off, v[78:81], off offset:2360 ; 16-byte Folded Spill
	;; [unrolled: 1-line block ×8, first 2 shown]
	s_nop 0
	scratch_store_dwordx4 off, v[208:211], off offset:2472 ; 16-byte Folded Spill
	scratch_store_dwordx4 off, v[212:215], off offset:2488 ; 16-byte Folded Spill
	;; [unrolled: 1-line block ×7, first 2 shown]
	v_mov_b32_e32 v212, v192
	v_mov_b32_e32 v211, v191
	;; [unrolled: 1-line block ×9, first 2 shown]
	s_waitcnt vmcnt(21)
	v_mov_b32_e32 v121, v45
	scratch_load_dwordx4 v[34:37], off, off offset:1688 ; 16-byte Folded Reload
	scratch_load_dwordx4 v[38:41], off, off offset:1704 ; 16-byte Folded Reload
	;; [unrolled: 1-line block ×8, first 2 shown]
	v_mov_b32_e32 v127, v235
	v_mov_b32_e32 v191, v235
	s_waitcnt vmcnt(4)
	v_mov_b32_e32 v124, v48
	scratch_store_dwordx4 off, v[110:113], off offset:2968 ; 16-byte Folded Spill
	s_nop 0
	scratch_store_dwordx4 off, v[114:117], off offset:2984 ; 16-byte Folded Spill
	scratch_store_dwordx4 off, v[118:121], off offset:3000 ; 16-byte Folded Spill
	scratch_store_dwordx4 off, v[122:125], off offset:3016 ; 16-byte Folded Spill
	scratch_store_dwordx4 off, v[126:129], off offset:3032 ; 16-byte Folded Spill
	scratch_store_dwordx4 off, v[130:133], off offset:3048 ; 16-byte Folded Spill
	scratch_store_dwordx4 off, v[134:137], off offset:3064 ; 16-byte Folded Spill
	scratch_store_dwordx4 off, v[138:141], off offset:3080 ; 16-byte Folded Spill
	scratch_load_dwordx4 v[58:61], off, off offset:2584 ; 16-byte Folded Reload
	scratch_load_dwordx4 v[62:65], off, off offset:2600 ; 16-byte Folded Reload
	;; [unrolled: 1-line block ×8, first 2 shown]
	v_mov_b32_e32 v172, v146
	s_waitcnt vmcnt(7)
	v_mov_b32_e32 v175, v59
	scratch_load_dwordx4 v[34:37], off, off offset:1944 ; 16-byte Folded Reload
	scratch_load_dwordx4 v[38:41], off, off offset:1960 ; 16-byte Folded Reload
	;; [unrolled: 1-line block ×24, first 2 shown]
	s_waitcnt vmcnt(11)
	v_mov_b64_e32 v[50:51], v[196:197]
	v_mov_b64_e32 v[52:53], v[198:199]
	v_mov_b64_e32 v[54:55], v[200:201]
	v_mov_b64_e32 v[56:57], v[202:203]
	v_mov_b32_e32 v36, v32
	v_mov_b32_e32 v35, v31
	;; [unrolled: 1-line block ×17, first 2 shown]
	s_waitcnt vmcnt(5)
	v_mov_b32_e32 v134, v66
	v_mov_b32_e32 v133, v65
	;; [unrolled: 1-line block ×9, first 2 shown]
	scratch_load_dwordx4 v[58:61], off, off offset:2072 ; 16-byte Folded Reload
	scratch_load_dwordx4 v[62:65], off, off offset:2088 ; 16-byte Folded Reload
	;; [unrolled: 1-line block ×8, first 2 shown]
	v_mov_b32_e32 v182, v134
	s_waitcnt vmcnt(5)
	v_mov_b64_e32 v[160:161], v[66:67]
	v_mov_b64_e32 v[158:159], v[64:65]
	;; [unrolled: 1-line block ×5, first 2 shown]
	scratch_load_dwordx4 v[58:61], off, off offset:16 ; 16-byte Folded Reload
	scratch_load_dwordx4 v[62:65], off, off offset:32 ; 16-byte Folded Reload
	;; [unrolled: 1-line block ×8, first 2 shown]
	v_mov_b32_e32 v183, v161
	v_mov_b32_e32 v160, v150
	;; [unrolled: 1-line block ×4, first 2 shown]
	s_waitcnt vmcnt(5)
	v_mov_b32_e32 v185, v69
	scratch_load_dwordx4 v[58:61], off, off offset:2328 ; 16-byte Folded Reload
	scratch_load_dwordx4 v[62:65], off, off offset:2344 ; 16-byte Folded Reload
	scratch_load_dwordx4 v[66:69], off, off offset:2360 ; 16-byte Folded Reload
	scratch_load_dwordx4 v[70:73], off, off offset:2376 ; 16-byte Folded Reload
	scratch_load_dwordx4 v[74:77], off, off offset:2392 ; 16-byte Folded Reload
	scratch_load_dwordx4 v[78:81], off, off offset:2408 ; 16-byte Folded Reload
	scratch_load_dwordx4 v[82:85], off, off offset:2424 ; 16-byte Folded Reload
	scratch_load_dwordx4 v[86:89], off, off offset:2440 ; 16-byte Folded Reload
	s_waitcnt vmcnt(4)
	v_mov_b32_e32 v186, v70
	scratch_load_dwordx4 v[58:61], off, off offset:2456 ; 16-byte Folded Reload
	scratch_load_dwordx4 v[62:65], off, off offset:2472 ; 16-byte Folded Reload
	scratch_load_dwordx4 v[66:69], off, off offset:2488 ; 16-byte Folded Reload
	scratch_load_dwordx4 v[70:73], off, off offset:2504 ; 16-byte Folded Reload
	scratch_load_dwordx4 v[74:77], off, off offset:2520 ; 16-byte Folded Reload
	scratch_load_dwordx4 v[78:81], off, off offset:2536 ; 16-byte Folded Reload
	scratch_load_dwordx4 v[82:85], off, off offset:2552 ; 16-byte Folded Reload
	scratch_load_dwordx4 v[86:89], off, off offset:2568 ; 16-byte Folded Reload
	;; [unrolled: 10-line block ×3, first 2 shown]
	s_nop 0
	scratch_store_dwordx4 off, v[92:95], off offset:272 ; 16-byte Folded Spill
	s_nop 0
	scratch_store_dwordx4 off, v[96:99], off offset:288 ; 16-byte Folded Spill
	scratch_store_dwordx4 off, v[100:103], off offset:304 ; 16-byte Folded Spill
	;; [unrolled: 1-line block ×7, first 2 shown]
	scratch_load_dwordx4 v[82:85], off, off offset:2968 ; 16-byte Folded Reload
	s_nop 0
	scratch_load_dwordx4 v[86:89], off, off offset:2984 ; 16-byte Folded Reload
	scratch_load_dwordx4 v[90:93], off, off offset:3000 ; 16-byte Folded Reload
	scratch_load_dwordx4 v[94:97], off, off offset:3016 ; 16-byte Folded Reload
	scratch_load_dwordx4 v[98:101], off, off offset:3032 ; 16-byte Folded Reload
	scratch_load_dwordx4 v[102:105], off, off offset:3048 ; 16-byte Folded Reload
	scratch_load_dwordx4 v[106:109], off, off offset:3064 ; 16-byte Folded Reload
	scratch_load_dwordx4 v[110:113], off, off offset:3080 ; 16-byte Folded Reload
	s_waitcnt vmcnt(18)
	v_mov_b32_e32 v80, v72
	v_mov_b32_e32 v188, v80
	;; [unrolled: 1-line block ×3, first 2 shown]
	s_waitcnt vmcnt(3)
	v_mov_b32_e32 v192, v100
	scratch_store_dwordx4 off, v[174:177], off offset:400 ; 16-byte Folded Spill
	s_nop 0
	scratch_store_dwordx4 off, v[178:181], off offset:416 ; 16-byte Folded Spill
	scratch_store_dwordx4 off, v[182:185], off offset:432 ; 16-byte Folded Spill
	;; [unrolled: 1-line block ×7, first 2 shown]
	scratch_load_dwordx4 v[82:85], off, off offset:784 ; 16-byte Folded Reload
	scratch_load_dwordx4 v[86:89], off, off offset:800 ; 16-byte Folded Reload
	;; [unrolled: 1-line block ×8, first 2 shown]
	s_nop 0
	scratch_store_dwordx4 off, v[218:221], off offset:912 ; 16-byte Folded Spill
	s_nop 0
	scratch_store_dwordx4 off, v[222:225], off offset:928 ; 16-byte Folded Spill
	scratch_store_dwordx4 off, v[226:229], off offset:944 ; 16-byte Folded Spill
	;; [unrolled: 1-line block ×7, first 2 shown]
	v_mov_b32_e32 v78, v70
	v_mov_b64_e32 v[76:77], v[68:69]
	v_mov_b64_e32 v[74:75], v[66:67]
	;; [unrolled: 1-line block ×6, first 2 shown]
	v_mov_b32_e32 v62, v36
	v_mov_b32_e32 v238, v80
	;; [unrolled: 1-line block ×8, first 2 shown]
	s_waitcnt vmcnt(8)
	v_mov_b32_e32 v118, v26
	v_mov_b32_e32 v117, v25
	v_mov_b32_e32 v116, v24
	v_mov_b32_e32 v115, v23
	v_mov_b32_e32 v114, v22
	v_mov_b32_e32 v113, v21
	v_mov_b32_e32 v112, v20
	v_mov_b32_e32 v111, v19
	v_mov_b32_e32 v110, v18
	v_mov_b32_e32 v109, v17
	v_mov_b32_e32 v108, v16
	v_mov_b32_e32 v16, v148
	v_mov_b32_e32 v18, v150
	v_mov_b32_e32 v28, v18
	v_mov_b32_e32 v32, v212
	v_mov_b32_e32 v33, v57
	v_mov_b32_e32 v34, v134
	v_mov_b32_e32 v35, v161
	v_mov_b32_e32 v36, v172
	v_mov_b32_e32 v40, v238
	v_mov_b32_e32 v17, v149
	v_mov_b32_e32 v46, v194
	scratch_load_dwordx4 v[174:177], off, off offset:2584 ; 16-byte Folded Reload
	scratch_load_dwordx4 v[178:181], off, off offset:2600 ; 16-byte Folded Reload
	;; [unrolled: 1-line block ×8, first 2 shown]
	v_mov_b32_e32 v64, v104
	v_mov_b64_e32 v[106:107], v[14:15]
	v_mov_b64_e32 v[92:93], v[0:1]
	v_mov_b32_e32 v26, v92
	v_mov_b64_e32 v[104:105], v[12:13]
	v_mov_b64_e32 v[102:103], v[10:11]
	;; [unrolled: 1-line block ×6, first 2 shown]
	s_waitcnt vmcnt(7)
	v_mov_b32_e32 v27, v175
	scratch_load_dwordx4 v[174:177], off, off offset:1944 ; 16-byte Folded Reload
	scratch_load_dwordx4 v[178:181], off, off offset:1960 ; 16-byte Folded Reload
	scratch_load_dwordx4 v[182:185], off, off offset:1976 ; 16-byte Folded Reload
	scratch_load_dwordx4 v[186:189], off, off offset:1992 ; 16-byte Folded Reload
	scratch_load_dwordx4 v[190:193], off, off offset:2008 ; 16-byte Folded Reload
	scratch_load_dwordx4 v[194:197], off, off offset:2024 ; 16-byte Folded Reload
	scratch_load_dwordx4 v[198:201], off, off offset:2040 ; 16-byte Folded Reload
	scratch_load_dwordx4 v[202:205], off, off offset:2056 ; 16-byte Folded Reload
	s_waitcnt vmcnt(7)
	v_mov_b64_e32 v[66:67], v[174:175]
	v_mov_b64_e32 v[68:69], v[176:177]
	v_mov_b32_e32 v29, v69
	scratch_store_dwordx4 off, v[58:61], off offset:3352 ; 16-byte Folded Spill
	s_nop 0
	scratch_store_dwordx4 off, v[62:65], off offset:3368 ; 16-byte Folded Spill
	scratch_store_dwordx4 off, v[66:69], off offset:3384 ; 16-byte Folded Spill
	;; [unrolled: 1-line block ×7, first 2 shown]
	scratch_load_dwordx4 v[174:177], off, off offset:3480 ; 16-byte Folded Reload
	scratch_load_dwordx4 v[178:181], off, off offset:3496 ; 16-byte Folded Reload
	;; [unrolled: 1-line block ×8, first 2 shown]
	v_mov_b32_e32 v66, v92
	v_mov_b32_e32 v68, v18
	;; [unrolled: 1-line block ×4, first 2 shown]
	s_waitcnt vmcnt(6)
	v_mov_b32_e32 v31, v179
	scratch_load_dwordx4 v[174:177], off, off offset:16 ; 16-byte Folded Reload
	scratch_load_dwordx4 v[178:181], off, off offset:32 ; 16-byte Folded Reload
	scratch_load_dwordx4 v[182:185], off, off offset:48 ; 16-byte Folded Reload
	scratch_load_dwordx4 v[186:189], off, off offset:64 ; 16-byte Folded Reload
	scratch_load_dwordx4 v[190:193], off, off offset:80 ; 16-byte Folded Reload
	scratch_load_dwordx4 v[194:197], off, off offset:96 ; 16-byte Folded Reload
	scratch_load_dwordx4 v[198:201], off, off offset:112 ; 16-byte Folded Reload
	scratch_load_dwordx4 v[202:205], off, off offset:128 ; 16-byte Folded Reload
	s_waitcnt vmcnt(5)
	v_mov_b32_e32 v37, v185
	scratch_load_dwordx4 v[174:177], off, off offset:2328 ; 16-byte Folded Reload
	scratch_load_dwordx4 v[178:181], off, off offset:2344 ; 16-byte Folded Reload
	scratch_load_dwordx4 v[182:185], off, off offset:2360 ; 16-byte Folded Reload
	scratch_load_dwordx4 v[186:189], off, off offset:2376 ; 16-byte Folded Reload
	scratch_load_dwordx4 v[190:193], off, off offset:2392 ; 16-byte Folded Reload
	scratch_load_dwordx4 v[194:197], off, off offset:2408 ; 16-byte Folded Reload
	scratch_load_dwordx4 v[198:201], off, off offset:2424 ; 16-byte Folded Reload
	scratch_load_dwordx4 v[202:205], off, off offset:2440 ; 16-byte Folded Reload
	;; [unrolled: 10-line block ×8, first 2 shown]
	s_waitcnt vmcnt(3)
	v_mov_b32_e32 v45, v193
	scratch_store_dwordx4 off, v[26:29], off offset:144 ; 16-byte Folded Spill
	s_nop 0
	scratch_store_dwordx4 off, v[30:33], off offset:160 ; 16-byte Folded Spill
	scratch_store_dwordx4 off, v[34:37], off offset:176 ; 16-byte Folded Spill
	;; [unrolled: 1-line block ×7, first 2 shown]
	scratch_load_dwordx4 v[174:177], off, off offset:528 ; 16-byte Folded Reload
	scratch_load_dwordx4 v[178:181], off, off offset:544 ; 16-byte Folded Reload
	;; [unrolled: 1-line block ×8, first 2 shown]
	s_nop 0
	scratch_store_dwordx4 off, v[92:95], off offset:1040 ; 16-byte Folded Spill
	s_nop 0
	scratch_store_dwordx4 off, v[96:99], off offset:1056 ; 16-byte Folded Spill
	scratch_store_dwordx4 off, v[100:103], off offset:1072 ; 16-byte Folded Spill
	;; [unrolled: 1-line block ×7, first 2 shown]
	scratch_load_dwordx4 v[88:91], off, off offset:2584 ; 16-byte Folded Reload
	s_nop 0
	scratch_load_dwordx4 v[92:95], off, off offset:2600 ; 16-byte Folded Reload
	scratch_load_dwordx4 v[96:99], off, off offset:2616 ; 16-byte Folded Reload
	;; [unrolled: 1-line block ×15, first 2 shown]
	v_mov_b32_e32 v42, v206
	v_mov_b32_e32 v43, v207
	;; [unrolled: 1-line block ×7, first 2 shown]
	s_waitcnt vmcnt(4)
	v_mov_b32_e32 v14, v126
	v_mov_b32_e32 v15, v127
	v_mov_b32_e32 v16, v128
	v_mov_b32_e32 v17, v129
	v_mov_b32_e32 v18, v130
	v_mov_b32_e32 v19, v131
	v_mov_b32_e32 v20, v132
	v_mov_b32_e32 v21, v133
	v_mov_b32_e32 v22, v134
	v_mov_b32_e32 v220, v146
	v_mov_b32_e32 v219, v145
	v_mov_b32_e32 v218, v144
	v_mov_b32_e32 v217, v143
	v_mov_b32_e32 v216, v142
	v_mov_b32_e32 v215, v141
	v_mov_b32_e32 v214, v140
	v_mov_b32_e32 v213, v139
	v_mov_b32_e32 v212, v138
	v_mov_b32_e32 v211, v137
	v_mov_b32_e32 v210, v136
	v_mov_b32_e32 v67, v89
	v_mov_b32_e32 v71, v13
	scratch_store_dwordx4 off, v[42:45], off offset:3872 ; 16-byte Folded Spill
	s_nop 0
	scratch_store_dwordx4 off, v[46:49], off offset:3888 ; 16-byte Folded Spill
	scratch_store_dwordx4 off, v[50:53], off offset:3904 ; 16-byte Folded Spill
	;; [unrolled: 1-line block ×7, first 2 shown]
	v_mov_b32_e32 v87, v195
	v_mov_b32_e32 v47, v13
	;; [unrolled: 1-line block ×5, first 2 shown]
	scratch_store_dwordx4 off, v[50:53], s2 ; 16-byte Folded Spill
	s_nop 0
	scratch_store_dwordx4 off, v[54:57], s2 offset:16 ; 16-byte Folded Spill
	scratch_store_dwordx4 off, v[58:61], s2 offset:32 ; 16-byte Folded Spill
	;; [unrolled: 1-line block ×7, first 2 shown]
	scratch_load_dwordx4 v[88:91], off, off offset:16 ; 16-byte Folded Reload
	scratch_load_dwordx4 v[92:95], off, off offset:32 ; 16-byte Folded Reload
	;; [unrolled: 1-line block ×8, first 2 shown]
	v_mov_b32_e32 v76, v172
	v_mov_b32_e32 v74, v22
	;; [unrolled: 1-line block ×10, first 2 shown]
	s_waitcnt vmcnt(5)
	v_mov_b64_e32 v[24:25], v[88:89]
	v_mov_b64_e32 v[26:27], v[90:91]
	;; [unrolled: 1-line block ×6, first 2 shown]
	scratch_load_dwordx4 v[88:91], off, off offset:2328 ; 16-byte Folded Reload
	scratch_load_dwordx4 v[92:95], off, off offset:2344 ; 16-byte Folded Reload
	;; [unrolled: 1-line block ×8, first 2 shown]
	v_mov_b32_e32 v53, v35
	v_mov_b32_e32 v77, v35
	s_waitcnt vmcnt(4)
	v_mov_b32_e32 v134, v100
	v_mov_b32_e32 v78, v100
	scratch_load_dwordx4 v[88:91], off, off offset:2456 ; 16-byte Folded Reload
	scratch_load_dwordx4 v[92:95], off, off offset:2472 ; 16-byte Folded Reload
	;; [unrolled: 1-line block ×8, first 2 shown]
	v_mov_b32_e32 v54, v134
	s_waitcnt vmcnt(4)
	v_mov_b64_e32 v[208:209], v[100:101]
	scratch_load_dwordx4 v[88:91], off, off offset:3096 ; 16-byte Folded Reload
	scratch_load_dwordx4 v[92:95], off, off offset:3112 ; 16-byte Folded Reload
	;; [unrolled: 1-line block ×8, first 2 shown]
	v_mov_b32_e32 v79, v209
	v_mov_b32_e32 v55, v209
	s_waitcnt vmcnt(4)
	v_mov_b32_e32 v81, v103
	scratch_load_dwordx4 v[88:91], off, off offset:272 ; 16-byte Folded Reload
	scratch_load_dwordx4 v[92:95], off, off offset:288 ; 16-byte Folded Reload
	;; [unrolled: 1-line block ×16, first 2 shown]
	s_waitcnt vmcnt(11)
	v_mov_b32_e32 v82, v104
	s_waitcnt vmcnt(3)
	v_mov_b32_e32 v83, v179
	scratch_load_dwordx4 v[88:91], off, off offset:2968 ; 16-byte Folded Reload
	scratch_load_dwordx4 v[92:95], off, off offset:2984 ; 16-byte Folded Reload
	;; [unrolled: 1-line block ×16, first 2 shown]
	s_waitcnt vmcnt(4)
	v_mov_b64_e32 v[136:137], v[162:163]
	s_waitcnt vmcnt(3)
	v_mov_b64_e32 v[152:153], v[178:179]
	v_mov_b64_e32 v[138:139], v[164:165]
	;; [unrolled: 1-line block ×9, first 2 shown]
	scratch_load_dwordx4 v[162:165], off, off offset:144 ; 16-byte Folded Reload
	scratch_load_dwordx4 v[166:169], off, off offset:160 ; 16-byte Folded Reload
	;; [unrolled: 1-line block ×8, first 2 shown]
	v_mov_b64_e32 v[88:89], v[136:137]
	v_mov_b64_e32 v[90:91], v[138:139]
	v_mov_b64_e32 v[92:93], v[140:141]
	v_mov_b64_e32 v[94:95], v[142:143]
	v_mov_b64_e32 v[96:97], v[144:145]
	v_mov_b64_e32 v[98:99], v[146:147]
	v_mov_b64_e32 v[100:101], v[148:149]
	v_mov_b64_e32 v[102:103], v[150:151]
	v_mov_b32_e32 v84, v106
	v_mov_b32_e32 v60, v106
	v_mov_b64_e32 v[104:105], v[152:153]
	v_mov_b64_e32 v[106:107], v[154:155]
	v_mov_b32_e32 v61, v155
	v_mov_b32_e32 v237, v107
	;; [unrolled: 1-line block ×3, first 2 shown]
	s_waitcnt vmcnt(2)
	v_mov_b32_e32 v86, v182
	scratch_load_dwordx4 v[162:165], off, off offset:1040 ; 16-byte Folded Reload
	scratch_load_dwordx4 v[166:169], off, off offset:1056 ; 16-byte Folded Reload
	;; [unrolled: 1-line block ×8, first 2 shown]
	s_waitcnt vmcnt(7)
	v_mov_b32_e32 v42, v162
	scratch_load_dwordx4 v[162:165], off, off offset:2584 ; 16-byte Folded Reload
	scratch_load_dwordx4 v[166:169], off, off offset:2600 ; 16-byte Folded Reload
	;; [unrolled: 1-line block ×8, first 2 shown]
	s_waitcnt vmcnt(7)
	v_mov_b64_e32 v[32:33], v[162:163]
	scratch_load_dwordx4 v[162:165], off, off offset:1944 ; 16-byte Folded Reload
	scratch_load_dwordx4 v[166:169], off, off offset:1960 ; 16-byte Folded Reload
	;; [unrolled: 1-line block ×8, first 2 shown]
	v_mov_b32_e32 v43, v33
	s_waitcnt vmcnt(7)
	v_mov_b32_e32 v45, v165
	scratch_load_dwordx4 v[162:165], off, off offset:3352 ; 16-byte Folded Reload
	scratch_load_dwordx4 v[166:169], off, off offset:3368 ; 16-byte Folded Reload
	;; [unrolled: 1-line block ×8, first 2 shown]
	s_waitcnt vmcnt(6)
	v_mov_b32_e32 v46, v166
	v_mov_b64_e32 v[166:167], v[12:13]
	v_mov_b64_e32 v[164:165], v[10:11]
	;; [unrolled: 1-line block ×3, first 2 shown]
	scratch_load_dwordx4 v[0:3], off, off offset:2072 ; 16-byte Folded Reload
	scratch_load_dwordx4 v[4:7], off, off offset:2088 ; 16-byte Folded Reload
	;; [unrolled: 1-line block ×16, first 2 shown]
	s_waitcnt vmcnt(13)
	v_mov_b32_e32 v51, v9
	v_mov_b32_e32 v0, v210
	s_waitcnt vmcnt(4)
	v_mov_b64_e32 v[12:13], v[168:169]
	v_mov_b64_e32 v[14:15], v[170:171]
	;; [unrolled: 1-line block ×8, first 2 shown]
	scratch_load_dwordx4 v[168:171], off, off offset:272 ; 16-byte Folded Reload
	scratch_load_dwordx4 v[172:175], off, off offset:288 ; 16-byte Folded Reload
	;; [unrolled: 1-line block ×8, first 2 shown]
	v_mov_b32_e32 v1, v211
	v_mov_b32_e32 v2, v212
	;; [unrolled: 1-line block ×21, first 2 shown]
	v_mov_b64_e32 v[0:1], v[32:33]
	v_mov_b32_e32 v2, v160
	v_mov_b32_e32 v52, v10
	;; [unrolled: 1-line block ×5, first 2 shown]
	s_waitcnt vmcnt(4)
	v_mov_b64_e32 v[108:109], v[168:169]
	v_mov_b64_e32 v[110:111], v[170:171]
	;; [unrolled: 1-line block ×8, first 2 shown]
	s_waitcnt vmcnt(3)
	v_mov_b32_e32 v124, v184
	v_mov_b32_e32 v58, v184
	scratch_load_dwordx4 v[168:171], off, off offset:912 ; 16-byte Folded Reload
	scratch_load_dwordx4 v[172:175], off, off offset:928 ; 16-byte Folded Reload
	;; [unrolled: 1-line block ×8, first 2 shown]
	v_mov_b32_e32 v212, v124
	v_mov_b32_e32 v234, v212
	s_waitcnt vmcnt(3)
	v_mov_b32_e32 v59, v185
	scratch_load_dwordx4 v[168:171], off, off offset:144 ; 16-byte Folded Reload
	scratch_load_dwordx4 v[172:175], off, off offset:160 ; 16-byte Folded Reload
	;; [unrolled: 1-line block ×8, first 2 shown]
	s_waitcnt vmcnt(0)
	v_mov_b64_e32 v[210:211], v[122:123]
	v_mov_b64_e32 v[208:209], v[120:121]
	;; [unrolled: 1-line block ×8, first 2 shown]
	v_mov_b32_e32 v191, v135
	scratch_load_dwordx4 v[108:111], off, off offset:1040 ; 16-byte Folded Reload
	scratch_load_dwordx4 v[112:115], off, off offset:1056 ; 16-byte Folded Reload
	;; [unrolled: 1-line block ×8, first 2 shown]
	v_mov_b32_e32 v178, v10
	v_mov_b32_e32 v183, v27
	;; [unrolled: 1-line block ×11, first 2 shown]
	s_waitcnt vmcnt(7)
	v_mov_b32_e32 v168, v108
	scratch_load_dwordx4 v[108:111], off, off offset:1944 ; 16-byte Folded Reload
	scratch_load_dwordx4 v[112:115], off, off offset:1960 ; 16-byte Folded Reload
	scratch_load_dwordx4 v[116:119], off, off offset:1976 ; 16-byte Folded Reload
	scratch_load_dwordx4 v[120:123], off, off offset:1992 ; 16-byte Folded Reload
	scratch_load_dwordx4 v[124:127], off, off offset:2008 ; 16-byte Folded Reload
	scratch_load_dwordx4 v[128:131], off, off offset:2024 ; 16-byte Folded Reload
	scratch_load_dwordx4 v[132:135], off, off offset:2040 ; 16-byte Folded Reload
	scratch_load_dwordx4 v[136:139], off, off offset:2056 ; 16-byte Folded Reload
	s_waitcnt vmcnt(7)
	v_mov_b32_e32 v171, v111
	scratch_load_dwordx4 v[108:111], off, off offset:3352 ; 16-byte Folded Reload
	scratch_load_dwordx4 v[112:115], off, off offset:3368 ; 16-byte Folded Reload
	scratch_load_dwordx4 v[116:119], off, off offset:3384 ; 16-byte Folded Reload
	scratch_load_dwordx4 v[120:123], off, off offset:3400 ; 16-byte Folded Reload
	scratch_load_dwordx4 v[124:127], off, off offset:3416 ; 16-byte Folded Reload
	scratch_load_dwordx4 v[128:131], off, off offset:3432 ; 16-byte Folded Reload
	scratch_load_dwordx4 v[132:135], off, off offset:3448 ; 16-byte Folded Reload
	scratch_load_dwordx4 v[136:139], off, off offset:3464 ; 16-byte Folded Reload
	;; [unrolled: 10-line block ×3, first 2 shown]
	s_waitcnt vmcnt(6)
	v_mov_b32_e32 v174, v114
	scratch_load_dwordx4 v[108:111], off, s2 ; 16-byte Folded Reload
	scratch_load_dwordx4 v[112:115], off, s2 offset:16 ; 16-byte Folded Reload
	scratch_load_dwordx4 v[116:119], off, s2 offset:32 ; 16-byte Folded Reload
	;; [unrolled: 1-line block ×7, first 2 shown]
	s_waitcnt vmcnt(6)
	v_mov_b32_e32 v175, v115
	scratch_load_dwordx4 v[108:111], off, off offset:2200 ; 16-byte Folded Reload
	scratch_load_dwordx4 v[112:115], off, off offset:2216 ; 16-byte Folded Reload
	scratch_load_dwordx4 v[116:119], off, off offset:2232 ; 16-byte Folded Reload
	scratch_load_dwordx4 v[120:123], off, off offset:2248 ; 16-byte Folded Reload
	scratch_load_dwordx4 v[124:127], off, off offset:2264 ; 16-byte Folded Reload
	scratch_load_dwordx4 v[128:131], off, off offset:2280 ; 16-byte Folded Reload
	scratch_load_dwordx4 v[132:135], off, off offset:2296 ; 16-byte Folded Reload
	scratch_load_dwordx4 v[136:139], off, off offset:2312 ; 16-byte Folded Reload
	s_waitcnt vmcnt(5)
	v_mov_b32_e32 v176, v116
	scratch_load_dwordx4 v[108:111], off, off offset:2072 ; 16-byte Folded Reload
	scratch_load_dwordx4 v[112:115], off, off offset:2088 ; 16-byte Folded Reload
	scratch_load_dwordx4 v[116:119], off, off offset:2104 ; 16-byte Folded Reload
	scratch_load_dwordx4 v[120:123], off, off offset:2120 ; 16-byte Folded Reload
	scratch_load_dwordx4 v[124:127], off, off offset:2136 ; 16-byte Folded Reload
	scratch_load_dwordx4 v[128:131], off, off offset:2152 ; 16-byte Folded Reload
	scratch_load_dwordx4 v[132:135], off, off offset:2168 ; 16-byte Folded Reload
	scratch_load_dwordx4 v[136:139], off, off offset:2184 ; 16-byte Folded Reload
	;; [unrolled: 10-line block ×10, first 2 shown]
	scratch_load_dwordx4 v[110:113], off, off offset:656 ; 16-byte Folded Reload
	scratch_load_dwordx4 v[114:117], off, off offset:672 ; 16-byte Folded Reload
	;; [unrolled: 1-line block ×8, first 2 shown]
	s_waitcnt vmcnt(15)
	v_mov_b32_e32 v109, v1
	v_mov_b64_e32 v[0:1], v[108:109]
	s_waitcnt vmcnt(1)
	v_mov_b32_e32 v24, v134
	scratch_load_dwordx4 v[108:111], off, off offset:1944 ; 16-byte Folded Reload
	scratch_load_dwordx4 v[112:115], off, off offset:1960 ; 16-byte Folded Reload
	;; [unrolled: 1-line block ×8, first 2 shown]
	s_waitcnt vmcnt(7)
	v_mov_b32_e32 v3, v111
	scratch_load_dwordx4 v[108:111], off, off offset:3352 ; 16-byte Folded Reload
	scratch_load_dwordx4 v[112:115], off, off offset:3368 ; 16-byte Folded Reload
	;; [unrolled: 1-line block ×8, first 2 shown]
	s_waitcnt vmcnt(7)
	v_mov_b64_e32 v[110:111], v[2:3]
	v_mov_b64_e32 v[108:109], v[0:1]
	s_waitcnt vmcnt(1)
	v_mov_b32_e32 v132, v24
	scratch_load_dwordx4 v[0:3], off, off offset:3872 ; 16-byte Folded Reload
	scratch_load_dwordx4 v[4:7], off, off offset:3888 ; 16-byte Folded Reload
	;; [unrolled: 1-line block ×8, first 2 shown]
	v_mov_b32_e32 v113, v167
	v_mov_b32_e32 v242, v132
	;; [unrolled: 1-line block ×3, first 2 shown]
	s_waitcnt vmcnt(6)
	v_mov_b32_e32 v114, v6
	scratch_load_dwordx4 v[0:3], off, s2    ; 16-byte Folded Reload
	scratch_load_dwordx4 v[4:7], off, s2 offset:16 ; 16-byte Folded Reload
	scratch_load_dwordx4 v[8:11], off, s2 offset:32 ; 16-byte Folded Reload
	;; [unrolled: 1-line block ×7, first 2 shown]
	s_waitcnt lgkmcnt(0)
	v_cmp_neq_f32_e64 s[2:3], 0, v251
	s_waitcnt vmcnt(6)
	v_mov_b32_e32 v115, v7
	scratch_load_dwordx4 v[0:3], off, off offset:2200 ; 16-byte Folded Reload
	scratch_load_dwordx4 v[4:7], off, off offset:2216 ; 16-byte Folded Reload
	;; [unrolled: 1-line block ×8, first 2 shown]
	s_waitcnt vmcnt(5)
	v_mov_b32_e32 v116, v8
	v_mov_b32_e32 v226, v116
	;; [unrolled: 1-line block ×10, first 2 shown]
	scratch_load_dwordx4 v[108:111], off, off offset:2072 ; 16-byte Folded Reload
	scratch_load_dwordx4 v[112:115], off, off offset:2088 ; 16-byte Folded Reload
	;; [unrolled: 1-line block ×16, first 2 shown]
	s_waitcnt vmcnt(13)
	v_mov_b32_e32 v227, v117
	s_waitcnt vmcnt(5)
	v_mov_b32_e32 v229, v11
	scratch_load_dwordx4 v[0:3], off, off offset:2328 ; 16-byte Folded Reload
	scratch_load_dwordx4 v[4:7], off, off offset:2344 ; 16-byte Folded Reload
	scratch_load_dwordx4 v[8:11], off, off offset:2360 ; 16-byte Folded Reload
	scratch_load_dwordx4 v[12:15], off, off offset:2376 ; 16-byte Folded Reload
	scratch_load_dwordx4 v[16:19], off, off offset:2392 ; 16-byte Folded Reload
	scratch_load_dwordx4 v[20:23], off, off offset:2408 ; 16-byte Folded Reload
	scratch_load_dwordx4 v[24:27], off, off offset:2424 ; 16-byte Folded Reload
	scratch_load_dwordx4 v[28:31], off, off offset:2440 ; 16-byte Folded Reload
	s_waitcnt vmcnt(4)
	v_mov_b32_e32 v230, v12
	scratch_load_dwordx4 v[0:3], off, off offset:2456 ; 16-byte Folded Reload
	scratch_load_dwordx4 v[4:7], off, off offset:2472 ; 16-byte Folded Reload
	scratch_load_dwordx4 v[8:11], off, off offset:2488 ; 16-byte Folded Reload
	scratch_load_dwordx4 v[12:15], off, off offset:2504 ; 16-byte Folded Reload
	scratch_load_dwordx4 v[16:19], off, off offset:2520 ; 16-byte Folded Reload
	scratch_load_dwordx4 v[20:23], off, off offset:2536 ; 16-byte Folded Reload
	scratch_load_dwordx4 v[24:27], off, off offset:2552 ; 16-byte Folded Reload
	scratch_load_dwordx4 v[28:31], off, off offset:2568 ; 16-byte Folded Reload
	s_waitcnt vmcnt(4)
	v_mov_b32_e32 v231, v13
	scratch_load_dwordx4 v[0:3], off, off offset:1688 ; 16-byte Folded Reload
	scratch_load_dwordx4 v[4:7], off, off offset:1704 ; 16-byte Folded Reload
	scratch_load_dwordx4 v[8:11], off, off offset:1720 ; 16-byte Folded Reload
	scratch_load_dwordx4 v[12:15], off, off offset:1736 ; 16-byte Folded Reload
	scratch_load_dwordx4 v[16:19], off, off offset:1752 ; 16-byte Folded Reload
	scratch_load_dwordx4 v[20:23], off, off offset:1768 ; 16-byte Folded Reload
	scratch_load_dwordx4 v[24:27], off, off offset:1784 ; 16-byte Folded Reload
	scratch_load_dwordx4 v[28:31], off, off offset:1800 ; 16-byte Folded Reload
	s_waitcnt vmcnt(4)
	v_mov_b32_e32 v232, v14
	scratch_load_dwordx4 v[0:3], off, off offset:3096 ; 16-byte Folded Reload
	scratch_load_dwordx4 v[4:7], off, off offset:3112 ; 16-byte Folded Reload
	scratch_load_dwordx4 v[8:11], off, off offset:3128 ; 16-byte Folded Reload
	scratch_load_dwordx4 v[12:15], off, off offset:3144 ; 16-byte Folded Reload
	scratch_load_dwordx4 v[16:19], off, off offset:3160 ; 16-byte Folded Reload
	scratch_load_dwordx4 v[20:23], off, off offset:3176 ; 16-byte Folded Reload
	scratch_load_dwordx4 v[24:27], off, off offset:3192 ; 16-byte Folded Reload
	scratch_load_dwordx4 v[28:31], off, off offset:3208 ; 16-byte Folded Reload
	scratch_load_dwordx4 v[110:113], off, off offset:912 ; 16-byte Folded Reload
	scratch_load_dwordx4 v[114:117], off, off offset:928 ; 16-byte Folded Reload
	scratch_load_dwordx4 v[118:121], off, off offset:944 ; 16-byte Folded Reload
	scratch_load_dwordx4 v[122:125], off, off offset:960 ; 16-byte Folded Reload
	scratch_load_dwordx4 v[126:129], off, off offset:976 ; 16-byte Folded Reload
	scratch_load_dwordx4 v[130:133], off, off offset:992 ; 16-byte Folded Reload
	scratch_load_dwordx4 v[134:137], off, off offset:1008 ; 16-byte Folded Reload
	scratch_load_dwordx4 v[138:141], off, off offset:1024 ; 16-byte Folded Reload
	s_waitcnt vmcnt(7)
	v_mov_b32_e32 v111, v191
	v_mov_b32_e32 v233, v15
	scratch_load_dwordx4 v[0:3], off, off offset:2968 ; 16-byte Folded Reload
	scratch_load_dwordx4 v[4:7], off, off offset:2984 ; 16-byte Folded Reload
	;; [unrolled: 1-line block ×8, first 2 shown]
	s_waitcnt vmcnt(11)
	v_mov_b32_e32 v235, v127
	s_waitcnt vmcnt(4)
	v_mov_b64_e32 v[126:127], v[14:15]
	s_waitcnt vmcnt(3)
	v_mov_b32_e32 v130, v18
	v_mov_b64_e32 v[124:125], v[12:13]
	v_mov_b64_e32 v[122:123], v[10:11]
	;; [unrolled: 1-line block ×7, first 2 shown]
	v_mov_b32_e32 v129, v17
	v_mov_b32_e32 v128, v16
	scratch_load_dwordx4 v[0:3], off, off offset:144 ; 16-byte Folded Reload
	scratch_load_dwordx4 v[4:7], off, off offset:160 ; 16-byte Folded Reload
	;; [unrolled: 1-line block ×8, first 2 shown]
	v_mov_b32_e32 v236, v130
	s_barrier
	scratch_store_dword off, v252, s18      ; 4-byte Folded Spill
	s_movk_i32 s18, 0x10a0
	s_waitcnt vmcnt(3)
	v_mov_b32_e32 v238, v20
	scratch_store_dwordx4 off, v[218:221], off offset:144 ; 16-byte Folded Spill
	s_nop 0
	scratch_store_dwordx4 off, v[222:225], off offset:160 ; 16-byte Folded Spill
	scratch_store_dwordx4 off, v[226:229], off offset:176 ; 16-byte Folded Spill
	;; [unrolled: 1-line block ×8, first 2 shown]
	s_nop 0
	scratch_store_dwordx4 off, v[172:175], off offset:288 ; 16-byte Folded Spill
	scratch_store_dwordx4 off, v[176:179], off offset:304 ; 16-byte Folded Spill
	;; [unrolled: 1-line block ×7, first 2 shown]
	scratch_store_dwordx4 off, v[42:45], s18 ; 16-byte Folded Spill
	s_nop 0
	scratch_store_dwordx4 off, v[46:49], s18 offset:16 ; 16-byte Folded Spill
	scratch_store_dwordx4 off, v[50:53], s18 offset:32 ; 16-byte Folded Spill
	;; [unrolled: 1-line block ×7, first 2 shown]
	scratch_store_dwordx4 off, v[66:69], off offset:400 ; 16-byte Folded Spill
	s_nop 0
	scratch_store_dwordx4 off, v[70:73], off offset:416 ; 16-byte Folded Spill
	scratch_store_dwordx4 off, v[74:77], off offset:432 ; 16-byte Folded Spill
	;; [unrolled: 1-line block ×7, first 2 shown]
	v_mov_b32_e32 v214, v20
	scratch_store_dwordx4 off, v[0:3], off offset:528 ; 16-byte Folded Spill
	s_nop 0
	scratch_store_dwordx4 off, v[4:7], off offset:544 ; 16-byte Folded Spill
	scratch_store_dwordx4 off, v[8:11], off offset:560 ; 16-byte Folded Spill
	;; [unrolled: 1-line block ×5, first 2 shown]
	s_waitcnt vmcnt(40)
	scratch_store_dwordx4 off, v[24:27], off offset:624 ; 16-byte Folded Spill
	s_waitcnt vmcnt(40)
	scratch_store_dwordx4 off, v[28:31], off offset:640 ; 16-byte Folded Spill
	v_mov_b64_e32 v[16:17], v[104:105]
	v_mov_b64_e32 v[18:19], v[106:107]
	s_movk_i32 s18, 0xfa0
	v_mov_b32_e32 v110, v64
	v_mov_b64_e32 v[0:1], v[88:89]
	v_mov_b64_e32 v[2:3], v[90:91]
	;; [unrolled: 1-line block ×8, first 2 shown]
	v_mov_b32_e32 v103, v19
	scratch_store_dwordx4 off, v[0:3], off offset:656 ; 16-byte Folded Spill
	s_nop 0
	scratch_store_dwordx4 off, v[4:7], off offset:672 ; 16-byte Folded Spill
	scratch_store_dwordx4 off, v[8:11], off offset:688 ; 16-byte Folded Spill
	;; [unrolled: 1-line block ×7, first 2 shown]
	v_mov_b64_e32 v[0:1], v[112:113]
	v_mov_b32_e32 v16, v128
	v_mov_b64_e32 v[2:3], v[114:115]
	v_mov_b64_e32 v[4:5], v[116:117]
	;; [unrolled: 1-line block ×7, first 2 shown]
	v_mov_b32_e32 v17, v129
	v_mov_b32_e32 v18, v130
	;; [unrolled: 1-line block ×3, first 2 shown]
	scratch_store_dwordx4 off, v[0:3], off offset:784 ; 16-byte Folded Spill
	s_nop 0
	scratch_store_dwordx4 off, v[4:7], off offset:800 ; 16-byte Folded Spill
	scratch_store_dwordx4 off, v[8:11], off offset:816 ; 16-byte Folded Spill
	;; [unrolled: 1-line block ×7, first 2 shown]
	scratch_load_dwordx4 v[24:27], off, off offset:1040 ; 16-byte Folded Reload
	s_nop 0
	scratch_load_dwordx4 v[28:31], off, off offset:1056 ; 16-byte Folded Reload
	scratch_load_dwordx4 v[32:35], off, off offset:1072 ; 16-byte Folded Reload
	;; [unrolled: 1-line block ×7, first 2 shown]
	v_mov_b32_e32 v116, v212
	s_waitcnt vmcnt(4)
	v_mov_b64_e32 v[182:183], v[38:39]
	v_mov_b64_e32 v[180:181], v[36:37]
	;; [unrolled: 1-line block ×3, first 2 shown]
	s_waitcnt vmcnt(1)
	v_mov_b32_e32 v194, v50
	v_mov_b64_e32 v[176:177], v[32:33]
	v_mov_b64_e32 v[174:175], v[30:31]
	;; [unrolled: 1-line block ×5, first 2 shown]
	v_mov_b32_e32 v193, v49
	v_mov_b32_e32 v192, v48
	;; [unrolled: 1-line block ×10, first 2 shown]
	scratch_load_dwordx4 v[24:27], off, off offset:912 ; 16-byte Folded Reload
	scratch_load_dwordx4 v[28:31], off, off offset:928 ; 16-byte Folded Reload
	scratch_load_dwordx4 v[32:35], off, off offset:944 ; 16-byte Folded Reload
	scratch_load_dwordx4 v[36:39], off, off offset:960 ; 16-byte Folded Reload
	scratch_load_dwordx4 v[40:43], off, off offset:976 ; 16-byte Folded Reload
	scratch_load_dwordx4 v[44:47], off, off offset:992 ; 16-byte Folded Reload
	scratch_load_dwordx4 v[48:51], off, off offset:1008 ; 16-byte Folded Reload
	scratch_load_dwordx4 v[52:55], off, off offset:1024 ; 16-byte Folded Reload
	s_waitcnt vmcnt(4)
	v_mov_b64_e32 v[0:1], v[24:25]
	v_mov_b64_e32 v[2:3], v[26:27]
	;; [unrolled: 1-line block ×8, first 2 shown]
	s_waitcnt vmcnt(3)
	v_mov_b64_e32 v[16:17], v[40:41]
	v_mov_b32_e32 v73, v17
	scratch_store_dwordx4 off, v[0:3], off offset:1040 ; 16-byte Folded Spill
	s_nop 0
	scratch_store_dwordx4 off, v[4:7], off offset:1056 ; 16-byte Folded Spill
	scratch_store_dwordx4 off, v[8:11], off offset:1072 ; 16-byte Folded Spill
	;; [unrolled: 1-line block ×8, first 2 shown]
	s_nop 0
	scratch_store_dwordx4 off, v[200:203], off offset:928 ; 16-byte Folded Spill
	scratch_store_dwordx4 off, v[204:207], off offset:944 ; 16-byte Folded Spill
	;; [unrolled: 1-line block ×7, first 2 shown]
	scratch_load_dwordx4 v[0:3], off, off offset:3096 ; 16-byte Folded Reload
	scratch_load_dwordx4 v[4:7], off, off offset:3112 ; 16-byte Folded Reload
	;; [unrolled: 1-line block ×8, first 2 shown]
	s_waitcnt vmcnt(4)
	v_mov_b32_e32 v75, v15
	scratch_store_dwordx4 off, v[0:3], off offset:1168 ; 16-byte Folded Spill
	s_nop 0
	scratch_store_dwordx4 off, v[4:7], off offset:1184 ; 16-byte Folded Spill
	scratch_store_dwordx4 off, v[8:11], off offset:1200 ; 16-byte Folded Spill
	scratch_store_dwordx4 off, v[12:15], off offset:1216 ; 16-byte Folded Spill
	s_waitcnt vmcnt(7)
	scratch_store_dwordx4 off, v[16:19], off offset:1232 ; 16-byte Folded Spill
	s_waitcnt vmcnt(7)
	scratch_store_dwordx4 off, v[20:23], off offset:1248 ; 16-byte Folded Spill
	s_waitcnt vmcnt(7)
	scratch_store_dwordx4 off, v[24:27], off offset:1264 ; 16-byte Folded Spill
	s_waitcnt vmcnt(7)
	scratch_store_dwordx4 off, v[28:31], off offset:1280 ; 16-byte Folded Spill
	scratch_load_dwordx4 v[0:3], off, off offset:1688 ; 16-byte Folded Reload
	s_nop 0
	scratch_load_dwordx4 v[4:7], off, off offset:1704 ; 16-byte Folded Reload
	scratch_load_dwordx4 v[8:11], off, off offset:1720 ; 16-byte Folded Reload
	scratch_load_dwordx4 v[12:15], off, off offset:1736 ; 16-byte Folded Reload
	scratch_load_dwordx4 v[16:19], off, off offset:1752 ; 16-byte Folded Reload
	scratch_load_dwordx4 v[20:23], off, off offset:1768 ; 16-byte Folded Reload
	scratch_load_dwordx4 v[24:27], off, off offset:1784 ; 16-byte Folded Reload
	scratch_load_dwordx4 v[28:31], off, off offset:1800 ; 16-byte Folded Reload
	s_waitcnt vmcnt(4)
	v_mov_b32_e32 v104, v14
	scratch_store_dwordx4 off, v[0:3], off offset:1304 ; 16-byte Folded Spill
	s_nop 0
	scratch_store_dwordx4 off, v[4:7], off offset:1320 ; 16-byte Folded Spill
	scratch_store_dwordx4 off, v[8:11], off offset:1336 ; 16-byte Folded Spill
	scratch_store_dwordx4 off, v[12:15], off offset:1352 ; 16-byte Folded Spill
	s_waitcnt vmcnt(7)
	scratch_store_dwordx4 off, v[16:19], off offset:1368 ; 16-byte Folded Spill
	s_waitcnt vmcnt(7)
	scratch_store_dwordx4 off, v[20:23], off offset:1384 ; 16-byte Folded Spill
	s_waitcnt vmcnt(7)
	scratch_store_dwordx4 off, v[24:27], off offset:1400 ; 16-byte Folded Spill
	s_waitcnt vmcnt(7)
	scratch_store_dwordx4 off, v[28:31], off offset:1416 ; 16-byte Folded Spill
	scratch_load_dwordx4 v[0:3], off, off offset:2456 ; 16-byte Folded Reload
	s_nop 0
	scratch_load_dwordx4 v[4:7], off, off offset:2472 ; 16-byte Folded Reload
	scratch_load_dwordx4 v[8:11], off, off offset:2488 ; 16-byte Folded Reload
	scratch_load_dwordx4 v[12:15], off, off offset:2504 ; 16-byte Folded Reload
	scratch_load_dwordx4 v[16:19], off, off offset:2520 ; 16-byte Folded Reload
	scratch_load_dwordx4 v[20:23], off, off offset:2536 ; 16-byte Folded Reload
	scratch_load_dwordx4 v[24:27], off, off offset:2552 ; 16-byte Folded Reload
	scratch_load_dwordx4 v[28:31], off, off offset:2568 ; 16-byte Folded Reload
	;; [unrolled: 24-line block ×4, first 2 shown]
	s_waitcnt vmcnt(5)
	v_mov_b32_e32 v77, v11
	scratch_store_dwordx4 off, v[0:3], off offset:1816 ; 16-byte Folded Spill
	s_nop 0
	scratch_store_dwordx4 off, v[4:7], off offset:1832 ; 16-byte Folded Spill
	scratch_store_dwordx4 off, v[8:11], off offset:1848 ; 16-byte Folded Spill
	s_waitcnt vmcnt(7)
	scratch_store_dwordx4 off, v[12:15], off offset:1864 ; 16-byte Folded Spill
	s_waitcnt vmcnt(7)
	;; [unrolled: 2-line block ×5, first 2 shown]
	scratch_store_dwordx4 off, v[28:31], off offset:1928 ; 16-byte Folded Spill
	v_mov_b32_e32 v0, v144
	v_mov_b32_e32 v1, v145
	;; [unrolled: 1-line block ×12, first 2 shown]
	scratch_store_dwordx4 off, v[0:3], off offset:2712 ; 16-byte Folded Spill
	s_nop 0
	scratch_store_dwordx4 off, v[4:7], off offset:2728 ; 16-byte Folded Spill
	scratch_store_dwordx4 off, v[8:11], off offset:2744 ; 16-byte Folded Spill
	;; [unrolled: 1-line block ×7, first 2 shown]
	scratch_load_dwordx4 v[0:3], off, off offset:2072 ; 16-byte Folded Reload
	s_nop 0
	scratch_load_dwordx4 v[4:7], off, off offset:2088 ; 16-byte Folded Reload
	scratch_load_dwordx4 v[8:11], off, off offset:2104 ; 16-byte Folded Reload
	scratch_load_dwordx4 v[12:15], off, off offset:2120 ; 16-byte Folded Reload
	scratch_load_dwordx4 v[16:19], off, off offset:2136 ; 16-byte Folded Reload
	scratch_load_dwordx4 v[20:23], off, off offset:2152 ; 16-byte Folded Reload
	scratch_load_dwordx4 v[24:27], off, off offset:2168 ; 16-byte Folded Reload
	scratch_load_dwordx4 v[28:31], off, off offset:2184 ; 16-byte Folded Reload
	s_waitcnt vmcnt(5)
	v_mov_b32_e32 v83, v9
	scratch_store_dwordx4 off, v[0:3], off offset:2840 ; 16-byte Folded Spill
	s_nop 0
	scratch_store_dwordx4 off, v[4:7], off offset:2856 ; 16-byte Folded Spill
	scratch_store_dwordx4 off, v[8:11], off offset:2872 ; 16-byte Folded Spill
	s_waitcnt vmcnt(7)
	scratch_store_dwordx4 off, v[12:15], off offset:2888 ; 16-byte Folded Spill
	s_waitcnt vmcnt(7)
	;; [unrolled: 2-line block ×5, first 2 shown]
	scratch_store_dwordx4 off, v[28:31], off offset:2952 ; 16-byte Folded Spill
	scratch_load_dwordx4 v[34:37], off, off offset:2200 ; 16-byte Folded Reload
	scratch_load_dwordx4 v[38:41], off, off offset:2216 ; 16-byte Folded Reload
	;; [unrolled: 1-line block ×8, first 2 shown]
	scratch_load_dwordx4 v[0:3], off, s18   ; 16-byte Folded Reload
	scratch_load_dwordx4 v[4:7], off, s18 offset:16 ; 16-byte Folded Reload
	scratch_load_dwordx4 v[8:11], off, s18 offset:32 ; 16-byte Folded Reload
	;; [unrolled: 1-line block ×7, first 2 shown]
	s_movk_i32 s18, 0x1020
	s_waitcnt vmcnt(6)
	v_mov_b32_e32 v211, v7
	scratch_store_dwordx4 off, v[0:3], off offset:3224 ; 16-byte Folded Spill
	s_nop 0
	scratch_store_dwordx4 off, v[4:7], off offset:3240 ; 16-byte Folded Spill
	s_waitcnt vmcnt(7)
	scratch_store_dwordx4 off, v[8:11], off offset:3256 ; 16-byte Folded Spill
	s_waitcnt vmcnt(7)
	;; [unrolled: 2-line block ×6, first 2 shown]
	scratch_store_dwordx4 off, v[28:31], off offset:3336 ; 16-byte Folded Spill
	scratch_load_dwordx4 v[0:3], off, off offset:3872 ; 16-byte Folded Reload
	s_nop 0
	scratch_load_dwordx4 v[4:7], off, off offset:3888 ; 16-byte Folded Reload
	scratch_load_dwordx4 v[8:11], off, off offset:3904 ; 16-byte Folded Reload
	;; [unrolled: 1-line block ×7, first 2 shown]
	v_mov_b32_e32 v76, v42
	s_waitcnt vmcnt(6)
	v_mov_b32_e32 v208, v6
	scratch_store_dwordx4 off, v[0:3], off offset:3616 ; 16-byte Folded Spill
	s_nop 0
	scratch_store_dwordx4 off, v[4:7], off offset:3632 ; 16-byte Folded Spill
	s_waitcnt vmcnt(7)
	scratch_store_dwordx4 off, v[8:11], off offset:3648 ; 16-byte Folded Spill
	s_waitcnt vmcnt(7)
	;; [unrolled: 2-line block ×6, first 2 shown]
	scratch_store_dwordx4 off, v[28:31], off offset:3728 ; 16-byte Folded Spill
	v_mov_b64_e32 v[2:3], v[162:163]
	v_mov_b64_e32 v[4:5], v[164:165]
	;; [unrolled: 1-line block ×3, first 2 shown]
	scratch_store_dwordx4 off, v[2:5], off offset:3744 ; 16-byte Folded Spill
	s_nop 0
	scratch_store_dwordx4 off, v[6:9], off offset:3760 ; 16-byte Folded Spill
	scratch_store_dwordx4 off, v[10:13], off offset:3776 ; 16-byte Folded Spill
	;; [unrolled: 1-line block ×7, first 2 shown]
	scratch_load_dwordx4 v[126:129], off, off offset:3352 ; 16-byte Folded Reload
	scratch_load_dwordx4 v[130:133], off, off offset:3368 ; 16-byte Folded Reload
	scratch_load_dwordx4 v[134:137], off, off offset:3384 ; 16-byte Folded Reload
	scratch_load_dwordx4 v[138:141], off, off offset:3400 ; 16-byte Folded Reload
	scratch_load_dwordx4 v[142:145], off, off offset:3416 ; 16-byte Folded Reload
	scratch_load_dwordx4 v[146:149], off, off offset:3432 ; 16-byte Folded Reload
	scratch_load_dwordx4 v[150:153], off, off offset:3448 ; 16-byte Folded Reload
	scratch_load_dwordx4 v[154:157], off, off offset:3464 ; 16-byte Folded Reload
	s_waitcnt vmcnt(6)
	v_mov_b32_e32 v0, v126
	v_mov_b32_e32 v1, v127
	;; [unrolled: 1-line block ×6, first 2 shown]
	scratch_store_dwordx4 off, v[0:3], s18  ; 16-byte Folded Spill
	s_nop 0
	scratch_store_dwordx4 off, v[4:7], s18 offset:16 ; 16-byte Folded Spill
	scratch_store_dwordx4 off, v[8:11], s18 offset:32 ; 16-byte Folded Spill
	;; [unrolled: 1-line block ×7, first 2 shown]
	scratch_load_dwordx4 v[126:129], off, off offset:1944 ; 16-byte Folded Reload
	scratch_load_dwordx4 v[130:133], off, off offset:1960 ; 16-byte Folded Reload
	;; [unrolled: 1-line block ×8, first 2 shown]
	s_waitcnt vmcnt(7)
	v_mov_b64_e32 v[2:3], v[126:127]
	v_mov_b64_e32 v[4:5], v[128:129]
	;; [unrolled: 1-line block ×18, first 2 shown]
	v_mov_b32_e32 v28, v158
	v_mov_b32_e32 v29, v159
	v_mov_b32_e32 v30, v160
	s_waitcnt vmcnt(0)
	v_mov_b64_e32 v[158:159], v[58:59]
	v_mov_b64_e32 v[130:131], v[30:31]
	;; [unrolled: 1-line block ×16, first 2 shown]
	s_mov_b64 s[18:19], exec
	s_and_b64 s[20:21], s[18:19], vcc
	v_mov_b32_e32 v25, v7
	s_mov_b64 exec, s[20:21]
	s_cbranch_execz .LBB52_31
; %bb.30:
	scratch_load_dwordx4 v[34:37], off, off offset:2584 ; 16-byte Folded Reload
	scratch_load_dwordx4 v[38:41], off, off offset:2600 ; 16-byte Folded Reload
	;; [unrolled: 1-line block ×8, first 2 shown]
	v_div_scale_f32 v1, s[20:21], v251, v251, 1.0
	v_rcp_f32_e32 v2, v1
	v_mov_b32_e32 v31, v5
	v_mov_b32_e32 v24, v114
	;; [unrolled: 1-line block ×3, first 2 shown]
	v_fma_f32 v3, -v1, v2, 1.0
	v_fmac_f32_e32 v2, v3, v2
	v_div_scale_f32 v3, vcc, 1.0, v251, 1.0
	v_mul_f32_e32 v4, v3, v2
	v_fma_f32 v5, -v1, v4, v3
	v_fmac_f32_e32 v4, v5, v2
	v_fma_f32 v1, -v1, v4, v3
	v_div_fmas_f32 v1, v1, v2, v4
	v_div_fixup_f32 v1, v1, v251, 1.0
	v_cndmask_b32_e64 v1, v251, v1, s[2:3]
	v_mov_b32_e32 v21, v211
	v_mov_b32_e32 v18, v76
	;; [unrolled: 1-line block ×11, first 2 shown]
	s_movk_i32 s20, 0x1020
	v_mov_b32_e32 v32, v118
	v_mov_b32_e32 v33, v103
	scratch_load_dwordx2 v[28:29], off, off offset:8 ; 8-byte Folded Reload
	s_waitcnt vmcnt(8)
	v_mul_f32_e32 v26, v35, v1
	scratch_load_dword v1, off, off offset:4 ; 4-byte Folded Reload
	v_mov_b32_e32 v169, v26
	s_waitcnt vmcnt(1)
	v_mov_b32_e32 v217, v28
	s_waitcnt vmcnt(0)
	ds_read2_b32 v[2:3], v1 offset0:2 offset1:3
	scratch_load_dword v1, off, off offset:4 ; 4-byte Folded Reload
	s_waitcnt lgkmcnt(0)
	v_pk_fma_f32 v[30:31], v[26:27], v[2:3], v[30:31] op_sel_hi:[0,1,1] neg_lo:[1,0,0] neg_hi:[1,0,0]
	s_waitcnt vmcnt(0)
	ds_read2_b32 v[4:5], v1 offset0:4 offset1:5
	scratch_load_dword v1, off, off offset:4 ; 4-byte Folded Reload
	s_waitcnt lgkmcnt(0)
	v_pk_fma_f32 v[24:25], v[26:27], v[4:5], v[24:25] op_sel_hi:[0,1,1] neg_lo:[1,0,0] neg_hi:[1,0,0]
	v_mov_b32_e32 v114, v24
	s_waitcnt vmcnt(0)
	ds_read2_b32 v[6:7], v1 offset0:6 offset1:7
	scratch_load_dword v1, off, off offset:4 ; 4-byte Folded Reload
	s_waitcnt lgkmcnt(0)
	v_pk_fma_f32 v[20:21], v[26:27], v[6:7], v[20:21] op_sel_hi:[0,1,1] neg_lo:[1,0,0] neg_hi:[1,0,0]
	v_mov_b32_e32 v208, v20
	v_mov_b32_e32 v211, v21
	s_waitcnt vmcnt(0)
	ds_read2_b32 v[8:9], v1 offset0:8 offset1:9
	scratch_load_dword v1, off, off offset:4 ; 4-byte Folded Reload
	s_waitcnt lgkmcnt(0)
	v_pk_fma_f32 v[18:19], v[26:27], v[8:9], v[18:19] op_sel_hi:[0,1,1] neg_lo:[1,0,0] neg_hi:[1,0,0]
	v_mov_b32_e32 v76, v18
	;; [unrolled: 7-line block ×8, first 2 shown]
	s_waitcnt vmcnt(0)
	ds_read2_b32 v[6:7], v1 offset0:22 offset1:23
	scratch_load_dword v1, off, off offset:4 ; 4-byte Folded Reload
	s_waitcnt lgkmcnt(0)
	v_pk_fma_f32 v[110:111], v[26:27], v[6:7], v[110:111] op_sel_hi:[0,1,1] neg_lo:[1,0,0] neg_hi:[1,0,0]
	s_waitcnt vmcnt(0)
	ds_read2_b32 v[8:9], v1 offset0:24 offset1:25
	scratch_load_dword v1, off, off offset:4 ; 4-byte Folded Reload
	s_waitcnt lgkmcnt(0)
	v_pk_fma_f32 v[216:217], v[26:27], v[8:9], v[216:217] op_sel_hi:[0,1,1] neg_lo:[1,0,0] neg_hi:[1,0,0]
	v_mov_b32_e32 v28, v217
	s_waitcnt vmcnt(0)
	ds_read_b32 v1, v1 offset:104
	scratch_store_dwordx4 off, v[168:171], off offset:2584 ; 16-byte Folded Spill
	s_nop 0
	scratch_store_dwordx4 off, v[172:175], off offset:2600 ; 16-byte Folded Spill
	scratch_store_dwordx4 off, v[176:179], off offset:2616 ; 16-byte Folded Spill
	;; [unrolled: 1-line block ×7, first 2 shown]
	v_mov_b32_e32 v170, v30
	s_waitcnt lgkmcnt(0)
	v_fma_f32 v29, -v26, v1, v29
	v_mov_b64_e32 v[128:129], v[168:169]
	v_mov_b64_e32 v[130:131], v[170:171]
	;; [unrolled: 1-line block ×16, first 2 shown]
	v_mov_b32_e32 v171, v31
	v_mov_b64_e32 v[248:249], v[198:199]
	v_mov_b64_e32 v[246:247], v[196:197]
	;; [unrolled: 1-line block ×16, first 2 shown]
	v_mov_b32_e32 v172, v24
	scratch_store_dwordx4 off, v[168:171], s20 ; 16-byte Folded Spill
	s_nop 0
	scratch_store_dwordx4 off, v[172:175], s20 offset:16 ; 16-byte Folded Spill
	scratch_store_dwordx4 off, v[176:179], s20 offset:32 ; 16-byte Folded Spill
	;; [unrolled: 1-line block ×7, first 2 shown]
	v_mov_b32_e32 v173, v25
	s_movk_i32 s20, 0x10a0
	scratch_store_dwordx4 off, v[168:171], off offset:3744 ; 16-byte Folded Spill
	s_nop 0
	scratch_store_dwordx4 off, v[172:175], off offset:3760 ; 16-byte Folded Spill
	scratch_store_dwordx4 off, v[176:179], off offset:3776 ; 16-byte Folded Spill
	scratch_store_dwordx4 off, v[180:183], off offset:3792 ; 16-byte Folded Spill
	scratch_store_dwordx4 off, v[184:187], off offset:3808 ; 16-byte Folded Spill
	scratch_store_dwordx4 off, v[188:191], off offset:3824 ; 16-byte Folded Spill
	scratch_store_dwordx4 off, v[192:195], off offset:3840 ; 16-byte Folded Spill
	scratch_store_dwordx4 off, v[196:199], off offset:3856 ; 16-byte Folded Spill
	v_mov_b32_e32 v174, v20
	scratch_store_dwordx4 off, v[168:171], off offset:3616 ; 16-byte Folded Spill
	s_nop 0
	scratch_store_dwordx4 off, v[172:175], off offset:3632 ; 16-byte Folded Spill
	scratch_store_dwordx4 off, v[176:179], off offset:3648 ; 16-byte Folded Spill
	scratch_store_dwordx4 off, v[180:183], off offset:3664 ; 16-byte Folded Spill
	scratch_store_dwordx4 off, v[184:187], off offset:3680 ; 16-byte Folded Spill
	scratch_store_dwordx4 off, v[188:191], off offset:3696 ; 16-byte Folded Spill
	scratch_store_dwordx4 off, v[192:195], off offset:3712 ; 16-byte Folded Spill
	scratch_store_dwordx4 off, v[196:199], off offset:3728 ; 16-byte Folded Spill
	v_mov_b32_e32 v175, v21
	;; [unrolled: 10-line block ×3, first 2 shown]
	v_mov_b64_e32 v[34:35], v[168:169]
	v_mov_b64_e32 v[36:37], v[170:171]
	;; [unrolled: 1-line block ×16, first 2 shown]
	v_mov_b32_e32 v177, v19
	scratch_store_dwordx4 off, v[168:171], off offset:2840 ; 16-byte Folded Spill
	s_nop 0
	scratch_store_dwordx4 off, v[172:175], off offset:2856 ; 16-byte Folded Spill
	scratch_store_dwordx4 off, v[176:179], off offset:2872 ; 16-byte Folded Spill
	scratch_store_dwordx4 off, v[180:183], off offset:2888 ; 16-byte Folded Spill
	scratch_store_dwordx4 off, v[184:187], off offset:2904 ; 16-byte Folded Spill
	scratch_store_dwordx4 off, v[188:191], off offset:2920 ; 16-byte Folded Spill
	scratch_store_dwordx4 off, v[192:195], off offset:2936 ; 16-byte Folded Spill
	scratch_store_dwordx4 off, v[196:199], off offset:2952 ; 16-byte Folded Spill
	v_mov_b32_e32 v178, v10
	scratch_store_dwordx4 off, v[168:171], off offset:2712 ; 16-byte Folded Spill
	s_nop 0
	scratch_store_dwordx4 off, v[172:175], off offset:2728 ; 16-byte Folded Spill
	scratch_store_dwordx4 off, v[176:179], off offset:2744 ; 16-byte Folded Spill
	scratch_store_dwordx4 off, v[180:183], off offset:2760 ; 16-byte Folded Spill
	scratch_store_dwordx4 off, v[184:187], off offset:2776 ; 16-byte Folded Spill
	scratch_store_dwordx4 off, v[188:191], off offset:2792 ; 16-byte Folded Spill
	scratch_store_dwordx4 off, v[192:195], off offset:2808 ; 16-byte Folded Spill
	scratch_store_dwordx4 off, v[196:199], off offset:2824 ; 16-byte Folded Spill
	;; [unrolled: 10-line block ×13, first 2 shown]
	v_mov_b32_e32 v190, v110
	scratch_store_dwordx4 off, v[168:171], s20 ; 16-byte Folded Spill
	s_nop 0
	scratch_store_dwordx4 off, v[172:175], s20 offset:16 ; 16-byte Folded Spill
	scratch_store_dwordx4 off, v[176:179], s20 offset:32 ; 16-byte Folded Spill
	;; [unrolled: 1-line block ×7, first 2 shown]
	v_mov_b32_e32 v191, v111
	scratch_store_dwordx4 off, v[168:171], off offset:272 ; 16-byte Folded Spill
	s_nop 0
	scratch_store_dwordx4 off, v[172:175], off offset:288 ; 16-byte Folded Spill
	scratch_store_dwordx4 off, v[176:179], off offset:304 ; 16-byte Folded Spill
	;; [unrolled: 1-line block ×7, first 2 shown]
	s_nop 0
	v_mov_b32_e32 v192, v216
	scratch_store_dwordx4 off, v[168:171], off offset:144 ; 16-byte Folded Spill
	s_nop 0
	scratch_store_dwordx4 off, v[172:175], off offset:160 ; 16-byte Folded Spill
	scratch_store_dwordx4 off, v[176:179], off offset:176 ; 16-byte Folded Spill
	;; [unrolled: 1-line block ×7, first 2 shown]
	scratch_load_dword v250, off, off offset:4 ; 4-byte Folded Reload
	v_mov_b32_e32 v193, v217
	v_mov_b32_e32 v194, v29
	scratch_store_dwordx2 off, v[28:29], off offset:8 ; 8-byte Folded Spill
.LBB52_31:
	s_or_b64 exec, exec, s[18:19]
	s_movk_i32 s18, 0x1130
	scratch_store_dwordx4 off, v[34:37], off offset:1688 ; 16-byte Folded Spill
	s_nop 0
	scratch_store_dwordx4 off, v[38:41], off offset:1704 ; 16-byte Folded Spill
	scratch_store_dwordx4 off, v[42:45], off offset:1720 ; 16-byte Folded Spill
	;; [unrolled: 1-line block ×7, first 2 shown]
	s_waitcnt vmcnt(63) expcnt(7) lgkmcnt(15)
	s_barrier
	scratch_load_dword v209, off, s18       ; 4-byte Folded Reload
	s_cmp_lt_i32 s14, 4
	v_mov_b32_e32 v28, 2
	s_waitcnt vmcnt(0)
	v_lshl_add_u32 v27, v209, 2, v250
	ds_write_b32 v27, v30
	s_waitcnt lgkmcnt(0)
	s_barrier
	ds_read_b32 v27, v250 offset:8
	s_cbranch_scc1 .LBB52_34
; %bb.32:
	s_movk_i32 s19, 0x10a0
	scratch_load_dword v29, off, off offset:1300 ; 4-byte Folded Reload
	scratch_load_dwordx4 v[32:35], off, s19 ; 16-byte Folded Reload
	scratch_load_dwordx4 v[36:39], off, s19 offset:16 ; 16-byte Folded Reload
	scratch_load_dwordx4 v[40:43], off, s19 offset:32 ; 16-byte Folded Reload
	;; [unrolled: 1-line block ×7, first 2 shown]
	v_mov_b32_e32 v28, 2
	s_mov_b32 s18, 3
	s_waitcnt vmcnt(8)
	v_add3_u32 v29, v29, 0, 12
.LBB52_33:                              ; =>This Inner Loop Header: Depth=1
	ds_read_b32 v31, v29
	v_add_u32_e32 v29, 4, v29
	s_waitcnt lgkmcnt(0)
	v_cmp_lt_f32_e64 vcc, |v27|, |v31|
	s_nop 1
	v_cndmask_b32_e32 v27, v27, v31, vcc
	v_mov_b32_e32 v31, s18
	s_add_i32 s18, s18, 1
	v_cndmask_b32_e32 v28, v28, v31, vcc
	s_cmp_lg_u32 s14, s18
	s_cbranch_scc1 .LBB52_33
	s_branch .LBB52_35
.LBB52_34:
	s_movk_i32 s18, 0x10a0
	scratch_load_dwordx4 v[32:35], off, s18 ; 16-byte Folded Reload
	scratch_load_dwordx4 v[36:39], off, s18 offset:16 ; 16-byte Folded Reload
	scratch_load_dwordx4 v[40:43], off, s18 offset:32 ; 16-byte Folded Reload
	;; [unrolled: 1-line block ×7, first 2 shown]
.LBB52_35:
	v_cndmask_b32_e64 v29, 2, 1, s[0:1]
	v_cndmask_b32_e64 v31, 0, 1, s[0:1]
	;; [unrolled: 1-line block ×3, first 2 shown]
	s_waitcnt lgkmcnt(0)
	v_cmp_eq_f32_e32 vcc, 0, v27
	scratch_store_dword off, v0, off offset:16 ; 4-byte Folded Spill
	s_and_saveexec_b64 s[0:1], vcc
	s_xor_b64 s[0:1], exec, s[0:1]
	s_cbranch_execz .LBB52_37
; %bb.36:
	scratch_load_dword v0, off, off offset:16 ; 4-byte Folded Reload
	s_waitcnt vmcnt(0)
	v_cmp_ne_u32_e32 vcc, 0, v0
	s_nop 1
	v_cndmask_b32_e32 v0, 3, v0, vcc
	scratch_store_dword off, v0, off offset:16 ; 4-byte Folded Spill
.LBB52_37:
	s_andn2_saveexec_b64 s[0:1], s[0:1]
	s_cbranch_execz .LBB52_39
; %bb.38:
	v_div_scale_f32 v29, s[2:3], v27, v27, 1.0
	v_rcp_f32_e32 v31, v29
	s_waitcnt vmcnt(3)
	v_div_scale_f32 v55, vcc, 1.0, v27, 1.0
	s_waitcnt vmcnt(2)
	v_fma_f32 v56, -v29, v31, 1.0
	v_fmac_f32_e32 v31, v56, v31
	v_mul_f32_e32 v56, v55, v31
	v_fma_f32 v57, -v29, v56, v55
	v_fmac_f32_e32 v56, v57, v31
	v_fma_f32 v29, -v29, v56, v55
	v_div_fmas_f32 v29, v29, v31, v56
	v_div_fixup_f32 v27, v29, v27, 1.0
.LBB52_39:
	s_or_b64 exec, exec, s[0:1]
	v_cmp_ne_u32_e32 vcc, v209, v28
	s_mov_b64 s[0:1], exec
	scratch_load_dword v31, off, off offset:4 ; 4-byte Folded Reload
	s_and_b64 s[2:3], s[0:1], vcc
	s_xor_b64 s[0:1], s[2:3], s[0:1]
	s_mov_b64 exec, s[2:3]
	s_cbranch_execz .LBB52_45
; %bb.40:
	v_cmp_eq_u32_e32 vcc, 2, v209
	s_and_saveexec_b64 s[2:3], vcc
	s_cbranch_execz .LBB52_44
; %bb.41:
	v_cmp_ne_u32_e32 vcc, 2, v28
	s_xor_b64 s[18:19], s[16:17], -1
	s_and_b64 s[20:21], s[18:19], vcc
	s_and_saveexec_b64 s[18:19], s[20:21]
	s_cbranch_execz .LBB52_43
; %bb.42:
	scratch_load_dwordx2 v[58:59], off, off offset:3608 ; 8-byte Folded Reload
	v_ashrrev_i32_e32 v29, 31, v28
	s_waitcnt vmcnt(0)
	v_lshl_add_u64 v[56:57], v[28:29], 2, v[58:59]
	global_load_dword v29, v[56:57], off
	global_load_dword v31, v[58:59], off offset:8
	s_waitcnt vmcnt(1)
	global_store_dword v[58:59], v29, off offset:8
	s_waitcnt vmcnt(1)
	global_store_dword v[56:57], v31, off
	scratch_load_dword v31, off, off offset:4 ; 4-byte Folded Reload
.LBB52_43:
	s_or_b64 exec, exec, s[18:19]
	v_mov_b32_e32 v29, v28
	v_mov_b32_e32 v209, v28
	scratch_store_dword off, v29, off offset:1296 ; 4-byte Folded Spill
.LBB52_44:
	s_or_b64 exec, exec, s[2:3]
.LBB52_45:
	s_andn2_saveexec_b64 s[0:1], s[0:1]
	s_cbranch_execz .LBB52_47
; %bb.46:
	v_mov_b32_e32 v209, 2
	s_waitcnt vmcnt(0)
	ds_write2_b32 v31, v171, v172 offset0:3 offset1:4
	ds_write2_b32 v31, v173, v174 offset0:5 offset1:6
	;; [unrolled: 1-line block ×12, first 2 shown]
.LBB52_47:
	s_or_b64 exec, exec, s[0:1]
	v_cmp_lt_i32_e32 vcc, 2, v209
	s_waitcnt lgkmcnt(0)
	s_barrier
	s_and_saveexec_b64 s[0:1], vcc
	s_cbranch_execz .LBB52_49
; %bb.48:
	scratch_load_dwordx4 v[224:227], off, off offset:2584 ; 16-byte Folded Reload
	scratch_load_dwordx4 v[228:231], off, off offset:2600 ; 16-byte Folded Reload
	;; [unrolled: 1-line block ×8, first 2 shown]
	scratch_load_dword v4, off, off offset:4 ; 4-byte Folded Reload
	scratch_load_dword v6, off, off offset:4 ; 4-byte Folded Reload
	s_waitcnt vmcnt(9)
	v_mul_f32_e32 v226, v30, v27
	ds_read2_b32 v[0:1], v31 offset0:3 offset1:4
	v_mov_b32_e32 v2, v171
	v_mov_b32_e32 v3, v172
	s_movk_i32 s2, 0x1020
	v_mov_b32_e32 v170, v226
	scratch_load_dword v8, off, off offset:4 ; 4-byte Folded Reload
	s_waitcnt lgkmcnt(0)
	v_pk_fma_f32 v[28:29], v[226:227], v[0:1], v[2:3] op_sel_hi:[0,1,1] neg_lo:[1,0,0] neg_hi:[1,0,0]
	v_mov_b32_e32 v0, v173
	v_mov_b32_e32 v1, v174
	;; [unrolled: 1-line block ×6, first 2 shown]
	s_waitcnt vmcnt(2)
	ds_read2_b32 v[30:31], v4 offset0:5 offset1:6
	s_waitcnt vmcnt(1)
	ds_read2_b32 v[6:7], v6 offset0:15 offset1:16
	scratch_load_dword v4, off, off offset:4 ; 4-byte Folded Reload
	s_waitcnt lgkmcnt(1)
	v_pk_fma_f32 v[30:31], v[226:227], v[30:31], v[0:1] op_sel_hi:[0,1,1] neg_lo:[1,0,0] neg_hi:[1,0,0]
	v_mov_b32_e32 v0, v175
	v_mov_b32_e32 v1, v176
	s_waitcnt vmcnt(1)
	ds_read2_b32 v[8:9], v8 offset0:17 offset1:18
	s_waitcnt vmcnt(0)
	ds_read2_b32 v[32:33], v4 offset0:7 offset1:8
	scratch_load_dword v4, off, off offset:4 ; 4-byte Folded Reload
	s_waitcnt lgkmcnt(0)
	v_pk_fma_f32 v[56:57], v[226:227], v[32:33], v[0:1] op_sel_hi:[0,1,1] neg_lo:[1,0,0] neg_hi:[1,0,0]
	v_mov_b32_e32 v0, v177
	v_mov_b32_e32 v1, v178
	v_mov_b32_e32 v32, v224
	v_mov_b32_e32 v33, v225
	v_mov_b32_e32 v39, v56
	v_mov_b32_e32 v40, v57
	v_mov_b32_e32 v175, v56
	v_mov_b32_e32 v176, v57
	v_mov_b32_e32 v211, v56
	v_mov_b32_e32 v76, v57
	s_waitcnt vmcnt(0)
	ds_read2_b32 v[34:35], v4 offset0:9 offset1:10
	scratch_load_dword v4, off, off offset:4 ; 4-byte Folded Reload
	s_waitcnt lgkmcnt(0)
	v_pk_fma_f32 v[58:59], v[226:227], v[34:35], v[0:1] op_sel_hi:[0,1,1] neg_lo:[1,0,0] neg_hi:[1,0,0]
	scratch_load_dword v0, off, off offset:4 ; 4-byte Folded Reload
	v_mov_b32_e32 v34, v226
	v_mov_b32_e32 v41, v58
	;; [unrolled: 1-line block ×7, first 2 shown]
	s_waitcnt vmcnt(1)
	ds_read2_b32 v[4:5], v4 offset0:13 offset1:14
	s_waitcnt vmcnt(0)
	ds_read2_b32 v[0:1], v0 offset0:11 offset1:12
	s_waitcnt lgkmcnt(0)
	v_pk_fma_f32 v[60:61], v[226:227], v[0:1], v[2:3] op_sel_hi:[0,1,1] neg_lo:[1,0,0] neg_hi:[1,0,0]
	v_mov_b32_e32 v0, v181
	v_mov_b32_e32 v1, v182
	v_pk_fma_f32 v[62:63], v[226:227], v[4:5], v[0:1] op_sel_hi:[0,1,1] neg_lo:[1,0,0] neg_hi:[1,0,0]
	v_mov_b32_e32 v0, v183
	v_mov_b32_e32 v1, v184
	;; [unrolled: 3-line block ×3, first 2 shown]
	v_pk_fma_f32 v[92:93], v[226:227], v[8:9], v[0:1] op_sel_hi:[0,1,1] neg_lo:[1,0,0] neg_hi:[1,0,0]
	scratch_load_dword v0, off, off offset:4 ; 4-byte Folded Reload
	scratch_load_dword v4, off, off offset:4 ; 4-byte Folded Reload
	scratch_load_dword v6, off, off offset:4 ; 4-byte Folded Reload
	scratch_load_dword v8, off, off offset:4 ; 4-byte Folded Reload
	v_mov_b32_e32 v2, v187
	v_mov_b32_e32 v3, v188
	;; [unrolled: 1-line block ×26, first 2 shown]
	s_waitcnt vmcnt(3)
	ds_read2_b32 v[0:1], v0 offset0:19 offset1:20
	s_waitcnt vmcnt(2)
	ds_read2_b32 v[4:5], v4 offset0:21 offset1:22
	;; [unrolled: 2-line block ×4, first 2 shown]
	s_waitcnt lgkmcnt(3)
	v_pk_fma_f32 v[94:95], v[226:227], v[0:1], v[2:3] op_sel_hi:[0,1,1] neg_lo:[1,0,0] neg_hi:[1,0,0]
	v_mov_b32_e32 v0, v189
	v_mov_b32_e32 v1, v190
	s_waitcnt lgkmcnt(2)
	v_pk_fma_f32 v[120:121], v[226:227], v[4:5], v[0:1] op_sel_hi:[0,1,1] neg_lo:[1,0,0] neg_hi:[1,0,0]
	v_mov_b32_e32 v0, v191
	v_mov_b32_e32 v1, v192
	;; [unrolled: 4-line block ×4, first 2 shown]
	v_mov_b32_e32 v2, v226
	v_mov_b32_e32 v3, v28
	;; [unrolled: 1-line block ×4, first 2 shown]
	scratch_store_dwordx4 off, v[0:3], s2   ; 16-byte Folded Spill
	s_nop 0
	scratch_store_dwordx4 off, v[4:7], s2 offset:16 ; 16-byte Folded Spill
	scratch_store_dwordx4 off, v[8:11], s2 offset:32 ; 16-byte Folded Spill
	;; [unrolled: 1-line block ×7, first 2 shown]
	v_mov_b64_e32 v[124:125], v[224:225]
	v_mov_b64_e32 v[126:127], v[226:227]
	v_mov_b64_e32 v[128:129], v[228:229]
	v_mov_b64_e32 v[130:131], v[230:231]
	v_mov_b64_e32 v[132:133], v[232:233]
	v_mov_b64_e32 v[134:135], v[234:235]
	v_mov_b64_e32 v[136:137], v[236:237]
	v_mov_b64_e32 v[138:139], v[238:239]
	v_mov_b64_e32 v[140:141], v[240:241]
	v_mov_b64_e32 v[142:143], v[242:243]
	v_mov_b64_e32 v[144:145], v[244:245]
	v_mov_b64_e32 v[146:147], v[246:247]
	v_mov_b64_e32 v[148:149], v[248:249]
	v_mov_b64_e32 v[150:151], v[250:251]
	v_mov_b64_e32 v[152:153], v[252:253]
	v_mov_b64_e32 v[154:155], v[254:255]
	v_mov_b64_e32 v[128:129], v[224:225]
	v_mov_b64_e32 v[220:221], v[126:127]
	v_mov_b32_e32 v51, v94
	v_mov_b32_e32 v52, v95
	;; [unrolled: 1-line block ×10, first 2 shown]
	v_mov_b64_e32 v[130:131], v[226:227]
	v_mov_b64_e32 v[132:133], v[228:229]
	;; [unrolled: 1-line block ×16, first 2 shown]
	v_mov_b32_e32 v103, v94
	v_mov_b32_e32 v214, v95
	;; [unrolled: 1-line block ×7, first 2 shown]
	scratch_store_dwordx4 off, v[0:3], off offset:3744 ; 16-byte Folded Spill
	s_nop 0
	scratch_store_dwordx4 off, v[4:7], off offset:3760 ; 16-byte Folded Spill
	scratch_store_dwordx4 off, v[8:11], off offset:3776 ; 16-byte Folded Spill
	scratch_store_dwordx4 off, v[12:15], off offset:3792 ; 16-byte Folded Spill
	scratch_store_dwordx4 off, v[16:19], off offset:3808 ; 16-byte Folded Spill
	scratch_store_dwordx4 off, v[20:23], off offset:3824 ; 16-byte Folded Spill
	scratch_store_dwordx4 off, v[24:27], off offset:3840 ; 16-byte Folded Spill
	scratch_store_dwordx4 off, v[28:31], off offset:3856 ; 16-byte Folded Spill
	v_mov_b32_e32 v6, v31
	scratch_store_dwordx4 off, v[0:3], off offset:3616 ; 16-byte Folded Spill
	s_nop 0
	scratch_store_dwordx4 off, v[4:7], off offset:3632 ; 16-byte Folded Spill
	scratch_store_dwordx4 off, v[8:11], off offset:3648 ; 16-byte Folded Spill
	scratch_store_dwordx4 off, v[12:15], off offset:3664 ; 16-byte Folded Spill
	scratch_store_dwordx4 off, v[16:19], off offset:3680 ; 16-byte Folded Spill
	scratch_store_dwordx4 off, v[20:23], off offset:3696 ; 16-byte Folded Spill
	scratch_store_dwordx4 off, v[24:27], off offset:3712 ; 16-byte Folded Spill
	scratch_store_dwordx4 off, v[28:31], off offset:3728 ; 16-byte Folded Spill
	v_mov_b32_e32 v7, v56
	;; [unrolled: 10-line block ×17, first 2 shown]
	v_mov_b32_e32 v23, v122
	v_mov_b32_e32 v35, v28
	v_mov_b32_e32 v36, v29
	v_mov_b32_e32 v37, v30
	v_mov_b32_e32 v38, v31
	scratch_store_dwordx4 off, v[0:3], off offset:272 ; 16-byte Folded Spill
	s_nop 0
	scratch_store_dwordx4 off, v[4:7], off offset:288 ; 16-byte Folded Spill
	scratch_store_dwordx4 off, v[8:11], off offset:304 ; 16-byte Folded Spill
	;; [unrolled: 1-line block ×7, first 2 shown]
	s_nop 0
	v_mov_b32_e32 v24, v123
	scratch_store_dwordx4 off, v[0:3], off offset:144 ; 16-byte Folded Spill
	s_nop 0
	scratch_store_dwordx4 off, v[4:7], off offset:160 ; 16-byte Folded Spill
	scratch_store_dwordx4 off, v[8:11], off offset:176 ; 16-byte Folded Spill
	;; [unrolled: 1-line block ×7, first 2 shown]
	v_mov_b32_e32 v174, v31
	v_mov_b32_e32 v208, v31
	scratch_load_dword v31, off, off offset:4 ; 4-byte Folded Reload
	v_mov_b32_e32 v171, v28
	v_mov_b32_e32 v172, v29
	;; [unrolled: 1-line block ×8, first 2 shown]
	scratch_store_dwordx2 off, v[26:27], off offset:8 ; 8-byte Folded Spill
.LBB52_49:
	s_or_b64 exec, exec, s[0:1]
	s_waitcnt vmcnt(0)
	v_lshl_add_u32 v27, v209, 2, v31
	s_barrier
	ds_write_b32 v27, v5
	s_waitcnt lgkmcnt(0)
	s_barrier
	ds_read_b32 v27, v31 offset:12
	s_cmp_lt_i32 s14, 5
	v_mov_b32_e32 v28, 3
	s_cbranch_scc1 .LBB52_52
; %bb.50:
	scratch_load_dword v28, off, off offset:1300 ; 4-byte Folded Reload
	s_mov_b32 s0, 4
	s_waitcnt vmcnt(0)
	v_add3_u32 v29, v28, 0, 16
	v_mov_b32_e32 v28, 3
.LBB52_51:                              ; =>This Inner Loop Header: Depth=1
	ds_read_b32 v30, v29
	v_add_u32_e32 v29, 4, v29
	s_waitcnt lgkmcnt(0)
	v_cmp_lt_f32_e64 vcc, |v27|, |v30|
	s_nop 1
	v_cndmask_b32_e32 v27, v27, v30, vcc
	v_mov_b32_e32 v30, s0
	s_add_i32 s0, s0, 1
	v_cndmask_b32_e32 v28, v28, v30, vcc
	s_cmp_lg_u32 s14, s0
	s_cbranch_scc1 .LBB52_51
.LBB52_52:
	s_waitcnt lgkmcnt(0)
	v_cmp_eq_f32_e32 vcc, 0, v27
	s_and_saveexec_b64 s[0:1], vcc
	s_xor_b64 s[0:1], exec, s[0:1]
	s_cbranch_execz .LBB52_54
; %bb.53:
	scratch_load_dword v0, off, off offset:16 ; 4-byte Folded Reload
	s_waitcnt vmcnt(0)
	v_cmp_ne_u32_e32 vcc, 0, v0
	s_nop 1
	v_cndmask_b32_e32 v0, 4, v0, vcc
	scratch_store_dword off, v0, off offset:16 ; 4-byte Folded Spill
.LBB52_54:
	s_andn2_saveexec_b64 s[0:1], s[0:1]
	s_cbranch_execz .LBB52_56
; %bb.55:
	v_div_scale_f32 v29, s[2:3], v27, v27, 1.0
	v_rcp_f32_e32 v30, v29
	v_div_scale_f32 v31, vcc, 1.0, v27, 1.0
	v_fma_f32 v55, -v29, v30, 1.0
	v_fmac_f32_e32 v30, v55, v30
	v_mul_f32_e32 v55, v31, v30
	v_fma_f32 v56, -v29, v55, v31
	v_fmac_f32_e32 v55, v56, v30
	v_fma_f32 v29, -v29, v55, v31
	scratch_load_dword v31, off, off offset:4 ; 4-byte Folded Reload
	v_div_fmas_f32 v29, v29, v30, v55
	v_div_fixup_f32 v27, v29, v27, 1.0
.LBB52_56:
	s_or_b64 exec, exec, s[0:1]
	v_cmp_ne_u32_e32 vcc, v209, v28
	s_and_saveexec_b64 s[0:1], vcc
	s_xor_b64 s[0:1], exec, s[0:1]
	s_cbranch_execz .LBB52_62
; %bb.57:
	v_cmp_eq_u32_e32 vcc, 3, v209
	s_and_saveexec_b64 s[2:3], vcc
	s_cbranch_execz .LBB52_61
; %bb.58:
	v_cmp_ne_u32_e32 vcc, 3, v28
	s_xor_b64 s[18:19], s[16:17], -1
	s_and_b64 s[20:21], s[18:19], vcc
	s_and_saveexec_b64 s[18:19], s[20:21]
	s_cbranch_execz .LBB52_60
; %bb.59:
	scratch_load_dwordx2 v[56:57], off, off offset:3608 ; 8-byte Folded Reload
	v_ashrrev_i32_e32 v29, 31, v28
	s_waitcnt vmcnt(0)
	v_lshl_add_u64 v[30:31], v[28:29], 2, v[56:57]
	global_load_dword v29, v[30:31], off
	global_load_dword v55, v[56:57], off offset:12
	s_waitcnt vmcnt(1)
	global_store_dword v[56:57], v29, off offset:12
	s_waitcnt vmcnt(1)
	global_store_dword v[30:31], v55, off
	scratch_load_dword v31, off, off offset:4 ; 4-byte Folded Reload
.LBB52_60:
	s_or_b64 exec, exec, s[18:19]
	v_mov_b32_e32 v29, v28
	v_mov_b32_e32 v209, v28
	scratch_store_dword off, v29, off offset:1296 ; 4-byte Folded Spill
.LBB52_61:
	s_or_b64 exec, exec, s[2:3]
.LBB52_62:
	s_or_saveexec_b64 s[0:1], s[0:1]
	v_mov_b32_e32 v113, v25
	s_xor_b64 exec, exec, s[0:1]
	s_cbranch_execz .LBB52_64
; %bb.63:
	s_waitcnt vmcnt(0)
	ds_write2_b32 v31, v172, v173 offset0:4 offset1:5
	ds_write2_b32 v31, v174, v175 offset0:6 offset1:7
	;; [unrolled: 1-line block ×11, first 2 shown]
	scratch_load_dwordx2 v[28:29], off, off offset:8 ; 8-byte Folded Reload
	v_mov_b32_e32 v209, 3
	s_waitcnt vmcnt(0)
	ds_write_b32 v31, v29 offset:104
.LBB52_64:
	s_or_b64 exec, exec, s[0:1]
	v_cmp_lt_i32_e32 vcc, 3, v209
	s_waitcnt lgkmcnt(0)
	s_barrier
	s_and_saveexec_b64 s[0:1], vcc
	s_cbranch_execz .LBB52_66
; %bb.65:
	s_waitcnt vmcnt(0)
	ds_read2_b32 v[2:3], v31 offset0:4 offset1:5
	ds_read2_b32 v[28:29], v31 offset0:6 offset1:7
	scratch_load_dword v0, off, off offset:4 ; 4-byte Folded Reload
	scratch_load_dword v1, off, off offset:4 ; 4-byte Folded Reload
	v_mov_b32_e32 v56, v128
	v_mov_b32_e32 v57, v129
	;; [unrolled: 1-line block ×18, first 2 shown]
	s_movk_i32 s2, 0x1020
	s_waitcnt vmcnt(1)
	ds_read2_b32 v[30:31], v0 offset0:8 offset1:9
	v_mul_f32_e32 v0, v5, v27
	s_waitcnt vmcnt(0)
	ds_read2_b32 v[26:27], v1 offset0:10 offset1:11
	s_waitcnt lgkmcnt(3)
	v_pk_fma_f32 v[158:159], v[0:1], v[2:3], v[172:173] op_sel_hi:[0,1,1] neg_lo:[1,0,0] neg_hi:[1,0,0]
	s_waitcnt lgkmcnt(2)
	v_pk_fma_f32 v[66:67], v[0:1], v[28:29], v[174:175] op_sel_hi:[0,1,1] neg_lo:[1,0,0] neg_hi:[1,0,0]
	;; [unrolled: 2-line block ×3, first 2 shown]
	scratch_load_dword v31, off, off offset:4 ; 4-byte Folded Reload
	v_mov_b32_e32 v131, v0
	v_mov_b32_e32 v132, v158
	;; [unrolled: 1-line block ×25, first 2 shown]
	s_waitcnt vmcnt(0)
	ds_read2_b32 v[2:3], v31 offset0:12 offset1:13
	s_waitcnt lgkmcnt(1)
	v_pk_fma_f32 v[138:139], v[0:1], v[26:27], v[178:179] op_sel_hi:[0,1,1] neg_lo:[1,0,0] neg_hi:[1,0,0]
	ds_read2_b32 v[4:5], v31 offset0:14 offset1:15
	ds_read2_b32 v[6:7], v31 offset0:16 offset1:17
	;; [unrolled: 1-line block ×3, first 2 shown]
	v_mov_b32_e32 v170, v138
	v_mov_b32_e32 v171, v139
	s_waitcnt lgkmcnt(3)
	v_pk_fma_f32 v[152:153], v[0:1], v[2:3], v[180:181] op_sel_hi:[0,1,1] neg_lo:[1,0,0] neg_hi:[1,0,0]
	ds_read2_b32 v[2:3], v31 offset0:20 offset1:21
	ds_read2_b32 v[10:11], v31 offset0:22 offset1:23
	;; [unrolled: 1-line block ×3, first 2 shown]
	ds_read_b32 v1, v31 offset:104
	v_mov_b32_e32 v172, v152
	v_mov_b32_e32 v173, v153
	;; [unrolled: 1-line block ×4, first 2 shown]
	s_waitcnt lgkmcnt(0)
	v_pk_fma_f32 v[226:227], v[0:1], v[4:5], v[182:183] op_sel_hi:[0,1,1] neg_lo:[1,0,0] neg_hi:[1,0,0]
	v_pk_fma_f32 v[18:19], v[0:1], v[6:7], v[184:185] op_sel_hi:[0,1,1] neg_lo:[1,0,0] neg_hi:[1,0,0]
	;; [unrolled: 1-line block ×3, first 2 shown]
	v_mov_b32_e32 v2, v56
	v_mov_b32_e32 v3, v57
	;; [unrolled: 1-line block ×6, first 2 shown]
	v_pk_fma_f32 v[50:51], v[0:1], v[8:9], v[186:187] op_sel_hi:[0,1,1] neg_lo:[1,0,0] neg_hi:[1,0,0]
	v_pk_fma_f32 v[54:55], v[0:1], v[10:11], v[190:191] op_sel_hi:[0,1,1] neg_lo:[1,0,0] neg_hi:[1,0,0]
	;; [unrolled: 1-line block ×3, first 2 shown]
	scratch_store_dwordx4 off, v[2:5], off offset:3744 ; 16-byte Folded Spill
	s_nop 0
	scratch_store_dwordx4 off, v[6:9], off offset:3760 ; 16-byte Folded Spill
	scratch_store_dwordx4 off, v[10:13], off offset:3776 ; 16-byte Folded Spill
	scratch_store_dwordx4 off, v[14:17], off offset:3792 ; 16-byte Folded Spill
	scratch_store_dwordx4 off, v[18:21], off offset:3808 ; 16-byte Folded Spill
	scratch_store_dwordx4 off, v[22:25], off offset:3824 ; 16-byte Folded Spill
	scratch_store_dwordx4 off, v[26:29], off offset:3840 ; 16-byte Folded Spill
	scratch_store_dwordx4 off, v[30:33], off offset:3856 ; 16-byte Folded Spill
	v_mov_b32_e32 v8, v66
	v_mov_b32_e32 v9, v67
	v_mov_b32_e32 v124, v206
	v_mov_b32_e32 v125, v207
	v_mov_b32_e32 v126, v54
	v_mov_b32_e32 v127, v55
	v_mov_b32_e32 v186, v56
	v_mov_b32_e32 v187, v57
	v_mov_b32_e32 v188, v58
	v_mov_b32_e32 v189, v0
	v_mov_b32_e32 v192, v66
	v_mov_b32_e32 v193, v67
	v_mov_b32_e32 v174, v226
	v_mov_b32_e32 v175, v227
	v_mov_b32_e32 v180, v206
	v_mov_b32_e32 v181, v207
	v_mov_b32_e32 v182, v54
	v_mov_b32_e32 v183, v55
	v_mov_b32_e32 v190, v158
	v_mov_b32_e32 v191, v159
	v_mov_b32_e32 v222, v138
	v_mov_b32_e32 v223, v139
	v_mov_b32_e32 v224, v152
	v_mov_b32_e32 v225, v153
	v_mov_b32_e32 v196, v138
	v_mov_b32_e32 v197, v139
	v_mov_b32_e32 v198, v152
	v_mov_b32_e32 v199, v153
	v_mov_b32_e32 v200, v226
	v_mov_b32_e32 v201, v227
	v_mov_b32_e32 v52, v206
	v_mov_b32_e32 v53, v207
	scratch_store_dwordx4 off, v[2:5], off offset:3224 ; 16-byte Folded Spill
	s_nop 0
	scratch_store_dwordx4 off, v[6:9], off offset:3240 ; 16-byte Folded Spill
	scratch_store_dwordx4 off, v[10:13], off offset:3256 ; 16-byte Folded Spill
	;; [unrolled: 1-line block ×7, first 2 shown]
	v_mov_b64_e32 v[10:11], v[14:15]
	v_mov_b64_e32 v[28:29], v[10:11]
	;; [unrolled: 1-line block ×6, first 2 shown]
	scratch_store_dwordx4 off, v[2:5], off offset:2840 ; 16-byte Folded Spill
	s_nop 0
	scratch_store_dwordx4 off, v[6:9], off offset:2856 ; 16-byte Folded Spill
	scratch_store_dwordx4 off, v[10:13], off offset:2872 ; 16-byte Folded Spill
	scratch_store_dwordx4 off, v[14:17], off offset:2888 ; 16-byte Folded Spill
	scratch_store_dwordx4 off, v[18:21], off offset:2904 ; 16-byte Folded Spill
	scratch_store_dwordx4 off, v[22:25], off offset:2920 ; 16-byte Folded Spill
	scratch_store_dwordx4 off, v[26:29], off offset:2936 ; 16-byte Folded Spill
	scratch_store_dwordx4 off, v[30:33], off offset:2952 ; 16-byte Folded Spill
	v_mov_b32_e32 v12, v138
	v_mov_b32_e32 v13, v139
	v_mov_b32_e32 v136, v28
	v_mov_b32_e32 v137, v29
	scratch_store_dwordx4 off, v[2:5], off offset:1816 ; 16-byte Folded Spill
	s_nop 0
	scratch_store_dwordx4 off, v[6:9], off offset:1832 ; 16-byte Folded Spill
	scratch_store_dwordx4 off, v[10:13], off offset:1848 ; 16-byte Folded Spill
	scratch_store_dwordx4 off, v[14:17], off offset:1864 ; 16-byte Folded Spill
	scratch_store_dwordx4 off, v[18:21], off offset:1880 ; 16-byte Folded Spill
	scratch_store_dwordx4 off, v[22:25], off offset:1896 ; 16-byte Folded Spill
	scratch_store_dwordx4 off, v[26:29], off offset:1912 ; 16-byte Folded Spill
	scratch_store_dwordx4 off, v[30:33], off offset:1928 ; 16-byte Folded Spill
	v_mov_b32_e32 v14, v152
	v_mov_b32_e32 v15, v153
	v_mov_b32_e32 v148, v28
	v_mov_b32_e32 v149, v29
	;; [unrolled: 13-line block ×3, first 2 shown]
	scratch_store_dwordx4 off, v[2:5], off offset:1168 ; 16-byte Folded Spill
	s_nop 0
	scratch_store_dwordx4 off, v[6:9], off offset:1184 ; 16-byte Folded Spill
	scratch_store_dwordx4 off, v[10:13], off offset:1200 ; 16-byte Folded Spill
	;; [unrolled: 1-line block ×7, first 2 shown]
	v_mov_b64_e32 v[46:47], v[16:17]
	v_mov_b64_e32 v[76:77], v[10:11]
	;; [unrolled: 1-line block ×14, first 2 shown]
	scratch_store_dwordx4 off, v[2:5], off offset:1040 ; 16-byte Folded Spill
	s_nop 0
	scratch_store_dwordx4 off, v[6:9], off offset:1056 ; 16-byte Folded Spill
	scratch_store_dwordx4 off, v[10:13], off offset:1072 ; 16-byte Folded Spill
	;; [unrolled: 1-line block ×7, first 2 shown]
	v_mov_b64_e32 v[20:21], v[50:51]
	v_mov_b32_e32 v202, v48
	v_mov_b32_e32 v203, v49
	;; [unrolled: 1-line block ×20, first 2 shown]
	v_mov_b64_e32 v[92:93], v[16:17]
	v_mov_b64_e32 v[96:97], v[20:21]
	;; [unrolled: 1-line block ×10, first 2 shown]
	scratch_store_dwordx4 off, v[2:5], off offset:656 ; 16-byte Folded Spill
	s_nop 0
	scratch_store_dwordx4 off, v[6:9], off offset:672 ; 16-byte Folded Spill
	scratch_store_dwordx4 off, v[10:13], off offset:688 ; 16-byte Folded Spill
	;; [unrolled: 1-line block ×7, first 2 shown]
	v_mov_b32_e32 v22, v206
	v_mov_b32_e32 v23, v207
	;; [unrolled: 1-line block ×10, first 2 shown]
	v_mov_b64_e32 v[118:119], v[16:17]
	v_mov_b64_e32 v[116:117], v[14:15]
	;; [unrolled: 1-line block ×9, first 2 shown]
	scratch_store_dwordx4 off, v[2:5], off offset:400 ; 16-byte Folded Spill
	s_nop 0
	scratch_store_dwordx4 off, v[6:9], off offset:416 ; 16-byte Folded Spill
	scratch_store_dwordx4 off, v[10:13], off offset:432 ; 16-byte Folded Spill
	;; [unrolled: 1-line block ×7, first 2 shown]
	v_mov_b64_e32 v[4:5], v[104:105]
	v_mov_b64_e32 v[6:7], v[106:107]
	;; [unrolled: 1-line block ×8, first 2 shown]
	v_mov_b32_e32 v107, v0
	v_mov_b32_e32 v104, v56
	v_mov_b32_e32 v105, v57
	v_mov_b32_e32 v106, v58
	v_mov_b32_e32 v108, v158
	v_mov_b32_e32 v109, v159
	v_mov_b32_e32 v110, v66
	v_mov_b32_e32 v111, v67
	v_mov_b32_e32 v112, v76
	v_mov_b32_e32 v113, v77
	v_mov_b32_e32 v114, v138
	v_mov_b32_e32 v115, v139
	v_mov_b32_e32 v116, v152
	v_mov_b32_e32 v117, v153
	v_mov_b32_e32 v118, v226
	v_mov_b32_e32 v119, v227
	v_mov_b32_e32 v48, v120
	v_mov_b32_e32 v49, v121
	v_mov_b64_e32 v[20:21], v[120:121]
	scratch_load_dwordx2 v[2:3], off, off offset:8 ; 8-byte Folded Reload
	s_nop 0
	scratch_store_dwordx4 off, v[104:107], off offset:272 ; 16-byte Folded Spill
	s_nop 0
	scratch_store_dwordx4 off, v[108:111], off offset:288 ; 16-byte Folded Spill
	scratch_store_dwordx4 off, v[112:115], off offset:304 ; 16-byte Folded Spill
	;; [unrolled: 1-line block ×7, first 2 shown]
	v_mov_b64_e32 v[118:119], v[18:19]
	v_mov_b64_e32 v[116:117], v[16:17]
	;; [unrolled: 1-line block ×9, first 2 shown]
	scratch_store_dwordx4 off, v[68:71], off offset:1688 ; 16-byte Folded Spill
	s_nop 0
	scratch_store_dwordx4 off, v[72:75], off offset:1704 ; 16-byte Folded Spill
	scratch_store_dwordx4 off, v[76:79], off offset:1720 ; 16-byte Folded Spill
	scratch_store_dwordx4 off, v[80:83], off offset:1736 ; 16-byte Folded Spill
	scratch_store_dwordx4 off, v[84:87], off offset:1752 ; 16-byte Folded Spill
	scratch_store_dwordx4 off, v[88:91], off offset:1768 ; 16-byte Folded Spill
	scratch_store_dwordx4 off, v[92:95], off offset:1784 ; 16-byte Folded Spill
	scratch_store_dwordx4 off, v[96:99], off offset:1800 ; 16-byte Folded Spill
	v_mov_b32_e32 v16, v120
	v_mov_b32_e32 v17, v121
	scratch_store_dwordx4 off, v[104:107], off offset:912 ; 16-byte Folded Spill
	s_nop 0
	scratch_store_dwordx4 off, v[108:111], off offset:928 ; 16-byte Folded Spill
	scratch_store_dwordx4 off, v[112:115], off offset:944 ; 16-byte Folded Spill
	scratch_store_dwordx4 off, v[116:119], off offset:960 ; 16-byte Folded Spill
	scratch_store_dwordx4 off, v[120:123], off offset:976 ; 16-byte Folded Spill
	scratch_store_dwordx4 off, v[124:127], off offset:992 ; 16-byte Folded Spill
	scratch_store_dwordx4 off, v[128:131], off offset:1008 ; 16-byte Folded Spill
	scratch_store_dwordx4 off, v[132:135], off offset:1024 ; 16-byte Folded Spill
	v_mov_b32_e32 v32, v56
	v_mov_b32_e32 v33, v57
	s_waitcnt vmcnt(24)
	v_mov_b32_e32 v2, v58
	v_mov_b32_e32 v6, v66
	;; [unrolled: 1-line block ×3, first 2 shown]
	v_fma_f32 v26, -v0, v1, v3
	v_mov_b32_e32 v3, v0
	v_mov_b32_e32 v0, v56
	;; [unrolled: 1-line block ×5, first 2 shown]
	scratch_store_dwordx4 off, v[78:81], off offset:784 ; 16-byte Folded Spill
	s_nop 0
	scratch_store_dwordx4 off, v[82:85], off offset:800 ; 16-byte Folded Spill
	scratch_store_dwordx4 off, v[86:89], off offset:816 ; 16-byte Folded Spill
	;; [unrolled: 1-line block ×7, first 2 shown]
	v_mov_b32_e32 v8, v76
	v_mov_b32_e32 v9, v77
	scratch_store_dwordx4 off, v[56:59], off offset:1944 ; 16-byte Folded Spill
	s_nop 0
	scratch_store_dwordx4 off, v[60:63], off offset:1960 ; 16-byte Folded Spill
	scratch_store_dwordx4 off, v[64:67], off offset:1976 ; 16-byte Folded Spill
	;; [unrolled: 1-line block ×7, first 2 shown]
	v_mov_b32_e32 v176, v20
	v_mov_b32_e32 v177, v21
	;; [unrolled: 1-line block ×8, first 2 shown]
	scratch_store_dwordx2 off, v[28:29], off offset:8 ; 8-byte Folded Spill
	v_mov_b32_e32 v114, v158
	scratch_store_dwordx4 off, v[154:157], s2 ; 16-byte Folded Spill
	s_nop 0
	scratch_store_dwordx4 off, v[158:161], s2 offset:16 ; 16-byte Folded Spill
	scratch_store_dwordx4 off, v[162:165], s2 offset:32 ; 16-byte Folded Spill
	;; [unrolled: 1-line block ×7, first 2 shown]
	v_mov_b32_e32 v10, v138
	v_mov_b32_e32 v11, v139
	;; [unrolled: 1-line block ×19, first 2 shown]
	scratch_store_dwordx4 off, v[74:77], off offset:3616 ; 16-byte Folded Spill
	s_nop 0
	scratch_store_dwordx4 off, v[78:81], off offset:3632 ; 16-byte Folded Spill
	scratch_store_dwordx4 off, v[82:85], off offset:3648 ; 16-byte Folded Spill
	scratch_store_dwordx4 off, v[86:89], off offset:3664 ; 16-byte Folded Spill
	scratch_store_dwordx4 off, v[90:93], off offset:3680 ; 16-byte Folded Spill
	scratch_store_dwordx4 off, v[94:97], off offset:3696 ; 16-byte Folded Spill
	scratch_store_dwordx4 off, v[98:101], off offset:3712 ; 16-byte Folded Spill
	scratch_store_dwordx4 off, v[102:105], off offset:3728 ; 16-byte Folded Spill
	scratch_load_dwordx4 v[68:71], off, off offset:1688 ; 16-byte Folded Reload
	s_nop 0
	scratch_load_dwordx4 v[72:75], off, off offset:1704 ; 16-byte Folded Reload
	scratch_load_dwordx4 v[76:79], off, off offset:1720 ; 16-byte Folded Reload
	scratch_load_dwordx4 v[80:83], off, off offset:1736 ; 16-byte Folded Reload
	scratch_load_dwordx4 v[84:87], off, off offset:1752 ; 16-byte Folded Reload
	scratch_load_dwordx4 v[88:91], off, off offset:1768 ; 16-byte Folded Reload
	scratch_load_dwordx4 v[92:95], off, off offset:1784 ; 16-byte Folded Reload
	scratch_load_dwordx4 v[96:99], off, off offset:1800 ; 16-byte Folded Reload
	s_waitcnt vmcnt(6)
	v_mov_b32_e32 v74, v138
	v_mov_b32_e32 v104, v226
	;; [unrolled: 1-line block ×3, first 2 shown]
	scratch_store_dwordx4 off, v[128:131], off offset:2712 ; 16-byte Folded Spill
	s_nop 0
	scratch_store_dwordx4 off, v[132:135], off offset:2728 ; 16-byte Folded Spill
	scratch_store_dwordx4 off, v[136:139], off offset:2744 ; 16-byte Folded Spill
	;; [unrolled: 1-line block ×7, first 2 shown]
	v_mov_b32_e32 v208, v66
	v_mov_b32_e32 v211, v67
	s_waitcnt vmcnt(12)
	v_mov_b32_e32 v83, v77
	v_mov_b32_e32 v78, v152
	scratch_store_dwordx4 off, v[140:143], off offset:1560 ; 16-byte Folded Spill
	s_nop 0
	scratch_store_dwordx4 off, v[144:147], off offset:1576 ; 16-byte Folded Spill
	scratch_store_dwordx4 off, v[148:151], off offset:1592 ; 16-byte Folded Spill
	;; [unrolled: 1-line block ×8, first 2 shown]
	s_nop 0
	scratch_store_dwordx4 off, v[216:219], off offset:1320 ; 16-byte Folded Spill
	scratch_store_dwordx4 off, v[220:223], off offset:1336 ; 16-byte Folded Spill
	;; [unrolled: 1-line block ×7, first 2 shown]
	v_mov_b32_e32 v214, v206
	v_mov_b32_e32 v77, v139
	;; [unrolled: 1-line block ×4, first 2 shown]
	scratch_load_dwordx4 v[218:221], off, off offset:1944 ; 16-byte Folded Reload
	scratch_load_dwordx4 v[222:225], off, off offset:1960 ; 16-byte Folded Reload
	;; [unrolled: 1-line block ×8, first 2 shown]
                                        ; kill: def $vgpr218_vgpr219_vgpr220_vgpr221 killed $vgpr218_vgpr219_vgpr220_vgpr221 def $vgpr239_vgpr240_vgpr241_vgpr242_vgpr243_vgpr244_vgpr245_vgpr246_vgpr247_vgpr248_vgpr249 def $vgpr223_vgpr224_vgpr225_vgpr226_vgpr227_vgpr228_vgpr229_vgpr230_vgpr231_vgpr232_vgpr233_vgpr234_vgpr235_vgpr236_vgpr237_vgpr238
	scratch_load_dwordx4 v[222:225], off, off offset:912 ; 16-byte Folded Reload
	scratch_load_dwordx4 v[226:229], off, off offset:928 ; 16-byte Folded Reload
	;; [unrolled: 1-line block ×8, first 2 shown]
	v_mov_b64_e32 v[140:141], v[160:161]
	v_mov_b64_e32 v[142:143], v[162:163]
	;; [unrolled: 1-line block ×8, first 2 shown]
	v_mov_b32_e32 v156, v176
	v_mov_b32_e32 v157, v177
	;; [unrolled: 1-line block ×9, first 2 shown]
	v_mov_b64_e32 v[182:183], v[14:15]
	v_mov_b64_e32 v[180:181], v[12:13]
	;; [unrolled: 1-line block ×16, first 2 shown]
	s_waitcnt vmcnt(3)
	v_mov_b64_e32 v[72:73], v[238:239]
	scratch_load_dwordx4 v[222:225], off, off offset:784 ; 16-byte Folded Reload
	scratch_load_dwordx4 v[226:229], off, off offset:800 ; 16-byte Folded Reload
	scratch_load_dwordx4 v[230:233], off, off offset:816 ; 16-byte Folded Reload
	scratch_load_dwordx4 v[234:237], off, off offset:832 ; 16-byte Folded Reload
	scratch_load_dwordx4 v[238:241], off, off offset:848 ; 16-byte Folded Reload
	scratch_load_dwordx4 v[242:245], off, off offset:864 ; 16-byte Folded Reload
	scratch_load_dwordx4 v[246:249], off, off offset:880 ; 16-byte Folded Reload
	scratch_load_dwordx4 v[250:253], off, off offset:896 ; 16-byte Folded Reload
	s_nop 0
	scratch_store_dwordx4 off, v[186:189], off offset:528 ; 16-byte Folded Spill
	s_nop 0
	scratch_store_dwordx4 off, v[190:193], off offset:544 ; 16-byte Folded Spill
	scratch_store_dwordx4 off, v[194:197], off offset:560 ; 16-byte Folded Spill
	;; [unrolled: 1-line block ×7, first 2 shown]
	v_mov_b32_e32 v194, v26
	v_mov_b32_e32 v193, v25
	;; [unrolled: 1-line block ×22, first 2 shown]
	scratch_store_dwordx4 off, v[0:3], off offset:144 ; 16-byte Folded Spill
	s_nop 0
	scratch_store_dwordx4 off, v[4:7], off offset:160 ; 16-byte Folded Spill
	scratch_store_dwordx4 off, v[8:11], off offset:176 ; 16-byte Folded Spill
	;; [unrolled: 1-line block ×7, first 2 shown]
	v_mov_b32_e32 v215, v207
	s_waitcnt vmcnt(19)
	v_mov_b64_e32 v[100:101], v[238:239]
	v_mov_b64_e32 v[102:103], v[240:241]
	v_mov_b32_e32 v118, v102
.LBB52_66:
	s_or_b64 exec, exec, s[0:1]
	s_waitcnt vmcnt(0)
	v_lshl_add_u32 v27, v209, 2, v31
	s_barrier
	ds_write_b32 v27, v114
	s_waitcnt lgkmcnt(0)
	s_barrier
	ds_read_b32 v27, v31 offset:16
	s_cmp_lt_i32 s14, 6
	v_mov_b32_e32 v28, 4
	s_cbranch_scc1 .LBB52_448
; %bb.67:
	scratch_load_dword v28, off, off offset:1300 ; 4-byte Folded Reload
	s_mov_b32 s0, 5
	v_mov_b32_e32 v7, v113
	s_waitcnt vmcnt(0)
	v_add3_u32 v29, v28, 0, 20
	v_mov_b32_e32 v28, 4
.LBB52_68:                              ; =>This Inner Loop Header: Depth=1
	ds_read_b32 v30, v29
	v_add_u32_e32 v29, 4, v29
	s_waitcnt lgkmcnt(0)
	v_cmp_lt_f32_e64 vcc, |v27|, |v30|
	s_nop 1
	v_cndmask_b32_e32 v27, v27, v30, vcc
	v_mov_b32_e32 v30, s0
	s_add_i32 s0, s0, 1
	v_cndmask_b32_e32 v28, v28, v30, vcc
	s_cmp_lg_u32 s14, s0
	s_cbranch_scc1 .LBB52_68
; %bb.69:
	v_cmp_eq_f32_e32 vcc, 0, v27
	s_and_saveexec_b64 s[0:1], vcc
	s_xor_b64 s[0:1], exec, s[0:1]
	s_cbranch_execz .LBB52_71
.LBB52_70:
	scratch_load_dword v0, off, off offset:16 ; 4-byte Folded Reload
	s_waitcnt vmcnt(0)
	v_cmp_ne_u32_e32 vcc, 0, v0
	s_nop 1
	v_cndmask_b32_e32 v0, 5, v0, vcc
	scratch_store_dword off, v0, off offset:16 ; 4-byte Folded Spill
.LBB52_71:
	s_andn2_saveexec_b64 s[0:1], s[0:1]
	s_cbranch_execz .LBB52_73
; %bb.72:
	v_div_scale_f32 v29, s[2:3], v27, v27, 1.0
	v_rcp_f32_e32 v30, v29
	v_div_scale_f32 v31, vcc, 1.0, v27, 1.0
	v_fma_f32 v55, -v29, v30, 1.0
	v_fmac_f32_e32 v30, v55, v30
	v_mul_f32_e32 v55, v31, v30
	v_fma_f32 v56, -v29, v55, v31
	v_fmac_f32_e32 v55, v56, v30
	v_fma_f32 v29, -v29, v55, v31
	scratch_load_dword v31, off, off offset:4 ; 4-byte Folded Reload
	v_div_fmas_f32 v29, v29, v30, v55
	v_div_fixup_f32 v27, v29, v27, 1.0
.LBB52_73:
	s_or_b64 exec, exec, s[0:1]
	v_cmp_ne_u32_e32 vcc, v209, v28
	s_and_saveexec_b64 s[0:1], vcc
	s_xor_b64 s[0:1], exec, s[0:1]
	s_cbranch_execz .LBB52_79
; %bb.74:
	v_cmp_eq_u32_e32 vcc, 4, v209
	s_and_saveexec_b64 s[2:3], vcc
	s_cbranch_execz .LBB52_78
; %bb.75:
	v_cmp_ne_u32_e32 vcc, 4, v28
	s_xor_b64 s[18:19], s[16:17], -1
	s_and_b64 s[20:21], s[18:19], vcc
	s_and_saveexec_b64 s[18:19], s[20:21]
	s_cbranch_execz .LBB52_77
; %bb.76:
	scratch_load_dwordx2 v[56:57], off, off offset:3608 ; 8-byte Folded Reload
	v_ashrrev_i32_e32 v29, 31, v28
	s_waitcnt vmcnt(0)
	v_lshl_add_u64 v[30:31], v[28:29], 2, v[56:57]
	global_load_dword v29, v[30:31], off
	global_load_dword v55, v[56:57], off offset:16
	s_waitcnt vmcnt(1)
	global_store_dword v[56:57], v29, off offset:16
	s_waitcnt vmcnt(1)
	global_store_dword v[30:31], v55, off
	scratch_load_dword v31, off, off offset:4 ; 4-byte Folded Reload
.LBB52_77:
	s_or_b64 exec, exec, s[18:19]
	v_mov_b32_e32 v29, v28
	v_mov_b32_e32 v209, v28
	scratch_store_dword off, v29, off offset:1296 ; 4-byte Folded Spill
.LBB52_78:
	s_or_b64 exec, exec, s[2:3]
.LBB52_79:
	s_andn2_saveexec_b64 s[0:1], s[0:1]
	s_cbranch_execz .LBB52_81
; %bb.80:
	v_mov_b32_e32 v209, 4
	s_waitcnt vmcnt(0)
	ds_write2_b32 v31, v173, v174 offset0:5 offset1:6
	ds_write2_b32 v31, v175, v176 offset0:7 offset1:8
	;; [unrolled: 1-line block ×11, first 2 shown]
.LBB52_81:
	s_or_b64 exec, exec, s[0:1]
	v_cmp_lt_i32_e32 vcc, 4, v209
	s_waitcnt lgkmcnt(0)
	s_barrier
	s_and_saveexec_b64 s[0:1], vcc
	s_cbranch_execz .LBB52_83
; %bb.82:
	s_waitcnt vmcnt(0)
	ds_read2_b32 v[0:1], v31 offset0:5 offset1:6
	ds_read2_b32 v[4:5], v31 offset0:7 offset1:8
	;; [unrolled: 1-line block ×4, first 2 shown]
	v_mul_f32_e32 v222, v114, v27
	v_mov_b32_e32 v2, v173
	v_mov_b32_e32 v3, v174
	s_waitcnt lgkmcnt(3)
	v_pk_fma_f32 v[28:29], v[222:223], v[0:1], v[2:3] op_sel_hi:[0,1,1] neg_lo:[1,0,0] neg_hi:[1,0,0]
	v_mov_b32_e32 v0, v175
	v_mov_b32_e32 v1, v176
	s_waitcnt lgkmcnt(2)
	v_pk_fma_f32 v[30:31], v[222:223], v[4:5], v[0:1] op_sel_hi:[0,1,1] neg_lo:[1,0,0] neg_hi:[1,0,0]
	;; [unrolled: 4-line block ×4, first 2 shown]
	scratch_load_dword v0, off, off offset:4 ; 4-byte Folded Reload
	scratch_load_dword v4, off, off offset:4 ; 4-byte Folded Reload
	;; [unrolled: 1-line block ×4, first 2 shown]
	v_mov_b32_e32 v2, v181
	v_mov_b32_e32 v3, v182
	;; [unrolled: 1-line block ×12, first 2 shown]
	s_movk_i32 s2, 0x1020
	v_mov_b32_e32 v41, v56
	v_mov_b32_e32 v42, v57
	;; [unrolled: 1-line block ×12, first 2 shown]
	s_waitcnt vmcnt(3)
	ds_read2_b32 v[0:1], v0 offset0:13 offset1:14
	s_waitcnt vmcnt(2)
	ds_read2_b32 v[4:5], v4 offset0:15 offset1:16
	s_waitcnt vmcnt(1)
	ds_read2_b32 v[6:7], v6 offset0:17 offset1:18
	s_waitcnt vmcnt(0)
	ds_read2_b32 v[8:9], v8 offset0:19 offset1:20
	s_waitcnt lgkmcnt(3)
	v_pk_fma_f32 v[60:61], v[222:223], v[0:1], v[2:3] op_sel_hi:[0,1,1] neg_lo:[1,0,0] neg_hi:[1,0,0]
	v_mov_b32_e32 v0, v183
	v_mov_b32_e32 v1, v184
	s_waitcnt lgkmcnt(2)
	v_pk_fma_f32 v[62:63], v[222:223], v[4:5], v[0:1] op_sel_hi:[0,1,1] neg_lo:[1,0,0] neg_hi:[1,0,0]
	v_mov_b32_e32 v0, v185
	v_mov_b32_e32 v1, v186
	;; [unrolled: 4-line block ×3, first 2 shown]
	s_waitcnt lgkmcnt(0)
	v_pk_fma_f32 v[92:93], v[222:223], v[8:9], v[0:1] op_sel_hi:[0,1,1] neg_lo:[1,0,0] neg_hi:[1,0,0]
	scratch_load_dword v0, off, off offset:4 ; 4-byte Folded Reload
	scratch_load_dword v4, off, off offset:4 ; 4-byte Folded Reload
	;; [unrolled: 1-line block ×3, first 2 shown]
	v_mov_b32_e32 v2, v189
	v_mov_b32_e32 v3, v190
	;; [unrolled: 1-line block ×26, first 2 shown]
	s_waitcnt vmcnt(2)
	ds_read2_b32 v[0:1], v0 offset0:21 offset1:22
	s_waitcnt vmcnt(1)
	ds_read2_b32 v[4:5], v4 offset0:23 offset1:24
	;; [unrolled: 2-line block ×3, first 2 shown]
	s_waitcnt lgkmcnt(2)
	v_pk_fma_f32 v[94:95], v[222:223], v[0:1], v[2:3] op_sel_hi:[0,1,1] neg_lo:[1,0,0] neg_hi:[1,0,0]
	v_mov_b32_e32 v0, v191
	v_mov_b32_e32 v1, v192
	s_waitcnt lgkmcnt(1)
	v_pk_fma_f32 v[120:121], v[222:223], v[4:5], v[0:1] op_sel_hi:[0,1,1] neg_lo:[1,0,0] neg_hi:[1,0,0]
	v_mov_b32_e32 v0, v193
	v_mov_b32_e32 v1, v194
	;; [unrolled: 4-line block ×3, first 2 shown]
	v_mov_b32_e32 v2, v220
	v_mov_b32_e32 v3, v221
	;; [unrolled: 1-line block ×6, first 2 shown]
	scratch_store_dwordx4 off, v[0:3], off offset:3616 ; 16-byte Folded Spill
	s_nop 0
	scratch_store_dwordx4 off, v[4:7], off offset:3632 ; 16-byte Folded Spill
	scratch_store_dwordx4 off, v[8:11], off offset:3648 ; 16-byte Folded Spill
	;; [unrolled: 1-line block ×7, first 2 shown]
	v_mov_b32_e32 v53, v94
	v_mov_b32_e32 v54, v95
	;; [unrolled: 1-line block ×11, first 2 shown]
	scratch_store_dwordx4 off, v[0:3], off offset:3224 ; 16-byte Folded Spill
	s_nop 0
	scratch_store_dwordx4 off, v[4:7], off offset:3240 ; 16-byte Folded Spill
	scratch_store_dwordx4 off, v[8:11], off offset:3256 ; 16-byte Folded Spill
	scratch_store_dwordx4 off, v[12:15], off offset:3272 ; 16-byte Folded Spill
	scratch_store_dwordx4 off, v[16:19], off offset:3288 ; 16-byte Folded Spill
	scratch_store_dwordx4 off, v[20:23], off offset:3304 ; 16-byte Folded Spill
	scratch_store_dwordx4 off, v[24:27], off offset:3320 ; 16-byte Folded Spill
	scratch_store_dwordx4 off, v[28:31], off offset:3336 ; 16-byte Folded Spill
	v_mov_b32_e32 v8, v31
	scratch_store_dwordx4 off, v[0:3], off offset:1688 ; 16-byte Folded Spill
	s_nop 0
	scratch_store_dwordx4 off, v[4:7], off offset:1704 ; 16-byte Folded Spill
	scratch_store_dwordx4 off, v[8:11], off offset:1720 ; 16-byte Folded Spill
	scratch_store_dwordx4 off, v[12:15], off offset:1736 ; 16-byte Folded Spill
	scratch_store_dwordx4 off, v[16:19], off offset:1752 ; 16-byte Folded Spill
	scratch_store_dwordx4 off, v[20:23], off offset:1768 ; 16-byte Folded Spill
	scratch_store_dwordx4 off, v[24:27], off offset:1784 ; 16-byte Folded Spill
	scratch_store_dwordx4 off, v[28:31], off offset:1800 ; 16-byte Folded Spill
	v_mov_b32_e32 v9, v56
	;; [unrolled: 10-line block ×15, first 2 shown]
	v_mov_b32_e32 v23, v120
	v_mov_b32_e32 v37, v28
	;; [unrolled: 1-line block ×5, first 2 shown]
	scratch_store_dwordx4 off, v[0:3], off offset:272 ; 16-byte Folded Spill
	s_nop 0
	scratch_store_dwordx4 off, v[4:7], off offset:288 ; 16-byte Folded Spill
	scratch_store_dwordx4 off, v[8:11], off offset:304 ; 16-byte Folded Spill
	;; [unrolled: 1-line block ×7, first 2 shown]
	s_nop 0
	v_mov_b32_e32 v24, v121
	scratch_store_dwordx4 off, v[0:3], off offset:144 ; 16-byte Folded Spill
	s_nop 0
	scratch_store_dwordx4 off, v[4:7], off offset:160 ; 16-byte Folded Spill
	scratch_store_dwordx4 off, v[8:11], off offset:176 ; 16-byte Folded Spill
	;; [unrolled: 1-line block ×7, first 2 shown]
	scratch_store_dwordx2 off, v[26:27], off offset:8 ; 8-byte Folded Spill
	scratch_store_dwordx4 off, v[218:221], off offset:3744 ; 16-byte Folded Spill
	s_nop 0
	scratch_store_dwordx4 off, v[222:225], off offset:3760 ; 16-byte Folded Spill
	scratch_store_dwordx4 off, v[226:229], off offset:3776 ; 16-byte Folded Spill
	;; [unrolled: 1-line block ×7, first 2 shown]
	v_mov_b32_e32 v176, v31
	v_mov_b32_e32 v76, v31
	v_mov_b32_e32 v173, v28
	v_mov_b32_e32 v174, v29
	v_mov_b32_e32 v175, v30
	v_mov_b32_e32 v193, v26
	v_mov_b32_e32 v194, v27
	v_mov_b32_e32 v7, v28
	v_mov_b32_e32 v208, v29
	v_mov_b32_e32 v211, v30
	scratch_store_dwordx4 off, v[218:221], s2 ; 16-byte Folded Spill
	s_nop 0
	scratch_store_dwordx4 off, v[222:225], s2 offset:16 ; 16-byte Folded Spill
	scratch_store_dwordx4 off, v[226:229], s2 offset:32 ; 16-byte Folded Spill
	;; [unrolled: 1-line block ×7, first 2 shown]
	scratch_load_dword v31, off, off offset:4 ; 4-byte Folded Reload
.LBB52_83:
	s_or_b64 exec, exec, s[0:1]
	s_waitcnt vmcnt(0)
	v_lshl_add_u32 v27, v209, 2, v31
	s_barrier
	ds_write_b32 v27, v7
	s_waitcnt lgkmcnt(0)
	s_barrier
	ds_read_b32 v27, v31 offset:20
	s_cmp_lt_i32 s14, 7
	v_mov_b32_e32 v28, 5
	s_cbranch_scc1 .LBB52_86
; %bb.84:
	scratch_load_dword v28, off, off offset:1300 ; 4-byte Folded Reload
	s_mov_b32 s0, 6
	s_waitcnt vmcnt(0)
	v_add3_u32 v29, v28, 0, 24
	v_mov_b32_e32 v28, 5
.LBB52_85:                              ; =>This Inner Loop Header: Depth=1
	ds_read_b32 v30, v29
	v_add_u32_e32 v29, 4, v29
	s_waitcnt lgkmcnt(0)
	v_cmp_lt_f32_e64 vcc, |v27|, |v30|
	s_nop 1
	v_cndmask_b32_e32 v27, v27, v30, vcc
	v_mov_b32_e32 v30, s0
	s_add_i32 s0, s0, 1
	v_cndmask_b32_e32 v28, v28, v30, vcc
	s_cmp_lg_u32 s14, s0
	s_cbranch_scc1 .LBB52_85
.LBB52_86:
	s_waitcnt lgkmcnt(0)
	v_cmp_eq_f32_e32 vcc, 0, v27
	s_and_saveexec_b64 s[0:1], vcc
	s_xor_b64 s[0:1], exec, s[0:1]
	s_cbranch_execz .LBB52_88
; %bb.87:
	scratch_load_dword v0, off, off offset:16 ; 4-byte Folded Reload
	s_waitcnt vmcnt(0)
	v_cmp_ne_u32_e32 vcc, 0, v0
	s_nop 1
	v_cndmask_b32_e32 v0, 6, v0, vcc
	scratch_store_dword off, v0, off offset:16 ; 4-byte Folded Spill
.LBB52_88:
	s_andn2_saveexec_b64 s[0:1], s[0:1]
	s_cbranch_execz .LBB52_90
; %bb.89:
	v_div_scale_f32 v29, s[2:3], v27, v27, 1.0
	v_rcp_f32_e32 v30, v29
	v_div_scale_f32 v31, vcc, 1.0, v27, 1.0
	v_fma_f32 v55, -v29, v30, 1.0
	v_fmac_f32_e32 v30, v55, v30
	v_mul_f32_e32 v55, v31, v30
	v_fma_f32 v56, -v29, v55, v31
	v_fmac_f32_e32 v55, v56, v30
	v_fma_f32 v29, -v29, v55, v31
	scratch_load_dword v31, off, off offset:4 ; 4-byte Folded Reload
	v_div_fmas_f32 v29, v29, v30, v55
	v_div_fixup_f32 v27, v29, v27, 1.0
.LBB52_90:
	s_or_b64 exec, exec, s[0:1]
	v_cmp_ne_u32_e32 vcc, v209, v28
	s_and_saveexec_b64 s[0:1], vcc
	s_xor_b64 s[0:1], exec, s[0:1]
	s_cbranch_execz .LBB52_96
; %bb.91:
	v_cmp_eq_u32_e32 vcc, 5, v209
	s_and_saveexec_b64 s[2:3], vcc
	s_cbranch_execz .LBB52_95
; %bb.92:
	v_cmp_ne_u32_e32 vcc, 5, v28
	s_xor_b64 s[18:19], s[16:17], -1
	s_and_b64 s[20:21], s[18:19], vcc
	s_and_saveexec_b64 s[18:19], s[20:21]
	s_cbranch_execz .LBB52_94
; %bb.93:
	scratch_load_dwordx2 v[56:57], off, off offset:3608 ; 8-byte Folded Reload
	v_ashrrev_i32_e32 v29, 31, v28
	s_waitcnt vmcnt(0)
	v_lshl_add_u64 v[30:31], v[28:29], 2, v[56:57]
	global_load_dword v29, v[30:31], off
	global_load_dword v55, v[56:57], off offset:20
	s_waitcnt vmcnt(1)
	global_store_dword v[56:57], v29, off offset:20
	s_waitcnt vmcnt(1)
	global_store_dword v[30:31], v55, off
	scratch_load_dword v31, off, off offset:4 ; 4-byte Folded Reload
.LBB52_94:
	s_or_b64 exec, exec, s[18:19]
	v_mov_b32_e32 v29, v28
	v_mov_b32_e32 v209, v28
	scratch_store_dword off, v29, off offset:1296 ; 4-byte Folded Spill
.LBB52_95:
	s_or_b64 exec, exec, s[2:3]
.LBB52_96:
	s_andn2_saveexec_b64 s[0:1], s[0:1]
	s_cbranch_execz .LBB52_98
; %bb.97:
	s_waitcnt vmcnt(0)
	ds_write2_b32 v31, v174, v175 offset0:6 offset1:7
	ds_write2_b32 v31, v176, v177 offset0:8 offset1:9
	;; [unrolled: 1-line block ×10, first 2 shown]
	scratch_load_dwordx2 v[28:29], off, off offset:8 ; 8-byte Folded Reload
	v_mov_b32_e32 v209, 5
	s_waitcnt vmcnt(0)
	ds_write_b32 v31, v29 offset:104
.LBB52_98:
	s_or_b64 exec, exec, s[0:1]
	v_cmp_lt_i32_e32 vcc, 5, v209
	s_waitcnt lgkmcnt(0)
	s_barrier
	s_and_saveexec_b64 s[0:1], vcc
	s_cbranch_execz .LBB52_100
; %bb.99:
	s_waitcnt vmcnt(0)
	ds_read2_b32 v[2:3], v31 offset0:6 offset1:7
	ds_read2_b32 v[4:5], v31 offset0:8 offset1:9
	;; [unrolled: 1-line block ×3, first 2 shown]
	v_mul_f32_e32 v0, v7, v27
	ds_read2_b32 v[26:27], v31 offset0:12 offset1:13
	s_waitcnt lgkmcnt(3)
	v_pk_fma_f32 v[80:81], v[0:1], v[2:3], v[174:175] op_sel_hi:[0,1,1] neg_lo:[1,0,0] neg_hi:[1,0,0]
	ds_read2_b32 v[2:3], v31 offset0:14 offset1:15
	s_movk_i32 s2, 0x1020
	s_waitcnt lgkmcnt(3)
	v_pk_fma_f32 v[148:149], v[0:1], v[4:5], v[176:177] op_sel_hi:[0,1,1] neg_lo:[1,0,0] neg_hi:[1,0,0]
	s_waitcnt lgkmcnt(2)
	v_pk_fma_f32 v[138:139], v[0:1], v[28:29], v[178:179] op_sel_hi:[0,1,1] neg_lo:[1,0,0] neg_hi:[1,0,0]
	;; [unrolled: 2-line block ×3, first 2 shown]
	ds_read2_b32 v[4:5], v31 offset0:16 offset1:17
	ds_read2_b32 v[6:7], v31 offset0:18 offset1:19
	;; [unrolled: 1-line block ×3, first 2 shown]
	s_waitcnt lgkmcnt(3)
	v_pk_fma_f32 v[226:227], v[0:1], v[2:3], v[182:183] op_sel_hi:[0,1,1] neg_lo:[1,0,0] neg_hi:[1,0,0]
	ds_read2_b32 v[2:3], v31 offset0:22 offset1:23
	ds_read2_b32 v[10:11], v31 offset0:24 offset1:25
	ds_read_b32 v1, v31 offset:104
	scratch_load_dwordx4 v[104:107], off, s2 ; 16-byte Folded Reload
	scratch_load_dwordx4 v[108:111], off, s2 offset:16 ; 16-byte Folded Reload
	scratch_load_dwordx4 v[112:115], off, s2 offset:32 ; 16-byte Folded Reload
	;; [unrolled: 1-line block ×7, first 2 shown]
	s_waitcnt vmcnt(0)
	v_mov_b32_e32 v133, v0
	v_mov_b32_e32 v134, v80
	;; [unrolled: 1-line block ×3, first 2 shown]
	s_waitcnt lgkmcnt(0)
	v_pk_fma_f32 v[72:73], v[0:1], v[4:5], v[184:185] op_sel_hi:[0,1,1] neg_lo:[1,0,0] neg_hi:[1,0,0]
	v_pk_fma_f32 v[102:103], v[0:1], v[6:7], v[186:187] op_sel_hi:[0,1,1] neg_lo:[1,0,0] neg_hi:[1,0,0]
	;; [unrolled: 1-line block ×4, first 2 shown]
	v_mov_b32_e32 v7, v0
	v_mov_b32_e32 v8, v80
	;; [unrolled: 1-line block ×3, first 2 shown]
	v_pk_fma_f32 v[174:175], v[0:1], v[10:11], v[192:193] op_sel_hi:[0,1,1] neg_lo:[1,0,0] neg_hi:[1,0,0]
	v_mov_b32_e32 v118, v226
	v_mov_b32_e32 v119, v227
	;; [unrolled: 1-line block ×72, first 2 shown]
	scratch_store_dwordx4 off, v[2:5], off offset:3224 ; 16-byte Folded Spill
	s_nop 0
	scratch_store_dwordx4 off, v[6:9], off offset:3240 ; 16-byte Folded Spill
	scratch_store_dwordx4 off, v[10:13], off offset:3256 ; 16-byte Folded Spill
	;; [unrolled: 1-line block ×7, first 2 shown]
	v_mov_b32_e32 v10, v148
	v_mov_b32_e32 v11, v149
	;; [unrolled: 1-line block ×61, first 2 shown]
	scratch_store_dwordx4 off, v[2:5], off offset:2840 ; 16-byte Folded Spill
	s_nop 0
	scratch_store_dwordx4 off, v[6:9], off offset:2856 ; 16-byte Folded Spill
	scratch_store_dwordx4 off, v[10:13], off offset:2872 ; 16-byte Folded Spill
	;; [unrolled: 1-line block ×7, first 2 shown]
	v_mov_b32_e32 v12, v138
	v_mov_b32_e32 v13, v139
	;; [unrolled: 1-line block ×4, first 2 shown]
	scratch_store_dwordx4 off, v[2:5], off offset:1816 ; 16-byte Folded Spill
	s_nop 0
	scratch_store_dwordx4 off, v[6:9], off offset:1832 ; 16-byte Folded Spill
	scratch_store_dwordx4 off, v[10:13], off offset:1848 ; 16-byte Folded Spill
	scratch_store_dwordx4 off, v[14:17], off offset:1864 ; 16-byte Folded Spill
	scratch_store_dwordx4 off, v[18:21], off offset:1880 ; 16-byte Folded Spill
	scratch_store_dwordx4 off, v[22:25], off offset:1896 ; 16-byte Folded Spill
	scratch_store_dwordx4 off, v[26:29], off offset:1912 ; 16-byte Folded Spill
	scratch_store_dwordx4 off, v[30:33], off offset:1928 ; 16-byte Folded Spill
	v_mov_b64_e32 v[42:43], v[12:13]
	s_nop 0
	v_mov_b64_e32 v[32:33], v[2:3]
	v_mov_b64_e32 v[40:41], v[10:11]
	;; [unrolled: 1-line block ×6, first 2 shown]
	scratch_store_dwordx4 off, v[2:5], off offset:1432 ; 16-byte Folded Spill
	s_nop 0
	scratch_store_dwordx4 off, v[6:9], off offset:1448 ; 16-byte Folded Spill
	scratch_store_dwordx4 off, v[10:13], off offset:1464 ; 16-byte Folded Spill
	;; [unrolled: 1-line block ×7, first 2 shown]
	v_mov_b32_e32 v16, v226
	v_mov_b32_e32 v17, v227
	;; [unrolled: 1-line block ×20, first 2 shown]
	scratch_store_dwordx4 off, v[2:5], off offset:1168 ; 16-byte Folded Spill
	s_nop 0
	scratch_store_dwordx4 off, v[6:9], off offset:1184 ; 16-byte Folded Spill
	scratch_store_dwordx4 off, v[10:13], off offset:1200 ; 16-byte Folded Spill
	scratch_store_dwordx4 off, v[14:17], off offset:1216 ; 16-byte Folded Spill
	scratch_store_dwordx4 off, v[18:21], off offset:1232 ; 16-byte Folded Spill
	scratch_store_dwordx4 off, v[22:25], off offset:1248 ; 16-byte Folded Spill
	scratch_store_dwordx4 off, v[26:29], off offset:1264 ; 16-byte Folded Spill
	scratch_store_dwordx4 off, v[30:33], off offset:1280 ; 16-byte Folded Spill
	v_mov_b32_e32 v18, v72
	v_mov_b32_e32 v19, v73
	scratch_store_dwordx4 off, v[2:5], off offset:1040 ; 16-byte Folded Spill
	s_nop 0
	scratch_store_dwordx4 off, v[6:9], off offset:1056 ; 16-byte Folded Spill
	scratch_store_dwordx4 off, v[10:13], off offset:1072 ; 16-byte Folded Spill
	scratch_store_dwordx4 off, v[14:17], off offset:1088 ; 16-byte Folded Spill
	scratch_store_dwordx4 off, v[18:21], off offset:1104 ; 16-byte Folded Spill
	scratch_store_dwordx4 off, v[22:25], off offset:1120 ; 16-byte Folded Spill
	scratch_store_dwordx4 off, v[26:29], off offset:1136 ; 16-byte Folded Spill
	scratch_store_dwordx4 off, v[30:33], off offset:1152 ; 16-byte Folded Spill
	v_mov_b32_e32 v20, v102
	v_mov_b32_e32 v21, v103
	scratch_store_dwordx4 off, v[2:5], off offset:656 ; 16-byte Folded Spill
	s_nop 0
	scratch_store_dwordx4 off, v[6:9], off offset:672 ; 16-byte Folded Spill
	scratch_store_dwordx4 off, v[10:13], off offset:688 ; 16-byte Folded Spill
	scratch_store_dwordx4 off, v[14:17], off offset:704 ; 16-byte Folded Spill
	scratch_store_dwordx4 off, v[18:21], off offset:720 ; 16-byte Folded Spill
	scratch_store_dwordx4 off, v[22:25], off offset:736 ; 16-byte Folded Spill
	scratch_store_dwordx4 off, v[26:29], off offset:752 ; 16-byte Folded Spill
	scratch_store_dwordx4 off, v[30:33], off offset:768 ; 16-byte Folded Spill
	v_mov_b32_e32 v22, v204
	v_mov_b32_e32 v23, v205
	v_mov_b64_e32 v[114:115], v[12:13]
	v_mov_b64_e32 v[112:113], v[10:11]
	;; [unrolled: 1-line block ×7, first 2 shown]
	scratch_store_dwordx4 off, v[2:5], off offset:400 ; 16-byte Folded Spill
	s_nop 0
	scratch_store_dwordx4 off, v[6:9], off offset:416 ; 16-byte Folded Spill
	scratch_store_dwordx4 off, v[10:13], off offset:432 ; 16-byte Folded Spill
	;; [unrolled: 1-line block ×7, first 2 shown]
	v_mov_b64_e32 v[6:7], v[104:105]
	v_mov_b64_e32 v[8:9], v[106:107]
	;; [unrolled: 1-line block ×6, first 2 shown]
	v_mov_b32_e32 v109, v0
	v_mov_b32_e32 v104, v176
	;; [unrolled: 1-line block ×14, first 2 shown]
	scratch_load_dwordx2 v[2:3], off, off offset:8 ; 8-byte Folded Reload
	v_mov_b64_e32 v[24:25], v[116:117]
	scratch_store_dwordx4 off, v[104:107], off offset:272 ; 16-byte Folded Spill
	s_nop 0
	scratch_store_dwordx4 off, v[108:111], off offset:288 ; 16-byte Folded Spill
	scratch_store_dwordx4 off, v[112:115], off offset:304 ; 16-byte Folded Spill
	;; [unrolled: 1-line block ×7, first 2 shown]
	v_mov_b64_e32 v[22:23], v[16:17]
	v_mov_b64_e32 v[20:21], v[14:15]
	;; [unrolled: 1-line block ×12, first 2 shown]
	v_mov_b32_e32 v28, v175
	v_mov_b32_e32 v32, v176
	;; [unrolled: 1-line block ×6, first 2 shown]
	s_waitcnt vmcnt(8)
	v_mov_b32_e32 v2, v178
	v_mov_b32_e32 v4, v180
	;; [unrolled: 1-line block ×22, first 2 shown]
	scratch_store_dwordx4 off, v[104:107], off offset:1560 ; 16-byte Folded Spill
	s_nop 0
	scratch_store_dwordx4 off, v[108:111], off offset:1576 ; 16-byte Folded Spill
	scratch_store_dwordx4 off, v[112:115], off offset:1592 ; 16-byte Folded Spill
	;; [unrolled: 1-line block ×7, first 2 shown]
	v_fma_f32 v26, -v0, v1, v3
	v_mov_b32_e32 v29, v26
	v_mov_b32_e32 v0, v176
	;; [unrolled: 1-line block ×4, first 2 shown]
	scratch_store_dwordx4 off, v[176:179], off offset:3744 ; 16-byte Folded Spill
	s_nop 0
	scratch_store_dwordx4 off, v[180:183], off offset:3760 ; 16-byte Folded Spill
	scratch_store_dwordx4 off, v[184:187], off offset:3776 ; 16-byte Folded Spill
	;; [unrolled: 1-line block ×7, first 2 shown]
	scratch_store_dwordx2 off, v[28:29], off offset:8 ; 8-byte Folded Spill
	scratch_store_dwordx4 off, v[74:77], off offset:3616 ; 16-byte Folded Spill
	s_nop 0
	scratch_store_dwordx4 off, v[78:81], off offset:3632 ; 16-byte Folded Spill
	scratch_store_dwordx4 off, v[82:85], off offset:3648 ; 16-byte Folded Spill
	;; [unrolled: 1-line block ×7, first 2 shown]
	v_mov_b32_e32 v76, v148
	scratch_store_dwordx4 off, v[140:143], off offset:1688 ; 16-byte Folded Spill
	s_nop 0
	scratch_store_dwordx4 off, v[144:147], off offset:1704 ; 16-byte Folded Spill
	scratch_store_dwordx4 off, v[148:151], off offset:1720 ; 16-byte Folded Spill
	;; [unrolled: 1-line block ×7, first 2 shown]
	v_mov_b32_e32 v74, v138
	v_mov_b32_e32 v211, v81
	;; [unrolled: 1-line block ×3, first 2 shown]
	scratch_store_dwordx4 off, v[128:131], off offset:2712 ; 16-byte Folded Spill
	s_nop 0
	scratch_store_dwordx4 off, v[132:135], off offset:2728 ; 16-byte Folded Spill
	scratch_store_dwordx4 off, v[136:139], off offset:2744 ; 16-byte Folded Spill
	;; [unrolled: 1-line block ×7, first 2 shown]
	scratch_load_dwordx4 v[104:107], off, off offset:1560 ; 16-byte Folded Reload
	s_nop 0
	scratch_load_dwordx4 v[108:111], off, off offset:1576 ; 16-byte Folded Reload
	scratch_load_dwordx4 v[112:115], off, off offset:1592 ; 16-byte Folded Reload
	;; [unrolled: 1-line block ×7, first 2 shown]
	s_waitcnt vmcnt(7)
	v_mov_b32_e32 v104, v226
	scratch_store_dwordx4 off, v[212:215], off offset:1304 ; 16-byte Folded Spill
	s_nop 0
	scratch_store_dwordx4 off, v[216:219], off offset:1320 ; 16-byte Folded Spill
	scratch_store_dwordx4 off, v[220:223], off offset:1336 ; 16-byte Folded Spill
	;; [unrolled: 1-line block ×7, first 2 shown]
	v_mov_b32_e32 v214, v204
	s_waitcnt vmcnt(12)
	v_mov_b32_e32 v118, v102
	v_mov_b32_e32 v77, v139
	v_mov_b64_e32 v[140:141], v[150:151]
	v_mov_b64_e32 v[142:143], v[152:153]
	v_mov_b32_e32 v75, v227
	v_mov_b32_e32 v78, v116
	v_mov_b32_e32 v79, v117
	v_mov_b32_e32 v116, v72
	scratch_store_dwordx4 off, v[56:59], off offset:912 ; 16-byte Folded Spill
	s_nop 0
	scratch_store_dwordx4 off, v[60:63], off offset:928 ; 16-byte Folded Spill
	scratch_store_dwordx4 off, v[64:67], off offset:944 ; 16-byte Folded Spill
	;; [unrolled: 1-line block ×7, first 2 shown]
	v_mov_b64_e32 v[144:145], v[154:155]
	v_mov_b64_e32 v[146:147], v[156:157]
	;; [unrolled: 1-line block ×6, first 2 shown]
	v_mov_b32_e32 v156, v166
	v_mov_b32_e32 v157, v167
	v_mov_b32_e32 v158, v168
	v_mov_b32_e32 v159, v169
	v_mov_b32_e32 v160, v170
	v_mov_b32_e32 v161, v171
	v_mov_b32_e32 v162, v172
	v_mov_b32_e32 v163, v173
	v_mov_b32_e32 v164, v174
	v_mov_b64_e32 v[182:183], v[14:15]
	v_mov_b64_e32 v[180:181], v[12:13]
	;; [unrolled: 1-line block ×9, first 2 shown]
	scratch_store_dwordx4 off, v[84:87], off offset:784 ; 16-byte Folded Spill
	s_nop 0
	scratch_store_dwordx4 off, v[88:91], off offset:800 ; 16-byte Folded Spill
	scratch_store_dwordx4 off, v[92:95], off offset:816 ; 16-byte Folded Spill
	;; [unrolled: 1-line block ×8, first 2 shown]
	s_nop 0
	scratch_store_dwordx4 off, v[188:191], off offset:544 ; 16-byte Folded Spill
	scratch_store_dwordx4 off, v[192:195], off offset:560 ; 16-byte Folded Spill
	scratch_store_dwordx4 off, v[196:199], off offset:576 ; 16-byte Folded Spill
	scratch_store_dwordx4 off, v[200:203], off offset:592 ; 16-byte Folded Spill
	scratch_store_dwordx4 off, v[204:207], off offset:608 ; 16-byte Folded Spill
	scratch_store_dwordx4 off, v[208:211], off offset:624 ; 16-byte Folded Spill
	scratch_store_dwordx4 off, v[212:215], off offset:640 ; 16-byte Folded Spill
	v_mov_b32_e32 v194, v26
	v_mov_b32_e32 v193, v25
	;; [unrolled: 1-line block ×14, first 2 shown]
	v_mov_b64_e32 v[2:3], v[142:143]
	v_mov_b64_e32 v[4:5], v[144:145]
	;; [unrolled: 1-line block ×7, first 2 shown]
	v_mov_b32_e32 v17, v157
	v_mov_b32_e32 v18, v158
	;; [unrolled: 1-line block ×9, first 2 shown]
	scratch_store_dwordx4 off, v[0:3], off offset:144 ; 16-byte Folded Spill
	s_nop 0
	scratch_store_dwordx4 off, v[4:7], off offset:160 ; 16-byte Folded Spill
	scratch_store_dwordx4 off, v[8:11], off offset:176 ; 16-byte Folded Spill
	;; [unrolled: 1-line block ×7, first 2 shown]
	v_mov_b32_e32 v215, v205
.LBB52_100:
	s_or_b64 exec, exec, s[0:1]
	s_waitcnt vmcnt(0)
	v_lshl_add_u32 v27, v209, 2, v31
	s_barrier
	ds_write_b32 v27, v208
	s_waitcnt lgkmcnt(0)
	s_barrier
	ds_read_b32 v27, v31 offset:24
	s_cmp_lt_i32 s14, 8
	v_mov_b32_e32 v28, 6
	s_cbranch_scc1 .LBB52_103
; %bb.101:
	scratch_load_dword v28, off, off offset:1300 ; 4-byte Folded Reload
	s_mov_b32 s0, 7
	s_waitcnt vmcnt(0)
	v_add3_u32 v29, v28, 0, 28
	v_mov_b32_e32 v28, 6
.LBB52_102:                             ; =>This Inner Loop Header: Depth=1
	ds_read_b32 v30, v29
	v_add_u32_e32 v29, 4, v29
	s_waitcnt lgkmcnt(0)
	v_cmp_lt_f32_e64 vcc, |v27|, |v30|
	s_nop 1
	v_cndmask_b32_e32 v27, v27, v30, vcc
	v_mov_b32_e32 v30, s0
	s_add_i32 s0, s0, 1
	v_cndmask_b32_e32 v28, v28, v30, vcc
	s_cmp_lg_u32 s14, s0
	s_cbranch_scc1 .LBB52_102
.LBB52_103:
	s_waitcnt lgkmcnt(0)
	v_cmp_eq_f32_e32 vcc, 0, v27
	s_and_saveexec_b64 s[0:1], vcc
	s_xor_b64 s[0:1], exec, s[0:1]
	s_cbranch_execz .LBB52_105
; %bb.104:
	scratch_load_dword v0, off, off offset:16 ; 4-byte Folded Reload
	s_waitcnt vmcnt(0)
	v_cmp_ne_u32_e32 vcc, 0, v0
	s_nop 1
	v_cndmask_b32_e32 v0, 7, v0, vcc
	scratch_store_dword off, v0, off offset:16 ; 4-byte Folded Spill
.LBB52_105:
	s_andn2_saveexec_b64 s[0:1], s[0:1]
	s_cbranch_execz .LBB52_107
; %bb.106:
	v_div_scale_f32 v29, s[2:3], v27, v27, 1.0
	v_rcp_f32_e32 v30, v29
	v_div_scale_f32 v31, vcc, 1.0, v27, 1.0
	v_fma_f32 v55, -v29, v30, 1.0
	v_fmac_f32_e32 v30, v55, v30
	v_mul_f32_e32 v55, v31, v30
	v_fma_f32 v56, -v29, v55, v31
	v_fmac_f32_e32 v55, v56, v30
	v_fma_f32 v29, -v29, v55, v31
	scratch_load_dword v31, off, off offset:4 ; 4-byte Folded Reload
	v_div_fmas_f32 v29, v29, v30, v55
	v_div_fixup_f32 v27, v29, v27, 1.0
.LBB52_107:
	s_or_b64 exec, exec, s[0:1]
	v_cmp_ne_u32_e32 vcc, v209, v28
	s_and_saveexec_b64 s[0:1], vcc
	s_xor_b64 s[0:1], exec, s[0:1]
	s_cbranch_execz .LBB52_113
; %bb.108:
	v_cmp_eq_u32_e32 vcc, 6, v209
	s_and_saveexec_b64 s[2:3], vcc
	s_cbranch_execz .LBB52_112
; %bb.109:
	v_cmp_ne_u32_e32 vcc, 6, v28
	s_xor_b64 s[18:19], s[16:17], -1
	s_and_b64 s[20:21], s[18:19], vcc
	s_and_saveexec_b64 s[18:19], s[20:21]
	s_cbranch_execz .LBB52_111
; %bb.110:
	scratch_load_dwordx2 v[56:57], off, off offset:3608 ; 8-byte Folded Reload
	v_ashrrev_i32_e32 v29, 31, v28
	s_waitcnt vmcnt(0)
	v_lshl_add_u64 v[30:31], v[28:29], 2, v[56:57]
	global_load_dword v29, v[30:31], off
	global_load_dword v55, v[56:57], off offset:24
	s_waitcnt vmcnt(1)
	global_store_dword v[56:57], v29, off offset:24
	s_waitcnt vmcnt(1)
	global_store_dword v[30:31], v55, off
	scratch_load_dword v31, off, off offset:4 ; 4-byte Folded Reload
.LBB52_111:
	s_or_b64 exec, exec, s[18:19]
	v_mov_b32_e32 v29, v28
	v_mov_b32_e32 v209, v28
	scratch_store_dword off, v29, off offset:1296 ; 4-byte Folded Spill
.LBB52_112:
	s_or_b64 exec, exec, s[2:3]
.LBB52_113:
	s_andn2_saveexec_b64 s[0:1], s[0:1]
	s_cbranch_execz .LBB52_115
; %bb.114:
	v_mov_b32_e32 v209, 6
	s_waitcnt vmcnt(0)
	ds_write2_b32 v31, v175, v176 offset0:7 offset1:8
	ds_write2_b32 v31, v177, v178 offset0:9 offset1:10
	ds_write2_b32 v31, v179, v180 offset0:11 offset1:12
	ds_write2_b32 v31, v181, v182 offset0:13 offset1:14
	ds_write2_b32 v31, v183, v184 offset0:15 offset1:16
	ds_write2_b32 v31, v185, v186 offset0:17 offset1:18
	ds_write2_b32 v31, v187, v188 offset0:19 offset1:20
	ds_write2_b32 v31, v189, v190 offset0:21 offset1:22
	ds_write2_b32 v31, v191, v192 offset0:23 offset1:24
	ds_write2_b32 v31, v193, v194 offset0:25 offset1:26
.LBB52_115:
	s_or_b64 exec, exec, s[0:1]
	v_cmp_lt_i32_e32 vcc, 6, v209
	s_waitcnt lgkmcnt(0)
	s_barrier
	s_and_saveexec_b64 s[0:1], vcc
	s_cbranch_execz .LBB52_117
; %bb.116:
	scratch_load_dwordx4 v[32:35], off, off offset:3744 ; 16-byte Folded Reload
	scratch_load_dwordx4 v[36:39], off, off offset:3760 ; 16-byte Folded Reload
	;; [unrolled: 1-line block ×8, first 2 shown]
	s_waitcnt vmcnt(8)
	ds_read2_b32 v[0:1], v31 offset0:7 offset1:8
	v_mul_f32_e32 v70, v208, v27
	v_mov_b32_e32 v2, v175
	v_mov_b32_e32 v3, v176
	s_waitcnt vmcnt(6)
	v_mov_b32_e32 v38, v70
	s_waitcnt lgkmcnt(0)
	v_pk_fma_f32 v[28:29], v[70:71], v[0:1], v[2:3] op_sel_hi:[0,1,1] neg_lo:[1,0,0] neg_hi:[1,0,0]
	v_mov_b32_e32 v0, v177
	v_mov_b32_e32 v1, v178
	;; [unrolled: 1-line block ×5, first 2 shown]
	v_mov_b64_e32 v[68:69], v[36:37]
	v_mov_b64_e32 v[66:67], v[34:35]
	;; [unrolled: 1-line block ×3, first 2 shown]
	ds_read2_b32 v[4:5], v31 offset0:9 offset1:10
	ds_read2_b32 v[6:7], v31 offset0:11 offset1:12
	;; [unrolled: 1-line block ×3, first 2 shown]
	v_mov_b32_e32 v34, v66
	v_mov_b32_e32 v35, v67
	s_waitcnt lgkmcnt(2)
	v_pk_fma_f32 v[30:31], v[70:71], v[4:5], v[0:1] op_sel_hi:[0,1,1] neg_lo:[1,0,0] neg_hi:[1,0,0]
	v_mov_b32_e32 v0, v179
	v_mov_b32_e32 v1, v180
	s_waitcnt vmcnt(1) lgkmcnt(1)
	v_pk_fma_f32 v[56:57], v[70:71], v[6:7], v[0:1] op_sel_hi:[0,1,1] neg_lo:[1,0,0] neg_hi:[1,0,0]
	v_mov_b32_e32 v0, v181
	v_mov_b32_e32 v1, v182
	s_waitcnt lgkmcnt(0)
	v_pk_fma_f32 v[58:59], v[70:71], v[32:33], v[0:1] op_sel_hi:[0,1,1] neg_lo:[1,0,0] neg_hi:[1,0,0]
	scratch_load_dword v0, off, off offset:4 ; 4-byte Folded Reload
	scratch_load_dword v4, off, off offset:4 ; 4-byte Folded Reload
	;; [unrolled: 1-line block ×4, first 2 shown]
	v_mov_b32_e32 v32, v64
	v_mov_b32_e32 v33, v65
	;; [unrolled: 1-line block ×19, first 2 shown]
	s_waitcnt vmcnt(3)
	ds_read2_b32 v[0:1], v0 offset0:15 offset1:16
	s_waitcnt vmcnt(2)
	ds_read2_b32 v[4:5], v4 offset0:17 offset1:18
	;; [unrolled: 2-line block ×4, first 2 shown]
	s_waitcnt lgkmcnt(3)
	v_pk_fma_f32 v[60:61], v[70:71], v[0:1], v[2:3] op_sel_hi:[0,1,1] neg_lo:[1,0,0] neg_hi:[1,0,0]
	v_mov_b32_e32 v0, v185
	v_mov_b32_e32 v1, v186
	s_waitcnt lgkmcnt(2)
	v_pk_fma_f32 v[62:63], v[70:71], v[4:5], v[0:1] op_sel_hi:[0,1,1] neg_lo:[1,0,0] neg_hi:[1,0,0]
	v_mov_b32_e32 v0, v187
	v_mov_b32_e32 v1, v188
	;; [unrolled: 4-line block ×3, first 2 shown]
	scratch_load_dword v2, off, off offset:4 ; 4-byte Folded Reload
	s_waitcnt lgkmcnt(0)
	v_pk_fma_f32 v[92:93], v[70:71], v[8:9], v[0:1] op_sel_hi:[0,1,1] neg_lo:[1,0,0] neg_hi:[1,0,0]
	scratch_load_dword v1, off, off offset:4 ; 4-byte Folded Reload
	v_mov_b32_e32 v0, v191
	v_mov_b32_e32 v6, v70
	;; [unrolled: 1-line block ×22, first 2 shown]
	s_waitcnt vmcnt(1)
	ds_read2_b32 v[2:3], v2 offset0:23 offset1:24
	s_waitcnt vmcnt(0)
	ds_read2_b32 v[4:5], v1 offset0:25 offset1:26
	v_mov_b32_e32 v1, v192
	s_waitcnt lgkmcnt(1)
	v_pk_fma_f32 v[94:95], v[70:71], v[2:3], v[0:1] op_sel_hi:[0,1,1] neg_lo:[1,0,0] neg_hi:[1,0,0]
	v_mov_b32_e32 v0, v193
	v_mov_b32_e32 v1, v194
	s_waitcnt lgkmcnt(0)
	v_pk_fma_f32 v[26:27], v[70:71], v[4:5], v[0:1] op_sel_hi:[0,1,1] neg_lo:[1,0,0] neg_hi:[1,0,0]
	v_mov_b32_e32 v0, v64
	v_mov_b32_e32 v1, v65
	;; [unrolled: 1-line block ×7, first 2 shown]
	scratch_store_dwordx4 off, v[0:3], off offset:1688 ; 16-byte Folded Spill
	s_nop 0
	scratch_store_dwordx4 off, v[4:7], off offset:1704 ; 16-byte Folded Spill
	scratch_store_dwordx4 off, v[8:11], off offset:1720 ; 16-byte Folded Spill
	;; [unrolled: 1-line block ×7, first 2 shown]
	v_mov_b32_e32 v191, v94
	v_mov_b32_e32 v192, v95
	;; [unrolled: 1-line block ×3, first 2 shown]
	scratch_store_dwordx4 off, v[0:3], off offset:2840 ; 16-byte Folded Spill
	s_nop 0
	scratch_store_dwordx4 off, v[4:7], off offset:2856 ; 16-byte Folded Spill
	scratch_store_dwordx4 off, v[8:11], off offset:2872 ; 16-byte Folded Spill
	scratch_store_dwordx4 off, v[12:15], off offset:2888 ; 16-byte Folded Spill
	scratch_store_dwordx4 off, v[16:19], off offset:2904 ; 16-byte Folded Spill
	scratch_store_dwordx4 off, v[20:23], off offset:2920 ; 16-byte Folded Spill
	scratch_store_dwordx4 off, v[24:27], off offset:2936 ; 16-byte Folded Spill
	scratch_store_dwordx4 off, v[28:31], off offset:2952 ; 16-byte Folded Spill
	v_mov_b32_e32 v10, v31
	scratch_store_dwordx4 off, v[0:3], off offset:2712 ; 16-byte Folded Spill
	s_nop 0
	scratch_store_dwordx4 off, v[4:7], off offset:2728 ; 16-byte Folded Spill
	scratch_store_dwordx4 off, v[8:11], off offset:2744 ; 16-byte Folded Spill
	scratch_store_dwordx4 off, v[12:15], off offset:2760 ; 16-byte Folded Spill
	scratch_store_dwordx4 off, v[16:19], off offset:2776 ; 16-byte Folded Spill
	scratch_store_dwordx4 off, v[20:23], off offset:2792 ; 16-byte Folded Spill
	scratch_store_dwordx4 off, v[24:27], off offset:2808 ; 16-byte Folded Spill
	scratch_store_dwordx4 off, v[28:31], off offset:2824 ; 16-byte Folded Spill
	v_mov_b32_e32 v11, v56
	;; [unrolled: 10-line block ×13, first 2 shown]
	v_mov_b32_e32 v23, v94
	v_mov_b32_e32 v39, v28
	;; [unrolled: 1-line block ×5, first 2 shown]
	scratch_store_dwordx4 off, v[0:3], off offset:272 ; 16-byte Folded Spill
	s_nop 0
	scratch_store_dwordx4 off, v[4:7], off offset:288 ; 16-byte Folded Spill
	scratch_store_dwordx4 off, v[8:11], off offset:304 ; 16-byte Folded Spill
	;; [unrolled: 1-line block ×7, first 2 shown]
	s_nop 0
	v_mov_b32_e32 v24, v95
	scratch_store_dwordx4 off, v[0:3], off offset:144 ; 16-byte Folded Spill
	s_nop 0
	scratch_store_dwordx4 off, v[4:7], off offset:160 ; 16-byte Folded Spill
	scratch_store_dwordx4 off, v[8:11], off offset:176 ; 16-byte Folded Spill
	;; [unrolled: 1-line block ×7, first 2 shown]
	scratch_store_dwordx2 off, v[26:27], off offset:8 ; 8-byte Folded Spill
	scratch_store_dwordx4 off, v[64:67], off offset:3224 ; 16-byte Folded Spill
	s_nop 0
	scratch_store_dwordx4 off, v[68:71], off offset:3240 ; 16-byte Folded Spill
	scratch_store_dwordx4 off, v[72:75], off offset:3256 ; 16-byte Folded Spill
	;; [unrolled: 1-line block ×8, first 2 shown]
	s_nop 0
	scratch_store_dwordx4 off, v[68:71], off offset:3632 ; 16-byte Folded Spill
	scratch_store_dwordx4 off, v[72:75], off offset:3648 ; 16-byte Folded Spill
	;; [unrolled: 1-line block ×7, first 2 shown]
	v_mov_b32_e32 v178, v31
	v_mov_b32_e32 v74, v31
	scratch_load_dword v31, off, off offset:4 ; 4-byte Folded Reload
	v_mov_b32_e32 v175, v28
	v_mov_b32_e32 v176, v29
	;; [unrolled: 1-line block ×19, first 2 shown]
.LBB52_117:
	s_or_b64 exec, exec, s[0:1]
	s_waitcnt vmcnt(0)
	v_lshl_add_u32 v27, v209, 2, v31
	s_barrier
	ds_write_b32 v27, v211
	s_waitcnt lgkmcnt(0)
	s_barrier
	ds_read_b32 v27, v31 offset:28
	s_cmp_lt_i32 s14, 9
	v_mov_b32_e32 v28, 7
	s_cbranch_scc1 .LBB52_120
; %bb.118:
	scratch_load_dword v28, off, off offset:1300 ; 4-byte Folded Reload
	s_mov_b32 s0, 8
	s_waitcnt vmcnt(0)
	v_add3_u32 v29, v28, 0, 32
	v_mov_b32_e32 v28, 7
.LBB52_119:                             ; =>This Inner Loop Header: Depth=1
	ds_read_b32 v30, v29
	v_add_u32_e32 v29, 4, v29
	s_waitcnt lgkmcnt(0)
	v_cmp_lt_f32_e64 vcc, |v27|, |v30|
	s_nop 1
	v_cndmask_b32_e32 v27, v27, v30, vcc
	v_mov_b32_e32 v30, s0
	s_add_i32 s0, s0, 1
	v_cndmask_b32_e32 v28, v28, v30, vcc
	s_cmp_lg_u32 s14, s0
	s_cbranch_scc1 .LBB52_119
.LBB52_120:
	s_waitcnt lgkmcnt(0)
	v_cmp_eq_f32_e32 vcc, 0, v27
	s_and_saveexec_b64 s[0:1], vcc
	s_xor_b64 s[0:1], exec, s[0:1]
	s_cbranch_execz .LBB52_122
; %bb.121:
	scratch_load_dword v0, off, off offset:16 ; 4-byte Folded Reload
	s_waitcnt vmcnt(0)
	v_cmp_ne_u32_e32 vcc, 0, v0
	s_nop 1
	v_cndmask_b32_e32 v0, 8, v0, vcc
	scratch_store_dword off, v0, off offset:16 ; 4-byte Folded Spill
.LBB52_122:
	s_andn2_saveexec_b64 s[0:1], s[0:1]
	s_cbranch_execz .LBB52_124
; %bb.123:
	v_div_scale_f32 v29, s[2:3], v27, v27, 1.0
	v_rcp_f32_e32 v30, v29
	v_div_scale_f32 v31, vcc, 1.0, v27, 1.0
	v_fma_f32 v55, -v29, v30, 1.0
	v_fmac_f32_e32 v30, v55, v30
	v_mul_f32_e32 v55, v31, v30
	v_fma_f32 v56, -v29, v55, v31
	v_fmac_f32_e32 v55, v56, v30
	v_fma_f32 v29, -v29, v55, v31
	scratch_load_dword v31, off, off offset:4 ; 4-byte Folded Reload
	v_div_fmas_f32 v29, v29, v30, v55
	v_div_fixup_f32 v27, v29, v27, 1.0
.LBB52_124:
	s_or_b64 exec, exec, s[0:1]
	v_cmp_ne_u32_e32 vcc, v209, v28
	s_and_saveexec_b64 s[0:1], vcc
	s_xor_b64 s[0:1], exec, s[0:1]
	s_cbranch_execz .LBB52_130
; %bb.125:
	v_cmp_eq_u32_e32 vcc, 7, v209
	s_and_saveexec_b64 s[2:3], vcc
	s_cbranch_execz .LBB52_129
; %bb.126:
	v_cmp_ne_u32_e32 vcc, 7, v28
	s_xor_b64 s[18:19], s[16:17], -1
	s_and_b64 s[20:21], s[18:19], vcc
	s_and_saveexec_b64 s[18:19], s[20:21]
	s_cbranch_execz .LBB52_128
; %bb.127:
	scratch_load_dwordx2 v[56:57], off, off offset:3608 ; 8-byte Folded Reload
	v_ashrrev_i32_e32 v29, 31, v28
	s_waitcnt vmcnt(0)
	v_lshl_add_u64 v[30:31], v[28:29], 2, v[56:57]
	global_load_dword v29, v[30:31], off
	global_load_dword v55, v[56:57], off offset:28
	s_waitcnt vmcnt(1)
	global_store_dword v[56:57], v29, off offset:28
	s_waitcnt vmcnt(1)
	global_store_dword v[30:31], v55, off
	scratch_load_dword v31, off, off offset:4 ; 4-byte Folded Reload
.LBB52_128:
	s_or_b64 exec, exec, s[18:19]
	v_mov_b32_e32 v29, v28
	v_mov_b32_e32 v209, v28
	scratch_store_dword off, v29, off offset:1296 ; 4-byte Folded Spill
.LBB52_129:
	s_or_b64 exec, exec, s[2:3]
.LBB52_130:
	s_andn2_saveexec_b64 s[0:1], s[0:1]
	s_cbranch_execz .LBB52_132
; %bb.131:
	s_waitcnt vmcnt(0)
	ds_write2_b32 v31, v176, v177 offset0:8 offset1:9
	ds_write2_b32 v31, v178, v179 offset0:10 offset1:11
	;; [unrolled: 1-line block ×9, first 2 shown]
	scratch_load_dwordx2 v[28:29], off, off offset:8 ; 8-byte Folded Reload
	v_mov_b32_e32 v209, 7
	s_waitcnt vmcnt(0)
	ds_write_b32 v31, v29 offset:104
.LBB52_132:
	s_or_b64 exec, exec, s[0:1]
	v_cmp_lt_i32_e32 vcc, 7, v209
	s_waitcnt lgkmcnt(0)
	s_barrier
	s_and_saveexec_b64 s[0:1], vcc
	s_cbranch_execz .LBB52_134
; %bb.133:
	s_waitcnt vmcnt(0)
	ds_read2_b32 v[2:3], v31 offset0:8 offset1:9
	ds_read2_b32 v[4:5], v31 offset0:10 offset1:11
	ds_read2_b32 v[6:7], v31 offset0:12 offset1:13
	v_mul_f32_e32 v0, v211, v27
	ds_read2_b32 v[26:27], v31 offset0:14 offset1:15
	s_waitcnt lgkmcnt(3)
	v_pk_fma_f32 v[148:149], v[0:1], v[2:3], v[176:177] op_sel_hi:[0,1,1] neg_lo:[1,0,0] neg_hi:[1,0,0]
	ds_read2_b32 v[2:3], v31 offset0:16 offset1:17
	s_waitcnt lgkmcnt(3)
	v_pk_fma_f32 v[138:139], v[0:1], v[4:5], v[178:179] op_sel_hi:[0,1,1] neg_lo:[1,0,0] neg_hi:[1,0,0]
	s_waitcnt lgkmcnt(2)
	v_pk_fma_f32 v[14:15], v[0:1], v[6:7], v[180:181] op_sel_hi:[0,1,1] neg_lo:[1,0,0] neg_hi:[1,0,0]
	;; [unrolled: 2-line block ×3, first 2 shown]
	ds_read2_b32 v[4:5], v31 offset0:18 offset1:19
	ds_read2_b32 v[6:7], v31 offset0:20 offset1:21
	;; [unrolled: 1-line block ×3, first 2 shown]
	s_waitcnt lgkmcnt(3)
	v_pk_fma_f32 v[72:73], v[0:1], v[2:3], v[184:185] op_sel_hi:[0,1,1] neg_lo:[1,0,0] neg_hi:[1,0,0]
	ds_read2_b32 v[2:3], v31 offset0:24 offset1:25
	ds_read_b32 v1, v31 offset:104
	scratch_load_dwordx4 v[104:107], off, off offset:3616 ; 16-byte Folded Reload
	scratch_load_dwordx4 v[108:111], off, off offset:3632 ; 16-byte Folded Reload
	;; [unrolled: 1-line block ×8, first 2 shown]
	v_mov_b32_e32 v10, v148
	v_mov_b32_e32 v11, v149
	s_waitcnt vmcnt(0)
	v_mov_b32_e32 v135, v0
	s_waitcnt lgkmcnt(0)
	v_pk_fma_f32 v[102:103], v[0:1], v[4:5], v[186:187] op_sel_hi:[0,1,1] neg_lo:[1,0,0] neg_hi:[1,0,0]
	v_pk_fma_f32 v[204:205], v[0:1], v[6:7], v[188:189] op_sel_hi:[0,1,1] neg_lo:[1,0,0] neg_hi:[1,0,0]
	;; [unrolled: 1-line block ×4, first 2 shown]
	v_mov_b32_e32 v9, v0
	v_mov_b32_e32 v118, v226
	;; [unrolled: 1-line block ×80, first 2 shown]
	scratch_store_dwordx4 off, v[2:5], off offset:2840 ; 16-byte Folded Spill
	s_nop 0
	scratch_store_dwordx4 off, v[6:9], off offset:2856 ; 16-byte Folded Spill
	scratch_store_dwordx4 off, v[10:13], off offset:2872 ; 16-byte Folded Spill
	;; [unrolled: 1-line block ×7, first 2 shown]
	v_mov_b32_e32 v12, v138
	v_mov_b32_e32 v13, v139
	;; [unrolled: 1-line block ×55, first 2 shown]
	scratch_store_dwordx4 off, v[2:5], off offset:1816 ; 16-byte Folded Spill
	s_nop 0
	scratch_store_dwordx4 off, v[6:9], off offset:1832 ; 16-byte Folded Spill
	scratch_store_dwordx4 off, v[10:13], off offset:1848 ; 16-byte Folded Spill
	;; [unrolled: 1-line block ×7, first 2 shown]
	v_mov_b64_e32 v[42:43], v[12:13]
	s_nop 0
	v_mov_b64_e32 v[32:33], v[2:3]
	v_mov_b64_e32 v[40:41], v[10:11]
	;; [unrolled: 1-line block ×6, first 2 shown]
	scratch_store_dwordx4 off, v[2:5], off offset:1432 ; 16-byte Folded Spill
	s_nop 0
	scratch_store_dwordx4 off, v[6:9], off offset:1448 ; 16-byte Folded Spill
	scratch_store_dwordx4 off, v[10:13], off offset:1464 ; 16-byte Folded Spill
	scratch_store_dwordx4 off, v[14:17], off offset:1480 ; 16-byte Folded Spill
	scratch_store_dwordx4 off, v[18:21], off offset:1496 ; 16-byte Folded Spill
	scratch_store_dwordx4 off, v[22:25], off offset:1512 ; 16-byte Folded Spill
	scratch_store_dwordx4 off, v[26:29], off offset:1528 ; 16-byte Folded Spill
	scratch_store_dwordx4 off, v[30:33], off offset:1544 ; 16-byte Folded Spill
	v_mov_b32_e32 v16, v226
	v_mov_b32_e32 v17, v227
	;; [unrolled: 1-line block ×20, first 2 shown]
	scratch_store_dwordx4 off, v[2:5], off offset:1168 ; 16-byte Folded Spill
	s_nop 0
	scratch_store_dwordx4 off, v[6:9], off offset:1184 ; 16-byte Folded Spill
	scratch_store_dwordx4 off, v[10:13], off offset:1200 ; 16-byte Folded Spill
	scratch_store_dwordx4 off, v[14:17], off offset:1216 ; 16-byte Folded Spill
	scratch_store_dwordx4 off, v[18:21], off offset:1232 ; 16-byte Folded Spill
	scratch_store_dwordx4 off, v[22:25], off offset:1248 ; 16-byte Folded Spill
	scratch_store_dwordx4 off, v[26:29], off offset:1264 ; 16-byte Folded Spill
	scratch_store_dwordx4 off, v[30:33], off offset:1280 ; 16-byte Folded Spill
	v_mov_b32_e32 v18, v72
	v_mov_b32_e32 v19, v73
	scratch_store_dwordx4 off, v[2:5], off offset:1040 ; 16-byte Folded Spill
	s_nop 0
	scratch_store_dwordx4 off, v[6:9], off offset:1056 ; 16-byte Folded Spill
	scratch_store_dwordx4 off, v[10:13], off offset:1072 ; 16-byte Folded Spill
	scratch_store_dwordx4 off, v[14:17], off offset:1088 ; 16-byte Folded Spill
	scratch_store_dwordx4 off, v[18:21], off offset:1104 ; 16-byte Folded Spill
	scratch_store_dwordx4 off, v[22:25], off offset:1120 ; 16-byte Folded Spill
	scratch_store_dwordx4 off, v[26:29], off offset:1136 ; 16-byte Folded Spill
	scratch_store_dwordx4 off, v[30:33], off offset:1152 ; 16-byte Folded Spill
	v_mov_b32_e32 v20, v102
	v_mov_b32_e32 v21, v103
	;; [unrolled: 11-line block ×3, first 2 shown]
	v_mov_b64_e32 v[114:115], v[12:13]
	v_mov_b64_e32 v[112:113], v[10:11]
	;; [unrolled: 1-line block ×7, first 2 shown]
	scratch_store_dwordx4 off, v[2:5], off offset:400 ; 16-byte Folded Spill
	s_nop 0
	scratch_store_dwordx4 off, v[6:9], off offset:416 ; 16-byte Folded Spill
	scratch_store_dwordx4 off, v[10:13], off offset:432 ; 16-byte Folded Spill
	;; [unrolled: 1-line block ×7, first 2 shown]
	scratch_load_dwordx2 v[2:3], off, off offset:8 ; 8-byte Folded Reload
	v_mov_b64_e32 v[8:9], v[104:105]
	v_mov_b64_e32 v[10:11], v[106:107]
	;; [unrolled: 1-line block ×6, first 2 shown]
	v_mov_b32_e32 v111, v0
	v_mov_b32_e32 v104, v74
	;; [unrolled: 1-line block ×14, first 2 shown]
	v_mov_b64_e32 v[24:25], v[116:117]
	v_mov_b64_e32 v[22:23], v[18:19]
	scratch_store_dwordx4 off, v[104:107], off offset:272 ; 16-byte Folded Spill
	s_nop 0
	scratch_store_dwordx4 off, v[108:111], off offset:288 ; 16-byte Folded Spill
	scratch_store_dwordx4 off, v[112:115], off offset:304 ; 16-byte Folded Spill
	;; [unrolled: 1-line block ×7, first 2 shown]
	v_mov_b64_e32 v[20:21], v[16:17]
	v_mov_b64_e32 v[18:19], v[14:15]
	;; [unrolled: 1-line block ×7, first 2 shown]
	v_mov_b32_e32 v32, v74
	v_mov_b32_e32 v33, v75
	;; [unrolled: 1-line block ×5, first 2 shown]
	s_waitcnt vmcnt(8)
	v_mov_b32_e32 v2, v76
	v_mov_b32_e32 v4, v78
	;; [unrolled: 1-line block ×4, first 2 shown]
	v_mov_b64_e32 v[112:113], v[20:21]
	v_mov_b64_e32 v[110:111], v[18:19]
	;; [unrolled: 1-line block ×4, first 2 shown]
	v_mov_b32_e32 v18, v102
	v_mov_b32_e32 v19, v103
	;; [unrolled: 1-line block ×17, first 2 shown]
	v_fma_f32 v26, -v0, v1, v3
	v_mov_b32_e32 v0, v74
	v_mov_b32_e32 v1, v75
	;; [unrolled: 1-line block ×3, first 2 shown]
	scratch_store_dwordx4 off, v[74:77], off offset:3224 ; 16-byte Folded Spill
	s_nop 0
	scratch_store_dwordx4 off, v[78:81], off offset:3240 ; 16-byte Folded Spill
	scratch_store_dwordx4 off, v[82:85], off offset:3256 ; 16-byte Folded Spill
	;; [unrolled: 1-line block ×7, first 2 shown]
	v_mov_b32_e32 v29, v26
	scratch_store_dwordx2 off, v[28:29], off offset:8 ; 8-byte Folded Spill
	v_mov_b32_e32 v76, v148
	scratch_store_dwordx4 off, v[140:143], off offset:1688 ; 16-byte Folded Spill
	s_nop 0
	scratch_store_dwordx4 off, v[144:147], off offset:1704 ; 16-byte Folded Spill
	scratch_store_dwordx4 off, v[148:151], off offset:1720 ; 16-byte Folded Spill
	;; [unrolled: 1-line block ×7, first 2 shown]
	v_mov_b32_e32 v74, v138
	v_mov_b32_e32 v12, v116
	;; [unrolled: 1-line block ×5, first 2 shown]
	scratch_store_dwordx4 off, v[128:131], off offset:2712 ; 16-byte Folded Spill
	s_nop 0
	scratch_store_dwordx4 off, v[132:135], off offset:2728 ; 16-byte Folded Spill
	scratch_store_dwordx4 off, v[136:139], off offset:2744 ; 16-byte Folded Spill
	;; [unrolled: 1-line block ×8, first 2 shown]
	s_nop 0
	scratch_store_dwordx4 off, v[108:111], off offset:1576 ; 16-byte Folded Spill
	scratch_store_dwordx4 off, v[112:115], off offset:1592 ; 16-byte Folded Spill
	;; [unrolled: 1-line block ×7, first 2 shown]
	v_mov_b32_e32 v104, v226
	scratch_store_dwordx4 off, v[212:215], off offset:1304 ; 16-byte Folded Spill
	s_nop 0
	scratch_store_dwordx4 off, v[216:219], off offset:1320 ; 16-byte Folded Spill
	scratch_store_dwordx4 off, v[220:223], off offset:1336 ; 16-byte Folded Spill
	;; [unrolled: 1-line block ×7, first 2 shown]
	v_mov_b32_e32 v77, v139
	v_mov_b32_e32 v116, v72
	;; [unrolled: 1-line block ×4, first 2 shown]
	v_mov_b64_e32 v[140:141], v[150:151]
	v_mov_b64_e32 v[142:143], v[152:153]
	;; [unrolled: 1-line block ×8, first 2 shown]
	v_mov_b32_e32 v156, v166
	v_mov_b32_e32 v157, v167
	;; [unrolled: 1-line block ×9, first 2 shown]
	v_mov_b64_e32 v[182:183], v[14:15]
	v_mov_b64_e32 v[180:181], v[12:13]
	;; [unrolled: 1-line block ×16, first 2 shown]
	v_mov_b32_e32 v216, v164
	v_mov_b32_e32 v79, v117
	;; [unrolled: 1-line block ×3, first 2 shown]
	scratch_store_dwordx4 off, v[56:59], off offset:912 ; 16-byte Folded Spill
	s_nop 0
	scratch_store_dwordx4 off, v[60:63], off offset:928 ; 16-byte Folded Spill
	scratch_store_dwordx4 off, v[64:67], off offset:944 ; 16-byte Folded Spill
	scratch_store_dwordx4 off, v[68:71], off offset:960 ; 16-byte Folded Spill
	scratch_store_dwordx4 off, v[72:75], off offset:976 ; 16-byte Folded Spill
	scratch_store_dwordx4 off, v[76:79], off offset:992 ; 16-byte Folded Spill
	scratch_store_dwordx4 off, v[80:83], off offset:1008 ; 16-byte Folded Spill
	scratch_store_dwordx4 off, v[84:87], off offset:1024 ; 16-byte Folded Spill
	scratch_store_dwordx4 off, v[84:87], off offset:784 ; 16-byte Folded Spill
	s_nop 0
	scratch_store_dwordx4 off, v[88:91], off offset:800 ; 16-byte Folded Spill
	scratch_store_dwordx4 off, v[92:95], off offset:816 ; 16-byte Folded Spill
	scratch_store_dwordx4 off, v[96:99], off offset:832 ; 16-byte Folded Spill
	scratch_store_dwordx4 off, v[100:103], off offset:848 ; 16-byte Folded Spill
	scratch_store_dwordx4 off, v[104:107], off offset:864 ; 16-byte Folded Spill
	scratch_store_dwordx4 off, v[108:111], off offset:880 ; 16-byte Folded Spill
	scratch_store_dwordx4 off, v[112:115], off offset:896 ; 16-byte Folded Spill
	;; [unrolled: 9-line block ×3, first 2 shown]
	v_mov_b32_e32 v194, v26
	v_mov_b32_e32 v193, v25
	;; [unrolled: 1-line block ×22, first 2 shown]
	scratch_store_dwordx4 off, v[0:3], off offset:144 ; 16-byte Folded Spill
	s_nop 0
	scratch_store_dwordx4 off, v[4:7], off offset:160 ; 16-byte Folded Spill
	scratch_store_dwordx4 off, v[8:11], off offset:176 ; 16-byte Folded Spill
	;; [unrolled: 1-line block ×7, first 2 shown]
	v_mov_b32_e32 v215, v205
.LBB52_134:
	s_or_b64 exec, exec, s[0:1]
	s_waitcnt vmcnt(0)
	v_lshl_add_u32 v27, v209, 2, v31
	s_barrier
	ds_write_b32 v27, v76
	s_waitcnt lgkmcnt(0)
	s_barrier
	ds_read_b32 v27, v31 offset:32
	s_cmp_lt_i32 s14, 10
	v_mov_b32_e32 v28, 8
	s_cbranch_scc1 .LBB52_137
; %bb.135:
	scratch_load_dword v28, off, off offset:1300 ; 4-byte Folded Reload
	s_mov_b32 s0, 9
	s_waitcnt vmcnt(0)
	v_add3_u32 v29, v28, 0, 36
	v_mov_b32_e32 v28, 8
.LBB52_136:                             ; =>This Inner Loop Header: Depth=1
	ds_read_b32 v30, v29
	v_add_u32_e32 v29, 4, v29
	s_waitcnt lgkmcnt(0)
	v_cmp_lt_f32_e64 vcc, |v27|, |v30|
	s_nop 1
	v_cndmask_b32_e32 v27, v27, v30, vcc
	v_mov_b32_e32 v30, s0
	s_add_i32 s0, s0, 1
	v_cndmask_b32_e32 v28, v28, v30, vcc
	s_cmp_lg_u32 s14, s0
	s_cbranch_scc1 .LBB52_136
.LBB52_137:
	s_waitcnt lgkmcnt(0)
	v_cmp_eq_f32_e32 vcc, 0, v27
	s_and_saveexec_b64 s[0:1], vcc
	s_xor_b64 s[0:1], exec, s[0:1]
	s_cbranch_execz .LBB52_139
; %bb.138:
	scratch_load_dword v0, off, off offset:16 ; 4-byte Folded Reload
	s_waitcnt vmcnt(0)
	v_cmp_ne_u32_e32 vcc, 0, v0
	s_nop 1
	v_cndmask_b32_e32 v0, 9, v0, vcc
	scratch_store_dword off, v0, off offset:16 ; 4-byte Folded Spill
.LBB52_139:
	s_andn2_saveexec_b64 s[0:1], s[0:1]
	s_cbranch_execz .LBB52_141
; %bb.140:
	v_div_scale_f32 v29, s[2:3], v27, v27, 1.0
	v_rcp_f32_e32 v30, v29
	v_div_scale_f32 v31, vcc, 1.0, v27, 1.0
	v_fma_f32 v55, -v29, v30, 1.0
	v_fmac_f32_e32 v30, v55, v30
	v_mul_f32_e32 v55, v31, v30
	v_fma_f32 v56, -v29, v55, v31
	v_fmac_f32_e32 v55, v56, v30
	v_fma_f32 v29, -v29, v55, v31
	scratch_load_dword v31, off, off offset:4 ; 4-byte Folded Reload
	v_div_fmas_f32 v29, v29, v30, v55
	v_div_fixup_f32 v27, v29, v27, 1.0
.LBB52_141:
	s_or_b64 exec, exec, s[0:1]
	v_cmp_ne_u32_e32 vcc, v209, v28
	s_and_saveexec_b64 s[0:1], vcc
	s_xor_b64 s[0:1], exec, s[0:1]
	s_cbranch_execz .LBB52_147
; %bb.142:
	v_cmp_eq_u32_e32 vcc, 8, v209
	s_and_saveexec_b64 s[2:3], vcc
	s_cbranch_execz .LBB52_146
; %bb.143:
	v_cmp_ne_u32_e32 vcc, 8, v28
	s_xor_b64 s[18:19], s[16:17], -1
	s_and_b64 s[20:21], s[18:19], vcc
	s_and_saveexec_b64 s[18:19], s[20:21]
	s_cbranch_execz .LBB52_145
; %bb.144:
	scratch_load_dwordx2 v[56:57], off, off offset:3608 ; 8-byte Folded Reload
	v_ashrrev_i32_e32 v29, 31, v28
	s_waitcnt vmcnt(0)
	v_lshl_add_u64 v[30:31], v[28:29], 2, v[56:57]
	global_load_dword v29, v[30:31], off
	global_load_dword v55, v[56:57], off offset:32
	s_waitcnt vmcnt(1)
	global_store_dword v[56:57], v29, off offset:32
	s_waitcnt vmcnt(1)
	global_store_dword v[30:31], v55, off
	scratch_load_dword v31, off, off offset:4 ; 4-byte Folded Reload
.LBB52_145:
	s_or_b64 exec, exec, s[18:19]
	v_mov_b32_e32 v29, v28
	v_mov_b32_e32 v209, v28
	scratch_store_dword off, v29, off offset:1296 ; 4-byte Folded Spill
.LBB52_146:
	s_or_b64 exec, exec, s[2:3]
.LBB52_147:
	s_andn2_saveexec_b64 s[0:1], s[0:1]
	s_cbranch_execz .LBB52_149
; %bb.148:
	v_mov_b32_e32 v209, 8
	s_waitcnt vmcnt(0)
	ds_write2_b32 v31, v177, v178 offset0:9 offset1:10
	ds_write2_b32 v31, v179, v180 offset0:11 offset1:12
	;; [unrolled: 1-line block ×9, first 2 shown]
.LBB52_149:
	s_or_b64 exec, exec, s[0:1]
	v_cmp_lt_i32_e32 vcc, 8, v209
	s_waitcnt lgkmcnt(0)
	s_barrier
	s_and_saveexec_b64 s[0:1], vcc
	s_cbranch_execz .LBB52_151
; %bb.150:
	scratch_load_dwordx4 v[32:35], off, off offset:3224 ; 16-byte Folded Reload
	scratch_load_dwordx4 v[36:39], off, off offset:3240 ; 16-byte Folded Reload
	;; [unrolled: 1-line block ×8, first 2 shown]
	s_waitcnt vmcnt(8)
	ds_read2_b32 v[0:1], v31 offset0:9 offset1:10
	ds_read2_b32 v[4:5], v31 offset0:11 offset1:12
	;; [unrolled: 1-line block ×4, first 2 shown]
	v_mul_f32_e32 v72, v76, v27
	v_mov_b32_e32 v2, v177
	v_mov_b32_e32 v3, v178
	s_waitcnt lgkmcnt(3)
	v_pk_fma_f32 v[28:29], v[72:73], v[0:1], v[2:3] op_sel_hi:[0,1,1] neg_lo:[1,0,0] neg_hi:[1,0,0]
	v_mov_b32_e32 v0, v179
	v_mov_b32_e32 v1, v180
	s_waitcnt lgkmcnt(2)
	v_pk_fma_f32 v[30:31], v[72:73], v[4:5], v[0:1] op_sel_hi:[0,1,1] neg_lo:[1,0,0] neg_hi:[1,0,0]
	v_mov_b32_e32 v0, v181
	v_mov_b32_e32 v1, v182
	s_waitcnt vmcnt(1) lgkmcnt(1)
	v_pk_fma_f32 v[56:57], v[72:73], v[6:7], v[0:1] op_sel_hi:[0,1,1] neg_lo:[1,0,0] neg_hi:[1,0,0]
	v_mov_b32_e32 v0, v183
	v_mov_b32_e32 v1, v184
	s_waitcnt lgkmcnt(0)
	v_pk_fma_f32 v[58:59], v[72:73], v[8:9], v[0:1] op_sel_hi:[0,1,1] neg_lo:[1,0,0] neg_hi:[1,0,0]
	scratch_load_dword v0, off, off offset:4 ; 4-byte Folded Reload
	scratch_load_dword v4, off, off offset:4 ; 4-byte Folded Reload
	;; [unrolled: 1-line block ×4, first 2 shown]
	v_mov_b32_e32 v2, v185
	v_mov_b32_e32 v3, v186
	;; [unrolled: 1-line block ×15, first 2 shown]
	v_mov_b64_e32 v[70:71], v[38:39]
	v_mov_b64_e32 v[68:69], v[36:37]
	;; [unrolled: 1-line block ×4, first 2 shown]
	v_mov_b32_e32 v168, v64
	v_mov_b32_e32 v169, v65
	;; [unrolled: 1-line block ×8, first 2 shown]
	s_waitcnt vmcnt(3)
	ds_read2_b32 v[0:1], v0 offset0:17 offset1:18
	s_waitcnt vmcnt(2)
	ds_read2_b32 v[4:5], v4 offset0:19 offset1:20
	;; [unrolled: 2-line block ×4, first 2 shown]
	s_waitcnt lgkmcnt(3)
	v_pk_fma_f32 v[60:61], v[72:73], v[0:1], v[2:3] op_sel_hi:[0,1,1] neg_lo:[1,0,0] neg_hi:[1,0,0]
	v_mov_b32_e32 v0, v187
	v_mov_b32_e32 v1, v188
	s_waitcnt lgkmcnt(2)
	v_pk_fma_f32 v[62:63], v[72:73], v[4:5], v[0:1] op_sel_hi:[0,1,1] neg_lo:[1,0,0] neg_hi:[1,0,0]
	v_mov_b32_e32 v0, v189
	v_mov_b32_e32 v1, v190
	s_waitcnt lgkmcnt(1)
	v_pk_fma_f32 v[90:91], v[72:73], v[6:7], v[0:1] op_sel_hi:[0,1,1] neg_lo:[1,0,0] neg_hi:[1,0,0]
	scratch_load_dword v1, off, off offset:4 ; 4-byte Folded Reload
	v_mov_b32_e32 v0, v191
	v_mov_b32_e32 v4, v68
	;; [unrolled: 1-line block ×20, first 2 shown]
	s_waitcnt vmcnt(0)
	ds_read2_b32 v[2:3], v1 offset0:25 offset1:26
	v_mov_b32_e32 v1, v192
	s_waitcnt lgkmcnt(1)
	v_pk_fma_f32 v[92:93], v[72:73], v[8:9], v[0:1] op_sel_hi:[0,1,1] neg_lo:[1,0,0] neg_hi:[1,0,0]
	v_mov_b32_e32 v0, v193
	v_mov_b32_e32 v1, v194
	s_waitcnt lgkmcnt(0)
	v_pk_fma_f32 v[26:27], v[72:73], v[2:3], v[0:1] op_sel_hi:[0,1,1] neg_lo:[1,0,0] neg_hi:[1,0,0]
	v_mov_b32_e32 v0, v64
	v_mov_b32_e32 v1, v65
	;; [unrolled: 1-line block ×7, first 2 shown]
	scratch_store_dwordx4 off, v[0:3], off offset:2712 ; 16-byte Folded Spill
	s_nop 0
	scratch_store_dwordx4 off, v[4:7], off offset:2728 ; 16-byte Folded Spill
	scratch_store_dwordx4 off, v[8:11], off offset:2744 ; 16-byte Folded Spill
	;; [unrolled: 1-line block ×7, first 2 shown]
	v_mov_b32_e32 v191, v92
	v_mov_b32_e32 v192, v93
	;; [unrolled: 1-line block ×3, first 2 shown]
	scratch_store_dwordx4 off, v[0:3], off offset:1816 ; 16-byte Folded Spill
	s_nop 0
	scratch_store_dwordx4 off, v[4:7], off offset:1832 ; 16-byte Folded Spill
	scratch_store_dwordx4 off, v[8:11], off offset:1848 ; 16-byte Folded Spill
	scratch_store_dwordx4 off, v[12:15], off offset:1864 ; 16-byte Folded Spill
	scratch_store_dwordx4 off, v[16:19], off offset:1880 ; 16-byte Folded Spill
	scratch_store_dwordx4 off, v[20:23], off offset:1896 ; 16-byte Folded Spill
	scratch_store_dwordx4 off, v[24:27], off offset:1912 ; 16-byte Folded Spill
	scratch_store_dwordx4 off, v[28:31], off offset:1928 ; 16-byte Folded Spill
	v_mov_b32_e32 v12, v31
	scratch_store_dwordx4 off, v[0:3], off offset:1560 ; 16-byte Folded Spill
	s_nop 0
	scratch_store_dwordx4 off, v[4:7], off offset:1576 ; 16-byte Folded Spill
	scratch_store_dwordx4 off, v[8:11], off offset:1592 ; 16-byte Folded Spill
	scratch_store_dwordx4 off, v[12:15], off offset:1608 ; 16-byte Folded Spill
	scratch_store_dwordx4 off, v[16:19], off offset:1624 ; 16-byte Folded Spill
	scratch_store_dwordx4 off, v[20:23], off offset:1640 ; 16-byte Folded Spill
	scratch_store_dwordx4 off, v[24:27], off offset:1656 ; 16-byte Folded Spill
	scratch_store_dwordx4 off, v[28:31], off offset:1672 ; 16-byte Folded Spill
	v_mov_b32_e32 v13, v56
	;; [unrolled: 10-line block ×11, first 2 shown]
	v_mov_b32_e32 v23, v92
	v_mov_b32_e32 v41, v28
	;; [unrolled: 1-line block ×5, first 2 shown]
	scratch_store_dwordx4 off, v[0:3], off offset:272 ; 16-byte Folded Spill
	s_nop 0
	scratch_store_dwordx4 off, v[4:7], off offset:288 ; 16-byte Folded Spill
	scratch_store_dwordx4 off, v[8:11], off offset:304 ; 16-byte Folded Spill
	;; [unrolled: 1-line block ×7, first 2 shown]
	s_nop 0
	v_mov_b32_e32 v24, v93
	scratch_store_dwordx4 off, v[0:3], off offset:144 ; 16-byte Folded Spill
	s_nop 0
	scratch_store_dwordx4 off, v[4:7], off offset:160 ; 16-byte Folded Spill
	scratch_store_dwordx4 off, v[8:11], off offset:176 ; 16-byte Folded Spill
	;; [unrolled: 1-line block ×7, first 2 shown]
	scratch_store_dwordx2 off, v[26:27], off offset:8 ; 8-byte Folded Spill
	scratch_store_dwordx4 off, v[64:67], off offset:2840 ; 16-byte Folded Spill
	s_nop 0
	scratch_store_dwordx4 off, v[68:71], off offset:2856 ; 16-byte Folded Spill
	scratch_store_dwordx4 off, v[72:75], off offset:2872 ; 16-byte Folded Spill
	;; [unrolled: 1-line block ×8, first 2 shown]
	s_nop 0
	scratch_store_dwordx4 off, v[68:71], off offset:1704 ; 16-byte Folded Spill
	scratch_store_dwordx4 off, v[72:75], off offset:1720 ; 16-byte Folded Spill
	;; [unrolled: 1-line block ×7, first 2 shown]
	v_mov_b32_e32 v180, v31
	v_mov_b32_e32 v78, v31
	scratch_load_dword v31, off, off offset:4 ; 4-byte Folded Reload
	v_mov_b32_e32 v177, v28
	v_mov_b32_e32 v178, v29
	;; [unrolled: 1-line block ×15, first 2 shown]
.LBB52_151:
	s_or_b64 exec, exec, s[0:1]
	s_waitcnt vmcnt(0)
	v_lshl_add_u32 v27, v209, 2, v31
	s_barrier
	ds_write_b32 v27, v83
	s_waitcnt lgkmcnt(0)
	s_barrier
	ds_read_b32 v27, v31 offset:36
	s_cmp_lt_i32 s14, 11
	v_mov_b32_e32 v28, 9
	s_cbranch_scc1 .LBB52_154
; %bb.152:
	scratch_load_dword v28, off, off offset:1300 ; 4-byte Folded Reload
	s_mov_b32 s0, 10
	s_waitcnt vmcnt(0)
	v_add3_u32 v29, v28, 0, 40
	v_mov_b32_e32 v28, 9
.LBB52_153:                             ; =>This Inner Loop Header: Depth=1
	ds_read_b32 v30, v29
	v_add_u32_e32 v29, 4, v29
	s_waitcnt lgkmcnt(0)
	v_cmp_lt_f32_e64 vcc, |v27|, |v30|
	s_nop 1
	v_cndmask_b32_e32 v27, v27, v30, vcc
	v_mov_b32_e32 v30, s0
	s_add_i32 s0, s0, 1
	v_cndmask_b32_e32 v28, v28, v30, vcc
	s_cmp_lg_u32 s14, s0
	s_cbranch_scc1 .LBB52_153
.LBB52_154:
	s_waitcnt lgkmcnt(0)
	v_cmp_eq_f32_e32 vcc, 0, v27
	s_and_saveexec_b64 s[0:1], vcc
	s_xor_b64 s[0:1], exec, s[0:1]
	s_cbranch_execz .LBB52_156
; %bb.155:
	scratch_load_dword v0, off, off offset:16 ; 4-byte Folded Reload
	s_waitcnt vmcnt(0)
	v_cmp_ne_u32_e32 vcc, 0, v0
	s_nop 1
	v_cndmask_b32_e32 v0, 10, v0, vcc
	scratch_store_dword off, v0, off offset:16 ; 4-byte Folded Spill
.LBB52_156:
	s_andn2_saveexec_b64 s[0:1], s[0:1]
	s_cbranch_execz .LBB52_158
; %bb.157:
	v_div_scale_f32 v29, s[2:3], v27, v27, 1.0
	v_rcp_f32_e32 v30, v29
	v_div_scale_f32 v31, vcc, 1.0, v27, 1.0
	v_fma_f32 v55, -v29, v30, 1.0
	v_fmac_f32_e32 v30, v55, v30
	v_mul_f32_e32 v55, v31, v30
	v_fma_f32 v56, -v29, v55, v31
	v_fmac_f32_e32 v55, v56, v30
	v_fma_f32 v29, -v29, v55, v31
	scratch_load_dword v31, off, off offset:4 ; 4-byte Folded Reload
	v_div_fmas_f32 v29, v29, v30, v55
	v_div_fixup_f32 v27, v29, v27, 1.0
.LBB52_158:
	s_or_b64 exec, exec, s[0:1]
	v_cmp_ne_u32_e32 vcc, v209, v28
	s_and_saveexec_b64 s[0:1], vcc
	s_xor_b64 s[0:1], exec, s[0:1]
	s_cbranch_execz .LBB52_164
; %bb.159:
	v_cmp_eq_u32_e32 vcc, 9, v209
	s_and_saveexec_b64 s[2:3], vcc
	s_cbranch_execz .LBB52_163
; %bb.160:
	v_cmp_ne_u32_e32 vcc, 9, v28
	s_xor_b64 s[18:19], s[16:17], -1
	s_and_b64 s[20:21], s[18:19], vcc
	s_and_saveexec_b64 s[18:19], s[20:21]
	s_cbranch_execz .LBB52_162
; %bb.161:
	scratch_load_dwordx2 v[56:57], off, off offset:3608 ; 8-byte Folded Reload
	v_ashrrev_i32_e32 v29, 31, v28
	s_waitcnt vmcnt(0)
	v_lshl_add_u64 v[30:31], v[28:29], 2, v[56:57]
	global_load_dword v29, v[30:31], off
	global_load_dword v55, v[56:57], off offset:36
	s_waitcnt vmcnt(1)
	global_store_dword v[56:57], v29, off offset:36
	s_waitcnt vmcnt(1)
	global_store_dword v[30:31], v55, off
	scratch_load_dword v31, off, off offset:4 ; 4-byte Folded Reload
.LBB52_162:
	s_or_b64 exec, exec, s[18:19]
	v_mov_b32_e32 v29, v28
	v_mov_b32_e32 v209, v28
	scratch_store_dword off, v29, off offset:1296 ; 4-byte Folded Spill
.LBB52_163:
	s_or_b64 exec, exec, s[2:3]
.LBB52_164:
	s_andn2_saveexec_b64 s[0:1], s[0:1]
	s_cbranch_execz .LBB52_166
; %bb.165:
	s_waitcnt vmcnt(0)
	ds_write2_b32 v31, v178, v179 offset0:10 offset1:11
	ds_write2_b32 v31, v180, v181 offset0:12 offset1:13
	;; [unrolled: 1-line block ×8, first 2 shown]
	scratch_load_dwordx2 v[28:29], off, off offset:8 ; 8-byte Folded Reload
	v_mov_b32_e32 v209, 9
	s_waitcnt vmcnt(0)
	ds_write_b32 v31, v29 offset:104
.LBB52_166:
	s_or_b64 exec, exec, s[0:1]
	v_cmp_lt_i32_e32 vcc, 9, v209
	s_waitcnt lgkmcnt(0)
	s_barrier
	s_and_saveexec_b64 s[0:1], vcc
	s_cbranch_execz .LBB52_168
; %bb.167:
	s_waitcnt vmcnt(0)
	ds_read2_b32 v[2:3], v31 offset0:10 offset1:11
	ds_read2_b32 v[4:5], v31 offset0:12 offset1:13
	;; [unrolled: 1-line block ×3, first 2 shown]
	v_mul_f32_e32 v0, v83, v27
	ds_read2_b32 v[8:9], v31 offset0:16 offset1:17
	s_waitcnt lgkmcnt(3)
	v_pk_fma_f32 v[138:139], v[0:1], v[2:3], v[178:179] op_sel_hi:[0,1,1] neg_lo:[1,0,0] neg_hi:[1,0,0]
	s_waitcnt lgkmcnt(2)
	v_pk_fma_f32 v[224:225], v[0:1], v[4:5], v[180:181] op_sel_hi:[0,1,1] neg_lo:[1,0,0] neg_hi:[1,0,0]
	;; [unrolled: 2-line block ×3, first 2 shown]
	ds_read2_b32 v[2:3], v31 offset0:18 offset1:19
	ds_read2_b32 v[4:5], v31 offset0:20 offset1:21
	;; [unrolled: 1-line block ×4, first 2 shown]
	scratch_load_dwordx4 v[140:143], off, off offset:1688 ; 16-byte Folded Reload
	scratch_load_dwordx4 v[144:147], off, off offset:1704 ; 16-byte Folded Reload
	;; [unrolled: 1-line block ×8, first 2 shown]
	s_waitcnt lgkmcnt(4)
	v_pk_fma_f32 v[72:73], v[0:1], v[8:9], v[184:185] op_sel_hi:[0,1,1] neg_lo:[1,0,0] neg_hi:[1,0,0]
	s_waitcnt lgkmcnt(3)
	v_pk_fma_f32 v[102:103], v[0:1], v[2:3], v[186:187] op_sel_hi:[0,1,1] neg_lo:[1,0,0] neg_hi:[1,0,0]
	;; [unrolled: 2-line block ×5, first 2 shown]
	v_mov_b32_e32 v11, v0
	v_mov_b32_e32 v12, v138
	;; [unrolled: 1-line block ×3, first 2 shown]
	s_waitcnt vmcnt(5)
	v_mov_b32_e32 v149, v0
	s_waitcnt vmcnt(3)
	v_mov_b32_e32 v159, v0
	v_mov_b32_e32 v120, v72
	;; [unrolled: 1-line block ×9, first 2 shown]
	s_waitcnt vmcnt(2)
	v_mov_b32_e32 v160, v138
	v_mov_b32_e32 v161, v139
	;; [unrolled: 1-line block ×4, first 2 shown]
	s_waitcnt vmcnt(1)
	v_mov_b32_e32 v166, v72
	v_mov_b32_e32 v167, v73
	s_waitcnt vmcnt(0)
	v_mov_b32_e32 v168, v102
	v_mov_b32_e32 v169, v103
	v_mov_b32_e32 v170, v204
	v_mov_b32_e32 v171, v205
	v_mov_b32_e32 v137, v0
	v_mov_b32_e32 v221, v0
	v_mov_b32_e32 v65, v0
	v_mov_b32_e32 v93, v0
	v_mov_b32_e32 v193, v0
	v_mov_b32_e32 v222, v138
	v_mov_b32_e32 v223, v139
	v_mov_b32_e32 v66, v138
	v_mov_b32_e32 v67, v139
	v_mov_b32_e32 v68, v224
	v_mov_b32_e32 v69, v225
	v_mov_b32_e32 v94, v138
	v_mov_b32_e32 v95, v139
	v_mov_b32_e32 v96, v224
	v_mov_b32_e32 v97, v225
	v_mov_b32_e32 v194, v138
	v_mov_b32_e32 v195, v139
	v_mov_b32_e32 v196, v224
	v_mov_b32_e32 v197, v225
	v_mov_b32_e32 v74, v138
	v_mov_b32_e32 v78, v224
	v_mov_b32_e32 v100, v72
	v_mov_b32_e32 v101, v73
	v_mov_b32_e32 v200, v72
	v_mov_b32_e32 v201, v73
	v_mov_b32_e32 v48, v72
	v_mov_b32_e32 v49, v73
	v_mov_b32_e32 v202, v102
	v_mov_b32_e32 v203, v103
	v_mov_b32_e32 v50, v102
	v_mov_b32_e32 v51, v103
	v_mov_b32_e32 v52, v204
	v_mov_b32_e32 v53, v205
	v_mov_b32_e32 v172, v54
	v_mov_b32_e32 v173, v55
	v_mov_b32_e32 v2, v140
	v_mov_b32_e32 v3, v141
	v_mov_b32_e32 v4, v142
	v_mov_b32_e32 v5, v143
	v_mov_b32_e32 v6, v144
	v_mov_b32_e32 v7, v145
	v_mov_b32_e32 v8, v146
	v_mov_b32_e32 v9, v147
	v_mov_b32_e32 v10, v148
	scratch_store_dwordx4 off, v[2:5], off offset:1816 ; 16-byte Folded Spill
	s_nop 0
	scratch_store_dwordx4 off, v[6:9], off offset:1832 ; 16-byte Folded Spill
	scratch_store_dwordx4 off, v[10:13], off offset:1848 ; 16-byte Folded Spill
	;; [unrolled: 1-line block ×7, first 2 shown]
	v_mov_b32_e32 v14, v224
	v_mov_b32_e32 v15, v225
	;; [unrolled: 1-line block ×56, first 2 shown]
	scratch_store_dwordx4 off, v[2:5], off offset:1432 ; 16-byte Folded Spill
	s_nop 0
	scratch_store_dwordx4 off, v[6:9], off offset:1448 ; 16-byte Folded Spill
	scratch_store_dwordx4 off, v[10:13], off offset:1464 ; 16-byte Folded Spill
	;; [unrolled: 1-line block ×7, first 2 shown]
	v_mov_b64_e32 v[46:47], v[16:17]
	s_nop 0
	v_mov_b64_e32 v[32:33], v[2:3]
	v_mov_b64_e32 v[44:45], v[14:15]
	;; [unrolled: 1-line block ×7, first 2 shown]
	scratch_store_dwordx4 off, v[2:5], off offset:1168 ; 16-byte Folded Spill
	s_nop 0
	scratch_store_dwordx4 off, v[6:9], off offset:1184 ; 16-byte Folded Spill
	scratch_store_dwordx4 off, v[10:13], off offset:1200 ; 16-byte Folded Spill
	;; [unrolled: 1-line block ×7, first 2 shown]
	v_mov_b32_e32 v18, v72
	v_mov_b32_e32 v19, v73
	;; [unrolled: 1-line block ×20, first 2 shown]
	scratch_store_dwordx4 off, v[2:5], off offset:1040 ; 16-byte Folded Spill
	s_nop 0
	scratch_store_dwordx4 off, v[6:9], off offset:1056 ; 16-byte Folded Spill
	scratch_store_dwordx4 off, v[10:13], off offset:1072 ; 16-byte Folded Spill
	;; [unrolled: 1-line block ×7, first 2 shown]
	v_mov_b32_e32 v20, v102
	v_mov_b32_e32 v21, v103
	scratch_store_dwordx4 off, v[2:5], off offset:656 ; 16-byte Folded Spill
	s_nop 0
	scratch_store_dwordx4 off, v[6:9], off offset:672 ; 16-byte Folded Spill
	scratch_store_dwordx4 off, v[10:13], off offset:688 ; 16-byte Folded Spill
	;; [unrolled: 1-line block ×7, first 2 shown]
	v_mov_b32_e32 v22, v204
	v_mov_b32_e32 v23, v205
	v_mov_b64_e32 v[118:119], v[16:17]
	v_mov_b64_e32 v[116:117], v[14:15]
	;; [unrolled: 1-line block ×8, first 2 shown]
	scratch_store_dwordx4 off, v[2:5], off offset:400 ; 16-byte Folded Spill
	s_nop 0
	scratch_store_dwordx4 off, v[6:9], off offset:416 ; 16-byte Folded Spill
	scratch_store_dwordx4 off, v[10:13], off offset:432 ; 16-byte Folded Spill
	;; [unrolled: 1-line block ×7, first 2 shown]
	scratch_load_dwordx2 v[2:3], off, off offset:8 ; 8-byte Folded Reload
	v_mov_b64_e32 v[10:11], v[104:105]
	v_mov_b64_e32 v[24:25], v[118:119]
	v_mov_b32_e32 v46, v118
	v_mov_b32_e32 v47, v119
	v_mov_b64_e32 v[12:13], v[106:107]
	v_mov_b64_e32 v[14:15], v[108:109]
	;; [unrolled: 1-line block ×6, first 2 shown]
	v_mov_b32_e32 v113, v0
	v_mov_b32_e32 v104, v140
	;; [unrolled: 1-line block ×21, first 2 shown]
	s_waitcnt vmcnt(0)
	v_mov_b32_e32 v2, v142
	v_mov_b32_e32 v4, v144
	;; [unrolled: 1-line block ×7, first 2 shown]
	ds_read_b32 v1, v31 offset:104
	scratch_store_dwordx4 off, v[104:107], off offset:272 ; 16-byte Folded Spill
	s_nop 0
	scratch_store_dwordx4 off, v[108:111], off offset:288 ; 16-byte Folded Spill
	scratch_store_dwordx4 off, v[112:115], off offset:304 ; 16-byte Folded Spill
	;; [unrolled: 1-line block ×7, first 2 shown]
	v_mov_b64_e32 v[118:119], v[24:25]
	v_mov_b64_e32 v[116:117], v[22:23]
	;; [unrolled: 1-line block ×6, first 2 shown]
	s_waitcnt lgkmcnt(0)
	v_fma_f32 v26, -v0, v1, v3
	v_mov_b32_e32 v0, v140
	v_mov_b32_e32 v1, v141
	;; [unrolled: 1-line block ×3, first 2 shown]
	scratch_store_dwordx4 off, v[140:143], off offset:2840 ; 16-byte Folded Spill
	s_nop 0
	scratch_store_dwordx4 off, v[144:147], off offset:2856 ; 16-byte Folded Spill
	scratch_store_dwordx4 off, v[148:151], off offset:2872 ; 16-byte Folded Spill
	;; [unrolled: 1-line block ×7, first 2 shown]
	v_mov_b32_e32 v29, v26
	v_mov_b64_e32 v[106:107], v[12:13]
	v_mov_b64_e32 v[104:105], v[10:11]
	v_mov_b32_e32 v10, v138
	v_mov_b32_e32 v11, v139
	v_mov_b32_e32 v12, v224
	v_mov_b32_e32 v13, v225
	scratch_store_dwordx2 off, v[28:29], off offset:8 ; 8-byte Folded Spill
	v_mov_b32_e32 v16, v72
	v_mov_b32_e32 v17, v73
	;; [unrolled: 1-line block ×12, first 2 shown]
	scratch_store_dwordx4 off, v[128:131], off offset:2712 ; 16-byte Folded Spill
	s_nop 0
	scratch_store_dwordx4 off, v[132:135], off offset:2728 ; 16-byte Folded Spill
	scratch_store_dwordx4 off, v[136:139], off offset:2744 ; 16-byte Folded Spill
	scratch_store_dwordx4 off, v[140:143], off offset:2760 ; 16-byte Folded Spill
	scratch_store_dwordx4 off, v[144:147], off offset:2776 ; 16-byte Folded Spill
	scratch_store_dwordx4 off, v[148:151], off offset:2792 ; 16-byte Folded Spill
	scratch_store_dwordx4 off, v[152:155], off offset:2808 ; 16-byte Folded Spill
	scratch_store_dwordx4 off, v[156:159], off offset:2824 ; 16-byte Folded Spill
	scratch_store_dwordx4 off, v[212:215], off offset:1560 ; 16-byte Folded Spill
	s_nop 0
	scratch_store_dwordx4 off, v[216:219], off offset:1576 ; 16-byte Folded Spill
	scratch_store_dwordx4 off, v[220:223], off offset:1592 ; 16-byte Folded Spill
	;; [unrolled: 1-line block ×7, first 2 shown]
	v_mov_b32_e32 v77, v139
	v_mov_b32_e32 v79, v225
	v_mov_b64_e32 v[226:227], v[118:119]
	v_mov_b64_e32 v[224:225], v[116:117]
	;; [unrolled: 1-line block ×8, first 2 shown]
	v_mov_b32_e32 v104, v226
	scratch_store_dwordx4 off, v[212:215], off offset:1304 ; 16-byte Folded Spill
	s_nop 0
	scratch_store_dwordx4 off, v[216:219], off offset:1320 ; 16-byte Folded Spill
	scratch_store_dwordx4 off, v[220:223], off offset:1336 ; 16-byte Folded Spill
	;; [unrolled: 1-line block ×7, first 2 shown]
	v_mov_b32_e32 v116, v72
	v_mov_b32_e32 v214, v204
	;; [unrolled: 1-line block ×3, first 2 shown]
	v_mov_b64_e32 v[140:141], v[150:151]
	v_mov_b64_e32 v[142:143], v[152:153]
	v_mov_b64_e32 v[144:145], v[154:155]
	v_mov_b64_e32 v[146:147], v[156:157]
	v_mov_b64_e32 v[148:149], v[158:159]
	v_mov_b64_e32 v[150:151], v[160:161]
	v_mov_b64_e32 v[152:153], v[162:163]
	v_mov_b64_e32 v[154:155], v[164:165]
	v_mov_b32_e32 v156, v166
	v_mov_b32_e32 v157, v167
	v_mov_b32_e32 v158, v168
	v_mov_b32_e32 v159, v169
	v_mov_b32_e32 v160, v170
	v_mov_b32_e32 v161, v171
	v_mov_b32_e32 v162, v172
	v_mov_b32_e32 v163, v173
	v_mov_b32_e32 v164, v174
	v_mov_b64_e32 v[182:183], v[14:15]
	v_mov_b64_e32 v[180:181], v[12:13]
	;; [unrolled: 1-line block ×16, first 2 shown]
	v_mov_b32_e32 v216, v164
	v_mov_b32_e32 v75, v227
	scratch_store_dwordx4 off, v[56:59], off offset:912 ; 16-byte Folded Spill
	s_nop 0
	scratch_store_dwordx4 off, v[60:63], off offset:928 ; 16-byte Folded Spill
	scratch_store_dwordx4 off, v[64:67], off offset:944 ; 16-byte Folded Spill
	scratch_store_dwordx4 off, v[68:71], off offset:960 ; 16-byte Folded Spill
	scratch_store_dwordx4 off, v[72:75], off offset:976 ; 16-byte Folded Spill
	scratch_store_dwordx4 off, v[76:79], off offset:992 ; 16-byte Folded Spill
	scratch_store_dwordx4 off, v[80:83], off offset:1008 ; 16-byte Folded Spill
	scratch_store_dwordx4 off, v[84:87], off offset:1024 ; 16-byte Folded Spill
	scratch_store_dwordx4 off, v[84:87], off offset:784 ; 16-byte Folded Spill
	s_nop 0
	scratch_store_dwordx4 off, v[88:91], off offset:800 ; 16-byte Folded Spill
	scratch_store_dwordx4 off, v[92:95], off offset:816 ; 16-byte Folded Spill
	scratch_store_dwordx4 off, v[96:99], off offset:832 ; 16-byte Folded Spill
	scratch_store_dwordx4 off, v[100:103], off offset:848 ; 16-byte Folded Spill
	scratch_store_dwordx4 off, v[104:107], off offset:864 ; 16-byte Folded Spill
	scratch_store_dwordx4 off, v[108:111], off offset:880 ; 16-byte Folded Spill
	scratch_store_dwordx4 off, v[112:115], off offset:896 ; 16-byte Folded Spill
	;; [unrolled: 9-line block ×3, first 2 shown]
	v_mov_b32_e32 v194, v26
	v_mov_b32_e32 v193, v25
	;; [unrolled: 1-line block ×22, first 2 shown]
	scratch_store_dwordx4 off, v[0:3], off offset:144 ; 16-byte Folded Spill
	s_nop 0
	scratch_store_dwordx4 off, v[4:7], off offset:160 ; 16-byte Folded Spill
	scratch_store_dwordx4 off, v[8:11], off offset:176 ; 16-byte Folded Spill
	;; [unrolled: 1-line block ×7, first 2 shown]
	v_mov_b32_e32 v215, v205
.LBB52_168:
	s_or_b64 exec, exec, s[0:1]
	s_waitcnt vmcnt(0)
	v_lshl_add_u32 v27, v209, 2, v31
	s_barrier
	ds_write_b32 v27, v74
	s_waitcnt lgkmcnt(0)
	s_barrier
	ds_read_b32 v27, v31 offset:40
	s_cmp_lt_i32 s14, 12
	v_mov_b32_e32 v28, 10
	s_cbranch_scc1 .LBB52_171
; %bb.169:
	scratch_load_dword v28, off, off offset:1300 ; 4-byte Folded Reload
	s_mov_b32 s0, 11
	s_waitcnt vmcnt(0)
	v_add3_u32 v29, v28, 0, 44
	v_mov_b32_e32 v28, 10
.LBB52_170:                             ; =>This Inner Loop Header: Depth=1
	ds_read_b32 v30, v29
	v_add_u32_e32 v29, 4, v29
	s_waitcnt lgkmcnt(0)
	v_cmp_lt_f32_e64 vcc, |v27|, |v30|
	s_nop 1
	v_cndmask_b32_e32 v27, v27, v30, vcc
	v_mov_b32_e32 v30, s0
	s_add_i32 s0, s0, 1
	v_cndmask_b32_e32 v28, v28, v30, vcc
	s_cmp_lg_u32 s14, s0
	s_cbranch_scc1 .LBB52_170
.LBB52_171:
	s_waitcnt lgkmcnt(0)
	v_cmp_eq_f32_e32 vcc, 0, v27
	s_and_saveexec_b64 s[0:1], vcc
	s_xor_b64 s[0:1], exec, s[0:1]
	s_cbranch_execz .LBB52_173
; %bb.172:
	scratch_load_dword v0, off, off offset:16 ; 4-byte Folded Reload
	s_waitcnt vmcnt(0)
	v_cmp_ne_u32_e32 vcc, 0, v0
	s_nop 1
	v_cndmask_b32_e32 v0, 11, v0, vcc
	scratch_store_dword off, v0, off offset:16 ; 4-byte Folded Spill
.LBB52_173:
	s_andn2_saveexec_b64 s[0:1], s[0:1]
	s_cbranch_execz .LBB52_175
; %bb.174:
	v_div_scale_f32 v29, s[2:3], v27, v27, 1.0
	v_rcp_f32_e32 v30, v29
	v_div_scale_f32 v31, vcc, 1.0, v27, 1.0
	v_fma_f32 v55, -v29, v30, 1.0
	v_fmac_f32_e32 v30, v55, v30
	v_mul_f32_e32 v55, v31, v30
	v_fma_f32 v56, -v29, v55, v31
	v_fmac_f32_e32 v55, v56, v30
	v_fma_f32 v29, -v29, v55, v31
	scratch_load_dword v31, off, off offset:4 ; 4-byte Folded Reload
	v_div_fmas_f32 v29, v29, v30, v55
	v_div_fixup_f32 v27, v29, v27, 1.0
.LBB52_175:
	s_or_b64 exec, exec, s[0:1]
	v_cmp_ne_u32_e32 vcc, v209, v28
	s_and_saveexec_b64 s[0:1], vcc
	s_xor_b64 s[0:1], exec, s[0:1]
	s_cbranch_execz .LBB52_181
; %bb.176:
	v_cmp_eq_u32_e32 vcc, 10, v209
	s_and_saveexec_b64 s[2:3], vcc
	s_cbranch_execz .LBB52_180
; %bb.177:
	v_cmp_ne_u32_e32 vcc, 10, v28
	s_xor_b64 s[18:19], s[16:17], -1
	s_and_b64 s[20:21], s[18:19], vcc
	s_and_saveexec_b64 s[18:19], s[20:21]
	s_cbranch_execz .LBB52_179
; %bb.178:
	scratch_load_dwordx2 v[56:57], off, off offset:3608 ; 8-byte Folded Reload
	v_ashrrev_i32_e32 v29, 31, v28
	s_waitcnt vmcnt(0)
	v_lshl_add_u64 v[30:31], v[28:29], 2, v[56:57]
	global_load_dword v29, v[30:31], off
	global_load_dword v55, v[56:57], off offset:40
	s_waitcnt vmcnt(1)
	global_store_dword v[56:57], v29, off offset:40
	s_waitcnt vmcnt(1)
	global_store_dword v[30:31], v55, off
	scratch_load_dword v31, off, off offset:4 ; 4-byte Folded Reload
.LBB52_179:
	s_or_b64 exec, exec, s[18:19]
	v_mov_b32_e32 v29, v28
	v_mov_b32_e32 v209, v28
	scratch_store_dword off, v29, off offset:1296 ; 4-byte Folded Spill
.LBB52_180:
	s_or_b64 exec, exec, s[2:3]
.LBB52_181:
	s_andn2_saveexec_b64 s[0:1], s[0:1]
	s_cbranch_execz .LBB52_183
; %bb.182:
	v_mov_b32_e32 v209, 10
	s_waitcnt vmcnt(0)
	ds_write2_b32 v31, v179, v180 offset0:11 offset1:12
	ds_write2_b32 v31, v181, v182 offset0:13 offset1:14
	;; [unrolled: 1-line block ×8, first 2 shown]
.LBB52_183:
	s_or_b64 exec, exec, s[0:1]
	v_cmp_lt_i32_e32 vcc, 10, v209
	s_waitcnt lgkmcnt(0)
	s_barrier
	s_and_saveexec_b64 s[0:1], vcc
	s_cbranch_execz .LBB52_185
; %bb.184:
	scratch_load_dwordx4 v[128:131], off, off offset:2840 ; 16-byte Folded Reload
	scratch_load_dwordx4 v[132:135], off, off offset:2856 ; 16-byte Folded Reload
	;; [unrolled: 1-line block ×8, first 2 shown]
	s_waitcnt vmcnt(8)
	ds_read2_b32 v[0:1], v31 offset0:11 offset1:12
	ds_read2_b32 v[4:5], v31 offset0:13 offset1:14
	;; [unrolled: 1-line block ×4, first 2 shown]
	s_waitcnt vmcnt(5)
	v_mul_f32_e32 v138, v74, v27
	v_mov_b32_e32 v2, v179
	v_mov_b32_e32 v3, v180
	;; [unrolled: 1-line block ×7, first 2 shown]
	s_waitcnt lgkmcnt(3)
	v_pk_fma_f32 v[28:29], v[138:139], v[0:1], v[2:3] op_sel_hi:[0,1,1] neg_lo:[1,0,0] neg_hi:[1,0,0]
	v_mov_b32_e32 v0, v181
	v_mov_b32_e32 v1, v182
	s_waitcnt lgkmcnt(2)
	v_pk_fma_f32 v[30:31], v[138:139], v[4:5], v[0:1] op_sel_hi:[0,1,1] neg_lo:[1,0,0] neg_hi:[1,0,0]
	v_mov_b32_e32 v0, v183
	v_mov_b32_e32 v1, v184
	s_waitcnt lgkmcnt(1)
	v_pk_fma_f32 v[56:57], v[138:139], v[6:7], v[0:1] op_sel_hi:[0,1,1] neg_lo:[1,0,0] neg_hi:[1,0,0]
	v_mov_b32_e32 v0, v185
	v_mov_b32_e32 v1, v186
	s_waitcnt lgkmcnt(0)
	v_pk_fma_f32 v[58:59], v[138:139], v[8:9], v[0:1] op_sel_hi:[0,1,1] neg_lo:[1,0,0] neg_hi:[1,0,0]
	scratch_load_dword v0, off, off offset:4 ; 4-byte Folded Reload
	scratch_load_dword v4, off, off offset:4 ; 4-byte Folded Reload
	;; [unrolled: 1-line block ×4, first 2 shown]
	v_mov_b32_e32 v2, v187
	v_mov_b32_e32 v3, v188
	;; [unrolled: 1-line block ×34, first 2 shown]
	s_waitcnt vmcnt(3)
	ds_read2_b32 v[0:1], v0 offset0:19 offset1:20
	s_waitcnt vmcnt(2)
	ds_read2_b32 v[4:5], v4 offset0:21 offset1:22
	;; [unrolled: 2-line block ×4, first 2 shown]
	s_waitcnt lgkmcnt(3)
	v_pk_fma_f32 v[60:61], v[138:139], v[0:1], v[2:3] op_sel_hi:[0,1,1] neg_lo:[1,0,0] neg_hi:[1,0,0]
	v_mov_b32_e32 v0, v189
	v_mov_b32_e32 v1, v190
	s_waitcnt lgkmcnt(2)
	v_pk_fma_f32 v[62:63], v[138:139], v[4:5], v[0:1] op_sel_hi:[0,1,1] neg_lo:[1,0,0] neg_hi:[1,0,0]
	v_mov_b32_e32 v0, v191
	v_mov_b32_e32 v1, v192
	s_waitcnt lgkmcnt(1)
	v_pk_fma_f32 v[90:91], v[138:139], v[6:7], v[0:1] op_sel_hi:[0,1,1] neg_lo:[1,0,0] neg_hi:[1,0,0]
	v_mov_b32_e32 v0, v193
	v_mov_b32_e32 v1, v194
	s_waitcnt lgkmcnt(0)
	v_pk_fma_f32 v[26:27], v[138:139], v[8:9], v[0:1] op_sel_hi:[0,1,1] neg_lo:[1,0,0] neg_hi:[1,0,0]
	v_mov_b32_e32 v0, v128
	v_mov_b32_e32 v1, v129
	v_mov_b32_e32 v2, v130
	v_mov_b32_e32 v3, v131
	;; [unrolled: 1-line block ×9, first 2 shown]
	scratch_store_dwordx4 off, v[0:3], off offset:1560 ; 16-byte Folded Spill
	s_nop 0
	scratch_store_dwordx4 off, v[4:7], off offset:1576 ; 16-byte Folded Spill
	scratch_store_dwordx4 off, v[8:11], off offset:1592 ; 16-byte Folded Spill
	;; [unrolled: 1-line block ×7, first 2 shown]
	v_mov_b32_e32 v51, v60
	v_mov_b32_e32 v52, v61
	;; [unrolled: 1-line block ×17, first 2 shown]
	scratch_store_dwordx4 off, v[0:3], off offset:1432 ; 16-byte Folded Spill
	s_nop 0
	scratch_store_dwordx4 off, v[4:7], off offset:1448 ; 16-byte Folded Spill
	scratch_store_dwordx4 off, v[8:11], off offset:1464 ; 16-byte Folded Spill
	scratch_store_dwordx4 off, v[12:15], off offset:1480 ; 16-byte Folded Spill
	scratch_store_dwordx4 off, v[16:19], off offset:1496 ; 16-byte Folded Spill
	scratch_store_dwordx4 off, v[20:23], off offset:1512 ; 16-byte Folded Spill
	scratch_store_dwordx4 off, v[24:27], off offset:1528 ; 16-byte Folded Spill
	scratch_store_dwordx4 off, v[28:31], off offset:1544 ; 16-byte Folded Spill
	v_mov_b32_e32 v14, v31
	scratch_store_dwordx4 off, v[0:3], off offset:1304 ; 16-byte Folded Spill
	s_nop 0
	scratch_store_dwordx4 off, v[4:7], off offset:1320 ; 16-byte Folded Spill
	scratch_store_dwordx4 off, v[8:11], off offset:1336 ; 16-byte Folded Spill
	scratch_store_dwordx4 off, v[12:15], off offset:1352 ; 16-byte Folded Spill
	scratch_store_dwordx4 off, v[16:19], off offset:1368 ; 16-byte Folded Spill
	scratch_store_dwordx4 off, v[20:23], off offset:1384 ; 16-byte Folded Spill
	scratch_store_dwordx4 off, v[24:27], off offset:1400 ; 16-byte Folded Spill
	scratch_store_dwordx4 off, v[28:31], off offset:1416 ; 16-byte Folded Spill
	v_mov_b32_e32 v15, v56
	;; [unrolled: 10-line block ×9, first 2 shown]
	v_mov_b32_e32 v23, v90
	v_mov_b32_e32 v43, v28
	;; [unrolled: 1-line block ×5, first 2 shown]
	scratch_store_dwordx4 off, v[0:3], off offset:272 ; 16-byte Folded Spill
	s_nop 0
	scratch_store_dwordx4 off, v[4:7], off offset:288 ; 16-byte Folded Spill
	scratch_store_dwordx4 off, v[8:11], off offset:304 ; 16-byte Folded Spill
	;; [unrolled: 1-line block ×7, first 2 shown]
	s_nop 0
	v_mov_b32_e32 v24, v91
	scratch_store_dwordx4 off, v[0:3], off offset:144 ; 16-byte Folded Spill
	s_nop 0
	scratch_store_dwordx4 off, v[4:7], off offset:160 ; 16-byte Folded Spill
	scratch_store_dwordx4 off, v[8:11], off offset:176 ; 16-byte Folded Spill
	scratch_store_dwordx4 off, v[12:15], off offset:192 ; 16-byte Folded Spill
	scratch_store_dwordx4 off, v[16:19], off offset:208 ; 16-byte Folded Spill
	scratch_store_dwordx4 off, v[20:23], off offset:224 ; 16-byte Folded Spill
	scratch_store_dwordx4 off, v[24:27], off offset:240 ; 16-byte Folded Spill
	scratch_store_dwordx4 off, v[28:31], off offset:256 ; 16-byte Folded Spill
	scratch_store_dwordx2 off, v[26:27], off offset:8 ; 8-byte Folded Spill
	scratch_store_dwordx4 off, v[128:131], off offset:1816 ; 16-byte Folded Spill
	s_nop 0
	scratch_store_dwordx4 off, v[132:135], off offset:1832 ; 16-byte Folded Spill
	scratch_store_dwordx4 off, v[136:139], off offset:1848 ; 16-byte Folded Spill
	;; [unrolled: 1-line block ×8, first 2 shown]
	s_nop 0
	scratch_store_dwordx4 off, v[132:135], off offset:2728 ; 16-byte Folded Spill
	scratch_store_dwordx4 off, v[136:139], off offset:2744 ; 16-byte Folded Spill
	;; [unrolled: 1-line block ×7, first 2 shown]
	v_mov_b32_e32 v182, v31
	v_mov_b32_e32 v104, v31
	scratch_load_dword v31, off, off offset:4 ; 4-byte Folded Reload
	v_mov_b32_e32 v179, v28
	v_mov_b32_e32 v180, v29
	;; [unrolled: 1-line block ×8, first 2 shown]
.LBB52_185:
	s_or_b64 exec, exec, s[0:1]
	s_waitcnt vmcnt(0)
	v_lshl_add_u32 v27, v209, 2, v31
	s_barrier
	ds_write_b32 v27, v77
	s_waitcnt lgkmcnt(0)
	s_barrier
	ds_read_b32 v27, v31 offset:44
	s_cmp_lt_i32 s14, 13
	v_mov_b32_e32 v28, 11
	s_cbranch_scc1 .LBB52_449
; %bb.186:
	scratch_load_dword v28, off, off offset:1300 ; 4-byte Folded Reload
	v_mov_b64_e32 v[158:159], v[46:47]
	v_mov_b32_e32 v166, v54
	s_mov_b32 s0, 12
	v_mov_b64_e32 v[156:157], v[44:45]
	v_mov_b64_e32 v[154:155], v[42:43]
	;; [unrolled: 1-line block ×7, first 2 shown]
	v_mov_b32_e32 v165, v53
	v_mov_b32_e32 v164, v52
	;; [unrolled: 1-line block ×6, first 2 shown]
	s_waitcnt vmcnt(0)
	v_add3_u32 v29, v28, 0, 48
	v_mov_b32_e32 v28, 11
.LBB52_187:                             ; =>This Inner Loop Header: Depth=1
	ds_read_b32 v30, v29
	v_add_u32_e32 v29, 4, v29
	s_waitcnt lgkmcnt(0)
	v_cmp_lt_f32_e64 vcc, |v27|, |v30|
	s_nop 1
	v_cndmask_b32_e32 v27, v27, v30, vcc
	v_mov_b32_e32 v30, s0
	s_add_i32 s0, s0, 1
	v_cndmask_b32_e32 v28, v28, v30, vcc
	s_cmp_lg_u32 s14, s0
	s_cbranch_scc1 .LBB52_187
; %bb.188:
	v_cmp_eq_f32_e32 vcc, 0, v27
	s_and_saveexec_b64 s[0:1], vcc
	s_xor_b64 s[0:1], exec, s[0:1]
	s_cbranch_execz .LBB52_190
.LBB52_189:
	scratch_load_dword v0, off, off offset:16 ; 4-byte Folded Reload
	s_waitcnt vmcnt(0)
	v_cmp_ne_u32_e32 vcc, 0, v0
	s_nop 1
	v_cndmask_b32_e32 v0, 12, v0, vcc
	scratch_store_dword off, v0, off offset:16 ; 4-byte Folded Spill
.LBB52_190:
	s_andn2_saveexec_b64 s[0:1], s[0:1]
	s_cbranch_execz .LBB52_192
; %bb.191:
	v_div_scale_f32 v29, s[2:3], v27, v27, 1.0
	v_rcp_f32_e32 v30, v29
	v_div_scale_f32 v31, vcc, 1.0, v27, 1.0
	v_fma_f32 v55, -v29, v30, 1.0
	v_fmac_f32_e32 v30, v55, v30
	v_mul_f32_e32 v55, v31, v30
	v_fma_f32 v56, -v29, v55, v31
	v_fmac_f32_e32 v55, v56, v30
	v_fma_f32 v29, -v29, v55, v31
	scratch_load_dword v31, off, off offset:4 ; 4-byte Folded Reload
	v_div_fmas_f32 v29, v29, v30, v55
	v_div_fixup_f32 v27, v29, v27, 1.0
.LBB52_192:
	s_or_b64 exec, exec, s[0:1]
	v_cmp_ne_u32_e32 vcc, v209, v28
	s_and_saveexec_b64 s[0:1], vcc
	s_xor_b64 s[0:1], exec, s[0:1]
	s_cbranch_execz .LBB52_198
; %bb.193:
	v_cmp_eq_u32_e32 vcc, 11, v209
	s_and_saveexec_b64 s[2:3], vcc
	s_cbranch_execz .LBB52_197
; %bb.194:
	v_cmp_ne_u32_e32 vcc, 11, v28
	s_xor_b64 s[18:19], s[16:17], -1
	s_and_b64 s[20:21], s[18:19], vcc
	s_and_saveexec_b64 s[18:19], s[20:21]
	s_cbranch_execz .LBB52_196
; %bb.195:
	scratch_load_dwordx2 v[56:57], off, off offset:3608 ; 8-byte Folded Reload
	v_ashrrev_i32_e32 v29, 31, v28
	s_waitcnt vmcnt(0)
	v_lshl_add_u64 v[30:31], v[28:29], 2, v[56:57]
	global_load_dword v29, v[30:31], off
	global_load_dword v55, v[56:57], off offset:44
	s_waitcnt vmcnt(1)
	global_store_dword v[56:57], v29, off offset:44
	s_waitcnt vmcnt(1)
	global_store_dword v[30:31], v55, off
	scratch_load_dword v31, off, off offset:4 ; 4-byte Folded Reload
.LBB52_196:
	s_or_b64 exec, exec, s[18:19]
	v_mov_b32_e32 v29, v28
	v_mov_b32_e32 v209, v28
	scratch_store_dword off, v29, off offset:1296 ; 4-byte Folded Spill
.LBB52_197:
	s_or_b64 exec, exec, s[2:3]
.LBB52_198:
	s_andn2_saveexec_b64 s[0:1], s[0:1]
	s_cbranch_execz .LBB52_200
; %bb.199:
	s_waitcnt vmcnt(0)
	ds_write2_b32 v31, v180, v181 offset0:12 offset1:13
	ds_write2_b32 v31, v182, v183 offset0:14 offset1:15
	;; [unrolled: 1-line block ×7, first 2 shown]
	scratch_load_dwordx2 v[28:29], off, off offset:8 ; 8-byte Folded Reload
	v_mov_b32_e32 v209, 11
	s_waitcnt vmcnt(0)
	ds_write_b32 v31, v29 offset:104
.LBB52_200:
	s_or_b64 exec, exec, s[0:1]
	v_cmp_lt_i32_e32 vcc, 11, v209
	s_waitcnt lgkmcnt(0)
	s_barrier
	s_and_saveexec_b64 s[0:1], vcc
	s_cbranch_execz .LBB52_202
; %bb.201:
	s_waitcnt vmcnt(0)
	ds_read2_b32 v[2:3], v31 offset0:12 offset1:13
	ds_read2_b32 v[4:5], v31 offset0:14 offset1:15
	;; [unrolled: 1-line block ×4, first 2 shown]
	v_mul_f32_e32 v0, v77, v27
	s_waitcnt lgkmcnt(3)
	v_pk_fma_f32 v[178:179], v[0:1], v[2:3], v[180:181] op_sel_hi:[0,1,1] neg_lo:[1,0,0] neg_hi:[1,0,0]
	s_waitcnt lgkmcnt(2)
	v_pk_fma_f32 v[226:227], v[0:1], v[4:5], v[182:183] op_sel_hi:[0,1,1] neg_lo:[1,0,0] neg_hi:[1,0,0]
	;; [unrolled: 2-line block ×3, first 2 shown]
	ds_read2_b32 v[2:3], v31 offset0:20 offset1:21
	ds_read2_b32 v[4:5], v31 offset0:22 offset1:23
	;; [unrolled: 1-line block ×3, first 2 shown]
	s_waitcnt lgkmcnt(3)
	v_pk_fma_f32 v[102:103], v[0:1], v[8:9], v[186:187] op_sel_hi:[0,1,1] neg_lo:[1,0,0] neg_hi:[1,0,0]
	ds_read_b32 v1, v31 offset:104
	scratch_load_dwordx4 v[128:131], off, off offset:2712 ; 16-byte Folded Reload
	scratch_load_dwordx4 v[132:135], off, off offset:2728 ; 16-byte Folded Reload
	;; [unrolled: 1-line block ×8, first 2 shown]
	v_mov_b32_e32 v13, v0
	v_mov_b32_e32 v14, v178
	;; [unrolled: 1-line block ×3, first 2 shown]
	s_waitcnt lgkmcnt(0)
	v_pk_fma_f32 v[204:205], v[0:1], v[2:3], v[188:189] op_sel_hi:[0,1,1] neg_lo:[1,0,0] neg_hi:[1,0,0]
	v_pk_fma_f32 v[54:55], v[0:1], v[4:5], v[190:191] op_sel_hi:[0,1,1] neg_lo:[1,0,0] neg_hi:[1,0,0]
	;; [unrolled: 1-line block ×3, first 2 shown]
	v_mov_b32_e32 v115, v0
	v_mov_b32_e32 v116, v178
	;; [unrolled: 1-line block ×13, first 2 shown]
	s_waitcnt vmcnt(5)
	v_mov_b32_e32 v139, v0
	v_mov_b32_e32 v177, v0
	;; [unrolled: 1-line block ×8, first 2 shown]
	s_waitcnt vmcnt(2)
	v_mov_b32_e32 v151, v0
	s_waitcnt vmcnt(1)
	v_mov_b32_e32 v152, v178
	v_mov_b32_e32 v153, v179
	v_mov_b32_e32 v154, v226
	v_mov_b32_e32 v155, v227
	s_waitcnt vmcnt(0)
	v_mov_b32_e32 v156, v72
	v_mov_b32_e32 v157, v73
	v_mov_b32_e32 v158, v102
	v_mov_b32_e32 v159, v103
	v_mov_b32_e32 v67, v0
	v_mov_b32_e32 v68, v178
	v_mov_b32_e32 v69, v179
	v_mov_b32_e32 v70, v226
	v_mov_b32_e32 v71, v227
	v_mov_b32_e32 v95, v0
	v_mov_b32_e32 v96, v178
	v_mov_b32_e32 v97, v179
	v_mov_b32_e32 v98, v226
	v_mov_b32_e32 v99, v227
	v_mov_b32_e32 v198, v226
	v_mov_b32_e32 v199, v227
	v_mov_b32_e32 v43, v0
	v_mov_b32_e32 v44, v178
	v_mov_b32_e32 v45, v179
	v_mov_b32_e32 v46, v226
	v_mov_b32_e32 v47, v227
	v_mov_b32_e32 v78, v178
	v_mov_b32_e32 v100, v72
	v_mov_b32_e32 v101, v73
	v_mov_b32_e32 v200, v72
	v_mov_b32_e32 v201, v73
	v_mov_b32_e32 v48, v72
	v_mov_b32_e32 v49, v73
	v_mov_b32_e32 v202, v102
	v_mov_b32_e32 v203, v103
	v_mov_b32_e32 v50, v102
	v_mov_b32_e32 v51, v103
	v_mov_b32_e32 v52, v204
	v_mov_b32_e32 v53, v205
	v_mov_b32_e32 v160, v204
	v_mov_b32_e32 v161, v205
	v_mov_b32_e32 v162, v54
	v_mov_b32_e32 v163, v55
	v_mov_b32_e32 v2, v128
	v_mov_b32_e32 v3, v129
	v_mov_b32_e32 v4, v130
	v_mov_b32_e32 v5, v131
	v_mov_b32_e32 v6, v132
	v_mov_b32_e32 v7, v133
	v_mov_b32_e32 v8, v134
	v_mov_b32_e32 v9, v135
	v_mov_b32_e32 v10, v136
	v_mov_b32_e32 v11, v137
	v_mov_b32_e32 v12, v138
	scratch_store_dwordx4 off, v[2:5], off offset:1432 ; 16-byte Folded Spill
	s_nop 0
	scratch_store_dwordx4 off, v[6:9], off offset:1448 ; 16-byte Folded Spill
	scratch_store_dwordx4 off, v[10:13], off offset:1464 ; 16-byte Folded Spill
	;; [unrolled: 1-line block ×7, first 2 shown]
	v_mov_b32_e32 v16, v226
	v_mov_b32_e32 v17, v227
	;; [unrolled: 1-line block ×60, first 2 shown]
	scratch_store_dwordx4 off, v[2:5], off offset:1168 ; 16-byte Folded Spill
	s_nop 0
	scratch_store_dwordx4 off, v[6:9], off offset:1184 ; 16-byte Folded Spill
	scratch_store_dwordx4 off, v[10:13], off offset:1200 ; 16-byte Folded Spill
	;; [unrolled: 1-line block ×7, first 2 shown]
	v_mov_b32_e32 v18, v72
	v_mov_b32_e32 v19, v73
	;; [unrolled: 1-line block ×22, first 2 shown]
	scratch_store_dwordx4 off, v[2:5], off offset:1040 ; 16-byte Folded Spill
	s_nop 0
	scratch_store_dwordx4 off, v[6:9], off offset:1056 ; 16-byte Folded Spill
	scratch_store_dwordx4 off, v[10:13], off offset:1072 ; 16-byte Folded Spill
	;; [unrolled: 1-line block ×7, first 2 shown]
	v_mov_b32_e32 v20, v102
	v_mov_b32_e32 v21, v103
	scratch_store_dwordx4 off, v[2:5], off offset:656 ; 16-byte Folded Spill
	s_nop 0
	scratch_store_dwordx4 off, v[6:9], off offset:672 ; 16-byte Folded Spill
	scratch_store_dwordx4 off, v[10:13], off offset:688 ; 16-byte Folded Spill
	;; [unrolled: 1-line block ×7, first 2 shown]
	v_mov_b32_e32 v22, v204
	v_mov_b32_e32 v23, v205
	scratch_store_dwordx4 off, v[2:5], off offset:400 ; 16-byte Folded Spill
	s_nop 0
	scratch_store_dwordx4 off, v[6:9], off offset:416 ; 16-byte Folded Spill
	scratch_store_dwordx4 off, v[10:13], off offset:432 ; 16-byte Folded Spill
	;; [unrolled: 1-line block ×7, first 2 shown]
	scratch_load_dwordx2 v[2:3], off, off offset:8 ; 8-byte Folded Reload
	s_nop 0
	v_mov_b32_e32 v32, v128
	v_mov_b32_e32 v33, v129
	scratch_store_dwordx4 off, v[104:107], off offset:272 ; 16-byte Folded Spill
	s_nop 0
	scratch_store_dwordx4 off, v[108:111], off offset:288 ; 16-byte Folded Spill
	scratch_store_dwordx4 off, v[112:115], off offset:304 ; 16-byte Folded Spill
	;; [unrolled: 1-line block ×7, first 2 shown]
	v_mov_b32_e32 v28, v165
	v_mov_b32_e32 v11, v0
	;; [unrolled: 1-line block ×26, first 2 shown]
	s_waitcnt vmcnt(8)
	v_fma_f32 v26, -v0, v1, v3
	v_mov_b32_e32 v144, v132
	v_mov_b32_e32 v145, v133
	;; [unrolled: 1-line block ×13, first 2 shown]
	scratch_store_dwordx4 off, v[128:131], off offset:1816 ; 16-byte Folded Spill
	s_nop 0
	scratch_store_dwordx4 off, v[132:135], off offset:1832 ; 16-byte Folded Spill
	scratch_store_dwordx4 off, v[136:139], off offset:1848 ; 16-byte Folded Spill
	;; [unrolled: 1-line block ×7, first 2 shown]
	scratch_store_dwordx2 off, v[28:29], off offset:8 ; 8-byte Folded Spill
	scratch_store_dwordx4 off, v[166:169], off offset:1560 ; 16-byte Folded Spill
	s_nop 0
	scratch_store_dwordx4 off, v[170:173], off offset:1576 ; 16-byte Folded Spill
	scratch_store_dwordx4 off, v[174:177], off offset:1592 ; 16-byte Folded Spill
	;; [unrolled: 1-line block ×8, first 2 shown]
	s_nop 0
	scratch_store_dwordx4 off, v[216:219], off offset:1320 ; 16-byte Folded Spill
	scratch_store_dwordx4 off, v[220:223], off offset:1336 ; 16-byte Folded Spill
	;; [unrolled: 1-line block ×7, first 2 shown]
	v_mov_b32_e32 v214, v204
	v_mov_b32_e32 v79, v179
	;; [unrolled: 1-line block ×3, first 2 shown]
	scratch_store_dwordx4 off, v[56:59], off offset:912 ; 16-byte Folded Spill
	s_nop 0
	scratch_store_dwordx4 off, v[60:63], off offset:928 ; 16-byte Folded Spill
	scratch_store_dwordx4 off, v[64:67], off offset:944 ; 16-byte Folded Spill
	;; [unrolled: 1-line block ×7, first 2 shown]
	v_mov_b64_e32 v[230:231], v[154:155]
	v_mov_b32_e32 v240, v164
	v_mov_b64_e32 v[216:217], v[140:141]
	v_mov_b32_e32 v232, v156
	v_mov_b64_e32 v[182:183], v[14:15]
	v_mov_b64_e32 v[228:229], v[152:153]
	;; [unrolled: 1-line block ×7, first 2 shown]
	v_mov_b32_e32 v239, v163
	v_mov_b32_e32 v238, v162
	;; [unrolled: 1-line block ×7, first 2 shown]
	v_mov_b64_e32 v[158:159], v[46:47]
	v_mov_b64_e32 v[166:167], v[54:55]
	;; [unrolled: 1-line block ×27, first 2 shown]
	scratch_store_dwordx4 off, v[84:87], off offset:784 ; 16-byte Folded Spill
	s_nop 0
	scratch_store_dwordx4 off, v[88:91], off offset:800 ; 16-byte Folded Spill
	scratch_store_dwordx4 off, v[92:95], off offset:816 ; 16-byte Folded Spill
	;; [unrolled: 1-line block ×8, first 2 shown]
	s_nop 0
	scratch_store_dwordx4 off, v[188:191], off offset:544 ; 16-byte Folded Spill
	scratch_store_dwordx4 off, v[192:195], off offset:560 ; 16-byte Folded Spill
	;; [unrolled: 1-line block ×7, first 2 shown]
	v_mov_b32_e32 v194, v26
	v_mov_b32_e32 v193, v25
	;; [unrolled: 1-line block ×23, first 2 shown]
	scratch_store_dwordx4 off, v[0:3], off offset:144 ; 16-byte Folded Spill
	s_nop 0
	scratch_store_dwordx4 off, v[4:7], off offset:160 ; 16-byte Folded Spill
	scratch_store_dwordx4 off, v[8:11], off offset:176 ; 16-byte Folded Spill
	scratch_store_dwordx4 off, v[12:15], off offset:192 ; 16-byte Folded Spill
	scratch_store_dwordx4 off, v[16:19], off offset:208 ; 16-byte Folded Spill
	scratch_store_dwordx4 off, v[20:23], off offset:224 ; 16-byte Folded Spill
	scratch_store_dwordx4 off, v[24:27], off offset:240 ; 16-byte Folded Spill
	scratch_store_dwordx4 off, v[28:31], off offset:256 ; 16-byte Folded Spill
	v_mov_b32_e32 v215, v205
.LBB52_202:
	s_or_b64 exec, exec, s[0:1]
	s_waitcnt vmcnt(0)
	v_lshl_add_u32 v27, v209, 2, v31
	s_barrier
	ds_write_b32 v27, v78
	s_waitcnt lgkmcnt(0)
	s_barrier
	ds_read_b32 v27, v31 offset:48
	s_cmp_lt_i32 s14, 14
	v_mov_b32_e32 v28, 12
	s_cbranch_scc1 .LBB52_205
; %bb.203:
	scratch_load_dword v28, off, off offset:1300 ; 4-byte Folded Reload
	s_mov_b32 s0, 13
	s_waitcnt vmcnt(0)
	v_add3_u32 v29, v28, 0, 52
	v_mov_b32_e32 v28, 12
.LBB52_204:                             ; =>This Inner Loop Header: Depth=1
	ds_read_b32 v30, v29
	v_add_u32_e32 v29, 4, v29
	s_waitcnt lgkmcnt(0)
	v_cmp_lt_f32_e64 vcc, |v27|, |v30|
	s_nop 1
	v_cndmask_b32_e32 v27, v27, v30, vcc
	v_mov_b32_e32 v30, s0
	s_add_i32 s0, s0, 1
	v_cndmask_b32_e32 v28, v28, v30, vcc
	s_cmp_lg_u32 s14, s0
	s_cbranch_scc1 .LBB52_204
.LBB52_205:
	s_waitcnt lgkmcnt(0)
	v_cmp_eq_f32_e32 vcc, 0, v27
	s_and_saveexec_b64 s[0:1], vcc
	s_xor_b64 s[0:1], exec, s[0:1]
	s_cbranch_execz .LBB52_207
; %bb.206:
	scratch_load_dword v0, off, off offset:16 ; 4-byte Folded Reload
	s_waitcnt vmcnt(0)
	v_cmp_ne_u32_e32 vcc, 0, v0
	s_nop 1
	v_cndmask_b32_e32 v0, 13, v0, vcc
	scratch_store_dword off, v0, off offset:16 ; 4-byte Folded Spill
.LBB52_207:
	s_andn2_saveexec_b64 s[0:1], s[0:1]
	s_cbranch_execz .LBB52_209
; %bb.208:
	v_div_scale_f32 v29, s[2:3], v27, v27, 1.0
	v_rcp_f32_e32 v30, v29
	v_div_scale_f32 v31, vcc, 1.0, v27, 1.0
	v_fma_f32 v55, -v29, v30, 1.0
	v_fmac_f32_e32 v30, v55, v30
	v_mul_f32_e32 v55, v31, v30
	v_fma_f32 v56, -v29, v55, v31
	v_fmac_f32_e32 v55, v56, v30
	v_fma_f32 v29, -v29, v55, v31
	scratch_load_dword v31, off, off offset:4 ; 4-byte Folded Reload
	v_div_fmas_f32 v29, v29, v30, v55
	v_div_fixup_f32 v27, v29, v27, 1.0
.LBB52_209:
	s_or_b64 exec, exec, s[0:1]
	v_cmp_ne_u32_e32 vcc, v209, v28
	s_and_saveexec_b64 s[0:1], vcc
	s_xor_b64 s[0:1], exec, s[0:1]
	s_cbranch_execz .LBB52_215
; %bb.210:
	v_cmp_eq_u32_e32 vcc, 12, v209
	s_and_saveexec_b64 s[2:3], vcc
	s_cbranch_execz .LBB52_214
; %bb.211:
	v_cmp_ne_u32_e32 vcc, 12, v28
	s_xor_b64 s[18:19], s[16:17], -1
	s_and_b64 s[20:21], s[18:19], vcc
	s_and_saveexec_b64 s[18:19], s[20:21]
	s_cbranch_execz .LBB52_213
; %bb.212:
	scratch_load_dwordx2 v[56:57], off, off offset:3608 ; 8-byte Folded Reload
	v_ashrrev_i32_e32 v29, 31, v28
	s_waitcnt vmcnt(0)
	v_lshl_add_u64 v[30:31], v[28:29], 2, v[56:57]
	global_load_dword v29, v[30:31], off
	global_load_dword v55, v[56:57], off offset:48
	s_waitcnt vmcnt(1)
	global_store_dword v[56:57], v29, off offset:48
	s_waitcnt vmcnt(1)
	global_store_dword v[30:31], v55, off
	scratch_load_dword v31, off, off offset:4 ; 4-byte Folded Reload
.LBB52_213:
	s_or_b64 exec, exec, s[18:19]
	v_mov_b32_e32 v29, v28
	v_mov_b32_e32 v209, v28
	scratch_store_dword off, v29, off offset:1296 ; 4-byte Folded Spill
.LBB52_214:
	s_or_b64 exec, exec, s[2:3]
.LBB52_215:
	s_andn2_saveexec_b64 s[0:1], s[0:1]
	s_cbranch_execz .LBB52_217
; %bb.216:
	v_mov_b32_e32 v209, 12
	s_waitcnt vmcnt(0)
	ds_write2_b32 v31, v181, v182 offset0:13 offset1:14
	ds_write2_b32 v31, v183, v184 offset0:15 offset1:16
	;; [unrolled: 1-line block ×7, first 2 shown]
.LBB52_217:
	s_or_b64 exec, exec, s[0:1]
	v_cmp_lt_i32_e32 vcc, 12, v209
	s_waitcnt lgkmcnt(0)
	s_barrier
	s_and_saveexec_b64 s[0:1], vcc
	s_cbranch_execz .LBB52_219
; %bb.218:
	scratch_load_dwordx4 v[32:35], off, off offset:1816 ; 16-byte Folded Reload
	scratch_load_dwordx4 v[36:39], off, off offset:1832 ; 16-byte Folded Reload
	;; [unrolled: 1-line block ×8, first 2 shown]
	s_waitcnt vmcnt(8)
	ds_read2_b32 v[0:1], v31 offset0:13 offset1:14
	ds_read2_b32 v[4:5], v31 offset0:15 offset1:16
	;; [unrolled: 1-line block ×4, first 2 shown]
	s_waitcnt vmcnt(4)
	v_mul_f32_e32 v44, v78, v27
	v_mov_b32_e32 v2, v181
	v_mov_b32_e32 v3, v182
	;; [unrolled: 1-line block ×8, first 2 shown]
	s_waitcnt lgkmcnt(3)
	v_pk_fma_f32 v[28:29], v[44:45], v[0:1], v[2:3] op_sel_hi:[0,1,1] neg_lo:[1,0,0] neg_hi:[1,0,0]
	v_mov_b32_e32 v0, v183
	v_mov_b32_e32 v1, v184
	s_waitcnt lgkmcnt(2)
	v_pk_fma_f32 v[30:31], v[44:45], v[4:5], v[0:1] op_sel_hi:[0,1,1] neg_lo:[1,0,0] neg_hi:[1,0,0]
	v_mov_b32_e32 v0, v185
	v_mov_b32_e32 v1, v186
	s_waitcnt vmcnt(1) lgkmcnt(1)
	v_pk_fma_f32 v[56:57], v[44:45], v[6:7], v[0:1] op_sel_hi:[0,1,1] neg_lo:[1,0,0] neg_hi:[1,0,0]
	v_mov_b32_e32 v0, v187
	v_mov_b32_e32 v1, v188
	s_waitcnt lgkmcnt(0)
	v_pk_fma_f32 v[58:59], v[44:45], v[8:9], v[0:1] op_sel_hi:[0,1,1] neg_lo:[1,0,0] neg_hi:[1,0,0]
	scratch_load_dword v0, off, off offset:4 ; 4-byte Folded Reload
	scratch_load_dword v4, off, off offset:4 ; 4-byte Folded Reload
	scratch_load_dword v6, off, off offset:4 ; 4-byte Folded Reload
	v_mov_b32_e32 v2, v189
	v_mov_b32_e32 v3, v190
	;; [unrolled: 1-line block ×37, first 2 shown]
	s_waitcnt vmcnt(2)
	ds_read2_b32 v[0:1], v0 offset0:21 offset1:22
	s_waitcnt vmcnt(1)
	ds_read2_b32 v[4:5], v4 offset0:23 offset1:24
	s_waitcnt vmcnt(0)
	ds_read2_b32 v[6:7], v6 offset0:25 offset1:26
	s_waitcnt lgkmcnt(2)
	v_pk_fma_f32 v[60:61], v[44:45], v[0:1], v[2:3] op_sel_hi:[0,1,1] neg_lo:[1,0,0] neg_hi:[1,0,0]
	v_mov_b32_e32 v0, v191
	v_mov_b32_e32 v1, v192
	s_waitcnt lgkmcnt(1)
	v_pk_fma_f32 v[62:63], v[44:45], v[4:5], v[0:1] op_sel_hi:[0,1,1] neg_lo:[1,0,0] neg_hi:[1,0,0]
	v_mov_b32_e32 v0, v193
	v_mov_b32_e32 v1, v194
	;; [unrolled: 4-line block ×3, first 2 shown]
	v_mov_b32_e32 v2, v34
	v_mov_b32_e32 v3, v35
	v_mov_b32_e32 v4, v36
	v_mov_b32_e32 v5, v37
	v_mov_b32_e32 v6, v38
	v_mov_b32_e32 v7, v39
	v_mov_b32_e32 v45, v28
	scratch_store_dwordx4 off, v[0:3], off offset:1304 ; 16-byte Folded Spill
	s_nop 0
	scratch_store_dwordx4 off, v[4:7], off offset:1320 ; 16-byte Folded Spill
	scratch_store_dwordx4 off, v[8:11], off offset:1336 ; 16-byte Folded Spill
	;; [unrolled: 1-line block ×7, first 2 shown]
	v_mov_b32_e32 v165, v60
	v_mov_b32_e32 v166, v61
	;; [unrolled: 1-line block ×7, first 2 shown]
	scratch_store_dwordx4 off, v[0:3], off offset:1168 ; 16-byte Folded Spill
	s_nop 0
	scratch_store_dwordx4 off, v[4:7], off offset:1184 ; 16-byte Folded Spill
	scratch_store_dwordx4 off, v[8:11], off offset:1200 ; 16-byte Folded Spill
	scratch_store_dwordx4 off, v[12:15], off offset:1216 ; 16-byte Folded Spill
	scratch_store_dwordx4 off, v[16:19], off offset:1232 ; 16-byte Folded Spill
	scratch_store_dwordx4 off, v[20:23], off offset:1248 ; 16-byte Folded Spill
	scratch_store_dwordx4 off, v[24:27], off offset:1264 ; 16-byte Folded Spill
	scratch_store_dwordx4 off, v[28:31], off offset:1280 ; 16-byte Folded Spill
	v_mov_b32_e32 v16, v31
	scratch_store_dwordx4 off, v[0:3], off offset:912 ; 16-byte Folded Spill
	s_nop 0
	scratch_store_dwordx4 off, v[4:7], off offset:928 ; 16-byte Folded Spill
	scratch_store_dwordx4 off, v[8:11], off offset:944 ; 16-byte Folded Spill
	scratch_store_dwordx4 off, v[12:15], off offset:960 ; 16-byte Folded Spill
	scratch_store_dwordx4 off, v[16:19], off offset:976 ; 16-byte Folded Spill
	scratch_store_dwordx4 off, v[20:23], off offset:992 ; 16-byte Folded Spill
	scratch_store_dwordx4 off, v[24:27], off offset:1008 ; 16-byte Folded Spill
	scratch_store_dwordx4 off, v[28:31], off offset:1024 ; 16-byte Folded Spill
	v_mov_b32_e32 v17, v56
	scratch_store_dwordx4 off, v[0:3], off offset:1040 ; 16-byte Folded Spill
	s_nop 0
	scratch_store_dwordx4 off, v[4:7], off offset:1056 ; 16-byte Folded Spill
	scratch_store_dwordx4 off, v[8:11], off offset:1072 ; 16-byte Folded Spill
	scratch_store_dwordx4 off, v[12:15], off offset:1088 ; 16-byte Folded Spill
	scratch_store_dwordx4 off, v[16:19], off offset:1104 ; 16-byte Folded Spill
	scratch_store_dwordx4 off, v[20:23], off offset:1120 ; 16-byte Folded Spill
	scratch_store_dwordx4 off, v[24:27], off offset:1136 ; 16-byte Folded Spill
	scratch_store_dwordx4 off, v[28:31], off offset:1152 ; 16-byte Folded Spill
	v_mov_b32_e32 v18, v57
	scratch_store_dwordx4 off, v[0:3], off offset:784 ; 16-byte Folded Spill
	s_nop 0
	scratch_store_dwordx4 off, v[4:7], off offset:800 ; 16-byte Folded Spill
	scratch_store_dwordx4 off, v[8:11], off offset:816 ; 16-byte Folded Spill
	scratch_store_dwordx4 off, v[12:15], off offset:832 ; 16-byte Folded Spill
	scratch_store_dwordx4 off, v[16:19], off offset:848 ; 16-byte Folded Spill
	scratch_store_dwordx4 off, v[20:23], off offset:864 ; 16-byte Folded Spill
	scratch_store_dwordx4 off, v[24:27], off offset:880 ; 16-byte Folded Spill
	scratch_store_dwordx4 off, v[28:31], off offset:896 ; 16-byte Folded Spill
	v_mov_b32_e32 v19, v58
	scratch_store_dwordx4 off, v[0:3], off offset:656 ; 16-byte Folded Spill
	s_nop 0
	scratch_store_dwordx4 off, v[4:7], off offset:672 ; 16-byte Folded Spill
	scratch_store_dwordx4 off, v[8:11], off offset:688 ; 16-byte Folded Spill
	scratch_store_dwordx4 off, v[12:15], off offset:704 ; 16-byte Folded Spill
	scratch_store_dwordx4 off, v[16:19], off offset:720 ; 16-byte Folded Spill
	scratch_store_dwordx4 off, v[20:23], off offset:736 ; 16-byte Folded Spill
	scratch_store_dwordx4 off, v[24:27], off offset:752 ; 16-byte Folded Spill
	scratch_store_dwordx4 off, v[28:31], off offset:768 ; 16-byte Folded Spill
	v_mov_b32_e32 v20, v59
	scratch_store_dwordx4 off, v[0:3], off offset:528 ; 16-byte Folded Spill
	s_nop 0
	scratch_store_dwordx4 off, v[4:7], off offset:544 ; 16-byte Folded Spill
	scratch_store_dwordx4 off, v[8:11], off offset:560 ; 16-byte Folded Spill
	scratch_store_dwordx4 off, v[12:15], off offset:576 ; 16-byte Folded Spill
	scratch_store_dwordx4 off, v[16:19], off offset:592 ; 16-byte Folded Spill
	scratch_store_dwordx4 off, v[20:23], off offset:608 ; 16-byte Folded Spill
	scratch_store_dwordx4 off, v[24:27], off offset:624 ; 16-byte Folded Spill
	scratch_store_dwordx4 off, v[28:31], off offset:640 ; 16-byte Folded Spill
	v_mov_b32_e32 v21, v60
	scratch_store_dwordx4 off, v[0:3], off offset:400 ; 16-byte Folded Spill
	s_nop 0
	scratch_store_dwordx4 off, v[4:7], off offset:416 ; 16-byte Folded Spill
	scratch_store_dwordx4 off, v[8:11], off offset:432 ; 16-byte Folded Spill
	scratch_store_dwordx4 off, v[12:15], off offset:448 ; 16-byte Folded Spill
	scratch_store_dwordx4 off, v[16:19], off offset:464 ; 16-byte Folded Spill
	scratch_store_dwordx4 off, v[20:23], off offset:480 ; 16-byte Folded Spill
	scratch_store_dwordx4 off, v[24:27], off offset:496 ; 16-byte Folded Spill
	scratch_store_dwordx4 off, v[28:31], off offset:512 ; 16-byte Folded Spill
	v_mov_b32_e32 v22, v61
	v_mov_b32_e32 v23, v62
	v_mov_b32_e32 v157, v28
	;; [unrolled: 1-line block ×5, first 2 shown]
	scratch_store_dwordx4 off, v[0:3], off offset:272 ; 16-byte Folded Spill
	s_nop 0
	scratch_store_dwordx4 off, v[4:7], off offset:288 ; 16-byte Folded Spill
	scratch_store_dwordx4 off, v[8:11], off offset:304 ; 16-byte Folded Spill
	;; [unrolled: 1-line block ×7, first 2 shown]
	s_nop 0
	v_mov_b32_e32 v24, v63
	scratch_store_dwordx4 off, v[0:3], off offset:144 ; 16-byte Folded Spill
	s_nop 0
	scratch_store_dwordx4 off, v[4:7], off offset:160 ; 16-byte Folded Spill
	scratch_store_dwordx4 off, v[8:11], off offset:176 ; 16-byte Folded Spill
	;; [unrolled: 1-line block ×7, first 2 shown]
	scratch_store_dwordx2 off, v[26:27], off offset:8 ; 8-byte Folded Spill
	scratch_store_dwordx4 off, v[32:35], off offset:1432 ; 16-byte Folded Spill
	s_nop 0
	scratch_store_dwordx4 off, v[36:39], off offset:1448 ; 16-byte Folded Spill
	scratch_store_dwordx4 off, v[40:43], off offset:1464 ; 16-byte Folded Spill
	;; [unrolled: 1-line block ×8, first 2 shown]
	s_nop 0
	scratch_store_dwordx4 off, v[36:39], off offset:1576 ; 16-byte Folded Spill
	scratch_store_dwordx4 off, v[40:43], off offset:1592 ; 16-byte Folded Spill
	scratch_store_dwordx4 off, v[44:47], off offset:1608 ; 16-byte Folded Spill
	scratch_store_dwordx4 off, v[48:51], off offset:1624 ; 16-byte Folded Spill
	scratch_store_dwordx4 off, v[52:55], off offset:1640 ; 16-byte Folded Spill
	scratch_store_dwordx4 off, v[56:59], off offset:1656 ; 16-byte Folded Spill
	scratch_store_dwordx4 off, v[60:63], off offset:1672 ; 16-byte Folded Spill
	v_mov_b32_e32 v184, v31
	v_mov_b32_e32 v116, v31
	scratch_load_dword v31, off, off offset:4 ; 4-byte Folded Reload
	v_mov_b32_e32 v181, v28
	v_mov_b32_e32 v182, v29
	;; [unrolled: 1-line block ×16, first 2 shown]
.LBB52_219:
	s_or_b64 exec, exec, s[0:1]
	s_waitcnt vmcnt(0)
	v_lshl_add_u32 v27, v209, 2, v31
	s_barrier
	ds_write_b32 v27, v79
	s_waitcnt lgkmcnt(0)
	s_barrier
	ds_read_b32 v27, v31 offset:52
	s_cmp_lt_i32 s14, 15
	v_mov_b32_e32 v28, 13
	s_cbranch_scc1 .LBB52_222
; %bb.220:
	scratch_load_dword v28, off, off offset:1300 ; 4-byte Folded Reload
	s_mov_b32 s0, 14
	s_waitcnt vmcnt(0)
	v_add3_u32 v29, v28, 0, 56
	v_mov_b32_e32 v28, 13
.LBB52_221:                             ; =>This Inner Loop Header: Depth=1
	ds_read_b32 v30, v29
	v_add_u32_e32 v29, 4, v29
	s_waitcnt lgkmcnt(0)
	v_cmp_lt_f32_e64 vcc, |v27|, |v30|
	s_nop 1
	v_cndmask_b32_e32 v27, v27, v30, vcc
	v_mov_b32_e32 v30, s0
	s_add_i32 s0, s0, 1
	v_cndmask_b32_e32 v28, v28, v30, vcc
	s_cmp_lg_u32 s14, s0
	s_cbranch_scc1 .LBB52_221
.LBB52_222:
	s_waitcnt lgkmcnt(0)
	v_cmp_eq_f32_e32 vcc, 0, v27
	s_and_saveexec_b64 s[0:1], vcc
	s_xor_b64 s[0:1], exec, s[0:1]
	s_cbranch_execz .LBB52_224
; %bb.223:
	scratch_load_dword v0, off, off offset:16 ; 4-byte Folded Reload
	s_waitcnt vmcnt(0)
	v_cmp_ne_u32_e32 vcc, 0, v0
	s_nop 1
	v_cndmask_b32_e32 v0, 14, v0, vcc
	scratch_store_dword off, v0, off offset:16 ; 4-byte Folded Spill
.LBB52_224:
	s_andn2_saveexec_b64 s[0:1], s[0:1]
	s_cbranch_execz .LBB52_226
; %bb.225:
	v_div_scale_f32 v29, s[2:3], v27, v27, 1.0
	v_rcp_f32_e32 v30, v29
	v_div_scale_f32 v31, vcc, 1.0, v27, 1.0
	v_fma_f32 v55, -v29, v30, 1.0
	v_fmac_f32_e32 v30, v55, v30
	v_mul_f32_e32 v55, v31, v30
	v_fma_f32 v56, -v29, v55, v31
	v_fmac_f32_e32 v55, v56, v30
	v_fma_f32 v29, -v29, v55, v31
	scratch_load_dword v31, off, off offset:4 ; 4-byte Folded Reload
	v_div_fmas_f32 v29, v29, v30, v55
	v_div_fixup_f32 v27, v29, v27, 1.0
.LBB52_226:
	s_or_b64 exec, exec, s[0:1]
	v_cmp_ne_u32_e32 vcc, v209, v28
	s_and_saveexec_b64 s[0:1], vcc
	s_xor_b64 s[0:1], exec, s[0:1]
	s_cbranch_execz .LBB52_232
; %bb.227:
	v_cmp_eq_u32_e32 vcc, 13, v209
	s_and_saveexec_b64 s[2:3], vcc
	s_cbranch_execz .LBB52_231
; %bb.228:
	v_cmp_ne_u32_e32 vcc, 13, v28
	s_xor_b64 s[18:19], s[16:17], -1
	s_and_b64 s[20:21], s[18:19], vcc
	s_and_saveexec_b64 s[18:19], s[20:21]
	s_cbranch_execz .LBB52_230
; %bb.229:
	scratch_load_dwordx2 v[56:57], off, off offset:3608 ; 8-byte Folded Reload
	v_ashrrev_i32_e32 v29, 31, v28
	s_waitcnt vmcnt(0)
	v_lshl_add_u64 v[30:31], v[28:29], 2, v[56:57]
	global_load_dword v29, v[30:31], off
	global_load_dword v55, v[56:57], off offset:52
	s_waitcnt vmcnt(1)
	global_store_dword v[56:57], v29, off offset:52
	s_waitcnt vmcnt(1)
	global_store_dword v[30:31], v55, off
	scratch_load_dword v31, off, off offset:4 ; 4-byte Folded Reload
.LBB52_230:
	s_or_b64 exec, exec, s[18:19]
	v_mov_b32_e32 v29, v28
	v_mov_b32_e32 v209, v28
	scratch_store_dword off, v29, off offset:1296 ; 4-byte Folded Spill
.LBB52_231:
	s_or_b64 exec, exec, s[2:3]
.LBB52_232:
	s_andn2_saveexec_b64 s[0:1], s[0:1]
	s_cbranch_execz .LBB52_234
; %bb.233:
	s_waitcnt vmcnt(0)
	ds_write2_b32 v31, v182, v183 offset0:14 offset1:15
	ds_write2_b32 v31, v184, v185 offset0:16 offset1:17
	;; [unrolled: 1-line block ×6, first 2 shown]
	scratch_load_dwordx2 v[28:29], off, off offset:8 ; 8-byte Folded Reload
	v_mov_b32_e32 v209, 13
	s_waitcnt vmcnt(0)
	ds_write_b32 v31, v29 offset:104
.LBB52_234:
	s_or_b64 exec, exec, s[0:1]
	v_cmp_lt_i32_e32 vcc, 13, v209
	s_waitcnt lgkmcnt(0)
	s_barrier
	s_and_saveexec_b64 s[0:1], vcc
	s_cbranch_execz .LBB52_236
; %bb.235:
	s_waitcnt vmcnt(0)
	ds_read2_b32 v[2:3], v31 offset0:14 offset1:15
	ds_read2_b32 v[4:5], v31 offset0:16 offset1:17
	;; [unrolled: 1-line block ×4, first 2 shown]
	v_mul_f32_e32 v0, v79, v27
	v_mov_b32_e32 v15, v0
	s_waitcnt lgkmcnt(3)
	v_pk_fma_f32 v[226:227], v[0:1], v[2:3], v[182:183] op_sel_hi:[0,1,1] neg_lo:[1,0,0] neg_hi:[1,0,0]
	s_waitcnt lgkmcnt(2)
	v_pk_fma_f32 v[72:73], v[0:1], v[4:5], v[184:185] op_sel_hi:[0,1,1] neg_lo:[1,0,0] neg_hi:[1,0,0]
	ds_read2_b32 v[2:3], v31 offset0:22 offset1:23
	ds_read2_b32 v[4:5], v31 offset0:24 offset1:25
	s_waitcnt lgkmcnt(3)
	v_pk_fma_f32 v[102:103], v[0:1], v[6:7], v[186:187] op_sel_hi:[0,1,1] neg_lo:[1,0,0] neg_hi:[1,0,0]
	s_waitcnt lgkmcnt(2)
	v_pk_fma_f32 v[204:205], v[0:1], v[8:9], v[188:189] op_sel_hi:[0,1,1] neg_lo:[1,0,0] neg_hi:[1,0,0]
	ds_read_b32 v1, v31 offset:104
	scratch_load_dwordx4 v[128:131], off, off offset:1560 ; 16-byte Folded Reload
	scratch_load_dwordx4 v[132:135], off, off offset:1576 ; 16-byte Folded Reload
	;; [unrolled: 1-line block ×8, first 2 shown]
	v_mov_b32_e32 v16, v226
	v_mov_b32_e32 v17, v227
	;; [unrolled: 1-line block ×3, first 2 shown]
	s_waitcnt lgkmcnt(0)
	v_pk_fma_f32 v[54:55], v[0:1], v[2:3], v[190:191] op_sel_hi:[0,1,1] neg_lo:[1,0,0] neg_hi:[1,0,0]
	v_pk_fma_f32 v[174:175], v[0:1], v[4:5], v[192:193] op_sel_hi:[0,1,1] neg_lo:[1,0,0] neg_hi:[1,0,0]
	v_mov_b32_e32 v118, v226
	v_mov_b32_e32 v119, v227
	;; [unrolled: 1-line block ×10, first 2 shown]
	s_waitcnt vmcnt(4)
	v_mov_b32_e32 v141, v0
	v_mov_b32_e32 v225, v0
	;; [unrolled: 1-line block ×50, first 2 shown]
	scratch_store_dwordx4 off, v[2:5], off offset:1168 ; 16-byte Folded Spill
	s_nop 0
	scratch_store_dwordx4 off, v[6:9], off offset:1184 ; 16-byte Folded Spill
	scratch_store_dwordx4 off, v[10:13], off offset:1200 ; 16-byte Folded Spill
	scratch_store_dwordx4 off, v[14:17], off offset:1216 ; 16-byte Folded Spill
	scratch_store_dwordx4 off, v[18:21], off offset:1232 ; 16-byte Folded Spill
	scratch_store_dwordx4 off, v[22:25], off offset:1248 ; 16-byte Folded Spill
	scratch_store_dwordx4 off, v[26:29], off offset:1264 ; 16-byte Folded Spill
	scratch_store_dwordx4 off, v[30:33], off offset:1280 ; 16-byte Folded Spill
	v_mov_b32_e32 v18, v72
	v_mov_b32_e32 v19, v73
	;; [unrolled: 1-line block ×58, first 2 shown]
	scratch_store_dwordx4 off, v[2:5], off offset:1040 ; 16-byte Folded Spill
	s_nop 0
	scratch_store_dwordx4 off, v[6:9], off offset:1056 ; 16-byte Folded Spill
	scratch_store_dwordx4 off, v[10:13], off offset:1072 ; 16-byte Folded Spill
	;; [unrolled: 1-line block ×7, first 2 shown]
	v_mov_b32_e32 v20, v102
	v_mov_b32_e32 v21, v103
	s_waitcnt vmcnt(16)
	v_mov_b32_e32 v158, v136
	v_mov_b32_e32 v159, v137
	;; [unrolled: 1-line block ×25, first 2 shown]
	scratch_store_dwordx4 off, v[2:5], off offset:656 ; 16-byte Folded Spill
	s_nop 0
	scratch_store_dwordx4 off, v[6:9], off offset:672 ; 16-byte Folded Spill
	scratch_store_dwordx4 off, v[10:13], off offset:688 ; 16-byte Folded Spill
	;; [unrolled: 1-line block ×7, first 2 shown]
	v_mov_b32_e32 v22, v204
	v_mov_b32_e32 v23, v205
	scratch_store_dwordx4 off, v[2:5], off offset:400 ; 16-byte Folded Spill
	s_nop 0
	scratch_store_dwordx4 off, v[6:9], off offset:416 ; 16-byte Folded Spill
	scratch_store_dwordx4 off, v[10:13], off offset:432 ; 16-byte Folded Spill
	;; [unrolled: 1-line block ×7, first 2 shown]
	scratch_load_dwordx2 v[2:3], off, off offset:8 ; 8-byte Folded Reload
	s_nop 0
	v_mov_b32_e32 v32, v128
	v_mov_b32_e32 v33, v129
	scratch_store_dwordx4 off, v[104:107], off offset:272 ; 16-byte Folded Spill
	s_nop 0
	scratch_store_dwordx4 off, v[108:111], off offset:288 ; 16-byte Folded Spill
	scratch_store_dwordx4 off, v[112:115], off offset:304 ; 16-byte Folded Spill
	;; [unrolled: 1-line block ×7, first 2 shown]
	v_mov_b32_e32 v28, v175
	v_mov_b32_e32 v13, v0
	;; [unrolled: 1-line block ×26, first 2 shown]
	s_waitcnt vmcnt(8)
	v_fma_f32 v26, -v0, v1, v3
	v_mov_b32_e32 v154, v132
	v_mov_b32_e32 v155, v133
	;; [unrolled: 1-line block ×13, first 2 shown]
	scratch_store_dwordx4 off, v[128:131], off offset:1432 ; 16-byte Folded Spill
	s_nop 0
	scratch_store_dwordx4 off, v[132:135], off offset:1448 ; 16-byte Folded Spill
	scratch_store_dwordx4 off, v[136:139], off offset:1464 ; 16-byte Folded Spill
	;; [unrolled: 1-line block ×7, first 2 shown]
	scratch_store_dwordx2 off, v[28:29], off offset:8 ; 8-byte Folded Spill
	scratch_store_dwordx4 off, v[212:215], off offset:1304 ; 16-byte Folded Spill
	s_nop 0
	scratch_store_dwordx4 off, v[216:219], off offset:1320 ; 16-byte Folded Spill
	scratch_store_dwordx4 off, v[220:223], off offset:1336 ; 16-byte Folded Spill
	;; [unrolled: 1-line block ×7, first 2 shown]
	v_mov_b32_e32 v214, v204
	v_mov_b32_e32 v75, v227
	scratch_store_dwordx4 off, v[56:59], off offset:912 ; 16-byte Folded Spill
	s_nop 0
	scratch_store_dwordx4 off, v[60:63], off offset:928 ; 16-byte Folded Spill
	scratch_store_dwordx4 off, v[64:67], off offset:944 ; 16-byte Folded Spill
	;; [unrolled: 1-line block ×7, first 2 shown]
	v_mov_b64_e32 v[230:231], v[164:165]
	v_mov_b32_e32 v240, v174
	v_mov_b64_e32 v[216:217], v[150:151]
	v_mov_b32_e32 v239, v173
	v_mov_b32_e32 v238, v172
	;; [unrolled: 1-line block ×8, first 2 shown]
	v_mov_b64_e32 v[182:183], v[14:15]
	v_mov_b64_e32 v[228:229], v[162:163]
	;; [unrolled: 1-line block ×33, first 2 shown]
	scratch_store_dwordx4 off, v[84:87], off offset:784 ; 16-byte Folded Spill
	s_nop 0
	scratch_store_dwordx4 off, v[88:91], off offset:800 ; 16-byte Folded Spill
	scratch_store_dwordx4 off, v[92:95], off offset:816 ; 16-byte Folded Spill
	scratch_store_dwordx4 off, v[96:99], off offset:832 ; 16-byte Folded Spill
	scratch_store_dwordx4 off, v[100:103], off offset:848 ; 16-byte Folded Spill
	scratch_store_dwordx4 off, v[104:107], off offset:864 ; 16-byte Folded Spill
	scratch_store_dwordx4 off, v[108:111], off offset:880 ; 16-byte Folded Spill
	scratch_store_dwordx4 off, v[112:115], off offset:896 ; 16-byte Folded Spill
	scratch_store_dwordx4 off, v[184:187], off offset:528 ; 16-byte Folded Spill
	s_nop 0
	scratch_store_dwordx4 off, v[188:191], off offset:544 ; 16-byte Folded Spill
	scratch_store_dwordx4 off, v[192:195], off offset:560 ; 16-byte Folded Spill
	;; [unrolled: 1-line block ×7, first 2 shown]
	v_mov_b32_e32 v194, v26
	v_mov_b32_e32 v193, v25
	;; [unrolled: 1-line block ×14, first 2 shown]
	v_mov_b64_e32 v[14:15], v[230:231]
	v_mov_b32_e32 v17, v233
	v_mov_b32_e32 v18, v234
	;; [unrolled: 1-line block ×9, first 2 shown]
	scratch_store_dwordx4 off, v[0:3], off offset:144 ; 16-byte Folded Spill
	s_nop 0
	scratch_store_dwordx4 off, v[4:7], off offset:160 ; 16-byte Folded Spill
	scratch_store_dwordx4 off, v[8:11], off offset:176 ; 16-byte Folded Spill
	;; [unrolled: 1-line block ×7, first 2 shown]
	v_mov_b32_e32 v215, v205
.LBB52_236:
	s_or_b64 exec, exec, s[0:1]
	s_waitcnt vmcnt(0)
	v_lshl_add_u32 v27, v209, 2, v31
	s_barrier
	ds_write_b32 v27, v104
	s_waitcnt lgkmcnt(0)
	s_barrier
	ds_read_b32 v27, v31 offset:56
	s_cmp_lt_i32 s14, 16
	v_mov_b32_e32 v28, 14
	s_cbranch_scc1 .LBB52_239
; %bb.237:
	scratch_load_dword v28, off, off offset:1300 ; 4-byte Folded Reload
	s_mov_b32 s0, 15
	s_waitcnt vmcnt(0)
	v_add3_u32 v29, v28, 0, 60
	v_mov_b32_e32 v28, 14
.LBB52_238:                             ; =>This Inner Loop Header: Depth=1
	ds_read_b32 v30, v29
	v_add_u32_e32 v29, 4, v29
	s_waitcnt lgkmcnt(0)
	v_cmp_lt_f32_e64 vcc, |v27|, |v30|
	s_nop 1
	v_cndmask_b32_e32 v27, v27, v30, vcc
	v_mov_b32_e32 v30, s0
	s_add_i32 s0, s0, 1
	v_cndmask_b32_e32 v28, v28, v30, vcc
	s_cmp_lg_u32 s14, s0
	s_cbranch_scc1 .LBB52_238
.LBB52_239:
	s_waitcnt lgkmcnt(0)
	v_cmp_eq_f32_e32 vcc, 0, v27
	s_and_saveexec_b64 s[0:1], vcc
	s_xor_b64 s[0:1], exec, s[0:1]
	s_cbranch_execz .LBB52_241
; %bb.240:
	scratch_load_dword v0, off, off offset:16 ; 4-byte Folded Reload
	s_waitcnt vmcnt(0)
	v_cmp_ne_u32_e32 vcc, 0, v0
	s_nop 1
	v_cndmask_b32_e32 v0, 15, v0, vcc
	scratch_store_dword off, v0, off offset:16 ; 4-byte Folded Spill
.LBB52_241:
	s_andn2_saveexec_b64 s[0:1], s[0:1]
	s_cbranch_execz .LBB52_243
; %bb.242:
	v_div_scale_f32 v29, s[2:3], v27, v27, 1.0
	v_rcp_f32_e32 v30, v29
	v_div_scale_f32 v31, vcc, 1.0, v27, 1.0
	v_fma_f32 v55, -v29, v30, 1.0
	v_fmac_f32_e32 v30, v55, v30
	v_mul_f32_e32 v55, v31, v30
	v_fma_f32 v56, -v29, v55, v31
	v_fmac_f32_e32 v55, v56, v30
	v_fma_f32 v29, -v29, v55, v31
	scratch_load_dword v31, off, off offset:4 ; 4-byte Folded Reload
	v_div_fmas_f32 v29, v29, v30, v55
	v_div_fixup_f32 v27, v29, v27, 1.0
.LBB52_243:
	s_or_b64 exec, exec, s[0:1]
	v_cmp_ne_u32_e32 vcc, v209, v28
	s_and_saveexec_b64 s[0:1], vcc
	s_xor_b64 s[0:1], exec, s[0:1]
	s_cbranch_execz .LBB52_249
; %bb.244:
	v_cmp_eq_u32_e32 vcc, 14, v209
	s_and_saveexec_b64 s[2:3], vcc
	s_cbranch_execz .LBB52_248
; %bb.245:
	v_cmp_ne_u32_e32 vcc, 14, v28
	s_xor_b64 s[18:19], s[16:17], -1
	s_and_b64 s[20:21], s[18:19], vcc
	s_and_saveexec_b64 s[18:19], s[20:21]
	s_cbranch_execz .LBB52_247
; %bb.246:
	scratch_load_dwordx2 v[56:57], off, off offset:3608 ; 8-byte Folded Reload
	v_ashrrev_i32_e32 v29, 31, v28
	s_waitcnt vmcnt(0)
	v_lshl_add_u64 v[30:31], v[28:29], 2, v[56:57]
	global_load_dword v29, v[30:31], off
	global_load_dword v55, v[56:57], off offset:56
	s_waitcnt vmcnt(1)
	global_store_dword v[56:57], v29, off offset:56
	s_waitcnt vmcnt(1)
	global_store_dword v[30:31], v55, off
	scratch_load_dword v31, off, off offset:4 ; 4-byte Folded Reload
.LBB52_247:
	s_or_b64 exec, exec, s[18:19]
	v_mov_b32_e32 v29, v28
	v_mov_b32_e32 v209, v28
	scratch_store_dword off, v29, off offset:1296 ; 4-byte Folded Spill
.LBB52_248:
	s_or_b64 exec, exec, s[2:3]
.LBB52_249:
	s_andn2_saveexec_b64 s[0:1], s[0:1]
	s_cbranch_execz .LBB52_251
; %bb.250:
	v_mov_b32_e32 v209, 14
	s_waitcnt vmcnt(0)
	ds_write2_b32 v31, v183, v184 offset0:15 offset1:16
	ds_write2_b32 v31, v185, v186 offset0:17 offset1:18
	;; [unrolled: 1-line block ×6, first 2 shown]
.LBB52_251:
	s_or_b64 exec, exec, s[0:1]
	v_cmp_lt_i32_e32 vcc, 14, v209
	s_waitcnt lgkmcnt(0)
	s_barrier
	s_and_saveexec_b64 s[0:1], vcc
	s_cbranch_execz .LBB52_253
; %bb.252:
	scratch_load_dwordx4 v[32:35], off, off offset:1432 ; 16-byte Folded Reload
	scratch_load_dwordx4 v[36:39], off, off offset:1448 ; 16-byte Folded Reload
	;; [unrolled: 1-line block ×8, first 2 shown]
	s_waitcnt vmcnt(8)
	ds_read2_b32 v[0:1], v31 offset0:15 offset1:16
	ds_read2_b32 v[4:5], v31 offset0:17 offset1:18
	;; [unrolled: 1-line block ×4, first 2 shown]
	s_waitcnt vmcnt(4)
	v_mul_f32_e32 v46, v104, v27
	v_mov_b32_e32 v2, v183
	v_mov_b32_e32 v3, v184
	;; [unrolled: 1-line block ×8, first 2 shown]
	s_waitcnt lgkmcnt(3)
	v_pk_fma_f32 v[28:29], v[46:47], v[0:1], v[2:3] op_sel_hi:[0,1,1] neg_lo:[1,0,0] neg_hi:[1,0,0]
	v_mov_b32_e32 v0, v185
	v_mov_b32_e32 v1, v186
	s_waitcnt lgkmcnt(2)
	v_pk_fma_f32 v[30:31], v[46:47], v[4:5], v[0:1] op_sel_hi:[0,1,1] neg_lo:[1,0,0] neg_hi:[1,0,0]
	v_mov_b32_e32 v0, v187
	v_mov_b32_e32 v1, v188
	s_waitcnt vmcnt(1) lgkmcnt(1)
	v_pk_fma_f32 v[56:57], v[46:47], v[6:7], v[0:1] op_sel_hi:[0,1,1] neg_lo:[1,0,0] neg_hi:[1,0,0]
	v_mov_b32_e32 v0, v189
	v_mov_b32_e32 v1, v190
	scratch_load_dword v2, off, off offset:4 ; 4-byte Folded Reload
	s_waitcnt lgkmcnt(0)
	v_pk_fma_f32 v[58:59], v[46:47], v[8:9], v[0:1] op_sel_hi:[0,1,1] neg_lo:[1,0,0] neg_hi:[1,0,0]
	scratch_load_dword v1, off, off offset:4 ; 4-byte Folded Reload
	v_mov_b32_e32 v0, v191
	v_mov_b32_e32 v6, v38
	;; [unrolled: 1-line block ×44, first 2 shown]
	s_waitcnt vmcnt(1)
	ds_read2_b32 v[2:3], v2 offset0:23 offset1:24
	s_waitcnt vmcnt(0)
	ds_read2_b32 v[4:5], v1 offset0:25 offset1:26
	v_mov_b32_e32 v1, v192
	s_waitcnt lgkmcnt(1)
	v_pk_fma_f32 v[60:61], v[46:47], v[2:3], v[0:1] op_sel_hi:[0,1,1] neg_lo:[1,0,0] neg_hi:[1,0,0]
	v_mov_b32_e32 v0, v193
	v_mov_b32_e32 v1, v194
	s_waitcnt lgkmcnt(0)
	v_pk_fma_f32 v[26:27], v[46:47], v[4:5], v[0:1] op_sel_hi:[0,1,1] neg_lo:[1,0,0] neg_hi:[1,0,0]
	v_mov_b32_e32 v0, v32
	v_mov_b32_e32 v1, v33
	;; [unrolled: 1-line block ×7, first 2 shown]
	scratch_store_dwordx4 off, v[0:3], off offset:912 ; 16-byte Folded Spill
	s_nop 0
	scratch_store_dwordx4 off, v[4:7], off offset:928 ; 16-byte Folded Spill
	scratch_store_dwordx4 off, v[8:11], off offset:944 ; 16-byte Folded Spill
	;; [unrolled: 1-line block ×7, first 2 shown]
	v_mov_b32_e32 v191, v60
	v_mov_b32_e32 v192, v61
	v_mov_b32_e32 v17, v30
	scratch_store_dwordx4 off, v[0:3], off offset:1040 ; 16-byte Folded Spill
	s_nop 0
	scratch_store_dwordx4 off, v[4:7], off offset:1056 ; 16-byte Folded Spill
	scratch_store_dwordx4 off, v[8:11], off offset:1072 ; 16-byte Folded Spill
	scratch_store_dwordx4 off, v[12:15], off offset:1088 ; 16-byte Folded Spill
	scratch_store_dwordx4 off, v[16:19], off offset:1104 ; 16-byte Folded Spill
	scratch_store_dwordx4 off, v[20:23], off offset:1120 ; 16-byte Folded Spill
	scratch_store_dwordx4 off, v[24:27], off offset:1136 ; 16-byte Folded Spill
	scratch_store_dwordx4 off, v[28:31], off offset:1152 ; 16-byte Folded Spill
	v_mov_b32_e32 v18, v31
	scratch_store_dwordx4 off, v[0:3], off offset:784 ; 16-byte Folded Spill
	s_nop 0
	scratch_store_dwordx4 off, v[4:7], off offset:800 ; 16-byte Folded Spill
	scratch_store_dwordx4 off, v[8:11], off offset:816 ; 16-byte Folded Spill
	scratch_store_dwordx4 off, v[12:15], off offset:832 ; 16-byte Folded Spill
	scratch_store_dwordx4 off, v[16:19], off offset:848 ; 16-byte Folded Spill
	scratch_store_dwordx4 off, v[20:23], off offset:864 ; 16-byte Folded Spill
	scratch_store_dwordx4 off, v[24:27], off offset:880 ; 16-byte Folded Spill
	scratch_store_dwordx4 off, v[28:31], off offset:896 ; 16-byte Folded Spill
	v_mov_b32_e32 v19, v56
	;; [unrolled: 10-line block ×5, first 2 shown]
	v_mov_b32_e32 v23, v60
	v_mov_b32_e32 v159, v28
	;; [unrolled: 1-line block ×5, first 2 shown]
	scratch_store_dwordx4 off, v[0:3], off offset:272 ; 16-byte Folded Spill
	s_nop 0
	scratch_store_dwordx4 off, v[4:7], off offset:288 ; 16-byte Folded Spill
	scratch_store_dwordx4 off, v[8:11], off offset:304 ; 16-byte Folded Spill
	;; [unrolled: 1-line block ×7, first 2 shown]
	s_nop 0
	v_mov_b32_e32 v24, v61
	scratch_store_dwordx4 off, v[0:3], off offset:144 ; 16-byte Folded Spill
	s_nop 0
	scratch_store_dwordx4 off, v[4:7], off offset:160 ; 16-byte Folded Spill
	scratch_store_dwordx4 off, v[8:11], off offset:176 ; 16-byte Folded Spill
	;; [unrolled: 1-line block ×7, first 2 shown]
	scratch_store_dwordx2 off, v[26:27], off offset:8 ; 8-byte Folded Spill
	scratch_store_dwordx4 off, v[32:35], off offset:1168 ; 16-byte Folded Spill
	s_nop 0
	scratch_store_dwordx4 off, v[36:39], off offset:1184 ; 16-byte Folded Spill
	scratch_store_dwordx4 off, v[40:43], off offset:1200 ; 16-byte Folded Spill
	;; [unrolled: 1-line block ×8, first 2 shown]
	s_nop 0
	scratch_store_dwordx4 off, v[36:39], off offset:1320 ; 16-byte Folded Spill
	scratch_store_dwordx4 off, v[40:43], off offset:1336 ; 16-byte Folded Spill
	;; [unrolled: 1-line block ×7, first 2 shown]
	v_mov_b32_e32 v186, v31
	v_mov_b32_e32 v118, v31
	scratch_load_dword v31, off, off offset:4 ; 4-byte Folded Reload
	v_mov_b32_e32 v183, v28
	v_mov_b32_e32 v184, v29
	;; [unrolled: 1-line block ×14, first 2 shown]
.LBB52_253:
	s_or_b64 exec, exec, s[0:1]
	s_waitcnt vmcnt(0)
	v_lshl_add_u32 v27, v209, 2, v31
	s_barrier
	ds_write_b32 v27, v75
	s_waitcnt lgkmcnt(0)
	s_barrier
	ds_read_b32 v27, v31 offset:60
	s_cmp_lt_i32 s14, 17
	v_mov_b32_e32 v28, 15
	s_cbranch_scc1 .LBB52_256
; %bb.254:
	scratch_load_dword v28, off, off offset:1300 ; 4-byte Folded Reload
	s_mov_b32 s0, 16
	s_waitcnt vmcnt(0)
	v_add3_u32 v29, v28, 0, 64
	v_mov_b32_e32 v28, 15
.LBB52_255:                             ; =>This Inner Loop Header: Depth=1
	ds_read_b32 v30, v29
	v_add_u32_e32 v29, 4, v29
	s_waitcnt lgkmcnt(0)
	v_cmp_lt_f32_e64 vcc, |v27|, |v30|
	s_nop 1
	v_cndmask_b32_e32 v27, v27, v30, vcc
	v_mov_b32_e32 v30, s0
	s_add_i32 s0, s0, 1
	v_cndmask_b32_e32 v28, v28, v30, vcc
	s_cmp_lg_u32 s14, s0
	s_cbranch_scc1 .LBB52_255
.LBB52_256:
	s_waitcnt lgkmcnt(0)
	v_cmp_eq_f32_e32 vcc, 0, v27
	s_and_saveexec_b64 s[0:1], vcc
	s_xor_b64 s[0:1], exec, s[0:1]
	s_cbranch_execz .LBB52_258
; %bb.257:
	scratch_load_dword v0, off, off offset:16 ; 4-byte Folded Reload
	s_waitcnt vmcnt(0)
	v_cmp_ne_u32_e32 vcc, 0, v0
	s_nop 1
	v_cndmask_b32_e32 v0, 16, v0, vcc
	scratch_store_dword off, v0, off offset:16 ; 4-byte Folded Spill
.LBB52_258:
	s_andn2_saveexec_b64 s[0:1], s[0:1]
	s_cbranch_execz .LBB52_260
; %bb.259:
	v_div_scale_f32 v29, s[2:3], v27, v27, 1.0
	v_rcp_f32_e32 v30, v29
	v_div_scale_f32 v31, vcc, 1.0, v27, 1.0
	v_fma_f32 v55, -v29, v30, 1.0
	v_fmac_f32_e32 v30, v55, v30
	v_mul_f32_e32 v55, v31, v30
	v_fma_f32 v56, -v29, v55, v31
	v_fmac_f32_e32 v55, v56, v30
	v_fma_f32 v29, -v29, v55, v31
	scratch_load_dword v31, off, off offset:4 ; 4-byte Folded Reload
	v_div_fmas_f32 v29, v29, v30, v55
	v_div_fixup_f32 v27, v29, v27, 1.0
.LBB52_260:
	s_or_b64 exec, exec, s[0:1]
	v_cmp_ne_u32_e32 vcc, v209, v28
	s_and_saveexec_b64 s[0:1], vcc
	s_xor_b64 s[0:1], exec, s[0:1]
	s_cbranch_execz .LBB52_266
; %bb.261:
	v_cmp_eq_u32_e32 vcc, 15, v209
	s_and_saveexec_b64 s[2:3], vcc
	s_cbranch_execz .LBB52_265
; %bb.262:
	v_cmp_ne_u32_e32 vcc, 15, v28
	s_xor_b64 s[18:19], s[16:17], -1
	s_and_b64 s[20:21], s[18:19], vcc
	s_and_saveexec_b64 s[18:19], s[20:21]
	s_cbranch_execz .LBB52_264
; %bb.263:
	scratch_load_dwordx2 v[56:57], off, off offset:3608 ; 8-byte Folded Reload
	v_ashrrev_i32_e32 v29, 31, v28
	s_waitcnt vmcnt(0)
	v_lshl_add_u64 v[30:31], v[28:29], 2, v[56:57]
	global_load_dword v29, v[30:31], off
	global_load_dword v55, v[56:57], off offset:60
	s_waitcnt vmcnt(1)
	global_store_dword v[56:57], v29, off offset:60
	s_waitcnt vmcnt(1)
	global_store_dword v[30:31], v55, off
	scratch_load_dword v31, off, off offset:4 ; 4-byte Folded Reload
.LBB52_264:
	s_or_b64 exec, exec, s[18:19]
	v_mov_b32_e32 v29, v28
	v_mov_b32_e32 v209, v28
	scratch_store_dword off, v29, off offset:1296 ; 4-byte Folded Spill
.LBB52_265:
	s_or_b64 exec, exec, s[2:3]
.LBB52_266:
	s_andn2_saveexec_b64 s[0:1], s[0:1]
	s_cbranch_execz .LBB52_268
; %bb.267:
	s_waitcnt vmcnt(0)
	ds_write2_b32 v31, v184, v185 offset0:16 offset1:17
	ds_write2_b32 v31, v186, v187 offset0:18 offset1:19
	;; [unrolled: 1-line block ×5, first 2 shown]
	scratch_load_dwordx2 v[28:29], off, off offset:8 ; 8-byte Folded Reload
	v_mov_b32_e32 v209, 15
	s_waitcnt vmcnt(0)
	ds_write_b32 v31, v29 offset:104
.LBB52_268:
	s_or_b64 exec, exec, s[0:1]
	v_cmp_lt_i32_e32 vcc, 15, v209
	s_waitcnt lgkmcnt(0)
	s_barrier
	s_and_saveexec_b64 s[0:1], vcc
	s_cbranch_execz .LBB52_270
; %bb.269:
	s_waitcnt vmcnt(0)
	ds_read2_b32 v[2:3], v31 offset0:16 offset1:17
	ds_read2_b32 v[4:5], v31 offset0:18 offset1:19
	;; [unrolled: 1-line block ×4, first 2 shown]
	v_mul_f32_e32 v0, v75, v27
	v_mov_b32_e32 v17, v0
	s_waitcnt lgkmcnt(2)
	v_pk_fma_f32 v[114:115], v[0:1], v[4:5], v[186:187] op_sel_hi:[0,1,1] neg_lo:[1,0,0] neg_hi:[1,0,0]
	v_pk_fma_f32 v[74:75], v[0:1], v[2:3], v[184:185] op_sel_hi:[0,1,1] neg_lo:[1,0,0] neg_hi:[1,0,0]
	ds_read2_b32 v[2:3], v31 offset0:24 offset1:25
	s_waitcnt lgkmcnt(2)
	v_pk_fma_f32 v[212:213], v[0:1], v[6:7], v[188:189] op_sel_hi:[0,1,1] neg_lo:[1,0,0] neg_hi:[1,0,0]
	s_waitcnt lgkmcnt(1)
	v_pk_fma_f32 v[166:167], v[0:1], v[8:9], v[190:191] op_sel_hi:[0,1,1] neg_lo:[1,0,0] neg_hi:[1,0,0]
	ds_read_b32 v1, v31 offset:104
	scratch_load_dwordx4 v[128:131], off, off offset:1304 ; 16-byte Folded Reload
	scratch_load_dwordx4 v[132:135], off, off offset:1320 ; 16-byte Folded Reload
	;; [unrolled: 1-line block ×8, first 2 shown]
	v_mov_b32_e32 v18, v74
	v_mov_b32_e32 v19, v75
	;; [unrolled: 1-line block ×3, first 2 shown]
	s_waitcnt lgkmcnt(0)
	v_pk_fma_f32 v[56:57], v[0:1], v[2:3], v[192:193] op_sel_hi:[0,1,1] neg_lo:[1,0,0] neg_hi:[1,0,0]
	v_mov_b32_e32 v240, v74
	v_mov_b32_e32 v241, v75
	;; [unrolled: 1-line block ×18, first 2 shown]
	s_waitcnt vmcnt(4)
	v_mov_b32_e32 v143, v0
	v_mov_b32_e32 v111, v0
	;; [unrolled: 1-line block ×8, first 2 shown]
	s_waitcnt vmcnt(0)
	v_mov_b32_e32 v159, v0
	v_mov_b32_e32 v116, v74
	;; [unrolled: 1-line block ×25, first 2 shown]
	scratch_store_dwordx4 off, v[2:5], off offset:1040 ; 16-byte Folded Spill
	s_nop 0
	scratch_store_dwordx4 off, v[6:9], off offset:1056 ; 16-byte Folded Spill
	scratch_store_dwordx4 off, v[10:13], off offset:1072 ; 16-byte Folded Spill
	scratch_store_dwordx4 off, v[14:17], off offset:1088 ; 16-byte Folded Spill
	scratch_store_dwordx4 off, v[18:21], off offset:1104 ; 16-byte Folded Spill
	scratch_store_dwordx4 off, v[22:25], off offset:1120 ; 16-byte Folded Spill
	scratch_store_dwordx4 off, v[26:29], off offset:1136 ; 16-byte Folded Spill
	scratch_store_dwordx4 off, v[30:33], off offset:1152 ; 16-byte Folded Spill
	v_mov_b32_e32 v20, v114
	v_mov_b32_e32 v21, v115
	;; [unrolled: 1-line block ×56, first 2 shown]
	scratch_store_dwordx4 off, v[2:5], off offset:656 ; 16-byte Folded Spill
	s_nop 0
	scratch_store_dwordx4 off, v[6:9], off offset:672 ; 16-byte Folded Spill
	scratch_store_dwordx4 off, v[10:13], off offset:688 ; 16-byte Folded Spill
	;; [unrolled: 1-line block ×7, first 2 shown]
	s_nop 0
	v_mov_b32_e32 v27, v209
	v_mov_b32_e32 v22, v212
	;; [unrolled: 1-line block ×38, first 2 shown]
	scratch_store_dwordx4 off, v[2:5], off offset:400 ; 16-byte Folded Spill
	s_nop 0
	scratch_store_dwordx4 off, v[6:9], off offset:416 ; 16-byte Folded Spill
	scratch_store_dwordx4 off, v[10:13], off offset:432 ; 16-byte Folded Spill
	;; [unrolled: 1-line block ×7, first 2 shown]
	scratch_load_dwordx2 v[2:3], off, off offset:8 ; 8-byte Folded Reload
	s_nop 0
	scratch_store_dwordx4 off, v[224:227], off offset:272 ; 16-byte Folded Spill
	s_nop 0
	scratch_store_dwordx4 off, v[228:231], off offset:288 ; 16-byte Folded Spill
	scratch_store_dwordx4 off, v[232:235], off offset:304 ; 16-byte Folded Spill
	scratch_store_dwordx4 off, v[236:239], off offset:320 ; 16-byte Folded Spill
	scratch_store_dwordx4 off, v[240:243], off offset:336 ; 16-byte Folded Spill
	scratch_store_dwordx4 off, v[244:247], off offset:352 ; 16-byte Folded Spill
	scratch_store_dwordx4 off, v[248:251], off offset:368 ; 16-byte Folded Spill
	scratch_store_dwordx4 off, v[252:255], off offset:384 ; 16-byte Folded Spill
	v_mov_b64_e32 v[240:241], v[56:57]
	v_mov_b32_e32 v32, v128
	v_mov_b32_e32 v33, v129
	;; [unrolled: 1-line block ×4, first 2 shown]
	v_mov_b64_e32 v[230:231], v[46:47]
	v_mov_b64_e32 v[238:239], v[54:55]
	;; [unrolled: 1-line block ×10, first 2 shown]
	v_mov_b32_e32 v28, v241
	v_mov_b64_e32 v[58:59], v[60:61]
	v_mov_b64_e32 v[60:61], v[62:63]
	v_mov_b64_e32 v[62:63], v[64:65]
	v_mov_b64_e32 v[64:65], v[66:67]
	v_mov_b64_e32 v[66:67], v[68:69]
	v_mov_b64_e32 v[68:69], v[70:71]
	v_mov_b64_e32 v[70:71], v[72:73]
	v_mov_b32_e32 v72, v74
	v_mov_b32_e32 v15, v0
	s_waitcnt vmcnt(8)
	v_mov_b32_e32 v2, v130
	v_mov_b32_e32 v4, v132
	;; [unrolled: 1-line block ×20, first 2 shown]
	v_mov_b64_e32 v[228:229], v[44:45]
	v_mov_b64_e32 v[226:227], v[42:43]
	;; [unrolled: 1-line block ×3, first 2 shown]
	v_fma_f32 v26, -v0, v1, v3
	v_mov_b32_e32 v29, v26
	v_mov_b32_e32 v0, v128
	;; [unrolled: 1-line block ×4, first 2 shown]
	scratch_store_dwordx4 off, v[128:131], off offset:1168 ; 16-byte Folded Spill
	s_nop 0
	scratch_store_dwordx4 off, v[132:135], off offset:1184 ; 16-byte Folded Spill
	scratch_store_dwordx4 off, v[136:139], off offset:1200 ; 16-byte Folded Spill
	;; [unrolled: 1-line block ×7, first 2 shown]
	scratch_store_dwordx2 off, v[28:29], off offset:8 ; 8-byte Folded Spill
	scratch_store_dwordx4 off, v[56:59], off offset:912 ; 16-byte Folded Spill
	s_nop 0
	scratch_store_dwordx4 off, v[60:63], off offset:928 ; 16-byte Folded Spill
	scratch_store_dwordx4 off, v[64:67], off offset:944 ; 16-byte Folded Spill
	scratch_store_dwordx4 off, v[68:71], off offset:960 ; 16-byte Folded Spill
	scratch_store_dwordx4 off, v[72:75], off offset:976 ; 16-byte Folded Spill
	scratch_store_dwordx4 off, v[76:79], off offset:992 ; 16-byte Folded Spill
	scratch_store_dwordx4 off, v[80:83], off offset:1008 ; 16-byte Folded Spill
	scratch_store_dwordx4 off, v[84:87], off offset:1024 ; 16-byte Folded Spill
	scratch_store_dwordx4 off, v[96:99], off offset:784 ; 16-byte Folded Spill
	s_nop 0
	scratch_store_dwordx4 off, v[100:103], off offset:800 ; 16-byte Folded Spill
	scratch_store_dwordx4 off, v[104:107], off offset:816 ; 16-byte Folded Spill
	scratch_store_dwordx4 off, v[108:111], off offset:832 ; 16-byte Folded Spill
	scratch_store_dwordx4 off, v[112:115], off offset:848 ; 16-byte Folded Spill
	scratch_store_dwordx4 off, v[116:119], off offset:864 ; 16-byte Folded Spill
	scratch_store_dwordx4 off, v[120:123], off offset:880 ; 16-byte Folded Spill
	scratch_store_dwordx4 off, v[124:127], off offset:896 ; 16-byte Folded Spill
	;; [unrolled: 9-line block ×3, first 2 shown]
	v_mov_b64_e32 v[182:183], v[14:15]
	v_mov_b32_e32 v194, v26
	v_mov_b64_e32 v[180:181], v[12:13]
	v_mov_b64_e32 v[178:179], v[10:11]
	;; [unrolled: 1-line block ×7, first 2 shown]
	v_mov_b32_e32 v193, v25
	v_mov_b32_e32 v192, v24
	;; [unrolled: 1-line block ×10, first 2 shown]
	v_mov_b64_e32 v[0:1], v[32:33]
	v_mov_b32_e32 v16, v232
	v_mov_b32_e32 v209, v27
	v_mov_b32_e32 v110, v166
	v_mov_b32_e32 v111, v167
	v_mov_b64_e32 v[2:3], v[34:35]
	v_mov_b64_e32 v[4:5], v[36:37]
	;; [unrolled: 1-line block ×7, first 2 shown]
	v_mov_b32_e32 v17, v233
	v_mov_b32_e32 v18, v234
	;; [unrolled: 1-line block ×9, first 2 shown]
	scratch_store_dwordx4 off, v[0:3], off offset:144 ; 16-byte Folded Spill
	s_nop 0
	scratch_store_dwordx4 off, v[4:7], off offset:160 ; 16-byte Folded Spill
	scratch_store_dwordx4 off, v[8:11], off offset:176 ; 16-byte Folded Spill
	;; [unrolled: 1-line block ×7, first 2 shown]
	v_mov_b32_e32 v73, v75
	v_mov_b32_e32 v103, v115
	;; [unrolled: 1-line block ×3, first 2 shown]
.LBB52_270:
	s_or_b64 exec, exec, s[0:1]
	s_waitcnt vmcnt(0)
	v_lshl_add_u32 v27, v209, 2, v31
	s_barrier
	ds_write_b32 v27, v116
	s_waitcnt lgkmcnt(0)
	s_barrier
	ds_read_b32 v27, v31 offset:64
	s_cmp_lt_i32 s14, 18
	v_mov_b32_e32 v28, 16
	s_cbranch_scc1 .LBB52_273
; %bb.271:
	v_add_u32_e32 v29, 0x44, v31
	v_mov_b32_e32 v28, 16
	s_mov_b32 s0, 17
.LBB52_272:                             ; =>This Inner Loop Header: Depth=1
	ds_read_b32 v30, v29
	v_add_u32_e32 v29, 4, v29
	s_waitcnt lgkmcnt(0)
	v_cmp_lt_f32_e64 vcc, |v27|, |v30|
	s_nop 1
	v_cndmask_b32_e32 v27, v27, v30, vcc
	v_mov_b32_e32 v30, s0
	s_add_i32 s0, s0, 1
	v_cndmask_b32_e32 v28, v28, v30, vcc
	s_cmp_lg_u32 s14, s0
	s_cbranch_scc1 .LBB52_272
.LBB52_273:
	s_waitcnt lgkmcnt(0)
	v_cmp_eq_f32_e32 vcc, 0, v27
	s_and_saveexec_b64 s[0:1], vcc
	s_xor_b64 s[0:1], exec, s[0:1]
	s_cbranch_execz .LBB52_275
; %bb.274:
	scratch_load_dword v0, off, off offset:16 ; 4-byte Folded Reload
	s_waitcnt vmcnt(0)
	v_cmp_ne_u32_e32 vcc, 0, v0
	s_nop 1
	v_cndmask_b32_e32 v0, 17, v0, vcc
	scratch_store_dword off, v0, off offset:16 ; 4-byte Folded Spill
.LBB52_275:
	s_andn2_saveexec_b64 s[0:1], s[0:1]
	s_cbranch_execz .LBB52_277
; %bb.276:
	v_div_scale_f32 v29, s[2:3], v27, v27, 1.0
	v_rcp_f32_e32 v30, v29
	v_div_scale_f32 v31, vcc, 1.0, v27, 1.0
	v_fma_f32 v55, -v29, v30, 1.0
	v_fmac_f32_e32 v30, v55, v30
	v_mul_f32_e32 v55, v31, v30
	v_fma_f32 v56, -v29, v55, v31
	v_fmac_f32_e32 v55, v56, v30
	v_fma_f32 v29, -v29, v55, v31
	scratch_load_dword v31, off, off offset:4 ; 4-byte Folded Reload
	v_div_fmas_f32 v29, v29, v30, v55
	v_div_fixup_f32 v27, v29, v27, 1.0
.LBB52_277:
	s_or_b64 exec, exec, s[0:1]
	v_cmp_ne_u32_e32 vcc, v209, v28
	s_and_saveexec_b64 s[0:1], vcc
	s_xor_b64 s[0:1], exec, s[0:1]
	s_cbranch_execz .LBB52_283
; %bb.278:
	v_cmp_eq_u32_e32 vcc, 16, v209
	s_and_saveexec_b64 s[2:3], vcc
	s_cbranch_execz .LBB52_282
; %bb.279:
	v_cmp_ne_u32_e32 vcc, 16, v28
	s_xor_b64 s[18:19], s[16:17], -1
	s_and_b64 s[20:21], s[18:19], vcc
	s_and_saveexec_b64 s[18:19], s[20:21]
	s_cbranch_execz .LBB52_281
; %bb.280:
	scratch_load_dwordx2 v[56:57], off, off offset:3608 ; 8-byte Folded Reload
	v_ashrrev_i32_e32 v29, 31, v28
	s_waitcnt vmcnt(0)
	v_lshl_add_u64 v[30:31], v[28:29], 2, v[56:57]
	global_load_dword v29, v[30:31], off
	global_load_dword v55, v[56:57], off offset:64
	s_waitcnt vmcnt(1)
	global_store_dword v[56:57], v29, off offset:64
	s_waitcnt vmcnt(1)
	global_store_dword v[30:31], v55, off
	scratch_load_dword v31, off, off offset:4 ; 4-byte Folded Reload
.LBB52_281:
	s_or_b64 exec, exec, s[18:19]
	v_mov_b32_e32 v29, v28
	v_mov_b32_e32 v209, v28
	scratch_store_dword off, v29, off offset:1296 ; 4-byte Folded Spill
.LBB52_282:
	s_or_b64 exec, exec, s[2:3]
.LBB52_283:
	s_andn2_saveexec_b64 s[0:1], s[0:1]
	s_cbranch_execz .LBB52_285
; %bb.284:
	v_mov_b32_e32 v209, 16
	s_waitcnt vmcnt(0)
	ds_write2_b32 v31, v185, v186 offset0:17 offset1:18
	ds_write2_b32 v31, v187, v188 offset0:19 offset1:20
	;; [unrolled: 1-line block ×5, first 2 shown]
.LBB52_285:
	s_or_b64 exec, exec, s[0:1]
	v_cmp_lt_i32_e32 vcc, 16, v209
	s_waitcnt lgkmcnt(0)
	s_barrier
	s_and_saveexec_b64 s[0:1], vcc
	s_cbranch_execz .LBB52_287
; %bb.286:
	scratch_load_dwordx4 v[32:35], off, off offset:1168 ; 16-byte Folded Reload
	scratch_load_dwordx4 v[36:39], off, off offset:1184 ; 16-byte Folded Reload
	;; [unrolled: 1-line block ×8, first 2 shown]
	s_waitcnt vmcnt(8)
	ds_read2_b32 v[0:1], v31 offset0:17 offset1:18
	ds_read2_b32 v[4:5], v31 offset0:19 offset1:20
	;; [unrolled: 1-line block ×4, first 2 shown]
	s_waitcnt vmcnt(3)
	v_mul_f32_e32 v48, v116, v27
	v_mov_b32_e32 v2, v185
	v_mov_b32_e32 v3, v186
	;; [unrolled: 1-line block ×9, first 2 shown]
	s_waitcnt lgkmcnt(3)
	v_pk_fma_f32 v[28:29], v[48:49], v[0:1], v[2:3] op_sel_hi:[0,1,1] neg_lo:[1,0,0] neg_hi:[1,0,0]
	v_mov_b32_e32 v0, v187
	v_mov_b32_e32 v1, v188
	s_waitcnt lgkmcnt(2)
	v_pk_fma_f32 v[30:31], v[48:49], v[4:5], v[0:1] op_sel_hi:[0,1,1] neg_lo:[1,0,0] neg_hi:[1,0,0]
	v_mov_b32_e32 v0, v189
	v_mov_b32_e32 v1, v190
	s_waitcnt vmcnt(1) lgkmcnt(1)
	v_pk_fma_f32 v[56:57], v[48:49], v[6:7], v[0:1] op_sel_hi:[0,1,1] neg_lo:[1,0,0] neg_hi:[1,0,0]
	scratch_load_dword v1, off, off offset:4 ; 4-byte Folded Reload
	v_mov_b32_e32 v0, v191
	v_mov_b32_e32 v4, v36
	;; [unrolled: 1-line block ×45, first 2 shown]
	s_waitcnt vmcnt(0)
	ds_read2_b32 v[2:3], v1 offset0:25 offset1:26
	v_mov_b32_e32 v1, v192
	s_waitcnt lgkmcnt(1)
	v_pk_fma_f32 v[58:59], v[48:49], v[8:9], v[0:1] op_sel_hi:[0,1,1] neg_lo:[1,0,0] neg_hi:[1,0,0]
	v_mov_b32_e32 v0, v193
	v_mov_b32_e32 v1, v194
	s_waitcnt lgkmcnt(0)
	v_pk_fma_f32 v[26:27], v[48:49], v[2:3], v[0:1] op_sel_hi:[0,1,1] neg_lo:[1,0,0] neg_hi:[1,0,0]
	v_mov_b32_e32 v0, v32
	v_mov_b32_e32 v1, v33
	;; [unrolled: 1-line block ×7, first 2 shown]
	scratch_store_dwordx4 off, v[0:3], off offset:784 ; 16-byte Folded Spill
	s_nop 0
	scratch_store_dwordx4 off, v[4:7], off offset:800 ; 16-byte Folded Spill
	scratch_store_dwordx4 off, v[8:11], off offset:816 ; 16-byte Folded Spill
	;; [unrolled: 1-line block ×7, first 2 shown]
	v_mov_b32_e32 v191, v58
	v_mov_b32_e32 v192, v59
	;; [unrolled: 1-line block ×3, first 2 shown]
	scratch_store_dwordx4 off, v[0:3], off offset:656 ; 16-byte Folded Spill
	s_nop 0
	scratch_store_dwordx4 off, v[4:7], off offset:672 ; 16-byte Folded Spill
	scratch_store_dwordx4 off, v[8:11], off offset:688 ; 16-byte Folded Spill
	scratch_store_dwordx4 off, v[12:15], off offset:704 ; 16-byte Folded Spill
	scratch_store_dwordx4 off, v[16:19], off offset:720 ; 16-byte Folded Spill
	scratch_store_dwordx4 off, v[20:23], off offset:736 ; 16-byte Folded Spill
	scratch_store_dwordx4 off, v[24:27], off offset:752 ; 16-byte Folded Spill
	scratch_store_dwordx4 off, v[28:31], off offset:768 ; 16-byte Folded Spill
	v_mov_b32_e32 v20, v31
	scratch_store_dwordx4 off, v[0:3], off offset:528 ; 16-byte Folded Spill
	s_nop 0
	scratch_store_dwordx4 off, v[4:7], off offset:544 ; 16-byte Folded Spill
	scratch_store_dwordx4 off, v[8:11], off offset:560 ; 16-byte Folded Spill
	scratch_store_dwordx4 off, v[12:15], off offset:576 ; 16-byte Folded Spill
	scratch_store_dwordx4 off, v[16:19], off offset:592 ; 16-byte Folded Spill
	scratch_store_dwordx4 off, v[20:23], off offset:608 ; 16-byte Folded Spill
	scratch_store_dwordx4 off, v[24:27], off offset:624 ; 16-byte Folded Spill
	scratch_store_dwordx4 off, v[28:31], off offset:640 ; 16-byte Folded Spill
	v_mov_b32_e32 v21, v56
	;; [unrolled: 10-line block ×3, first 2 shown]
	v_mov_b32_e32 v23, v58
	v_mov_b32_e32 v161, v28
	;; [unrolled: 1-line block ×5, first 2 shown]
	scratch_store_dwordx4 off, v[0:3], off offset:272 ; 16-byte Folded Spill
	s_nop 0
	scratch_store_dwordx4 off, v[4:7], off offset:288 ; 16-byte Folded Spill
	scratch_store_dwordx4 off, v[8:11], off offset:304 ; 16-byte Folded Spill
	;; [unrolled: 1-line block ×7, first 2 shown]
	s_nop 0
	v_mov_b32_e32 v24, v59
	scratch_store_dwordx4 off, v[0:3], off offset:144 ; 16-byte Folded Spill
	s_nop 0
	scratch_store_dwordx4 off, v[4:7], off offset:160 ; 16-byte Folded Spill
	scratch_store_dwordx4 off, v[8:11], off offset:176 ; 16-byte Folded Spill
	;; [unrolled: 1-line block ×7, first 2 shown]
	scratch_store_dwordx2 off, v[26:27], off offset:8 ; 8-byte Folded Spill
	scratch_store_dwordx4 off, v[32:35], off offset:1040 ; 16-byte Folded Spill
	s_nop 0
	scratch_store_dwordx4 off, v[36:39], off offset:1056 ; 16-byte Folded Spill
	scratch_store_dwordx4 off, v[40:43], off offset:1072 ; 16-byte Folded Spill
	;; [unrolled: 1-line block ×8, first 2 shown]
	s_nop 0
	scratch_store_dwordx4 off, v[36:39], off offset:928 ; 16-byte Folded Spill
	scratch_store_dwordx4 off, v[40:43], off offset:944 ; 16-byte Folded Spill
	;; [unrolled: 1-line block ×7, first 2 shown]
	v_mov_b32_e32 v188, v31
	v_mov_b32_e32 v214, v31
	scratch_load_dword v31, off, off offset:4 ; 4-byte Folded Reload
	v_mov_b32_e32 v185, v28
	v_mov_b32_e32 v186, v29
	;; [unrolled: 1-line block ×12, first 2 shown]
.LBB52_287:
	s_or_b64 exec, exec, s[0:1]
	s_waitcnt vmcnt(0)
	v_lshl_add_u32 v27, v209, 2, v31
	s_barrier
	ds_write_b32 v27, v73
	s_waitcnt lgkmcnt(0)
	s_barrier
	ds_read_b32 v27, v31 offset:68
	s_cmp_lt_i32 s14, 19
	v_mov_b32_e32 v28, 17
	s_cbranch_scc1 .LBB52_290
; %bb.288:
	v_add_u32_e32 v29, 0x48, v31
	v_mov_b32_e32 v28, 17
	s_mov_b32 s0, 18
.LBB52_289:                             ; =>This Inner Loop Header: Depth=1
	ds_read_b32 v30, v29
	v_mov_b32_e32 v31, s0
	s_add_i32 s0, s0, 1
	v_add_u32_e32 v29, 4, v29
	s_cmp_lg_u32 s14, s0
	s_waitcnt lgkmcnt(0)
	v_cmp_lt_f32_e64 vcc, |v27|, |v30|
	s_nop 1
	v_cndmask_b32_e32 v27, v27, v30, vcc
	v_cndmask_b32_e32 v28, v28, v31, vcc
	s_cbranch_scc1 .LBB52_289
.LBB52_290:
	s_waitcnt lgkmcnt(0)
	v_cmp_eq_f32_e32 vcc, 0, v27
	s_and_saveexec_b64 s[0:1], vcc
	s_xor_b64 s[0:1], exec, s[0:1]
	s_cbranch_execz .LBB52_292
; %bb.291:
	scratch_load_dword v0, off, off offset:16 ; 4-byte Folded Reload
	s_waitcnt vmcnt(0)
	v_cmp_ne_u32_e32 vcc, 0, v0
	s_nop 1
	v_cndmask_b32_e32 v0, 18, v0, vcc
	scratch_store_dword off, v0, off offset:16 ; 4-byte Folded Spill
.LBB52_292:
	s_andn2_saveexec_b64 s[0:1], s[0:1]
	s_cbranch_execz .LBB52_294
; %bb.293:
	v_div_scale_f32 v29, s[2:3], v27, v27, 1.0
	v_rcp_f32_e32 v30, v29
	v_div_scale_f32 v31, vcc, 1.0, v27, 1.0
	v_fma_f32 v55, -v29, v30, 1.0
	v_fmac_f32_e32 v30, v55, v30
	v_mul_f32_e32 v55, v31, v30
	v_fma_f32 v56, -v29, v55, v31
	v_fmac_f32_e32 v55, v56, v30
	v_fma_f32 v29, -v29, v55, v31
	v_div_fmas_f32 v29, v29, v30, v55
	v_div_fixup_f32 v27, v29, v27, 1.0
.LBB52_294:
	s_or_b64 exec, exec, s[0:1]
	v_cmp_ne_u32_e32 vcc, v209, v28
	s_mov_b64 s[0:1], exec
	scratch_load_dword v29, off, off offset:4 ; 4-byte Folded Reload
	s_and_b64 s[2:3], s[0:1], vcc
	s_xor_b64 s[0:1], s[2:3], s[0:1]
	s_mov_b64 exec, s[2:3]
	s_cbranch_execz .LBB52_300
; %bb.295:
	v_cmp_eq_u32_e32 vcc, 17, v209
	s_and_saveexec_b64 s[2:3], vcc
	s_cbranch_execz .LBB52_299
; %bb.296:
	v_cmp_ne_u32_e32 vcc, 17, v28
	s_xor_b64 s[18:19], s[16:17], -1
	s_and_b64 s[20:21], s[18:19], vcc
	s_and_saveexec_b64 s[18:19], s[20:21]
	s_cbranch_execz .LBB52_298
; %bb.297:
	scratch_load_dwordx2 v[56:57], off, off offset:3608 ; 8-byte Folded Reload
	s_waitcnt vmcnt(1)
	v_ashrrev_i32_e32 v29, 31, v28
	s_waitcnt vmcnt(0)
	v_lshl_add_u64 v[30:31], v[28:29], 2, v[56:57]
	global_load_dword v29, v[30:31], off
	global_load_dword v55, v[56:57], off offset:68
	s_waitcnt vmcnt(1)
	global_store_dword v[56:57], v29, off offset:68
	s_waitcnt vmcnt(1)
	global_store_dword v[30:31], v55, off
	scratch_load_dword v29, off, off offset:4 ; 4-byte Folded Reload
.LBB52_298:
	s_or_b64 exec, exec, s[18:19]
	v_mov_b32_e32 v30, v28
	v_mov_b32_e32 v209, v28
	scratch_store_dword off, v30, off offset:1296 ; 4-byte Folded Spill
.LBB52_299:
	s_or_b64 exec, exec, s[2:3]
.LBB52_300:
	s_andn2_saveexec_b64 s[0:1], s[0:1]
	s_cbranch_execz .LBB52_302
; %bb.301:
	s_waitcnt vmcnt(0)
	ds_write2_b32 v29, v186, v187 offset0:18 offset1:19
	ds_write2_b32 v29, v188, v189 offset0:20 offset1:21
	;; [unrolled: 1-line block ×4, first 2 shown]
	scratch_load_dwordx2 v[30:31], off, off offset:8 ; 8-byte Folded Reload
	v_mov_b32_e32 v209, 17
	s_waitcnt vmcnt(0)
	ds_write_b32 v29, v31 offset:104
.LBB52_302:
	s_or_b64 exec, exec, s[0:1]
	v_cmp_lt_i32_e32 vcc, 17, v209
	s_waitcnt lgkmcnt(0)
	s_barrier
	s_and_saveexec_b64 s[0:1], vcc
	s_cbranch_execz .LBB52_304
; %bb.303:
	s_waitcnt vmcnt(0)
	ds_read2_b32 v[0:1], v29 offset0:18 offset1:19
	ds_read2_b32 v[2:3], v29 offset0:20 offset1:21
	ds_read2_b32 v[4:5], v29 offset0:22 offset1:23
	ds_read2_b32 v[6:7], v29 offset0:24 offset1:25
	v_mul_f32_e32 v8, v73, v27
	s_waitcnt lgkmcnt(3)
	v_pk_fma_f32 v[116:117], v[8:9], v[0:1], v[186:187] op_sel_hi:[0,1,1] neg_lo:[1,0,0] neg_hi:[1,0,0]
	ds_read_b32 v0, v29 offset:104
	scratch_load_dwordx4 v[84:87], off, off offset:912 ; 16-byte Folded Reload
	scratch_load_dwordx4 v[88:91], off, off offset:928 ; 16-byte Folded Reload
	;; [unrolled: 1-line block ×8, first 2 shown]
	s_waitcnt lgkmcnt(3)
	v_pk_fma_f32 v[52:53], v[8:9], v[2:3], v[188:189] op_sel_hi:[0,1,1] neg_lo:[1,0,0] neg_hi:[1,0,0]
	v_mov_b32_e32 v47, v8
	v_mov_b32_e32 v48, v116
	;; [unrolled: 1-line block ×6, first 2 shown]
	s_waitcnt lgkmcnt(2)
	v_pk_fma_f32 v[166:167], v[8:9], v[4:5], v[190:191] op_sel_hi:[0,1,1] neg_lo:[1,0,0] neg_hi:[1,0,0]
	s_waitcnt lgkmcnt(1)
	v_pk_fma_f32 v[240:241], v[8:9], v[6:7], v[192:193] op_sel_hi:[0,1,1] neg_lo:[1,0,0] neg_hi:[1,0,0]
	v_mov_b32_e32 v201, v8
	v_mov_b32_e32 v202, v116
	;; [unrolled: 1-line block ×6, first 2 shown]
	s_waitcnt vmcnt(0)
	v_mov_b32_e32 v115, v8
	v_mov_b32_e32 v162, v116
	;; [unrolled: 1-line block ×9, first 2 shown]
	v_mov_b64_e32 v[64:65], v[84:85]
	v_mov_b64_e32 v[66:67], v[86:87]
	;; [unrolled: 1-line block ×8, first 2 shown]
	v_mov_b32_e32 v80, v100
	v_mov_b32_e32 v30, v64
	;; [unrolled: 1-line block ×18, first 2 shown]
	scratch_store_dwordx4 off, v[30:33], off offset:656 ; 16-byte Folded Spill
	s_nop 0
	scratch_store_dwordx4 off, v[34:37], off offset:672 ; 16-byte Folded Spill
	scratch_store_dwordx4 off, v[38:41], off offset:688 ; 16-byte Folded Spill
	;; [unrolled: 1-line block ×7, first 2 shown]
	v_mov_b32_e32 v118, v64
	v_mov_b32_e32 v119, v65
	;; [unrolled: 1-line block ×74, first 2 shown]
	scratch_store_dwordx4 off, v[118:121], off offset:400 ; 16-byte Folded Spill
	s_nop 0
	scratch_store_dwordx4 off, v[122:125], off offset:416 ; 16-byte Folded Spill
	scratch_store_dwordx4 off, v[126:129], off offset:432 ; 16-byte Folded Spill
	scratch_store_dwordx4 off, v[130:133], off offset:448 ; 16-byte Folded Spill
	scratch_store_dwordx4 off, v[134:137], off offset:464 ; 16-byte Folded Spill
	scratch_store_dwordx4 off, v[138:141], off offset:480 ; 16-byte Folded Spill
	scratch_store_dwordx4 off, v[142:145], off offset:496 ; 16-byte Folded Spill
	scratch_store_dwordx4 off, v[146:149], off offset:512 ; 16-byte Folded Spill
	scratch_load_dwordx2 v[2:3], off, off offset:8 ; 8-byte Folded Reload
	v_mov_b32_e32 v204, v52
	v_mov_b32_e32 v205, v53
	scratch_store_dwordx4 off, v[184:187], off offset:272 ; 16-byte Folded Spill
	s_nop 0
	scratch_store_dwordx4 off, v[188:191], off offset:288 ; 16-byte Folded Spill
	scratch_store_dwordx4 off, v[192:195], off offset:304 ; 16-byte Folded Spill
	;; [unrolled: 1-line block ×7, first 2 shown]
	v_mov_b32_e32 v118, v116
	v_mov_b32_e32 v144, v64
	;; [unrolled: 1-line block ×60, first 2 shown]
	scratch_store_dwordx4 off, v[64:67], off offset:1040 ; 16-byte Folded Spill
	s_nop 0
	scratch_store_dwordx4 off, v[68:71], off offset:1056 ; 16-byte Folded Spill
	scratch_store_dwordx4 off, v[72:75], off offset:1072 ; 16-byte Folded Spill
	;; [unrolled: 1-line block ×7, first 2 shown]
	v_mov_b32_e32 v214, v52
	v_mov_b32_e32 v185, v8
	;; [unrolled: 1-line block ×15, first 2 shown]
	s_waitcnt vmcnt(16) lgkmcnt(0)
	v_fma_f32 v26, -v8, v0, v3
	v_mov_b32_e32 v31, v26
	scratch_store_dwordx2 off, v[30:31], off offset:8 ; 8-byte Folded Spill
	scratch_store_dwordx4 off, v[98:101], off offset:784 ; 16-byte Folded Spill
	s_nop 0
	scratch_store_dwordx4 off, v[102:105], off offset:800 ; 16-byte Folded Spill
	scratch_store_dwordx4 off, v[106:109], off offset:816 ; 16-byte Folded Spill
	;; [unrolled: 1-line block ×8, first 2 shown]
	s_nop 0
	scratch_store_dwordx4 off, v[36:39], off offset:544 ; 16-byte Folded Spill
	scratch_store_dwordx4 off, v[40:43], off offset:560 ; 16-byte Folded Spill
	;; [unrolled: 1-line block ×7, first 2 shown]
	v_mov_b64_e32 v[0:1], v[216:217]
	v_mov_b32_e32 v194, v26
	v_mov_b32_e32 v110, v166
	;; [unrolled: 1-line block ×3, first 2 shown]
	v_mov_b64_e32 v[2:3], v[218:219]
	v_mov_b64_e32 v[4:5], v[220:221]
	;; [unrolled: 1-line block ×7, first 2 shown]
	v_mov_b32_e32 v216, v240
	scratch_store_dwordx4 off, v[0:3], off offset:144 ; 16-byte Folded Spill
	s_nop 0
	scratch_store_dwordx4 off, v[4:7], off offset:160 ; 16-byte Folded Spill
	scratch_store_dwordx4 off, v[8:11], off offset:176 ; 16-byte Folded Spill
	;; [unrolled: 1-line block ×7, first 2 shown]
	v_mov_b32_e32 v103, v117
	v_mov_b32_e32 v215, v53
.LBB52_304:
	s_or_b64 exec, exec, s[0:1]
	s_waitcnt vmcnt(0)
	v_lshl_add_u32 v27, v209, 2, v29
	s_barrier
	ds_write_b32 v27, v118
	s_waitcnt lgkmcnt(0)
	s_barrier
	ds_read_b32 v27, v29 offset:72
	s_cmp_lt_i32 s14, 20
	v_mov_b32_e32 v28, 18
	s_cbranch_scc1 .LBB52_307
; %bb.305:
	v_add_u32_e32 v29, 0x4c, v29
	v_mov_b32_e32 v28, 18
	s_mov_b32 s0, 19
.LBB52_306:                             ; =>This Inner Loop Header: Depth=1
	ds_read_b32 v30, v29
	v_mov_b32_e32 v31, s0
	s_add_i32 s0, s0, 1
	v_add_u32_e32 v29, 4, v29
	s_cmp_lg_u32 s14, s0
	s_waitcnt lgkmcnt(0)
	v_cmp_lt_f32_e64 vcc, |v27|, |v30|
	s_nop 1
	v_cndmask_b32_e32 v27, v27, v30, vcc
	v_cndmask_b32_e32 v28, v28, v31, vcc
	s_cbranch_scc1 .LBB52_306
.LBB52_307:
	s_waitcnt lgkmcnt(0)
	v_cmp_eq_f32_e32 vcc, 0, v27
	s_and_saveexec_b64 s[0:1], vcc
	s_xor_b64 s[0:1], exec, s[0:1]
	s_cbranch_execz .LBB52_309
; %bb.308:
	scratch_load_dword v0, off, off offset:16 ; 4-byte Folded Reload
	s_waitcnt vmcnt(0)
	v_cmp_ne_u32_e32 vcc, 0, v0
	s_nop 1
	v_cndmask_b32_e32 v0, 19, v0, vcc
	scratch_store_dword off, v0, off offset:16 ; 4-byte Folded Spill
.LBB52_309:
	s_andn2_saveexec_b64 s[0:1], s[0:1]
	s_cbranch_execz .LBB52_311
; %bb.310:
	v_div_scale_f32 v29, s[2:3], v27, v27, 1.0
	v_rcp_f32_e32 v30, v29
	v_div_scale_f32 v31, vcc, 1.0, v27, 1.0
	v_fma_f32 v55, -v29, v30, 1.0
	v_fmac_f32_e32 v30, v55, v30
	v_mul_f32_e32 v55, v31, v30
	v_fma_f32 v56, -v29, v55, v31
	v_fmac_f32_e32 v55, v56, v30
	v_fma_f32 v29, -v29, v55, v31
	v_div_fmas_f32 v29, v29, v30, v55
	v_div_fixup_f32 v27, v29, v27, 1.0
.LBB52_311:
	s_or_b64 exec, exec, s[0:1]
	v_cmp_ne_u32_e32 vcc, v209, v28
	s_mov_b64 s[0:1], exec
	scratch_load_dword v29, off, off offset:4 ; 4-byte Folded Reload
	s_and_b64 s[2:3], s[0:1], vcc
	s_xor_b64 s[0:1], s[2:3], s[0:1]
	s_mov_b64 exec, s[2:3]
	s_cbranch_execz .LBB52_317
; %bb.312:
	v_cmp_eq_u32_e32 vcc, 18, v209
	s_and_saveexec_b64 s[2:3], vcc
	s_cbranch_execz .LBB52_316
; %bb.313:
	v_cmp_ne_u32_e32 vcc, 18, v28
	s_xor_b64 s[18:19], s[16:17], -1
	s_and_b64 s[20:21], s[18:19], vcc
	s_and_saveexec_b64 s[18:19], s[20:21]
	s_cbranch_execz .LBB52_315
; %bb.314:
	scratch_load_dwordx2 v[56:57], off, off offset:3608 ; 8-byte Folded Reload
	s_waitcnt vmcnt(1)
	v_ashrrev_i32_e32 v29, 31, v28
	s_waitcnt vmcnt(0)
	v_lshl_add_u64 v[30:31], v[28:29], 2, v[56:57]
	global_load_dword v29, v[30:31], off
	global_load_dword v55, v[56:57], off offset:72
	s_waitcnt vmcnt(1)
	global_store_dword v[56:57], v29, off offset:72
	s_waitcnt vmcnt(1)
	global_store_dword v[30:31], v55, off
	scratch_load_dword v29, off, off offset:4 ; 4-byte Folded Reload
.LBB52_315:
	s_or_b64 exec, exec, s[18:19]
	v_mov_b32_e32 v30, v28
	v_mov_b32_e32 v209, v28
	scratch_store_dword off, v30, off offset:1296 ; 4-byte Folded Spill
.LBB52_316:
	s_or_b64 exec, exec, s[2:3]
.LBB52_317:
	s_andn2_saveexec_b64 s[0:1], s[0:1]
	s_cbranch_execz .LBB52_319
; %bb.318:
	v_mov_b32_e32 v209, 18
	s_waitcnt vmcnt(0)
	ds_write2_b32 v29, v187, v188 offset0:19 offset1:20
	ds_write2_b32 v29, v189, v190 offset0:21 offset1:22
	;; [unrolled: 1-line block ×4, first 2 shown]
.LBB52_319:
	s_or_b64 exec, exec, s[0:1]
	v_cmp_lt_i32_e32 vcc, 18, v209
	s_waitcnt lgkmcnt(0)
	s_barrier
	s_and_saveexec_b64 s[0:1], vcc
	s_cbranch_execz .LBB52_321
; %bb.320:
	scratch_load_dwordx4 v[32:35], off, off offset:1040 ; 16-byte Folded Reload
	scratch_load_dwordx4 v[36:39], off, off offset:1056 ; 16-byte Folded Reload
	;; [unrolled: 1-line block ×8, first 2 shown]
	s_waitcnt vmcnt(8)
	ds_read2_b32 v[0:1], v29 offset0:19 offset1:20
	ds_read2_b32 v[4:5], v29 offset0:21 offset1:22
	;; [unrolled: 1-line block ×4, first 2 shown]
	s_waitcnt vmcnt(3)
	v_mul_f32_e32 v50, v118, v27
	v_mov_b32_e32 v2, v187
	v_mov_b32_e32 v3, v188
	;; [unrolled: 1-line block ×9, first 2 shown]
	s_waitcnt lgkmcnt(3)
	v_pk_fma_f32 v[28:29], v[50:51], v[0:1], v[2:3] op_sel_hi:[0,1,1] neg_lo:[1,0,0] neg_hi:[1,0,0]
	v_mov_b32_e32 v0, v189
	v_mov_b32_e32 v1, v190
	s_waitcnt lgkmcnt(2)
	v_pk_fma_f32 v[30:31], v[50:51], v[4:5], v[0:1] op_sel_hi:[0,1,1] neg_lo:[1,0,0] neg_hi:[1,0,0]
	v_mov_b32_e32 v0, v191
	v_mov_b32_e32 v1, v192
	s_waitcnt vmcnt(1) lgkmcnt(1)
	v_pk_fma_f32 v[56:57], v[50:51], v[6:7], v[0:1] op_sel_hi:[0,1,1] neg_lo:[1,0,0] neg_hi:[1,0,0]
	v_mov_b32_e32 v0, v193
	v_mov_b32_e32 v1, v194
	s_waitcnt lgkmcnt(0)
	v_pk_fma_f32 v[26:27], v[50:51], v[8:9], v[0:1] op_sel_hi:[0,1,1] neg_lo:[1,0,0] neg_hi:[1,0,0]
	v_mov_b32_e32 v0, v32
	v_mov_b32_e32 v1, v33
	;; [unrolled: 1-line block ×19, first 2 shown]
	scratch_store_dwordx4 off, v[0:3], off offset:528 ; 16-byte Folded Spill
	s_nop 0
	scratch_store_dwordx4 off, v[4:7], off offset:544 ; 16-byte Folded Spill
	scratch_store_dwordx4 off, v[8:11], off offset:560 ; 16-byte Folded Spill
	;; [unrolled: 1-line block ×7, first 2 shown]
	v_mov_b32_e32 v146, v34
	v_mov_b32_e32 v147, v35
	;; [unrolled: 1-line block ×37, first 2 shown]
	scratch_store_dwordx4 off, v[0:3], off offset:400 ; 16-byte Folded Spill
	s_nop 0
	scratch_store_dwordx4 off, v[4:7], off offset:416 ; 16-byte Folded Spill
	scratch_store_dwordx4 off, v[8:11], off offset:432 ; 16-byte Folded Spill
	;; [unrolled: 1-line block ×7, first 2 shown]
	v_mov_b32_e32 v23, v56
	v_mov_b32_e32 v22, v31
	;; [unrolled: 1-line block ×6, first 2 shown]
	scratch_store_dwordx4 off, v[0:3], off offset:272 ; 16-byte Folded Spill
	s_nop 0
	scratch_store_dwordx4 off, v[4:7], off offset:288 ; 16-byte Folded Spill
	scratch_store_dwordx4 off, v[8:11], off offset:304 ; 16-byte Folded Spill
	;; [unrolled: 1-line block ×7, first 2 shown]
	s_nop 0
	v_mov_b32_e32 v24, v57
	scratch_store_dwordx4 off, v[0:3], off offset:144 ; 16-byte Folded Spill
	s_nop 0
	scratch_store_dwordx4 off, v[4:7], off offset:160 ; 16-byte Folded Spill
	scratch_store_dwordx4 off, v[8:11], off offset:176 ; 16-byte Folded Spill
	;; [unrolled: 1-line block ×7, first 2 shown]
	scratch_store_dwordx2 off, v[26:27], off offset:8 ; 8-byte Folded Spill
	scratch_store_dwordx4 off, v[32:35], off offset:656 ; 16-byte Folded Spill
	s_nop 0
	scratch_store_dwordx4 off, v[36:39], off offset:672 ; 16-byte Folded Spill
	scratch_store_dwordx4 off, v[40:43], off offset:688 ; 16-byte Folded Spill
	;; [unrolled: 1-line block ×6, first 2 shown]
	s_waitcnt vmcnt(40)
	scratch_store_dwordx4 off, v[60:63], off offset:768 ; 16-byte Folded Spill
	scratch_store_dwordx4 off, v[32:35], off offset:784 ; 16-byte Folded Spill
	s_nop 0
	scratch_store_dwordx4 off, v[36:39], off offset:800 ; 16-byte Folded Spill
	scratch_store_dwordx4 off, v[40:43], off offset:816 ; 16-byte Folded Spill
	;; [unrolled: 1-line block ×7, first 2 shown]
	v_mov_b32_e32 v188, v29
	v_mov_b32_e32 v214, v29
	scratch_load_dword v29, off, off offset:4 ; 4-byte Folded Reload
	v_mov_b32_e32 v187, v28
	v_mov_b32_e32 v189, v30
	;; [unrolled: 1-line block ×10, first 2 shown]
.LBB52_321:
	s_or_b64 exec, exec, s[0:1]
	s_waitcnt vmcnt(0)
	v_lshl_add_u32 v27, v209, 2, v29
	s_barrier
	ds_write_b32 v27, v103
	s_waitcnt lgkmcnt(0)
	s_barrier
	ds_read_b32 v27, v29 offset:76
	s_cmp_lt_i32 s14, 21
	v_mov_b32_e32 v28, 19
	s_cbranch_scc1 .LBB52_324
; %bb.322:
	v_add_u32_e32 v29, 0x50, v29
	v_mov_b32_e32 v28, 19
	s_mov_b32 s0, 20
.LBB52_323:                             ; =>This Inner Loop Header: Depth=1
	ds_read_b32 v30, v29
	v_mov_b32_e32 v31, s0
	s_add_i32 s0, s0, 1
	v_add_u32_e32 v29, 4, v29
	s_cmp_lg_u32 s14, s0
	s_waitcnt lgkmcnt(0)
	v_cmp_lt_f32_e64 vcc, |v27|, |v30|
	s_nop 1
	v_cndmask_b32_e32 v27, v27, v30, vcc
	v_cndmask_b32_e32 v28, v28, v31, vcc
	s_cbranch_scc1 .LBB52_323
.LBB52_324:
	s_waitcnt lgkmcnt(0)
	v_cmp_eq_f32_e32 vcc, 0, v27
	s_and_saveexec_b64 s[0:1], vcc
	s_xor_b64 s[0:1], exec, s[0:1]
	s_cbranch_execz .LBB52_326
; %bb.325:
	scratch_load_dword v0, off, off offset:16 ; 4-byte Folded Reload
	s_waitcnt vmcnt(0)
	v_cmp_ne_u32_e32 vcc, 0, v0
	s_nop 1
	v_cndmask_b32_e32 v0, 20, v0, vcc
	scratch_store_dword off, v0, off offset:16 ; 4-byte Folded Spill
.LBB52_326:
	s_andn2_saveexec_b64 s[0:1], s[0:1]
	s_cbranch_execz .LBB52_328
; %bb.327:
	v_div_scale_f32 v29, s[2:3], v27, v27, 1.0
	v_rcp_f32_e32 v30, v29
	v_div_scale_f32 v31, vcc, 1.0, v27, 1.0
	v_fma_f32 v55, -v29, v30, 1.0
	v_fmac_f32_e32 v30, v55, v30
	v_mul_f32_e32 v55, v31, v30
	v_fma_f32 v56, -v29, v55, v31
	v_fmac_f32_e32 v55, v56, v30
	v_fma_f32 v29, -v29, v55, v31
	v_div_fmas_f32 v29, v29, v30, v55
	v_div_fixup_f32 v27, v29, v27, 1.0
.LBB52_328:
	s_or_b64 exec, exec, s[0:1]
	v_cmp_ne_u32_e32 vcc, v209, v28
	s_mov_b64 s[0:1], exec
	scratch_load_dword v29, off, off offset:4 ; 4-byte Folded Reload
	s_and_b64 s[2:3], s[0:1], vcc
	s_xor_b64 s[0:1], s[2:3], s[0:1]
	s_mov_b64 exec, s[2:3]
	s_cbranch_execz .LBB52_334
; %bb.329:
	v_cmp_eq_u32_e32 vcc, 19, v209
	s_and_saveexec_b64 s[2:3], vcc
	s_cbranch_execz .LBB52_333
; %bb.330:
	v_cmp_ne_u32_e32 vcc, 19, v28
	s_xor_b64 s[18:19], s[16:17], -1
	s_and_b64 s[20:21], s[18:19], vcc
	s_and_saveexec_b64 s[18:19], s[20:21]
	s_cbranch_execz .LBB52_332
; %bb.331:
	scratch_load_dwordx2 v[56:57], off, off offset:3608 ; 8-byte Folded Reload
	s_waitcnt vmcnt(1)
	v_ashrrev_i32_e32 v29, 31, v28
	s_waitcnt vmcnt(0)
	v_lshl_add_u64 v[30:31], v[28:29], 2, v[56:57]
	global_load_dword v29, v[30:31], off
	global_load_dword v55, v[56:57], off offset:76
	s_waitcnt vmcnt(1)
	global_store_dword v[56:57], v29, off offset:76
	s_waitcnt vmcnt(1)
	global_store_dword v[30:31], v55, off
	scratch_load_dword v29, off, off offset:4 ; 4-byte Folded Reload
.LBB52_332:
	s_or_b64 exec, exec, s[18:19]
	v_mov_b32_e32 v30, v28
	v_mov_b32_e32 v209, v28
	scratch_store_dword off, v30, off offset:1296 ; 4-byte Folded Spill
.LBB52_333:
	s_or_b64 exec, exec, s[2:3]
.LBB52_334:
	s_andn2_saveexec_b64 s[0:1], s[0:1]
	s_cbranch_execz .LBB52_336
; %bb.335:
	s_waitcnt vmcnt(0)
	ds_write2_b32 v29, v188, v189 offset0:20 offset1:21
	ds_write2_b32 v29, v190, v191 offset0:22 offset1:23
	;; [unrolled: 1-line block ×3, first 2 shown]
	scratch_load_dwordx2 v[30:31], off, off offset:8 ; 8-byte Folded Reload
	v_mov_b32_e32 v209, 19
	s_waitcnt vmcnt(0)
	ds_write_b32 v29, v31 offset:104
.LBB52_336:
	s_or_b64 exec, exec, s[0:1]
	v_cmp_lt_i32_e32 vcc, 19, v209
	s_waitcnt lgkmcnt(0)
	s_barrier
	s_and_saveexec_b64 s[0:1], vcc
	s_cbranch_execz .LBB52_338
; %bb.337:
	s_waitcnt vmcnt(0)
	ds_read2_b32 v[0:1], v29 offset0:20 offset1:21
	ds_read2_b32 v[2:3], v29 offset0:22 offset1:23
	;; [unrolled: 1-line block ×3, first 2 shown]
	ds_read_b32 v6, v29 offset:104
	v_mul_f32_e32 v28, v103, v27
	s_waitcnt lgkmcnt(3)
	v_pk_fma_f32 v[52:53], v[28:29], v[0:1], v[188:189] op_sel_hi:[0,1,1] neg_lo:[1,0,0] neg_hi:[1,0,0]
	scratch_load_dwordx2 v[0:1], off, off offset:8 ; 8-byte Folded Reload
	scratch_load_dwordx4 v[84:87], off, off offset:784 ; 16-byte Folded Reload
	scratch_load_dwordx4 v[88:91], off, off offset:800 ; 16-byte Folded Reload
	;; [unrolled: 1-line block ×8, first 2 shown]
	s_waitcnt lgkmcnt(2)
	v_pk_fma_f32 v[166:167], v[28:29], v[2:3], v[190:191] op_sel_hi:[0,1,1] neg_lo:[1,0,0] neg_hi:[1,0,0]
	s_waitcnt lgkmcnt(1)
	v_pk_fma_f32 v[24:25], v[28:29], v[4:5], v[192:193] op_sel_hi:[0,1,1] neg_lo:[1,0,0] neg_hi:[1,0,0]
	v_mov_b32_e32 v19, v28
	v_mov_b32_e32 v20, v52
	;; [unrolled: 1-line block ×12, first 2 shown]
	s_waitcnt vmcnt(1)
	v_mov_b32_e32 v110, v166
	v_mov_b32_e32 v111, v167
	v_mov_b64_e32 v[54:55], v[84:85]
	v_mov_b32_e32 v70, v100
	v_mov_b64_e32 v[56:57], v[86:87]
	v_mov_b64_e32 v[58:59], v[88:89]
	;; [unrolled: 1-line block ×7, first 2 shown]
	v_mov_b32_e32 v71, v101
	v_mov_b32_e32 v72, v102
	s_waitcnt lgkmcnt(0)
	v_fma_f32 v194, -v28, v6, v1
	v_mov_b32_e32 v0, v54
	v_mov_b32_e32 v1, v55
	;; [unrolled: 1-line block ×19, first 2 shown]
	scratch_store_dwordx4 off, v[0:3], off offset:400 ; 16-byte Folded Spill
	s_nop 0
	scratch_store_dwordx4 off, v[4:7], off offset:416 ; 16-byte Folded Spill
	scratch_store_dwordx4 off, v[8:11], off offset:432 ; 16-byte Folded Spill
	;; [unrolled: 1-line block ×7, first 2 shown]
	v_mov_b32_e32 v22, v166
	v_mov_b32_e32 v23, v167
	;; [unrolled: 1-line block ×60, first 2 shown]
	scratch_store_dwordx4 off, v[0:3], off offset:272 ; 16-byte Folded Spill
	s_nop 0
	scratch_store_dwordx4 off, v[4:7], off offset:288 ; 16-byte Folded Spill
	scratch_store_dwordx4 off, v[8:11], off offset:304 ; 16-byte Folded Spill
	;; [unrolled: 1-line block ×8, first 2 shown]
	s_nop 0
	scratch_store_dwordx4 off, v[58:61], off offset:672 ; 16-byte Folded Spill
	scratch_store_dwordx4 off, v[62:65], off offset:688 ; 16-byte Folded Spill
	;; [unrolled: 1-line block ×7, first 2 shown]
	v_mov_b32_e32 v31, v194
	v_mov_b32_e32 v30, v25
	scratch_store_dwordx2 off, v[30:31], off offset:8 ; 8-byte Folded Spill
	scratch_store_dwordx4 off, v[32:35], off offset:528 ; 16-byte Folded Spill
	s_nop 0
	scratch_store_dwordx4 off, v[36:39], off offset:544 ; 16-byte Folded Spill
	scratch_store_dwordx4 off, v[40:43], off offset:560 ; 16-byte Folded Spill
	scratch_store_dwordx4 off, v[44:47], off offset:576 ; 16-byte Folded Spill
	scratch_store_dwordx4 off, v[48:51], off offset:592 ; 16-byte Folded Spill
	scratch_store_dwordx4 off, v[52:55], off offset:608 ; 16-byte Folded Spill
	scratch_store_dwordx4 off, v[56:59], off offset:624 ; 16-byte Folded Spill
	scratch_store_dwordx4 off, v[60:63], off offset:640 ; 16-byte Folded Spill
	v_mov_b64_e32 v[44:45], v[14:15]
	v_mov_b32_e32 v187, v28
	v_mov_b32_e32 v192, v24
	;; [unrolled: 1-line block ×3, first 2 shown]
	v_mov_b64_e32 v[42:43], v[12:13]
	v_mov_b64_e32 v[40:41], v[10:11]
	;; [unrolled: 1-line block ×7, first 2 shown]
	v_mov_b32_e32 v216, v24
	v_mov_b32_e32 v215, v53
	;; [unrolled: 1-line block ×11, first 2 shown]
	scratch_store_dwordx4 off, v[30:33], off offset:144 ; 16-byte Folded Spill
	s_nop 0
	scratch_store_dwordx4 off, v[34:37], off offset:160 ; 16-byte Folded Spill
	scratch_store_dwordx4 off, v[38:41], off offset:176 ; 16-byte Folded Spill
	;; [unrolled: 1-line block ×7, first 2 shown]
.LBB52_338:
	s_or_b64 exec, exec, s[0:1]
	s_waitcnt vmcnt(0)
	v_lshl_add_u32 v27, v209, 2, v29
	s_barrier
	ds_write_b32 v27, v214
	s_waitcnt lgkmcnt(0)
	s_barrier
	ds_read_b32 v27, v29 offset:80
	s_cmp_lt_i32 s14, 22
	v_mov_b32_e32 v28, 20
	s_cbranch_scc1 .LBB52_341
; %bb.339:
	v_add_u32_e32 v29, 0x54, v29
	v_mov_b32_e32 v28, 20
	s_mov_b32 s0, 21
.LBB52_340:                             ; =>This Inner Loop Header: Depth=1
	ds_read_b32 v30, v29
	v_mov_b32_e32 v31, s0
	s_add_i32 s0, s0, 1
	v_add_u32_e32 v29, 4, v29
	s_cmp_lg_u32 s14, s0
	s_waitcnt lgkmcnt(0)
	v_cmp_lt_f32_e64 vcc, |v27|, |v30|
	s_nop 1
	v_cndmask_b32_e32 v27, v27, v30, vcc
	v_cndmask_b32_e32 v28, v28, v31, vcc
	s_cbranch_scc1 .LBB52_340
.LBB52_341:
	s_waitcnt lgkmcnt(0)
	v_cmp_eq_f32_e32 vcc, 0, v27
	s_and_saveexec_b64 s[0:1], vcc
	s_xor_b64 s[0:1], exec, s[0:1]
	s_cbranch_execz .LBB52_343
; %bb.342:
	scratch_load_dword v0, off, off offset:16 ; 4-byte Folded Reload
	s_waitcnt vmcnt(0)
	v_cmp_ne_u32_e32 vcc, 0, v0
	s_nop 1
	v_cndmask_b32_e32 v0, 21, v0, vcc
	scratch_store_dword off, v0, off offset:16 ; 4-byte Folded Spill
.LBB52_343:
	s_andn2_saveexec_b64 s[0:1], s[0:1]
	s_cbranch_execz .LBB52_345
; %bb.344:
	v_div_scale_f32 v29, s[2:3], v27, v27, 1.0
	v_rcp_f32_e32 v30, v29
	v_div_scale_f32 v31, vcc, 1.0, v27, 1.0
	v_fma_f32 v55, -v29, v30, 1.0
	v_fmac_f32_e32 v30, v55, v30
	v_mul_f32_e32 v55, v31, v30
	v_fma_f32 v56, -v29, v55, v31
	v_fmac_f32_e32 v55, v56, v30
	v_fma_f32 v29, -v29, v55, v31
	v_div_fmas_f32 v29, v29, v30, v55
	v_div_fixup_f32 v27, v29, v27, 1.0
.LBB52_345:
	s_or_b64 exec, exec, s[0:1]
	v_cmp_ne_u32_e32 vcc, v209, v28
	s_mov_b64 s[0:1], exec
	scratch_load_dword v29, off, off offset:4 ; 4-byte Folded Reload
	s_and_b64 s[2:3], s[0:1], vcc
	s_xor_b64 s[0:1], s[2:3], s[0:1]
	s_mov_b64 exec, s[2:3]
	s_cbranch_execz .LBB52_351
; %bb.346:
	v_cmp_eq_u32_e32 vcc, 20, v209
	s_and_saveexec_b64 s[2:3], vcc
	s_cbranch_execz .LBB52_350
; %bb.347:
	v_cmp_ne_u32_e32 vcc, 20, v28
	s_xor_b64 s[18:19], s[16:17], -1
	s_and_b64 s[20:21], s[18:19], vcc
	s_and_saveexec_b64 s[18:19], s[20:21]
	s_cbranch_execz .LBB52_349
; %bb.348:
	scratch_load_dwordx2 v[56:57], off, off offset:3608 ; 8-byte Folded Reload
	s_waitcnt vmcnt(1)
	v_ashrrev_i32_e32 v29, 31, v28
	s_waitcnt vmcnt(0)
	v_lshl_add_u64 v[30:31], v[28:29], 2, v[56:57]
	global_load_dword v29, v[30:31], off
	global_load_dword v55, v[56:57], off offset:80
	s_waitcnt vmcnt(1)
	global_store_dword v[56:57], v29, off offset:80
	s_waitcnt vmcnt(1)
	global_store_dword v[30:31], v55, off
	scratch_load_dword v29, off, off offset:4 ; 4-byte Folded Reload
.LBB52_349:
	s_or_b64 exec, exec, s[18:19]
	v_mov_b32_e32 v30, v28
	v_mov_b32_e32 v209, v28
	scratch_store_dword off, v30, off offset:1296 ; 4-byte Folded Spill
.LBB52_350:
	s_or_b64 exec, exec, s[2:3]
.LBB52_351:
	s_or_saveexec_b64 s[0:1], s[0:1]
	v_mov_b64_e32 v[32:33], v[144:145]
	v_mov_b32_e32 v48, v160
	v_mov_b64_e32 v[34:35], v[146:147]
	v_mov_b64_e32 v[36:37], v[148:149]
	;; [unrolled: 1-line block ×7, first 2 shown]
	v_mov_b32_e32 v49, v161
	v_mov_b32_e32 v50, v162
	;; [unrolled: 1-line block ×6, first 2 shown]
	s_xor_b64 exec, exec, s[0:1]
	s_cbranch_execz .LBB52_353
; %bb.352:
	v_mov_b32_e32 v209, 20
	s_waitcnt vmcnt(0)
	ds_write2_b32 v29, v189, v190 offset0:21 offset1:22
	ds_write2_b32 v29, v191, v192 offset0:23 offset1:24
	;; [unrolled: 1-line block ×3, first 2 shown]
.LBB52_353:
	s_or_b64 exec, exec, s[0:1]
	v_mov_b64_e32 v[0:1], v[168:169]
	v_mov_b32_e32 v16, v184
	v_mov_b64_e32 v[2:3], v[170:171]
	v_mov_b64_e32 v[4:5], v[172:173]
	;; [unrolled: 1-line block ×7, first 2 shown]
	v_mov_b32_e32 v17, v185
	v_mov_b32_e32 v18, v186
	;; [unrolled: 1-line block ×10, first 2 shown]
	v_cmp_lt_i32_e32 vcc, 20, v209
	s_waitcnt lgkmcnt(0)
	s_barrier
	s_and_saveexec_b64 s[0:1], vcc
	s_cbranch_execz .LBB52_355
; %bb.354:
	scratch_load_dwordx4 v[160:163], off, off offset:656 ; 16-byte Folded Reload
	scratch_load_dwordx4 v[164:167], off, off offset:672 ; 16-byte Folded Reload
	;; [unrolled: 1-line block ×8, first 2 shown]
	s_waitcnt vmcnt(8)
	ds_read2_b32 v[0:1], v29 offset0:21 offset1:22
	ds_read2_b32 v[4:5], v29 offset0:23 offset1:24
	ds_read2_b32 v[6:7], v29 offset0:25 offset1:26
	s_waitcnt vmcnt(2)
	v_mul_f32_e32 v180, v214, v27
	v_mov_b32_e32 v2, v21
	v_mov_b32_e32 v3, v22
	;; [unrolled: 1-line block ×6, first 2 shown]
	s_waitcnt lgkmcnt(2)
	v_pk_fma_f32 v[56:57], v[180:181], v[0:1], v[2:3] op_sel_hi:[0,1,1] neg_lo:[1,0,0] neg_hi:[1,0,0]
	v_mov_b32_e32 v0, v23
	v_mov_b32_e32 v1, v24
	s_waitcnt lgkmcnt(1)
	v_pk_fma_f32 v[58:59], v[180:181], v[4:5], v[0:1] op_sel_hi:[0,1,1] neg_lo:[1,0,0] neg_hi:[1,0,0]
	v_mov_b32_e32 v0, v25
	v_mov_b32_e32 v1, v26
	;; [unrolled: 1-line block ×3, first 2 shown]
	s_waitcnt lgkmcnt(0)
	v_pk_fma_f32 v[26:27], v[180:181], v[6:7], v[0:1] op_sel_hi:[0,1,1] neg_lo:[1,0,0] neg_hi:[1,0,0]
	v_mov_b32_e32 v0, v160
	v_mov_b32_e32 v1, v161
	;; [unrolled: 1-line block ×18, first 2 shown]
	v_mov_b64_e32 v[46:47], v[14:15]
	v_mov_b32_e32 v54, v22
	v_mov_b32_e32 v23, v58
	v_mov_b64_e32 v[44:45], v[12:13]
	v_mov_b64_e32 v[42:43], v[10:11]
	;; [unrolled: 1-line block ×7, first 2 shown]
	v_mov_b32_e32 v53, v21
	v_mov_b32_e32 v52, v20
	;; [unrolled: 1-line block ×6, first 2 shown]
	scratch_store_dwordx4 off, v[0:3], off offset:272 ; 16-byte Folded Spill
	s_nop 0
	scratch_store_dwordx4 off, v[4:7], off offset:288 ; 16-byte Folded Spill
	scratch_store_dwordx4 off, v[8:11], off offset:304 ; 16-byte Folded Spill
	scratch_store_dwordx4 off, v[12:15], off offset:320 ; 16-byte Folded Spill
	scratch_store_dwordx4 off, v[16:19], off offset:336 ; 16-byte Folded Spill
	scratch_store_dwordx4 off, v[20:23], off offset:352 ; 16-byte Folded Spill
	scratch_store_dwordx4 off, v[24:27], off offset:368 ; 16-byte Folded Spill
	scratch_store_dwordx4 off, v[28:31], off offset:384 ; 16-byte Folded Spill
	v_mov_b32_e32 v181, v56
	v_mov_b32_e32 v24, v59
	;; [unrolled: 1-line block ×6, first 2 shown]
	scratch_store_dwordx4 off, v[0:3], off offset:144 ; 16-byte Folded Spill
	s_nop 0
	scratch_store_dwordx4 off, v[4:7], off offset:160 ; 16-byte Folded Spill
	scratch_store_dwordx4 off, v[8:11], off offset:176 ; 16-byte Folded Spill
	;; [unrolled: 1-line block ×7, first 2 shown]
	scratch_load_dword v29, off, off offset:4 ; 4-byte Folded Reload
	v_mov_b32_e32 v25, v26
	scratch_store_dwordx2 off, v[26:27], off offset:8 ; 8-byte Folded Spill
	v_mov_b32_e32 v26, v27
	scratch_store_dwordx4 off, v[160:163], off offset:400 ; 16-byte Folded Spill
	s_nop 0
	scratch_store_dwordx4 off, v[164:167], off offset:416 ; 16-byte Folded Spill
	scratch_store_dwordx4 off, v[168:171], off offset:432 ; 16-byte Folded Spill
	;; [unrolled: 1-line block ×5, first 2 shown]
	s_waitcnt vmcnt(25)
	scratch_store_dwordx4 off, v[184:187], off offset:496 ; 16-byte Folded Spill
	s_waitcnt vmcnt(25)
	scratch_store_dwordx4 off, v[188:191], off offset:512 ; 16-byte Folded Spill
	scratch_store_dwordx4 off, v[160:163], off offset:528 ; 16-byte Folded Spill
	s_nop 0
	scratch_store_dwordx4 off, v[164:167], off offset:544 ; 16-byte Folded Spill
	scratch_store_dwordx4 off, v[168:171], off offset:560 ; 16-byte Folded Spill
	;; [unrolled: 1-line block ×7, first 2 shown]
.LBB52_355:
	s_or_b64 exec, exec, s[0:1]
	s_waitcnt vmcnt(0)
	v_lshl_add_u32 v27, v209, 2, v29
	s_barrier
	ds_write_b32 v27, v215
	s_waitcnt lgkmcnt(0)
	s_barrier
	ds_read_b32 v27, v29 offset:84
	s_cmp_lt_i32 s14, 23
	v_mov_b32_e32 v28, 21
	s_cbranch_scc1 .LBB52_450
; %bb.356:
	v_mov_b64_e32 v[174:175], v[46:47]
	v_mov_b32_e32 v182, v54
	v_add_u32_e32 v29, 0x58, v29
	v_mov_b32_e32 v28, 21
	s_mov_b32 s0, 22
	v_mov_b64_e32 v[172:173], v[44:45]
	v_mov_b64_e32 v[170:171], v[42:43]
	;; [unrolled: 1-line block ×7, first 2 shown]
	v_mov_b32_e32 v181, v53
	v_mov_b32_e32 v180, v52
	;; [unrolled: 1-line block ×6, first 2 shown]
.LBB52_357:                             ; =>This Inner Loop Header: Depth=1
	ds_read_b32 v30, v29
	v_mov_b32_e32 v31, s0
	s_add_i32 s0, s0, 1
	v_add_u32_e32 v29, 4, v29
	s_cmp_lg_u32 s14, s0
	s_waitcnt lgkmcnt(0)
	v_cmp_lt_f32_e64 vcc, |v27|, |v30|
	s_nop 1
	v_cndmask_b32_e32 v27, v27, v30, vcc
	v_cndmask_b32_e32 v28, v28, v31, vcc
	s_cbranch_scc1 .LBB52_357
; %bb.358:
	v_cmp_eq_f32_e32 vcc, 0, v27
	s_and_saveexec_b64 s[0:1], vcc
	s_xor_b64 s[0:1], exec, s[0:1]
	s_cbranch_execz .LBB52_360
.LBB52_359:
	scratch_load_dword v29, off, off offset:16 ; 4-byte Folded Reload
	s_waitcnt vmcnt(0)
	v_cmp_ne_u32_e32 vcc, 0, v29
	s_nop 1
	v_cndmask_b32_e32 v29, 22, v29, vcc
	scratch_store_dword off, v29, off offset:16 ; 4-byte Folded Spill
.LBB52_360:
	s_andn2_saveexec_b64 s[0:1], s[0:1]
	s_cbranch_execz .LBB52_362
; %bb.361:
	v_div_scale_f32 v29, s[2:3], v27, v27, 1.0
	v_rcp_f32_e32 v30, v29
	v_div_scale_f32 v31, vcc, 1.0, v27, 1.0
	v_fma_f32 v55, -v29, v30, 1.0
	v_fmac_f32_e32 v30, v55, v30
	v_mul_f32_e32 v55, v31, v30
	v_fma_f32 v56, -v29, v55, v31
	v_fmac_f32_e32 v55, v56, v30
	v_fma_f32 v29, -v29, v55, v31
	v_div_fmas_f32 v29, v29, v30, v55
	v_div_fixup_f32 v27, v29, v27, 1.0
.LBB52_362:
	s_or_b64 exec, exec, s[0:1]
	v_cmp_ne_u32_e32 vcc, v209, v28
	s_mov_b64 s[0:1], exec
	scratch_load_dword v31, off, off offset:4 ; 4-byte Folded Reload
	s_and_b64 s[2:3], s[0:1], vcc
	s_xor_b64 s[0:1], s[2:3], s[0:1]
	s_mov_b64 exec, s[2:3]
	s_cbranch_execz .LBB52_368
; %bb.363:
	v_cmp_eq_u32_e32 vcc, 21, v209
	s_and_saveexec_b64 s[2:3], vcc
	s_cbranch_execz .LBB52_367
; %bb.364:
	v_cmp_ne_u32_e32 vcc, 21, v28
	s_xor_b64 s[18:19], s[16:17], -1
	s_and_b64 s[20:21], s[18:19], vcc
	s_and_saveexec_b64 s[18:19], s[20:21]
	s_cbranch_execz .LBB52_366
; %bb.365:
	scratch_load_dwordx2 v[56:57], off, off offset:3608 ; 8-byte Folded Reload
	v_ashrrev_i32_e32 v29, 31, v28
	s_waitcnt vmcnt(0)
	v_lshl_add_u64 v[30:31], v[28:29], 2, v[56:57]
	global_load_dword v29, v[30:31], off
	global_load_dword v55, v[56:57], off offset:84
	s_waitcnt vmcnt(1)
	global_store_dword v[56:57], v29, off offset:84
	s_waitcnt vmcnt(1)
	global_store_dword v[30:31], v55, off
	scratch_load_dword v31, off, off offset:4 ; 4-byte Folded Reload
.LBB52_366:
	s_or_b64 exec, exec, s[18:19]
	v_mov_b32_e32 v29, v28
	v_mov_b32_e32 v209, v28
	scratch_store_dword off, v29, off offset:1296 ; 4-byte Folded Spill
.LBB52_367:
	s_or_b64 exec, exec, s[2:3]
.LBB52_368:
	s_andn2_saveexec_b64 s[0:1], s[0:1]
	s_cbranch_execz .LBB52_370
; %bb.369:
	v_mov_b32_e32 v58, v26
	v_mov_b32_e32 v55, v23
	;; [unrolled: 1-line block ×5, first 2 shown]
	s_waitcnt vmcnt(0)
	ds_write2_b32 v31, v54, v55 offset0:22 offset1:23
	ds_write2_b32 v31, v56, v57 offset0:24 offset1:25
	scratch_load_dwordx2 v[28:29], off, off offset:8 ; 8-byte Folded Reload
	v_mov_b32_e32 v209, 21
	v_mov_b32_e32 v53, v21
	v_mov_b32_e32 v52, v20
	v_mov_b32_e32 v51, v19
	v_mov_b32_e32 v50, v18
	v_mov_b32_e32 v49, v17
	v_mov_b32_e32 v48, v16
	s_waitcnt vmcnt(0)
	ds_write_b32 v31, v29 offset:104
.LBB52_370:
	s_or_b64 exec, exec, s[0:1]
	v_cmp_lt_i32_e32 vcc, 21, v209
	s_waitcnt lgkmcnt(0)
	s_barrier
	s_and_saveexec_b64 s[0:1], vcc
	s_cbranch_execz .LBB52_372
; %bb.371:
	s_waitcnt vmcnt(0)
	ds_read2_b32 v[2:3], v31 offset0:22 offset1:23
	ds_read2_b32 v[6:7], v31 offset0:24 offset1:25
	ds_read_b32 v1, v31 offset:104
	v_mul_f32_e32 v0, v215, v27
	v_mov_b32_e32 v4, v22
	v_mov_b32_e32 v5, v23
	;; [unrolled: 1-line block ×3, first 2 shown]
	s_waitcnt lgkmcnt(0)
	v_pk_fma_f32 v[54:55], v[0:1], v[2:3], v[4:5] op_sel_hi:[0,1,1] neg_lo:[1,0,0] neg_hi:[1,0,0]
	v_mov_b32_e32 v2, v24
	v_mov_b32_e32 v3, v25
	v_pk_fma_f32 v[80:81], v[0:1], v[6:7], v[2:3] op_sel_hi:[0,1,1] neg_lo:[1,0,0] neg_hi:[1,0,0]
	scratch_load_dwordx2 v[2:3], off, off offset:8 ; 8-byte Folded Reload
	scratch_load_dwordx4 v[128:131], off, off offset:528 ; 16-byte Folded Reload
	scratch_load_dwordx4 v[132:135], off, off offset:544 ; 16-byte Folded Reload
	;; [unrolled: 1-line block ×8, first 2 shown]
	v_mov_b32_e32 v24, v54
	v_mov_b32_e32 v25, v55
	s_waitcnt vmcnt(2)
	v_mov_b32_e32 v149, v0
	v_mov_b32_e32 v53, v0
	;; [unrolled: 1-line block ×17, first 2 shown]
	v_fma_f32 v208, -v0, v1, v3
	v_mov_b32_e32 v3, v129
	v_mov_b32_e32 v7, v133
	;; [unrolled: 1-line block ×17, first 2 shown]
	scratch_store_dwordx4 off, v[2:5], off offset:272 ; 16-byte Folded Spill
	s_nop 0
	scratch_store_dwordx4 off, v[6:9], off offset:288 ; 16-byte Folded Spill
	scratch_store_dwordx4 off, v[10:13], off offset:304 ; 16-byte Folded Spill
	;; [unrolled: 1-line block ×7, first 2 shown]
	v_mov_b32_e32 v182, v128
	v_mov_b32_e32 v183, v129
	;; [unrolled: 1-line block ×21, first 2 shown]
	v_mov_b64_e32 v[0:1], v[182:183]
	v_mov_b64_e32 v[30:31], v[212:213]
	scratch_load_dword v31, off, off offset:4 ; 4-byte Folded Reload
	v_mov_b32_e32 v46, v142
	v_mov_b32_e32 v47, v143
	;; [unrolled: 1-line block ×36, first 2 shown]
	v_mov_b64_e32 v[2:3], v[184:185]
	v_mov_b64_e32 v[4:5], v[186:187]
	;; [unrolled: 1-line block ×24, first 2 shown]
	v_mov_b32_e32 v73, v145
	v_mov_b32_e32 v74, v146
	;; [unrolled: 1-line block ×4, first 2 shown]
	v_mov_b64_e32 v[180:181], v[52:53]
	v_mov_b64_e32 v[178:179], v[50:51]
	v_mov_b64_e32 v[176:177], v[48:49]
	v_mov_b64_e32 v[34:35], v[58:59]
	v_mov_b64_e32 v[36:37], v[60:61]
	v_mov_b64_e32 v[38:39], v[62:63]
	v_mov_b64_e32 v[40:41], v[64:65]
	v_mov_b64_e32 v[42:43], v[66:67]
	v_mov_b64_e32 v[44:45], v[68:69]
	v_mov_b64_e32 v[46:47], v[70:71]
	v_mov_b32_e32 v48, v72
	v_mov_b32_e32 v110, v182
	;; [unrolled: 1-line block ×13, first 2 shown]
	scratch_store_dwordx4 off, v[128:131], off offset:400 ; 16-byte Folded Spill
	s_nop 0
	scratch_store_dwordx4 off, v[132:135], off offset:416 ; 16-byte Folded Spill
	scratch_store_dwordx4 off, v[136:139], off offset:432 ; 16-byte Folded Spill
	;; [unrolled: 1-line block ×5, first 2 shown]
	s_waitcnt vmcnt(16)
	scratch_store_dwordx4 off, v[152:155], off offset:496 ; 16-byte Folded Spill
	s_waitcnt vmcnt(16)
	scratch_store_dwordx4 off, v[156:159], off offset:512 ; 16-byte Folded Spill
	scratch_store_dwordx2 off, v[28:29], off offset:8 ; 8-byte Folded Spill
	scratch_store_dwordx4 off, v[32:35], off offset:144 ; 16-byte Folded Spill
	s_nop 0
	scratch_store_dwordx4 off, v[36:39], off offset:160 ; 16-byte Folded Spill
	scratch_store_dwordx4 off, v[40:43], off offset:176 ; 16-byte Folded Spill
	;; [unrolled: 1-line block ×7, first 2 shown]
.LBB52_372:
	s_or_b64 exec, exec, s[0:1]
	s_waitcnt vmcnt(0)
	v_lshl_add_u32 v27, v209, 2, v31
	s_barrier
	ds_write_b32 v27, v110
	s_waitcnt lgkmcnt(0)
	s_barrier
	ds_read_b32 v27, v31 offset:88
	s_cmp_lt_i32 s14, 24
	v_mov_b32_e32 v28, 22
	s_cbranch_scc0 .LBB52_451
; %bb.373:
	s_waitcnt lgkmcnt(0)
	v_cmp_eq_f32_e32 vcc, 0, v27
	s_and_saveexec_b64 s[0:1], vcc
	s_xor_b64 s[0:1], exec, s[0:1]
	s_cbranch_execnz .LBB52_454
.LBB52_374:
	s_andn2_saveexec_b64 s[0:1], s[0:1]
	s_cbranch_execz .LBB52_376
.LBB52_375:
	v_div_scale_f32 v29, s[2:3], v27, v27, 1.0
	v_rcp_f32_e32 v30, v29
	s_waitcnt vmcnt(0)
	v_div_scale_f32 v31, vcc, 1.0, v27, 1.0
	v_fma_f32 v55, -v29, v30, 1.0
	v_fmac_f32_e32 v30, v55, v30
	v_mul_f32_e32 v55, v31, v30
	v_fma_f32 v56, -v29, v55, v31
	v_fmac_f32_e32 v55, v56, v30
	v_fma_f32 v29, -v29, v55, v31
	scratch_load_dword v31, off, off offset:4 ; 4-byte Folded Reload
	v_div_fmas_f32 v29, v29, v30, v55
	v_div_fixup_f32 v27, v29, v27, 1.0
.LBB52_376:
	s_or_b64 exec, exec, s[0:1]
	v_cmp_ne_u32_e32 vcc, v209, v28
	s_and_saveexec_b64 s[0:1], vcc
	s_xor_b64 s[0:1], exec, s[0:1]
	s_cbranch_execz .LBB52_382
; %bb.377:
	v_cmp_eq_u32_e32 vcc, 22, v209
	s_and_saveexec_b64 s[2:3], vcc
	s_cbranch_execz .LBB52_381
; %bb.378:
	v_cmp_ne_u32_e32 vcc, 22, v28
	s_xor_b64 s[18:19], s[16:17], -1
	s_and_b64 s[20:21], s[18:19], vcc
	s_and_saveexec_b64 s[18:19], s[20:21]
	s_cbranch_execz .LBB52_380
; %bb.379:
	scratch_load_dwordx2 v[56:57], off, off offset:3608 ; 8-byte Folded Reload
	v_ashrrev_i32_e32 v29, 31, v28
	s_waitcnt vmcnt(0)
	v_lshl_add_u64 v[30:31], v[28:29], 2, v[56:57]
	global_load_dword v29, v[30:31], off
	global_load_dword v55, v[56:57], off offset:88
	s_waitcnt vmcnt(1)
	global_store_dword v[56:57], v29, off offset:88
	s_waitcnt vmcnt(1)
	global_store_dword v[30:31], v55, off
	scratch_load_dword v31, off, off offset:4 ; 4-byte Folded Reload
.LBB52_380:
	s_or_b64 exec, exec, s[18:19]
	v_mov_b32_e32 v29, v28
	v_mov_b32_e32 v209, v28
	scratch_store_dword off, v29, off offset:1296 ; 4-byte Folded Spill
.LBB52_381:
	s_or_b64 exec, exec, s[2:3]
.LBB52_382:
	s_andn2_saveexec_b64 s[0:1], s[0:1]
	s_cbranch_execz .LBB52_384
; %bb.383:
	v_mov_b32_e32 v58, v26
	v_mov_b32_e32 v56, v24
	;; [unrolled: 1-line block ×12, first 2 shown]
	s_waitcnt vmcnt(0)
	ds_write2_b32 v31, v55, v56 offset0:23 offset1:24
	ds_write2_b32 v31, v57, v58 offset0:25 offset1:26
.LBB52_384:
	s_or_b64 exec, exec, s[0:1]
	v_cmp_lt_i32_e32 vcc, 22, v209
	s_waitcnt lgkmcnt(0)
	s_barrier
	s_and_saveexec_b64 s[0:1], vcc
	s_cbranch_execz .LBB52_386
; %bb.385:
	s_waitcnt vmcnt(0)
	ds_read2_b32 v[0:1], v31 offset0:23 offset1:24
	scratch_load_dwordx4 v[160:163], off, off offset:400 ; 16-byte Folded Reload
	scratch_load_dwordx4 v[164:167], off, off offset:416 ; 16-byte Folded Reload
	;; [unrolled: 1-line block ×8, first 2 shown]
	ds_read2_b32 v[4:5], v31 offset0:25 offset1:26
	s_waitcnt vmcnt(2)
	v_mul_f32_e32 v182, v110, v27
	v_mov_b32_e32 v3, v24
	v_mov_b32_e32 v2, v23
	;; [unrolled: 1-line block ×7, first 2 shown]
	s_waitcnt lgkmcnt(1)
	v_pk_fma_f32 v[90:91], v[182:183], v[0:1], v[2:3] op_sel_hi:[0,1,1] neg_lo:[1,0,0] neg_hi:[1,0,0]
	v_mov_b32_e32 v1, v26
	v_mov_b32_e32 v0, v25
	s_waitcnt lgkmcnt(0)
	v_pk_fma_f32 v[26:27], v[182:183], v[4:5], v[0:1] op_sel_hi:[0,1,1] neg_lo:[1,0,0] neg_hi:[1,0,0]
	v_mov_b32_e32 v0, v160
	v_mov_b32_e32 v1, v161
	;; [unrolled: 1-line block ×20, first 2 shown]
	scratch_store_dwordx4 off, v[0:3], off offset:144 ; 16-byte Folded Spill
	s_nop 0
	scratch_store_dwordx4 off, v[4:7], off offset:160 ; 16-byte Folded Spill
	scratch_store_dwordx4 off, v[8:11], off offset:176 ; 16-byte Folded Spill
	;; [unrolled: 1-line block ×7, first 2 shown]
	scratch_load_dword v31, off, off offset:4 ; 4-byte Folded Reload
	v_mov_b32_e32 v183, v90
	v_mov_b32_e32 v111, v90
	;; [unrolled: 1-line block ×4, first 2 shown]
	scratch_store_dwordx2 off, v[26:27], off offset:8 ; 8-byte Folded Spill
	v_mov_b32_e32 v26, v27
	scratch_store_dwordx4 off, v[160:163], off offset:272 ; 16-byte Folded Spill
	s_nop 0
	scratch_store_dwordx4 off, v[164:167], off offset:288 ; 16-byte Folded Spill
	scratch_store_dwordx4 off, v[168:171], off offset:304 ; 16-byte Folded Spill
	;; [unrolled: 1-line block ×5, first 2 shown]
	s_waitcnt vmcnt(17)
	scratch_store_dwordx4 off, v[184:187], off offset:368 ; 16-byte Folded Spill
	s_waitcnt vmcnt(17)
	scratch_store_dwordx4 off, v[188:191], off offset:384 ; 16-byte Folded Spill
.LBB52_386:
	s_or_b64 exec, exec, s[0:1]
	s_waitcnt vmcnt(0)
	v_lshl_add_u32 v27, v209, 2, v31
	s_barrier
	ds_write_b32 v27, v111
	s_waitcnt lgkmcnt(0)
	s_barrier
	ds_read_b32 v27, v31 offset:92
	s_cmp_lt_i32 s14, 25
	v_mov_b32_e32 v28, 23
	s_cbranch_scc0 .LBB52_455
; %bb.387:
	s_waitcnt lgkmcnt(0)
	v_cmp_eq_f32_e32 vcc, 0, v27
	s_and_saveexec_b64 s[0:1], vcc
	s_xor_b64 s[0:1], exec, s[0:1]
	s_cbranch_execnz .LBB52_458
.LBB52_388:
	s_andn2_saveexec_b64 s[0:1], s[0:1]
	s_cbranch_execz .LBB52_390
.LBB52_389:
	v_div_scale_f32 v29, s[2:3], v27, v27, 1.0
	v_rcp_f32_e32 v30, v29
	s_waitcnt vmcnt(0)
	v_div_scale_f32 v31, vcc, 1.0, v27, 1.0
	v_fma_f32 v55, -v29, v30, 1.0
	v_fmac_f32_e32 v30, v55, v30
	v_mul_f32_e32 v55, v31, v30
	v_fma_f32 v56, -v29, v55, v31
	v_fmac_f32_e32 v55, v56, v30
	v_fma_f32 v29, -v29, v55, v31
	scratch_load_dword v31, off, off offset:4 ; 4-byte Folded Reload
	v_div_fmas_f32 v29, v29, v30, v55
	v_div_fixup_f32 v27, v29, v27, 1.0
.LBB52_390:
	s_or_b64 exec, exec, s[0:1]
	v_cmp_ne_u32_e32 vcc, v209, v28
	s_and_saveexec_b64 s[0:1], vcc
	s_xor_b64 s[0:1], exec, s[0:1]
	s_cbranch_execz .LBB52_396
; %bb.391:
	v_cmp_eq_u32_e32 vcc, 23, v209
	s_and_saveexec_b64 s[2:3], vcc
	s_cbranch_execz .LBB52_395
; %bb.392:
	v_cmp_ne_u32_e32 vcc, 23, v28
	s_xor_b64 s[18:19], s[16:17], -1
	s_and_b64 s[20:21], s[18:19], vcc
	s_and_saveexec_b64 s[18:19], s[20:21]
	s_cbranch_execz .LBB52_394
; %bb.393:
	scratch_load_dwordx2 v[56:57], off, off offset:3608 ; 8-byte Folded Reload
	v_ashrrev_i32_e32 v29, 31, v28
	s_waitcnt vmcnt(0)
	v_lshl_add_u64 v[30:31], v[28:29], 2, v[56:57]
	global_load_dword v29, v[30:31], off
	global_load_dword v55, v[56:57], off offset:92
	s_waitcnt vmcnt(1)
	global_store_dword v[56:57], v29, off offset:92
	s_waitcnt vmcnt(1)
	global_store_dword v[30:31], v55, off
	scratch_load_dword v31, off, off offset:4 ; 4-byte Folded Reload
.LBB52_394:
	s_or_b64 exec, exec, s[18:19]
	v_mov_b32_e32 v29, v28
	v_mov_b32_e32 v209, v28
	scratch_store_dword off, v29, off offset:1296 ; 4-byte Folded Spill
.LBB52_395:
	s_or_b64 exec, exec, s[2:3]
.LBB52_396:
	s_andn2_saveexec_b64 s[0:1], s[0:1]
	s_cbranch_execz .LBB52_398
; %bb.397:
	scratch_load_dwordx2 v[28:29], off, off offset:8 ; 8-byte Folded Reload
	v_mov_b32_e32 v209, 23
	s_waitcnt vmcnt(1)
	ds_write2_b32 v31, v24, v25 offset0:24 offset1:25
	s_waitcnt vmcnt(0)
	ds_write_b32 v31, v29 offset:104
.LBB52_398:
	s_or_b64 exec, exec, s[0:1]
	v_cmp_lt_i32_e32 vcc, 23, v209
	s_waitcnt lgkmcnt(0)
	s_barrier
	s_and_saveexec_b64 s[0:1], vcc
	s_cbranch_execz .LBB52_400
; %bb.399:
	s_waitcnt vmcnt(0)
	ds_read2_b32 v[0:1], v31 offset0:24 offset1:25
	ds_read_b32 v3, v31 offset:104
	v_mul_f32_e32 v2, v111, v27
	v_mov_b32_e32 v4, v24
	v_mov_b32_e32 v5, v25
	;; [unrolled: 1-line block ×3, first 2 shown]
	s_waitcnt lgkmcnt(0)
	v_pk_fma_f32 v[56:57], v[2:3], v[0:1], v[4:5] op_sel_hi:[0,1,1] neg_lo:[1,0,0] neg_hi:[1,0,0]
	scratch_load_dwordx2 v[0:1], off, off offset:8 ; 8-byte Folded Reload
	v_mov_b32_e32 v103, v161
	v_mov_b32_e32 v183, v2
	;; [unrolled: 1-line block ×51, first 2 shown]
	s_waitcnt vmcnt(0)
	v_fma_f32 v128, -v2, v3, v1
	v_mov_b64_e32 v[0:1], v[102:103]
	v_mov_b64_e32 v[30:31], v[132:133]
	scratch_load_dword v31, off, off offset:4 ; 4-byte Folded Reload
	s_nop 0
	scratch_store_dwordx4 off, v[160:163], off offset:272 ; 16-byte Folded Spill
	s_nop 0
	scratch_store_dwordx4 off, v[164:167], off offset:288 ; 16-byte Folded Spill
	scratch_store_dwordx4 off, v[168:171], off offset:304 ; 16-byte Folded Spill
	;; [unrolled: 1-line block ×8, first 2 shown]
	s_nop 0
	scratch_store_dwordx4 off, v[36:39], off offset:160 ; 16-byte Folded Spill
	scratch_store_dwordx4 off, v[40:43], off offset:176 ; 16-byte Folded Spill
	;; [unrolled: 1-line block ×7, first 2 shown]
	v_mov_b64_e32 v[28:29], v[130:131]
	v_mov_b64_e32 v[2:3], v[104:105]
	;; [unrolled: 1-line block ×14, first 2 shown]
	v_mov_b32_e32 v29, v128
	v_mov_b32_e32 v28, v57
	scratch_store_dwordx2 off, v[28:29], off offset:8 ; 8-byte Folded Spill
.LBB52_400:
	s_or_b64 exec, exec, s[0:1]
	s_waitcnt vmcnt(0)
	v_lshl_add_u32 v27, v209, 2, v31
	s_barrier
	ds_write_b32 v27, v216
	s_waitcnt lgkmcnt(0)
	s_barrier
	ds_read_b32 v27, v31 offset:96
	s_cmp_lt_i32 s14, 26
	v_mov_b32_e32 v28, 24
	s_cbranch_scc0 .LBB52_459
; %bb.401:
	s_waitcnt lgkmcnt(0)
	v_cmp_eq_f32_e32 vcc, 0, v27
	s_and_saveexec_b64 s[0:1], vcc
	s_xor_b64 s[0:1], exec, s[0:1]
	s_cbranch_execnz .LBB52_462
.LBB52_402:
	s_andn2_saveexec_b64 s[0:1], s[0:1]
	s_cbranch_execz .LBB52_404
.LBB52_403:
	v_div_scale_f32 v29, s[2:3], v27, v27, 1.0
	v_rcp_f32_e32 v30, v29
	s_waitcnt vmcnt(0)
	v_div_scale_f32 v31, vcc, 1.0, v27, 1.0
	v_fma_f32 v32, -v29, v30, 1.0
	v_fmac_f32_e32 v30, v32, v30
	v_mul_f32_e32 v32, v31, v30
	v_fma_f32 v33, -v29, v32, v31
	v_fmac_f32_e32 v32, v33, v30
	v_fma_f32 v29, -v29, v32, v31
	scratch_load_dword v31, off, off offset:4 ; 4-byte Folded Reload
	v_div_fmas_f32 v29, v29, v30, v32
	v_div_fixup_f32 v27, v29, v27, 1.0
.LBB52_404:
	s_or_b64 exec, exec, s[0:1]
	v_cmp_ne_u32_e32 vcc, v209, v28
	s_and_saveexec_b64 s[0:1], vcc
	s_xor_b64 s[0:1], exec, s[0:1]
	s_cbranch_execz .LBB52_410
; %bb.405:
	v_cmp_eq_u32_e32 vcc, 24, v209
	s_and_saveexec_b64 s[2:3], vcc
	s_cbranch_execz .LBB52_409
; %bb.406:
	v_cmp_ne_u32_e32 vcc, 24, v28
	s_xor_b64 s[18:19], s[16:17], -1
	s_and_b64 s[20:21], s[18:19], vcc
	s_and_saveexec_b64 s[18:19], s[20:21]
	s_cbranch_execz .LBB52_408
; %bb.407:
	scratch_load_dwordx2 v[34:35], off, off offset:3608 ; 8-byte Folded Reload
	v_ashrrev_i32_e32 v29, 31, v28
	s_waitcnt vmcnt(0)
	v_lshl_add_u64 v[30:31], v[28:29], 2, v[34:35]
	global_load_dword v29, v[30:31], off
	global_load_dword v32, v[34:35], off offset:96
	s_waitcnt vmcnt(1)
	global_store_dword v[34:35], v29, off offset:96
	s_waitcnt vmcnt(1)
	global_store_dword v[30:31], v32, off
	scratch_load_dword v31, off, off offset:4 ; 4-byte Folded Reload
.LBB52_408:
	s_or_b64 exec, exec, s[18:19]
	v_mov_b32_e32 v29, v28
	v_mov_b32_e32 v209, v28
	scratch_store_dword off, v29, off offset:1296 ; 4-byte Folded Spill
.LBB52_409:
	s_or_b64 exec, exec, s[2:3]
.LBB52_410:
	s_andn2_saveexec_b64 s[0:1], s[0:1]
	s_cbranch_execz .LBB52_412
; %bb.411:
	v_mov_b32_e32 v209, 24
	s_waitcnt vmcnt(0)
	ds_write2_b32 v31, v25, v26 offset0:25 offset1:26
.LBB52_412:
	s_or_b64 exec, exec, s[0:1]
	v_cmp_lt_i32_e32 vcc, 24, v209
	s_waitcnt lgkmcnt(0)
	s_barrier
	s_and_saveexec_b64 s[0:1], vcc
	s_cbranch_execz .LBB52_414
; %bb.413:
	s_waitcnt vmcnt(0)
	ds_read2_b32 v[0:1], v31 offset0:25 offset1:26
	scratch_load_dwordx4 v[224:227], off, off offset:272 ; 16-byte Folded Reload
	scratch_load_dwordx4 v[228:231], off, off offset:288 ; 16-byte Folded Reload
	;; [unrolled: 1-line block ×8, first 2 shown]
	s_waitcnt vmcnt(1)
	v_mul_f32_e32 v248, v216, v27
	v_mov_b32_e32 v3, v26
	v_mov_b32_e32 v2, v25
	s_waitcnt lgkmcnt(0)
	v_pk_fma_f32 v[0:1], v[248:249], v[0:1], v[2:3] op_sel_hi:[0,1,1] neg_lo:[1,0,0] neg_hi:[1,0,0]
	v_mov_b32_e32 v249, v0
	scratch_store_dwordx2 off, v[0:1], off offset:8 ; 8-byte Folded Spill
	v_mov_b32_e32 v250, v1
	s_waitcnt vmcnt(1)
	v_mov_b64_e32 v[0:1], v[224:225]
	v_mov_b64_e32 v[30:31], v[254:255]
	scratch_load_dword v31, off, off offset:4 ; 4-byte Folded Reload
	v_mov_b64_e32 v[2:3], v[226:227]
	v_mov_b64_e32 v[4:5], v[228:229]
	;; [unrolled: 1-line block ×14, first 2 shown]
	scratch_store_dwordx4 off, v[224:227], off offset:144 ; 16-byte Folded Spill
	s_nop 0
	scratch_store_dwordx4 off, v[228:231], off offset:160 ; 16-byte Folded Spill
	scratch_store_dwordx4 off, v[232:235], off offset:176 ; 16-byte Folded Spill
	;; [unrolled: 1-line block ×7, first 2 shown]
.LBB52_414:
	s_or_b64 exec, exec, s[0:1]
	s_barrier
	scratch_load_dwordx2 v[28:29], off, off offset:8 ; 8-byte Folded Reload
	s_waitcnt vmcnt(1)
	v_lshl_add_u32 v27, v209, 2, v31
	s_cmp_lt_i32 s14, 27
	s_waitcnt vmcnt(0)
	ds_write_b32 v27, v28
	s_waitcnt lgkmcnt(0)
	s_barrier
	ds_read_b32 v27, v31 offset:100
	v_mov_b32_e32 v28, 25
	s_cbranch_scc0 .LBB52_463
; %bb.415:
	s_waitcnt lgkmcnt(0)
	v_cmp_eq_f32_e32 vcc, 0, v27
	s_and_saveexec_b64 s[0:1], vcc
	s_xor_b64 s[0:1], exec, s[0:1]
	s_cbranch_execnz .LBB52_466
.LBB52_416:
	s_andn2_saveexec_b64 s[0:1], s[0:1]
	s_cbranch_execz .LBB52_418
.LBB52_417:
	v_div_scale_f32 v29, s[2:3], v27, v27, 1.0
	v_rcp_f32_e32 v30, v29
	s_waitcnt vmcnt(0)
	v_div_scale_f32 v31, vcc, 1.0, v27, 1.0
	v_fma_f32 v32, -v29, v30, 1.0
	v_fmac_f32_e32 v30, v32, v30
	v_mul_f32_e32 v32, v31, v30
	v_fma_f32 v33, -v29, v32, v31
	v_fmac_f32_e32 v32, v33, v30
	v_fma_f32 v29, -v29, v32, v31
	scratch_load_dword v31, off, off offset:4 ; 4-byte Folded Reload
	v_div_fmas_f32 v29, v29, v30, v32
	v_div_fixup_f32 v27, v29, v27, 1.0
.LBB52_418:
	s_or_b64 exec, exec, s[0:1]
	v_cmp_ne_u32_e32 vcc, v209, v28
	s_and_saveexec_b64 s[0:1], vcc
	s_xor_b64 s[0:1], exec, s[0:1]
	s_cbranch_execz .LBB52_424
; %bb.419:
	v_cmp_eq_u32_e32 vcc, 25, v209
	s_and_saveexec_b64 s[2:3], vcc
	s_cbranch_execz .LBB52_423
; %bb.420:
	v_cmp_ne_u32_e32 vcc, 25, v28
	s_xor_b64 s[18:19], s[16:17], -1
	s_and_b64 s[20:21], s[18:19], vcc
	s_and_saveexec_b64 s[18:19], s[20:21]
	s_cbranch_execz .LBB52_422
; %bb.421:
	scratch_load_dwordx2 v[34:35], off, off offset:3608 ; 8-byte Folded Reload
	v_ashrrev_i32_e32 v29, 31, v28
	s_waitcnt vmcnt(0)
	v_lshl_add_u64 v[30:31], v[28:29], 2, v[34:35]
	global_load_dword v29, v[30:31], off
	global_load_dword v32, v[34:35], off offset:100
	s_waitcnt vmcnt(1)
	global_store_dword v[34:35], v29, off offset:100
	s_waitcnt vmcnt(1)
	global_store_dword v[30:31], v32, off
	scratch_load_dword v31, off, off offset:4 ; 4-byte Folded Reload
.LBB52_422:
	s_or_b64 exec, exec, s[18:19]
	v_mov_b32_e32 v29, v28
	v_mov_b32_e32 v209, v28
	scratch_store_dword off, v29, off offset:1296 ; 4-byte Folded Spill
.LBB52_423:
	s_or_b64 exec, exec, s[2:3]
.LBB52_424:
	s_andn2_saveexec_b64 s[0:1], s[0:1]
	s_cbranch_execz .LBB52_426
; %bb.425:
	scratch_load_dwordx2 v[28:29], off, off offset:8 ; 8-byte Folded Reload
	v_mov_b32_e32 v209, 25
	s_waitcnt vmcnt(0)
	ds_write_b32 v31, v29 offset:104
.LBB52_426:
	s_or_b64 exec, exec, s[0:1]
	v_cmp_lt_i32_e32 vcc, 25, v209
	s_waitcnt lgkmcnt(0)
	s_barrier
	s_and_saveexec_b64 s[0:1], vcc
	s_cbranch_execz .LBB52_428
; %bb.427:
	s_waitcnt vmcnt(0)
	ds_read_b32 v0, v31 offset:104
	scratch_load_dwordx2 v[2:3], off, off offset:8 ; 8-byte Folded Reload
	scratch_load_dwordx4 v[28:31], off, off offset:144 ; 16-byte Folded Reload
	scratch_load_dwordx4 v[32:35], off, off offset:160 ; 16-byte Folded Reload
	;; [unrolled: 1-line block ×8, first 2 shown]
	s_waitcnt vmcnt(1)
	v_mul_f32_e32 v53, v2, v27
	s_waitcnt lgkmcnt(0)
	v_fma_f32 v54, -v53, v0, v3
	s_waitcnt vmcnt(0)
	v_mov_b64_e32 v[0:1], v[28:29]
	v_mov_b64_e32 v[2:3], v[30:31]
	;; [unrolled: 1-line block ×16, first 2 shown]
	scratch_load_dword v31, off, off offset:4 ; 4-byte Folded Reload
	v_mov_b32_e32 v27, v54
	scratch_store_dwordx2 off, v[26:27], off offset:8 ; 8-byte Folded Spill
.LBB52_428:
	s_or_b64 exec, exec, s[0:1]
	s_barrier
	scratch_load_dwordx2 v[28:29], off, off offset:8 ; 8-byte Folded Reload
	s_waitcnt vmcnt(1)
	v_lshl_add_u32 v27, v209, 2, v31
	s_cmp_lt_i32 s14, 28
	s_waitcnt vmcnt(0)
	v_mov_b32_e32 v28, 26
	ds_write_b32 v27, v29
	s_waitcnt lgkmcnt(0)
	s_barrier
	ds_read_b32 v27, v31 offset:104
	s_cbranch_scc1 .LBB52_431
; %bb.429:
	v_add_u32_e32 v29, 0x6c, v31
	v_mov_b32_e32 v28, 26
	s_mov_b32 s0, 27
.LBB52_430:                             ; =>This Inner Loop Header: Depth=1
	ds_read_b32 v30, v29
	v_mov_b32_e32 v31, s0
	s_add_i32 s0, s0, 1
	v_add_u32_e32 v29, 4, v29
	s_cmp_lg_u32 s14, s0
	s_waitcnt lgkmcnt(0)
	v_cmp_lt_f32_e64 vcc, |v27|, |v30|
	s_nop 1
	v_cndmask_b32_e32 v27, v27, v30, vcc
	v_cndmask_b32_e32 v28, v28, v31, vcc
	s_cbranch_scc1 .LBB52_430
.LBB52_431:
	s_waitcnt lgkmcnt(0)
	v_cmp_eq_f32_e32 vcc, 0, v27
	s_and_saveexec_b64 s[0:1], vcc
	s_xor_b64 s[0:1], exec, s[0:1]
	s_cbranch_execz .LBB52_433
; %bb.432:
	scratch_load_dword v29, off, off offset:16 ; 4-byte Folded Reload
	s_waitcnt vmcnt(0)
	v_cmp_ne_u32_e32 vcc, 0, v29
	s_nop 1
	v_cndmask_b32_e32 v29, 27, v29, vcc
	scratch_store_dword off, v29, off offset:16 ; 4-byte Folded Spill
.LBB52_433:
	s_andn2_saveexec_b64 s[0:1], s[0:1]
	s_cbranch_execz .LBB52_435
; %bb.434:
	v_div_scale_f32 v29, s[2:3], v27, v27, 1.0
	v_rcp_f32_e32 v30, v29
	v_div_scale_f32 v31, vcc, 1.0, v27, 1.0
	v_fma_f32 v32, -v29, v30, 1.0
	v_fmac_f32_e32 v30, v32, v30
	v_mul_f32_e32 v32, v31, v30
	v_fma_f32 v33, -v29, v32, v31
	v_fmac_f32_e32 v32, v33, v30
	v_fma_f32 v29, -v29, v32, v31
	v_div_fmas_f32 v29, v29, v30, v32
	v_div_fixup_f32 v27, v29, v27, 1.0
.LBB52_435:
	s_or_b64 exec, exec, s[0:1]
	v_cmp_ne_u32_e32 vcc, v209, v28
	v_mov_b32_e32 v30, 26
	s_and_saveexec_b64 s[0:1], vcc
	s_cbranch_execz .LBB52_441
; %bb.436:
	v_cmp_eq_u32_e32 vcc, 26, v209
	s_and_saveexec_b64 s[2:3], vcc
	s_cbranch_execz .LBB52_440
; %bb.437:
	v_cmp_ne_u32_e32 vcc, 26, v28
	s_xor_b64 s[16:17], s[16:17], -1
	s_and_b64 s[18:19], s[16:17], vcc
	s_and_saveexec_b64 s[16:17], s[18:19]
	s_cbranch_execz .LBB52_439
; %bb.438:
	scratch_load_dwordx2 v[34:35], off, off offset:3608 ; 8-byte Folded Reload
	v_ashrrev_i32_e32 v29, 31, v28
	s_waitcnt vmcnt(0)
	v_lshl_add_u64 v[30:31], v[28:29], 2, v[34:35]
	global_load_dword v29, v[30:31], off
	global_load_dword v32, v[34:35], off offset:104
	s_waitcnt vmcnt(1)
	global_store_dword v[34:35], v29, off offset:104
	s_waitcnt vmcnt(1)
	global_store_dword v[30:31], v32, off
.LBB52_439:
	s_or_b64 exec, exec, s[16:17]
	v_mov_b32_e32 v29, v28
	v_mov_b32_e32 v209, v28
	scratch_store_dword off, v29, off offset:1296 ; 4-byte Folded Spill
.LBB52_440:
	s_or_b64 exec, exec, s[2:3]
	v_mov_b32_e32 v30, v209
.LBB52_441:
	s_or_b64 exec, exec, s[0:1]
	v_cmp_gt_i32_e32 vcc, 27, v30
	v_ashrrev_i32_e32 v31, 31, v30
	s_barrier
	s_barrier
	s_and_saveexec_b64 s[0:1], vcc
	s_cbranch_execz .LBB52_443
; %bb.442:
	s_movk_i32 s2, 0x1128
	scratch_load_dwordx2 v[32:33], off, s2  ; 8-byte Folded Reload
	v_mov_b32_e32 v28, s6
	v_mov_b32_e32 v29, s7
	s_waitcnt vmcnt(0)
	v_mul_lo_u32 v34, s11, v32
	v_mul_lo_u32 v35, s10, v33
	v_mad_u64_u32 v[32:33], s[2:3], s10, v32, 0
	v_add3_u32 v33, v33, v35, v34
	v_lshl_add_u64 v[28:29], v[32:33], 2, v[28:29]
	scratch_load_dword v32, off, off offset:1296 ; 4-byte Folded Reload
	v_lshl_add_u64 v[28:29], s[8:9], 2, v[28:29]
	v_lshl_add_u64 v[28:29], v[30:31], 2, v[28:29]
	s_waitcnt vmcnt(0)
	v_add3_u32 v32, v32, s15, 1
	global_store_dword v[28:29], v32, off
.LBB52_443:
	s_or_b64 exec, exec, s[0:1]
	v_cmp_eq_u32_e32 vcc, 0, v30
	s_and_saveexec_b64 s[2:3], vcc
	s_cbranch_execz .LBB52_446
; %bb.444:
	s_movk_i32 s0, 0x1128
	scratch_load_dwordx2 v[32:33], off, s0  ; 8-byte Folded Reload
	v_mov_b32_e32 v28, s4
	v_mov_b32_e32 v29, s5
	s_waitcnt vmcnt(0)
	v_lshl_add_u64 v[28:29], v[32:33], 2, v[28:29]
	global_load_dword v32, v[28:29], off
	s_waitcnt vmcnt(0)
	v_cmp_eq_u32_e32 vcc, 0, v32
	scratch_load_dword v32, off, off offset:16 ; 4-byte Folded Reload
	s_waitcnt vmcnt(0)
	v_cmp_ne_u32_e64 s[0:1], 0, v32
	s_and_b64 s[0:1], vcc, s[0:1]
	s_and_b64 exec, exec, s[0:1]
	s_cbranch_execz .LBB52_446
; %bb.445:
	scratch_load_dword v32, off, off offset:16 ; 4-byte Folded Reload
	s_waitcnt vmcnt(0)
	v_add_u32_e32 v32, s15, v32
	global_store_dword v[28:29], v32, off
.LBB52_446:
	s_or_b64 exec, exec, s[2:3]
	scratch_load_dwordx2 v[28:29], off, off offset:8 ; 8-byte Folded Reload
	s_movk_i32 s0, 0x1120
	scratch_load_dwordx2 v[32:33], off, s0  ; 8-byte Folded Reload
	v_cmp_lt_i32_e32 vcc, 26, v30
	s_waitcnt vmcnt(1)
	v_mul_f32_e32 v27, v29, v27
	v_cndmask_b32_e32 v28, v26, v27, vcc
	s_waitcnt vmcnt(0)
	v_lshl_add_u64 v[26:27], v[30:31], 2, v[32:33]
	global_store_dword v[26:27], v0, off
	v_lshl_add_u64 v[26:27], s[12:13], 2, v[26:27]
	v_add_u32_e32 v0, s22, v30
	global_store_dword v[26:27], v1, off
	v_ashrrev_i32_e32 v1, 31, v0
	v_lshl_add_u64 v[26:27], v[0:1], 2, v[32:33]
	v_add_u32_e32 v0, s12, v0
	v_ashrrev_i32_e32 v1, 31, v0
	global_store_dword v[26:27], v2, off
	v_lshl_add_u64 v[26:27], v[0:1], 2, v[32:33]
	v_add_u32_e32 v0, s12, v0
	v_ashrrev_i32_e32 v1, 31, v0
	global_store_dword v[26:27], v3, off
	;; [unrolled: 4-line block ×23, first 2 shown]
	v_lshl_add_u64 v[2:3], v[0:1], 2, v[32:33]
	v_add_u32_e32 v0, s12, v0
	v_ashrrev_i32_e32 v1, 31, v0
	v_lshl_add_u64 v[0:1], v[0:1], 2, v[32:33]
	global_store_dword v[2:3], v25, off
	global_store_dword v[0:1], v28, off
.LBB52_447:
	s_endpgm
.LBB52_448:
	v_mov_b32_e32 v7, v113
	s_waitcnt lgkmcnt(0)
	v_cmp_eq_f32_e32 vcc, 0, v27
	s_and_saveexec_b64 s[0:1], vcc
	s_xor_b64 s[0:1], exec, s[0:1]
	s_cbranch_execnz .LBB52_70
	s_branch .LBB52_71
.LBB52_449:
	v_mov_b64_e32 v[158:159], v[46:47]
	v_mov_b32_e32 v166, v54
	v_mov_b64_e32 v[156:157], v[44:45]
	v_mov_b64_e32 v[154:155], v[42:43]
	;; [unrolled: 1-line block ×7, first 2 shown]
	v_mov_b32_e32 v165, v53
	v_mov_b32_e32 v164, v52
	;; [unrolled: 1-line block ×6, first 2 shown]
	s_waitcnt lgkmcnt(0)
	v_cmp_eq_f32_e32 vcc, 0, v27
	s_and_saveexec_b64 s[0:1], vcc
	s_xor_b64 s[0:1], exec, s[0:1]
	s_cbranch_execnz .LBB52_189
	s_branch .LBB52_190
.LBB52_450:
	v_mov_b64_e32 v[174:175], v[46:47]
	v_mov_b32_e32 v182, v54
	v_mov_b64_e32 v[172:173], v[44:45]
	v_mov_b64_e32 v[170:171], v[42:43]
	;; [unrolled: 1-line block ×7, first 2 shown]
	v_mov_b32_e32 v181, v53
	v_mov_b32_e32 v180, v52
	;; [unrolled: 1-line block ×6, first 2 shown]
	s_waitcnt lgkmcnt(0)
	v_cmp_eq_f32_e32 vcc, 0, v27
	s_and_saveexec_b64 s[0:1], vcc
	s_xor_b64 s[0:1], exec, s[0:1]
	s_cbranch_execnz .LBB52_359
	s_branch .LBB52_360
.LBB52_451:
	v_add_u32_e32 v29, 0x5c, v31
	v_mov_b32_e32 v28, 22
	s_mov_b32 s0, 23
.LBB52_452:                             ; =>This Inner Loop Header: Depth=1
	ds_read_b32 v30, v29
	v_mov_b32_e32 v31, s0
	s_add_i32 s0, s0, 1
	v_add_u32_e32 v29, 4, v29
	s_cmp_lg_u32 s14, s0
	s_waitcnt lgkmcnt(0)
	v_cmp_lt_f32_e64 vcc, |v27|, |v30|
	s_nop 1
	v_cndmask_b32_e32 v27, v27, v30, vcc
	v_cndmask_b32_e32 v28, v28, v31, vcc
	s_cbranch_scc1 .LBB52_452
; %bb.453:
	scratch_load_dword v31, off, off offset:4 ; 4-byte Folded Reload
	v_cmp_eq_f32_e32 vcc, 0, v27
	s_and_saveexec_b64 s[0:1], vcc
	s_xor_b64 s[0:1], exec, s[0:1]
	s_cbranch_execz .LBB52_374
.LBB52_454:
	scratch_load_dword v29, off, off offset:16 ; 4-byte Folded Reload
	s_waitcnt vmcnt(0)
	v_cmp_ne_u32_e32 vcc, 0, v29
	s_nop 1
	v_cndmask_b32_e32 v29, 23, v29, vcc
	scratch_store_dword off, v29, off offset:16 ; 4-byte Folded Spill
	s_andn2_saveexec_b64 s[0:1], s[0:1]
	s_cbranch_execnz .LBB52_375
	s_branch .LBB52_376
.LBB52_455:
	v_add_u32_e32 v29, 0x60, v31
	v_mov_b32_e32 v28, 23
	s_mov_b32 s0, 24
.LBB52_456:                             ; =>This Inner Loop Header: Depth=1
	ds_read_b32 v30, v29
	v_mov_b32_e32 v31, s0
	s_add_i32 s0, s0, 1
	v_add_u32_e32 v29, 4, v29
	s_cmp_lg_u32 s14, s0
	s_waitcnt lgkmcnt(0)
	v_cmp_lt_f32_e64 vcc, |v27|, |v30|
	s_nop 1
	v_cndmask_b32_e32 v27, v27, v30, vcc
	v_cndmask_b32_e32 v28, v28, v31, vcc
	s_cbranch_scc1 .LBB52_456
; %bb.457:
	scratch_load_dword v31, off, off offset:4 ; 4-byte Folded Reload
	v_cmp_eq_f32_e32 vcc, 0, v27
	s_and_saveexec_b64 s[0:1], vcc
	s_xor_b64 s[0:1], exec, s[0:1]
	s_cbranch_execz .LBB52_388
.LBB52_458:
	scratch_load_dword v29, off, off offset:16 ; 4-byte Folded Reload
	s_waitcnt vmcnt(0)
	v_cmp_ne_u32_e32 vcc, 0, v29
	s_nop 1
	v_cndmask_b32_e32 v29, 24, v29, vcc
	scratch_store_dword off, v29, off offset:16 ; 4-byte Folded Spill
	s_andn2_saveexec_b64 s[0:1], s[0:1]
	s_cbranch_execnz .LBB52_389
	s_branch .LBB52_390
.LBB52_459:
	v_add_u32_e32 v29, 0x64, v31
	v_mov_b32_e32 v28, 24
	s_mov_b32 s0, 25
.LBB52_460:                             ; =>This Inner Loop Header: Depth=1
	ds_read_b32 v30, v29
	v_mov_b32_e32 v31, s0
	s_add_i32 s0, s0, 1
	v_add_u32_e32 v29, 4, v29
	s_cmp_lg_u32 s14, s0
	s_waitcnt lgkmcnt(0)
	v_cmp_lt_f32_e64 vcc, |v27|, |v30|
	s_nop 1
	v_cndmask_b32_e32 v27, v27, v30, vcc
	v_cndmask_b32_e32 v28, v28, v31, vcc
	s_cbranch_scc1 .LBB52_460
; %bb.461:
	scratch_load_dword v31, off, off offset:4 ; 4-byte Folded Reload
	v_cmp_eq_f32_e32 vcc, 0, v27
	s_and_saveexec_b64 s[0:1], vcc
	s_xor_b64 s[0:1], exec, s[0:1]
	s_cbranch_execz .LBB52_402
.LBB52_462:
	scratch_load_dword v29, off, off offset:16 ; 4-byte Folded Reload
	s_waitcnt vmcnt(0)
	v_cmp_ne_u32_e32 vcc, 0, v29
	s_nop 1
	v_cndmask_b32_e32 v29, 25, v29, vcc
	scratch_store_dword off, v29, off offset:16 ; 4-byte Folded Spill
	s_andn2_saveexec_b64 s[0:1], s[0:1]
	s_cbranch_execnz .LBB52_403
	s_branch .LBB52_404
.LBB52_463:
	v_add_u32_e32 v29, 0x68, v31
	v_mov_b32_e32 v28, 25
	s_mov_b32 s0, 26
.LBB52_464:                             ; =>This Inner Loop Header: Depth=1
	ds_read_b32 v30, v29
	v_mov_b32_e32 v31, s0
	s_add_i32 s0, s0, 1
	v_add_u32_e32 v29, 4, v29
	s_cmp_lg_u32 s14, s0
	s_waitcnt lgkmcnt(0)
	v_cmp_lt_f32_e64 vcc, |v27|, |v30|
	s_nop 1
	v_cndmask_b32_e32 v27, v27, v30, vcc
	v_cndmask_b32_e32 v28, v28, v31, vcc
	s_cbranch_scc1 .LBB52_464
; %bb.465:
	scratch_load_dword v31, off, off offset:4 ; 4-byte Folded Reload
	v_cmp_eq_f32_e32 vcc, 0, v27
	s_and_saveexec_b64 s[0:1], vcc
	s_xor_b64 s[0:1], exec, s[0:1]
	s_cbranch_execz .LBB52_416
.LBB52_466:
	scratch_load_dword v29, off, off offset:16 ; 4-byte Folded Reload
	s_waitcnt vmcnt(0)
	v_cmp_ne_u32_e32 vcc, 0, v29
	s_nop 1
	v_cndmask_b32_e32 v29, 26, v29, vcc
	scratch_store_dword off, v29, off offset:16 ; 4-byte Folded Spill
	s_andn2_saveexec_b64 s[0:1], s[0:1]
	s_cbranch_execnz .LBB52_417
	s_branch .LBB52_418
	.section	.rodata,"a",@progbits
	.p2align	6, 0x0
	.amdhsa_kernel _ZN9rocsolver6v33100L18getf2_small_kernelILi27EfiiPfEEvT1_T3_lS3_lPS3_llPT2_S3_S3_S5_l
		.amdhsa_group_segment_fixed_size 0
		.amdhsa_private_segment_fixed_size 4404
		.amdhsa_kernarg_size 352
		.amdhsa_user_sgpr_count 2
		.amdhsa_user_sgpr_dispatch_ptr 0
		.amdhsa_user_sgpr_queue_ptr 0
		.amdhsa_user_sgpr_kernarg_segment_ptr 1
		.amdhsa_user_sgpr_dispatch_id 0
		.amdhsa_user_sgpr_kernarg_preload_length 0
		.amdhsa_user_sgpr_kernarg_preload_offset 0
		.amdhsa_user_sgpr_private_segment_size 0
		.amdhsa_uses_dynamic_stack 0
		.amdhsa_enable_private_segment 1
		.amdhsa_system_sgpr_workgroup_id_x 1
		.amdhsa_system_sgpr_workgroup_id_y 1
		.amdhsa_system_sgpr_workgroup_id_z 0
		.amdhsa_system_sgpr_workgroup_info 0
		.amdhsa_system_vgpr_workitem_id 1
		.amdhsa_next_free_vgpr 256
		.amdhsa_next_free_sgpr 26
		.amdhsa_accum_offset 256
		.amdhsa_reserve_vcc 1
		.amdhsa_float_round_mode_32 0
		.amdhsa_float_round_mode_16_64 0
		.amdhsa_float_denorm_mode_32 3
		.amdhsa_float_denorm_mode_16_64 3
		.amdhsa_dx10_clamp 1
		.amdhsa_ieee_mode 1
		.amdhsa_fp16_overflow 0
		.amdhsa_tg_split 0
		.amdhsa_exception_fp_ieee_invalid_op 0
		.amdhsa_exception_fp_denorm_src 0
		.amdhsa_exception_fp_ieee_div_zero 0
		.amdhsa_exception_fp_ieee_overflow 0
		.amdhsa_exception_fp_ieee_underflow 0
		.amdhsa_exception_fp_ieee_inexact 0
		.amdhsa_exception_int_div_zero 0
	.end_amdhsa_kernel
	.section	.text._ZN9rocsolver6v33100L18getf2_small_kernelILi27EfiiPfEEvT1_T3_lS3_lPS3_llPT2_S3_S3_S5_l,"axG",@progbits,_ZN9rocsolver6v33100L18getf2_small_kernelILi27EfiiPfEEvT1_T3_lS3_lPS3_llPT2_S3_S3_S5_l,comdat
.Lfunc_end52:
	.size	_ZN9rocsolver6v33100L18getf2_small_kernelILi27EfiiPfEEvT1_T3_lS3_lPS3_llPT2_S3_S3_S5_l, .Lfunc_end52-_ZN9rocsolver6v33100L18getf2_small_kernelILi27EfiiPfEEvT1_T3_lS3_lPS3_llPT2_S3_S3_S5_l
                                        ; -- End function
	.set _ZN9rocsolver6v33100L18getf2_small_kernelILi27EfiiPfEEvT1_T3_lS3_lPS3_llPT2_S3_S3_S5_l.num_vgpr, 256
	.set _ZN9rocsolver6v33100L18getf2_small_kernelILi27EfiiPfEEvT1_T3_lS3_lPS3_llPT2_S3_S3_S5_l.num_agpr, 0
	.set _ZN9rocsolver6v33100L18getf2_small_kernelILi27EfiiPfEEvT1_T3_lS3_lPS3_llPT2_S3_S3_S5_l.numbered_sgpr, 26
	.set _ZN9rocsolver6v33100L18getf2_small_kernelILi27EfiiPfEEvT1_T3_lS3_lPS3_llPT2_S3_S3_S5_l.num_named_barrier, 0
	.set _ZN9rocsolver6v33100L18getf2_small_kernelILi27EfiiPfEEvT1_T3_lS3_lPS3_llPT2_S3_S3_S5_l.private_seg_size, 4404
	.set _ZN9rocsolver6v33100L18getf2_small_kernelILi27EfiiPfEEvT1_T3_lS3_lPS3_llPT2_S3_S3_S5_l.uses_vcc, 1
	.set _ZN9rocsolver6v33100L18getf2_small_kernelILi27EfiiPfEEvT1_T3_lS3_lPS3_llPT2_S3_S3_S5_l.uses_flat_scratch, 0
	.set _ZN9rocsolver6v33100L18getf2_small_kernelILi27EfiiPfEEvT1_T3_lS3_lPS3_llPT2_S3_S3_S5_l.has_dyn_sized_stack, 0
	.set _ZN9rocsolver6v33100L18getf2_small_kernelILi27EfiiPfEEvT1_T3_lS3_lPS3_llPT2_S3_S3_S5_l.has_recursion, 0
	.set _ZN9rocsolver6v33100L18getf2_small_kernelILi27EfiiPfEEvT1_T3_lS3_lPS3_llPT2_S3_S3_S5_l.has_indirect_call, 0
	.section	.AMDGPU.csdata,"",@progbits
; Kernel info:
; codeLenInByte = 70980
; TotalNumSgprs: 32
; NumVgprs: 256
; NumAgprs: 0
; TotalNumVgprs: 256
; ScratchSize: 4404
; MemoryBound: 0
; FloatMode: 240
; IeeeMode: 1
; LDSByteSize: 0 bytes/workgroup (compile time only)
; SGPRBlocks: 3
; VGPRBlocks: 31
; NumSGPRsForWavesPerEU: 32
; NumVGPRsForWavesPerEU: 256
; AccumOffset: 256
; Occupancy: 2
; WaveLimiterHint : 0
; COMPUTE_PGM_RSRC2:SCRATCH_EN: 1
; COMPUTE_PGM_RSRC2:USER_SGPR: 2
; COMPUTE_PGM_RSRC2:TRAP_HANDLER: 0
; COMPUTE_PGM_RSRC2:TGID_X_EN: 1
; COMPUTE_PGM_RSRC2:TGID_Y_EN: 1
; COMPUTE_PGM_RSRC2:TGID_Z_EN: 0
; COMPUTE_PGM_RSRC2:TIDIG_COMP_CNT: 1
; COMPUTE_PGM_RSRC3_GFX90A:ACCUM_OFFSET: 63
; COMPUTE_PGM_RSRC3_GFX90A:TG_SPLIT: 0
	.section	.text._ZN9rocsolver6v33100L23getf2_npvt_small_kernelILi27EfiiPfEEvT1_T3_lS3_lPT2_S3_S3_,"axG",@progbits,_ZN9rocsolver6v33100L23getf2_npvt_small_kernelILi27EfiiPfEEvT1_T3_lS3_lPT2_S3_S3_,comdat
	.globl	_ZN9rocsolver6v33100L23getf2_npvt_small_kernelILi27EfiiPfEEvT1_T3_lS3_lPT2_S3_S3_ ; -- Begin function _ZN9rocsolver6v33100L23getf2_npvt_small_kernelILi27EfiiPfEEvT1_T3_lS3_lPT2_S3_S3_
	.p2align	8
	.type	_ZN9rocsolver6v33100L23getf2_npvt_small_kernelILi27EfiiPfEEvT1_T3_lS3_lPT2_S3_S3_,@function
_ZN9rocsolver6v33100L23getf2_npvt_small_kernelILi27EfiiPfEEvT1_T3_lS3_lPT2_S3_S3_: ; @_ZN9rocsolver6v33100L23getf2_npvt_small_kernelILi27EfiiPfEEvT1_T3_lS3_lPT2_S3_S3_
; %bb.0:
	s_load_dword s2, s[0:1], 0x44
	s_load_dwordx2 s[8:9], s[0:1], 0x30
	v_bfe_u32 v24, v0, 10, 10
	s_waitcnt lgkmcnt(0)
	s_lshr_b32 s10, s2, 16
	s_mul_i32 s3, s3, s10
	v_add_u32_e32 v6, s3, v24
	v_cmp_gt_i32_e32 vcc, s8, v6
	s_and_saveexec_b64 s[2:3], vcc
	s_cbranch_execz .LBB53_140
; %bb.1:
	s_load_dwordx4 s[12:15], s[0:1], 0x8
	s_load_dword s2, s[0:1], 0x18
	s_load_dwordx4 s[4:7], s[0:1], 0x20
	v_ashrrev_i32_e32 v7, 31, v6
	s_movk_i32 s0, 0x14f0
	v_and_b32_e32 v254, 0x3ff, v0
	scratch_store_dwordx2 off, v[6:7], s0   ; 8-byte Folded Spill
	s_waitcnt lgkmcnt(0)
	v_mul_lo_u32 v4, s5, v6
	v_mul_lo_u32 v5, s4, v7
	v_mad_u64_u32 v[0:1], s[0:1], s4, v6, 0
	v_mov_b32_e32 v2, s12
	v_mov_b32_e32 v3, s13
	v_add3_u32 v1, v1, v5, v4
	v_lshl_add_u64 v[0:1], v[0:1], 2, v[2:3]
	v_lshl_add_u64 v[0:1], s[14:15], 2, v[0:1]
	v_lshlrev_b32_e32 v2, 2, v254
	v_mov_b32_e32 v3, 0
	s_add_i32 s0, s2, s2
	v_lshl_add_u64 v[26:27], v[0:1], 0, v[2:3]
	v_add_u32_e32 v2, s0, v254
	v_ashrrev_i32_e32 v3, 31, v2
	v_lshl_add_u64 v[20:21], v[2:3], 2, v[0:1]
	v_add_u32_e32 v2, s2, v2
	v_ashrrev_i32_e32 v3, 31, v2
	;; [unrolled: 3-line block ×25, first 2 shown]
	v_lshl_add_u64 v[0:1], v[2:3], 2, v[0:1]
	global_load_dword v2, v[58:59], off
	global_load_dword v3, v[0:1], off
	;; [unrolled: 1-line block ×3, first 2 shown]
	s_movk_i32 s0, 0x13d8
	scratch_store_dwordx2 off, v[58:59], s0 ; 8-byte Folded Spill
	s_movk_i32 s0, 0x13e0
	scratch_store_dwordx2 off, v[0:1], s0   ; 8-byte Folded Spill
	s_movk_i32 s0, 0x13d0
	scratch_store_dwordx2 off, v[56:57], s0 ; 8-byte Folded Spill
	s_movk_i32 s0, 0x1398
	scratch_store_dwordx2 off, v[4:5], s0   ; 8-byte Folded Spill
	s_movk_i32 s0, 0x13a0
	scratch_store_dwordx2 off, v[6:7], s0   ; 8-byte Folded Spill
	s_movk_i32 s0, 0x13a8
	scratch_store_dwordx2 off, v[44:45], s0 ; 8-byte Folded Spill
	s_movk_i32 s0, 0x13b0
	scratch_store_dwordx2 off, v[46:47], s0 ; 8-byte Folded Spill
	;; [unrolled: 2-line block ×5, first 2 shown]
	s_movk_i32 s0, 0x1390
	scratch_store_dwordx2 off, v[8:9], s0   ; 8-byte Folded Spill
	s_movk_i32 s0, 0x1358
	scratch_store_dwordx2 off, v[10:11], s0 ; 8-byte Folded Spill
	s_movk_i32 s0, 0x1360
	scratch_store_dwordx2 off, v[12:13], s0 ; 8-byte Folded Spill
	;; [unrolled: 2-line block ×6, first 2 shown]
	s_movk_i32 s0, 0x1388
	s_ashr_i32 s3, s2, 31
	scratch_store_dwordx2 off, v[42:43], s0 ; 8-byte Folded Spill
	s_movk_i32 s0, 0x1350
	v_lshl_add_u64 v[18:19], s[2:3], 2, v[26:27]
	scratch_store_dwordx2 off, v[16:17], s0 ; 8-byte Folded Spill
	s_movk_i32 s0, 0x1318
	scratch_store_dwordx2 off, v[18:19], s0 ; 8-byte Folded Spill
	s_movk_i32 s0, 0x1320
	;; [unrolled: 2-line block ×3, first 2 shown]
	global_load_dword v9, v[8:9], off
	s_mulk_i32 s10, 0x6c
	global_load_dword v10, v[10:11], off
	s_add_i32 s1, s10, 0
	global_load_dword v17, v[16:17], off
	v_lshl_add_u32 v186, v24, 2, s1
	global_load_dword v1, v[56:57], off
	global_load_dword v0, v[54:55], off
	;; [unrolled: 1-line block ×4, first 2 shown]
	v_cmp_ne_u32_e64 s[2:3], 0, v254
	global_load_dword v18, v[18:19], off
	s_nop 0
	global_load_dword v11, v[12:13], off
	global_load_dword v19, v[20:21], off
	s_nop 0
	global_load_dword v12, v[14:15], off
	global_load_dword v20, v[22:23], off
	;; [unrolled: 1-line block ×3, first 2 shown]
	s_nop 0
	global_load_dword v14, v[38:39], off
	global_load_dword v15, v[40:41], off
	s_nop 0
	scratch_store_dwordx2 off, v[22:23], s0 ; 8-byte Folded Spill
	global_load_dword v22, v[30:31], off
	s_movk_i32 s0, 0x1330
	global_load_dword v23, v[32:33], off
	s_nop 0
	scratch_store_dwordx2 off, v[28:29], s0 ; 8-byte Folded Spill
	s_movk_i32 s0, 0x1338
	scratch_store_dwordx2 off, v[30:31], s0 ; 8-byte Folded Spill
	s_movk_i32 s0, 0x1340
	scratch_store_dwordx2 off, v[32:33], s0 ; 8-byte Folded Spill
	s_waitcnt vmcnt(43)
	scratch_store_dwordx2 off, v[2:3], off offset:2180 ; 8-byte Folded Spill
	global_load_dword v2, v[4:5], off
	s_movk_i32 s0, 0x1348
	global_load_dword v3, v[6:7], off
	global_load_dword v4, v[44:45], off
	;; [unrolled: 1-line block ×3, first 2 shown]
	s_nop 0
	global_load_dword v6, v[50:51], off
	global_load_dword v7, v[52:53], off
	;; [unrolled: 1-line block ×3, first 2 shown]
	s_nop 0
	scratch_store_dwordx2 off, v[34:35], s0 ; 8-byte Folded Spill
	s_movk_i32 s0, 0x1310
	scratch_store_dwordx2 off, v[26:27], s0 ; 8-byte Folded Spill
	s_movk_i32 s0, 0x6c
	v_mad_u32_u24 v187, v24, s0, 0
	v_cmp_eq_u32_e64 s[0:1], 0, v254
	s_and_saveexec_b64 s[4:5], s[0:1]
	s_cbranch_execz .LBB53_4
; %bb.2:
	s_waitcnt vmcnt(52)
	ds_write_b32 v186, v202
	s_waitcnt vmcnt(21)
	ds_write2_b32 v187, v18, v19 offset0:1 offset1:2
	s_waitcnt vmcnt(18)
	ds_write2_b32 v187, v20, v21 offset0:3 offset1:4
	;; [unrolled: 2-line block ×3, first 2 shown]
	ds_write2_b32 v187, v16, v17 offset0:7 offset1:8
	ds_write2_b32 v187, v10, v11 offset0:9 offset1:10
	s_waitcnt vmcnt(2)
	ds_write2_b32 v187, v12, v13 offset0:11 offset1:12
	ds_write2_b32 v187, v14, v15 offset0:13 offset1:14
	;; [unrolled: 1-line block ×7, first 2 shown]
	scratch_load_dwordx2 v[24:25], off, off offset:2180 ; 8-byte Folded Reload
	s_waitcnt vmcnt(0)
	ds_write2_b32 v187, v24, v25 offset0:25 offset1:26
	ds_read_b32 v24, v186
	s_waitcnt lgkmcnt(0)
	v_cmp_neq_f32_e32 vcc, 0, v24
	s_and_b64 exec, exec, vcc
	s_cbranch_execz .LBB53_4
; %bb.3:
	v_div_scale_f32 v25, s[10:11], v24, v24, 1.0
	v_rcp_f32_e32 v26, v25
	v_div_scale_f32 v27, vcc, 1.0, v24, 1.0
	v_fma_f32 v28, -v25, v26, 1.0
	v_fmac_f32_e32 v26, v28, v26
	v_mul_f32_e32 v28, v27, v26
	v_fma_f32 v29, -v25, v28, v27
	v_fmac_f32_e32 v28, v29, v26
	v_fma_f32 v25, -v25, v28, v27
	v_div_fmas_f32 v25, v25, v26, v28
	v_div_fixup_f32 v24, v25, v24, 1.0
	ds_write_b32 v186, v24
.LBB53_4:
	s_or_b64 exec, exec, s[4:5]
	s_waitcnt lgkmcnt(0)
	s_barrier
	ds_read_b32 v24, v186
	s_movk_i32 s4, 0x13e8
                                        ; implicit-def: $vgpr238
                                        ; implicit-def: $vgpr243
                                        ; implicit-def: $vgpr50
                                        ; implicit-def: $vgpr45
                                        ; implicit-def: $vgpr44
                                        ; implicit-def: $vgpr43
                                        ; implicit-def: $vgpr42
                                        ; implicit-def: $vgpr237
                                        ; implicit-def: $vgpr80
                                        ; implicit-def: $vgpr125
                                        ; implicit-def: $vgpr40
                                        ; implicit-def: $vgpr53
                                        ; implicit-def: $vgpr184
                                        ; implicit-def: $vgpr33
                                        ; implicit-def: $vgpr36
                                        ; implicit-def: $vgpr35
                                        ; implicit-def: $vgpr32
                                        ; implicit-def: $vgpr31
                                        ; implicit-def: $vgpr30
                                        ; implicit-def: $vgpr29
                                        ; implicit-def: $vgpr28
                                        ; implicit-def: $vgpr27
                                        ; implicit-def: $vgpr26
	s_waitcnt lgkmcnt(0)
	scratch_store_dword off, v24, s4        ; 4-byte Folded Spill
                                        ; implicit-def: $vgpr24
	s_and_saveexec_b64 s[4:5], s[2:3]
	s_xor_b64 s[2:3], exec, s[4:5]
	s_cbranch_execz .LBB53_6
; %bb.5:
	s_movk_i32 s4, 0x13e8
	ds_read2_b32 v[24:25], v187 offset0:1 offset1:2
	ds_read2_b32 v[26:27], v187 offset0:3 offset1:4
	;; [unrolled: 1-line block ×3, first 2 shown]
	scratch_load_dword v30, off, s4         ; 4-byte Folded Reload
	s_waitcnt vmcnt(0)
	v_mul_f32_e32 v202, v202, v30
	ds_read2_b32 v[30:31], v187 offset0:7 offset1:8
	s_waitcnt lgkmcnt(3)
	v_pk_fma_f32 v[24:25], v[202:203], v[24:25], v[18:19] op_sel_hi:[0,1,1] neg_lo:[1,0,0] neg_hi:[1,0,0]
	s_waitcnt lgkmcnt(2)
	v_pk_fma_f32 v[26:27], v[202:203], v[26:27], v[20:21] op_sel_hi:[0,1,1] neg_lo:[1,0,0] neg_hi:[1,0,0]
	;; [unrolled: 2-line block ×3, first 2 shown]
	ds_read2_b32 v[18:19], v187 offset0:9 offset1:10
	ds_read2_b32 v[20:21], v187 offset0:11 offset1:12
	;; [unrolled: 1-line block ×4, first 2 shown]
	s_waitcnt lgkmcnt(4)
	v_pk_fma_f32 v[30:31], v[202:203], v[30:31], v[16:17] op_sel_hi:[0,1,1] neg_lo:[1,0,0] neg_hi:[1,0,0]
	s_waitcnt lgkmcnt(3)
	v_pk_fma_f32 v[34:35], v[202:203], v[18:19], v[10:11] op_sel_hi:[0,1,1] neg_lo:[1,0,0] neg_hi:[1,0,0]
	;; [unrolled: 2-line block ×5, first 2 shown]
	ds_read2_b32 v[8:9], v187 offset0:17 offset1:18
	ds_read2_b32 v[10:11], v187 offset0:19 offset1:20
	;; [unrolled: 1-line block ×5, first 2 shown]
	s_waitcnt lgkmcnt(4)
	v_pk_fma_f32 v[40:41], v[202:203], v[8:9], v[2:3] op_sel_hi:[0,1,1] neg_lo:[1,0,0] neg_hi:[1,0,0]
	s_waitcnt lgkmcnt(3)
	v_pk_fma_f32 v[42:43], v[202:203], v[10:11], v[4:5] op_sel_hi:[0,1,1] neg_lo:[1,0,0] neg_hi:[1,0,0]
	;; [unrolled: 2-line block ×4, first 2 shown]
	scratch_load_dwordx2 v[0:1], off, off offset:2180 ; 8-byte Folded Reload
	v_mov_b32_e32 v238, v47
                                        ; implicit-def: $vgpr18
                                        ; implicit-def: $vgpr20
                                        ; implicit-def: $vgpr22
                                        ; implicit-def: $vgpr10
                                        ; implicit-def: $vgpr12
                                        ; implicit-def: $vgpr14
                                        ; implicit-def: $vgpr8
                                        ; implicit-def: $vgpr2
                                        ; implicit-def: $vgpr4
                                        ; implicit-def: $vgpr6
	v_mov_b32_e32 v243, v46
	v_mov_b32_e32 v50, v45
	;; [unrolled: 1-line block ×22, first 2 shown]
	s_waitcnt vmcnt(0) lgkmcnt(0)
	v_pk_fma_f32 v[0:1], v[202:203], v[16:17], v[0:1] op_sel_hi:[0,1,1] neg_lo:[1,0,0] neg_hi:[1,0,0]
	scratch_store_dwordx2 off, v[0:1], off offset:2180 ; 8-byte Folded Spill
                                        ; implicit-def: $vgpr16
                                        ; implicit-def: $vgpr0
.LBB53_6:
	s_or_saveexec_b64 s[2:3], s[2:3]
	v_mov_b32_e32 v203, v24
	s_xor_b64 exec, exec, s[2:3]
	s_cbranch_execz .LBB53_8
; %bb.7:
	s_waitcnt vmcnt(24)
	v_mov_b32_e32 v203, v18
	s_waitcnt vmcnt(22)
	v_mov_b32_e32 v26, v19
	;; [unrolled: 2-line block ×6, first 2 shown]
	v_mov_b32_e32 v31, v16
	v_mov_b32_e32 v32, v17
	;; [unrolled: 1-line block ×5, first 2 shown]
	s_waitcnt vmcnt(3)
	v_mov_b32_e32 v184, v13
	v_mov_b32_e32 v53, v14
	v_mov_b32_e32 v40, v15
	v_mov_b32_e32 v125, v8
	v_mov_b32_e32 v80, v9
	v_mov_b32_e32 v237, v2
	v_mov_b32_e32 v42, v3
	v_mov_b32_e32 v43, v4
	v_mov_b32_e32 v44, v5
	v_mov_b32_e32 v45, v6
	v_mov_b32_e32 v50, v7
	v_mov_b32_e32 v243, v0
	v_mov_b32_e32 v238, v1
.LBB53_8:
	s_or_b64 exec, exec, s[2:3]
	v_mov_b32_e32 v205, v27
	v_mov_b32_e32 v107, v27
	;; [unrolled: 1-line block ×6, first 2 shown]
	s_waitcnt vmcnt(19)
	v_mov_b32_e32 v21, v45
	scratch_store_dwordx4 off, v[220:223], off offset:388 ; 16-byte Folded Spill
	s_nop 0
	scratch_store_dwordx4 off, v[224:227], off offset:404 ; 16-byte Folded Spill
	scratch_store_dwordx4 off, v[228:231], off offset:420 ; 16-byte Folded Spill
	;; [unrolled: 1-line block ×7, first 2 shown]
	v_mov_b32_e32 v170, v26
	v_mov_b32_e32 v204, v26
	;; [unrolled: 1-line block ×5, first 2 shown]
	s_waitcnt vmcnt(16)
	scratch_store_dwordx4 off, v[0:3], off offset:260 ; 16-byte Folded Spill
	s_waitcnt vmcnt(13)
	scratch_store_dwordx4 off, v[4:7], off offset:276 ; 16-byte Folded Spill
	scratch_store_dwordx4 off, v[8:11], off offset:292 ; 16-byte Folded Spill
	s_waitcnt vmcnt(14)
	scratch_store_dwordx4 off, v[12:15], off offset:308 ; 16-byte Folded Spill
	scratch_store_dwordx4 off, v[16:19], off offset:324 ; 16-byte Folded Spill
	;; [unrolled: 1-line block ×5, first 2 shown]
	v_mov_b32_e32 v22, v50
	v_mov_b32_e32 v210, v32
	;; [unrolled: 1-line block ×21, first 2 shown]
	v_cmp_eq_u32_e32 vcc, 1, v254
	scratch_store_dwordx4 off, v[0:3], off offset:132 ; 16-byte Folded Spill
	s_nop 0
	scratch_store_dwordx4 off, v[4:7], off offset:148 ; 16-byte Folded Spill
	scratch_store_dwordx4 off, v[8:11], off offset:164 ; 16-byte Folded Spill
	;; [unrolled: 1-line block ×7, first 2 shown]
	scratch_load_dwordx2 v[0:1], off, off offset:2180 ; 8-byte Folded Reload
	v_mov_b32_e32 v219, v237
	v_mov_b32_e32 v225, v243
	;; [unrolled: 1-line block ×3, first 2 shown]
	s_barrier
	s_waitcnt vmcnt(0)
	v_mov_b32_e32 v227, v0
	v_mov_b32_e32 v228, v1
	s_and_saveexec_b64 s[2:3], vcc
	s_cbranch_execz .LBB53_11
; %bb.9:
	ds_write_b32 v186, v203
	ds_write2_b32 v187, v170, v107 offset0:2 offset1:3
	ds_write2_b32 v187, v62, v27 offset0:4 offset1:5
	ds_write2_b32 v187, v30, v31 offset0:6 offset1:7
	ds_write2_b32 v187, v28, v35 offset0:8 offset1:9
	ds_write2_b32 v187, v100, v139 offset0:10 offset1:11
	ds_write2_b32 v187, v184, v53 offset0:12 offset1:13
	ds_write2_b32 v187, v164, v125 offset0:14 offset1:15
	ds_write2_b32 v187, v80, v237 offset0:16 offset1:17
	ds_write2_b32 v187, v108, v57 offset0:18 offset1:19
	v_mov_b32_e32 v29, v139
	scratch_load_dwordx4 v[128:131], off, off offset:260 ; 16-byte Folded Reload
	scratch_load_dwordx4 v[132:135], off, off offset:276 ; 16-byte Folded Reload
	;; [unrolled: 1-line block ×8, first 2 shown]
	v_mov_b64_e32 v[0:1], v[202:203]
	v_mov_b32_e32 v16, v218
	v_mov_b64_e32 v[2:3], v[204:205]
	v_mov_b64_e32 v[4:5], v[206:207]
	;; [unrolled: 1-line block ×7, first 2 shown]
	v_mov_b32_e32 v17, v219
	v_mov_b32_e32 v18, v220
	;; [unrolled: 1-line block ×10, first 2 shown]
	s_waitcnt vmcnt(2)
	ds_write2_b32 v187, v126, v149 offset0:20 offset1:21
	scratch_load_dwordx4 v[188:191], off, off offset:132 ; 16-byte Folded Reload
	scratch_load_dwordx4 v[192:195], off, off offset:148 ; 16-byte Folded Reload
	;; [unrolled: 1-line block ×16, first 2 shown]
	s_waitcnt vmcnt(8)
	v_mov_b32_e32 v228, v26
	s_waitcnt vmcnt(5)
	v_mov_b32_e32 v139, v29
	v_mov_b32_e32 v227, v25
	;; [unrolled: 1-line block ×11, first 2 shown]
	s_waitcnt vmcnt(2)
	ds_write2_b32 v187, v210, v151 offset0:22 offset1:23
	v_mov_b64_e32 v[216:217], v[14:15]
	v_mov_b64_e32 v[214:215], v[12:13]
	;; [unrolled: 1-line block ×8, first 2 shown]
	scratch_load_dwordx2 v[0:1], off, off offset:2180 ; 8-byte Folded Reload
	s_waitcnt vmcnt(0)
	ds_write2_b32 v187, v238, v0 offset0:24 offset1:25
	ds_write_b32 v187, v1 offset:104
	ds_read_b32 v0, v186
	s_waitcnt lgkmcnt(0)
	v_cmp_neq_f32_e32 vcc, 0, v0
	s_and_b64 exec, exec, vcc
	s_cbranch_execz .LBB53_11
; %bb.10:
	v_div_scale_f32 v1, s[4:5], v0, v0, 1.0
	v_rcp_f32_e32 v2, v1
	v_div_scale_f32 v3, vcc, 1.0, v0, 1.0
	v_fma_f32 v4, -v1, v2, 1.0
	v_fmac_f32_e32 v2, v4, v2
	v_mul_f32_e32 v4, v3, v2
	v_fma_f32 v5, -v1, v4, v3
	v_fmac_f32_e32 v4, v5, v2
	v_fma_f32 v1, -v1, v4, v3
	v_div_fmas_f32 v1, v1, v2, v4
	v_div_fixup_f32 v0, v1, v0, 1.0
	ds_write_b32 v186, v0
.LBB53_11:
	s_or_b64 exec, exec, s[2:3]
	v_mov_b32_e32 v6, v30
	v_mov_b32_e32 v7, v31
	;; [unrolled: 1-line block ×11, first 2 shown]
	v_mov_b64_e32 v[50:51], v[6:7]
	v_mov_b32_e32 v118, v8
	v_mov_b64_e32 v[20:21], v[8:9]
	v_mov_b32_e32 v128, v202
	v_mov_b32_e32 v129, v203
	v_mov_b64_e32 v[78:79], v[6:7]
	v_mov_b32_e32 v41, v5
	v_mov_b32_e32 v40, v4
	;; [unrolled: 1-line block ×6, first 2 shown]
	v_mov_b64_e32 v[48:49], v[4:5]
	v_mov_b64_e32 v[46:47], v[2:3]
	;; [unrolled: 1-line block ×3, first 2 shown]
	v_mov_b32_e32 v117, v7
	v_mov_b32_e32 v116, v6
	;; [unrolled: 1-line block ×8, first 2 shown]
	v_mov_b64_e32 v[18:19], v[6:7]
	v_mov_b64_e32 v[16:17], v[4:5]
	v_mov_b64_e32 v[14:15], v[2:3]
	v_mov_b64_e32 v[12:13], v[0:1]
	v_mov_b32_e32 v130, v170
	v_mov_b32_e32 v131, v107
	;; [unrolled: 1-line block ×9, first 2 shown]
	v_mov_b64_e32 v[76:77], v[4:5]
	v_mov_b64_e32 v[74:75], v[2:3]
	;; [unrolled: 1-line block ×10, first 2 shown]
	v_mov_b32_e32 v168, v202
	v_mov_b32_e32 v169, v203
	v_mov_b32_e32 v172, v202
	v_mov_b32_e32 v173, v203
	v_mov_b32_e32 v174, v170
	v_mov_b32_e32 v175, v107
	v_mov_b32_e32 v176, v62
	v_mov_b32_e32 v177, v27
	v_mov_b32_e32 v178, v42
	v_mov_b32_e32 v179, v51
	v_mov_b32_e32 v180, v118
	v_mov_b32_e32 v181, v21
	v_mov_b64_e32 v[158:159], v[8:9]
	v_mov_b64_e32 v[156:157], v[6:7]
	;; [unrolled: 1-line block ×5, first 2 shown]
	v_mov_b32_e32 v106, v170
	v_mov_b32_e32 v60, v170
	;; [unrolled: 1-line block ×15, first 2 shown]
	scratch_store_dwordx4 off, v[150:153], off offset:2052 ; 16-byte Folded Spill
	s_nop 0
	scratch_store_dwordx4 off, v[154:157], off offset:2068 ; 16-byte Folded Spill
	scratch_store_dwordx4 off, v[158:161], off offset:2084 ; 16-byte Folded Spill
	;; [unrolled: 1-line block ×7, first 2 shown]
	v_mov_b32_e32 v88, v42
	v_mov_b32_e32 v147, v99
	;; [unrolled: 1-line block ×22, first 2 shown]
	v_mov_b64_e32 v[30:31], v[202:203]
	v_mov_b32_e32 v46, v218
	v_mov_b32_e32 v104, v202
	;; [unrolled: 1-line block ×21, first 2 shown]
	v_mov_b64_e32 v[32:33], v[204:205]
	v_mov_b64_e32 v[34:35], v[206:207]
	v_mov_b64_e32 v[36:37], v[208:209]
	v_mov_b64_e32 v[38:39], v[210:211]
	v_mov_b64_e32 v[40:41], v[212:213]
	v_mov_b64_e32 v[42:43], v[214:215]
	v_mov_b64_e32 v[44:45], v[216:217]
	v_mov_b32_e32 v47, v219
	v_mov_b32_e32 v48, v220
	;; [unrolled: 1-line block ×10, first 2 shown]
	scratch_load_dwordx4 v[202:205], off, off offset:2052 ; 16-byte Folded Reload
	scratch_load_dwordx4 v[206:209], off, off offset:2068 ; 16-byte Folded Reload
	;; [unrolled: 1-line block ×8, first 2 shown]
	v_mov_b32_e32 v162, v184
	v_mov_b32_e32 v196, v118
	v_mov_b64_e32 v[136:137], v[20:21]
	v_mov_b32_e32 v113, v107
	v_mov_b32_e32 v114, v62
	;; [unrolled: 1-line block ×6, first 2 shown]
	s_waitcnt vmcnt(1)
	v_mov_b64_e32 v[226:227], v[78:79]
	v_mov_b32_e32 v122, v162
	v_mov_b32_e32 v112, v170
	;; [unrolled: 1-line block ×7, first 2 shown]
	v_mov_b64_e32 v[134:135], v[18:19]
	v_mov_b64_e32 v[132:133], v[16:17]
	;; [unrolled: 1-line block ×4, first 2 shown]
	v_mov_b32_e32 v1, v111
	v_mov_b32_e32 v2, v112
	;; [unrolled: 1-line block ×14, first 2 shown]
	v_mov_b64_e32 v[224:225], v[76:77]
	v_mov_b64_e32 v[222:223], v[74:75]
	;; [unrolled: 1-line block ×3, first 2 shown]
	v_mov_b32_e32 v193, v27
	v_mov_b32_e32 v197, v21
	;; [unrolled: 1-line block ×10, first 2 shown]
	v_mov_b64_e32 v[110:111], v[150:151]
	v_mov_b32_e32 v199, v161
	v_mov_b64_e32 v[112:113], v[152:153]
	v_mov_b64_e32 v[114:115], v[154:155]
	;; [unrolled: 1-line block ×5, first 2 shown]
	v_mov_b32_e32 v123, v163
	v_mov_b32_e32 v162, v148
	;; [unrolled: 1-line block ×20, first 2 shown]
	scratch_store_dwordx4 off, v[0:3], off offset:3212 ; 16-byte Folded Spill
	s_nop 0
	scratch_store_dwordx4 off, v[4:7], off offset:3228 ; 16-byte Folded Spill
	scratch_store_dwordx4 off, v[8:11], off offset:3244 ; 16-byte Folded Spill
	;; [unrolled: 1-line block ×8, first 2 shown]
	s_nop 0
	scratch_store_dwordx4 off, v[224:227], off offset:916 ; 16-byte Folded Spill
	s_waitcnt vmcnt(10)
	scratch_store_dwordx4 off, v[228:231], off offset:932 ; 16-byte Folded Spill
	scratch_store_dwordx4 off, v[232:235], off offset:948 ; 16-byte Folded Spill
	;; [unrolled: 1-line block ×6, first 2 shown]
	v_mov_b32_e32 v224, v62
	v_mov_b32_e32 v147, v95
	;; [unrolled: 1-line block ×7, first 2 shown]
	v_mov_b64_e32 v[90:91], v[202:203]
	v_mov_b32_e32 v223, v61
	v_mov_b32_e32 v222, v60
	v_mov_b32_e32 v221, v59
	v_mov_b32_e32 v220, v58
	v_mov_b64_e32 v[92:93], v[204:205]
	v_mov_b64_e32 v[94:95], v[206:207]
	;; [unrolled: 1-line block ×6, first 2 shown]
	v_mov_b32_e32 v191, v107
	v_mov_b32_e32 v67, v107
	;; [unrolled: 1-line block ×3, first 2 shown]
	v_mov_b64_e32 v[216:217], v[104:105]
	v_mov_b64_e32 v[0:1], v[128:129]
	;; [unrolled: 1-line block ×6, first 2 shown]
	v_mov_b32_e32 v128, v168
	v_mov_b32_e32 v192, v62
	v_mov_b32_e32 v68, v62
	v_mov_b32_e32 v129, v169
	v_mov_b32_e32 v130, v170
	v_mov_b32_e32 v10, v168
	v_mov_b32_e32 v195, v79
	v_mov_b32_e32 v200, v184
	v_mov_b32_e32 v66, v170
	v_mov_b32_e32 v74, v162
	v_mov_b32_e32 v11, v169
	v_mov_b32_e32 v12, v170
	v_mov_b64_e32 v[28:29], v[200:201]
	v_mov_b32_e32 v73, v137
	v_mov_b32_e32 v78, v124
	v_mov_b32_e32 v75, v213
	v_mov_b32_e32 v76, v184
	v_mov_b32_e32 v77, v201
	s_movk_i32 s2, 0x118c
	v_mov_b32_e32 v204, v80
	v_cmp_lt_u32_e32 vcc, 1, v254
	v_mov_b64_e32 v[62:63], v[26:27]
	v_mov_b32_e32 v69, v27
	v_mov_b64_e32 v[60:61], v[24:25]
	v_mov_b64_e32 v[58:59], v[22:23]
	v_mov_b32_e32 v71, v227
	scratch_store_dwordx4 off, v[220:223], off offset:2444 ; 16-byte Folded Spill
	s_nop 0
	scratch_store_dwordx4 off, v[224:227], off offset:2460 ; 16-byte Folded Spill
	scratch_store_dwordx4 off, v[228:231], off offset:2476 ; 16-byte Folded Spill
	;; [unrolled: 1-line block ×7, first 2 shown]
	v_mov_b32_e32 v223, v107
	scratch_store_dwordx4 off, v[82:85], off offset:1156 ; 16-byte Folded Spill
	s_nop 0
	scratch_store_dwordx4 off, v[86:89], off offset:1172 ; 16-byte Folded Spill
	scratch_store_dwordx4 off, v[90:93], off offset:1188 ; 16-byte Folded Spill
	;; [unrolled: 1-line block ×7, first 2 shown]
	v_mov_b64_e32 v[16:17], v[188:189]
	v_mov_b32_e32 v222, v130
	v_mov_b64_e32 v[132:133], v[62:63]
	scratch_store_dwordx4 off, v[142:145], off offset:644 ; 16-byte Folded Spill
	s_nop 0
	scratch_store_dwordx4 off, v[146:149], off offset:660 ; 16-byte Folded Spill
	scratch_store_dwordx4 off, v[150:153], off offset:676 ; 16-byte Folded Spill
	;; [unrolled: 1-line block ×7, first 2 shown]
	v_mov_b64_e32 v[18:19], v[190:191]
	v_mov_b64_e32 v[20:21], v[192:193]
	;; [unrolled: 1-line block ×7, first 2 shown]
	v_mov_b32_e32 v64, v30
	v_mov_b32_e32 v65, v31
	;; [unrolled: 1-line block ×5, first 2 shown]
	scratch_store_dwordx4 off, v[0:3], off offset:2572 ; 16-byte Folded Spill
	s_nop 0
	scratch_store_dwordx4 off, v[4:7], off offset:2588 ; 16-byte Folded Spill
	scratch_store_dwordx4 off, v[8:11], off offset:2604 ; 16-byte Folded Spill
	;; [unrolled: 1-line block ×7, first 2 shown]
	v_mov_b32_e32 v234, v124
	scratch_store_dwordx4 off, v[110:113], off offset:2700 ; 16-byte Folded Spill
	s_nop 0
	scratch_store_dwordx4 off, v[114:117], off offset:2716 ; 16-byte Folded Spill
	scratch_store_dwordx4 off, v[118:121], off offset:2732 ; 16-byte Folded Spill
	;; [unrolled: 1-line block ×7, first 2 shown]
	v_mov_b64_e32 v[202:203], v[78:79]
	v_mov_b32_e32 v225, v63
	v_mov_b64_e32 v[200:201], v[76:77]
	v_mov_b32_e32 v120, v168
	v_mov_b32_e32 v121, v169
	;; [unrolled: 1-line block ×4, first 2 shown]
	v_mov_b64_e32 v[198:199], v[74:75]
	v_mov_b64_e32 v[196:197], v[72:73]
	;; [unrolled: 1-line block ×7, first 2 shown]
	scratch_store_dwordx4 off, v[120:123], s2 ; 16-byte Folded Spill
	s_nop 0
	scratch_store_dwordx4 off, v[124:127], s2 offset:16 ; 16-byte Folded Spill
	scratch_store_dwordx4 off, v[128:131], s2 offset:32 ; 16-byte Folded Spill
	;; [unrolled: 1-line block ×7, first 2 shown]
	v_mov_b32_e32 v231, v101
	v_mov_b32_e32 v236, v80
	v_mov_b64_e32 v[64:65], v[92:93]
	v_mov_b64_e32 v[66:67], v[94:95]
	;; [unrolled: 1-line block ×5, first 2 shown]
	v_mov_b32_e32 v80, v108
	scratch_load_dwordx4 v[90:93], off, off offset:2444 ; 16-byte Folded Reload
	scratch_load_dwordx4 v[94:97], off, off offset:2460 ; 16-byte Folded Reload
	;; [unrolled: 1-line block ×8, first 2 shown]
	v_mov_b32_e32 v226, v88
	v_mov_b32_e32 v68, v88
	;; [unrolled: 1-line block ×13, first 2 shown]
	s_waitcnt vmcnt(1)
	v_mov_b64_e32 v[114:115], v[28:29]
	v_mov_b32_e32 v229, v9
	v_mov_b32_e32 v232, v184
	v_mov_b32_e32 v235, v15
	v_mov_b32_e32 v170, v184
	v_mov_b32_e32 v12, v170
	v_mov_b32_e32 v70, v150
	v_mov_b32_e32 v64, v122
	v_mov_b32_e32 v67, v133
	v_mov_b32_e32 v66, v94
	scratch_load_dwordx4 v[82:85], off, off offset:900 ; 16-byte Folded Reload
	scratch_load_dwordx4 v[86:89], off, off offset:916 ; 16-byte Folded Reload
	scratch_load_dwordx4 v[90:93], off, off offset:932 ; 16-byte Folded Reload
	scratch_load_dwordx4 v[94:97], off, off offset:948 ; 16-byte Folded Reload
	scratch_load_dwordx4 v[98:101], off, off offset:964 ; 16-byte Folded Reload
	scratch_load_dwordx4 v[102:105], off, off offset:980 ; 16-byte Folded Reload
	scratch_load_dwordx4 v[106:109], off, off offset:996 ; 16-byte Folded Reload
	scratch_load_dwordx4 v[110:113], off, off offset:1012 ; 16-byte Folded Reload
	s_waitcnt vmcnt(0)
	v_mov_b32_e32 v102, v152
	v_mov_b32_e32 v103, v153
	v_mov_b32_e32 v104, v154
	v_mov_b32_e32 v105, v155
	v_mov_b32_e32 v106, v156
	v_mov_b32_e32 v107, v157
	v_mov_b32_e32 v108, v158
	v_mov_b32_e32 v109, v159
	v_mov_b32_e32 v110, v160
	v_mov_b32_e32 v111, v161
	v_mov_b32_e32 v112, v162
	scratch_load_dwordx4 v[134:137], off, off offset:2700 ; 16-byte Folded Reload
	scratch_load_dwordx4 v[138:141], off, off offset:2716 ; 16-byte Folded Reload
	;; [unrolled: 1-line block ×8, first 2 shown]
	v_mov_b32_e32 v72, v112
	v_mov_b32_e32 v101, v57
	;; [unrolled: 1-line block ×7, first 2 shown]
	v_mov_b64_e32 v[184:185], v[114:115]
	v_mov_b32_e32 v13, v185
	v_mov_b32_e32 v69, v89
	s_waitcnt vmcnt(4)
	v_mov_b32_e32 v76, v148
	scratch_store_dwordx4 off, v[62:65], off offset:4 ; 16-byte Folded Spill
	s_nop 0
	scratch_store_dwordx4 off, v[66:69], off offset:20 ; 16-byte Folded Spill
	scratch_store_dwordx4 off, v[70:73], off offset:36 ; 16-byte Folded Spill
	;; [unrolled: 1-line block ×7, first 2 shown]
	v_mov_b32_e32 v82, v30
	v_mov_b32_e32 v83, v31
	scratch_store_dwordx4 off, v[30:33], off offset:516 ; 16-byte Folded Spill
	s_nop 0
	scratch_store_dwordx4 off, v[34:37], off offset:532 ; 16-byte Folded Spill
	scratch_store_dwordx4 off, v[38:41], off offset:548 ; 16-byte Folded Spill
	;; [unrolled: 1-line block ×7, first 2 shown]
	scratch_load_dwordx4 v[50:53], off, off offset:2444 ; 16-byte Folded Reload
	s_nop 0
	scratch_load_dwordx4 v[54:57], off, off offset:2460 ; 16-byte Folded Reload
	scratch_load_dwordx4 v[58:61], off, off offset:2476 ; 16-byte Folded Reload
	;; [unrolled: 1-line block ×7, first 2 shown]
	v_mov_b32_e32 v85, v219
	v_mov_b32_e32 v84, v122
	;; [unrolled: 1-line block ×3, first 2 shown]
	s_waitcnt vmcnt(6)
	v_mov_b32_e32 v86, v54
	scratch_load_dwordx4 v[50:53], off, off offset:1156 ; 16-byte Folded Reload
	scratch_load_dwordx4 v[54:57], off, off offset:1172 ; 16-byte Folded Reload
	;; [unrolled: 1-line block ×8, first 2 shown]
	s_waitcnt vmcnt(6)
	v_mov_b32_e32 v88, v56
	scratch_load_dwordx4 v[30:33], off, off offset:900 ; 16-byte Folded Reload
	scratch_load_dwordx4 v[34:37], off, off offset:916 ; 16-byte Folded Reload
	scratch_load_dwordx4 v[38:41], off, off offset:932 ; 16-byte Folded Reload
	scratch_load_dwordx4 v[42:45], off, off offset:948 ; 16-byte Folded Reload
	scratch_load_dwordx4 v[46:49], off, off offset:964 ; 16-byte Folded Reload
	scratch_load_dwordx4 v[50:53], off, off offset:980 ; 16-byte Folded Reload
	scratch_load_dwordx4 v[54:57], off, off offset:996 ; 16-byte Folded Reload
	scratch_load_dwordx4 v[58:61], off, off offset:1012 ; 16-byte Folded Reload
	scratch_load_dwordx4 v[50:53], off, off offset:644 ; 16-byte Folded Reload
	scratch_load_dwordx4 v[54:57], off, off offset:660 ; 16-byte Folded Reload
	scratch_load_dwordx4 v[58:61], off, off offset:676 ; 16-byte Folded Reload
	scratch_load_dwordx4 v[62:65], off, off offset:692 ; 16-byte Folded Reload
	scratch_load_dwordx4 v[66:69], off, off offset:708 ; 16-byte Folded Reload
	scratch_load_dwordx4 v[70:73], off, off offset:724 ; 16-byte Folded Reload
	scratch_load_dwordx4 v[74:77], off, off offset:740 ; 16-byte Folded Reload
	scratch_load_dwordx4 v[78:81], off, off offset:756 ; 16-byte Folded Reload
	s_waitcnt vmcnt(14)
	v_mov_b32_e32 v89, v37
	s_waitcnt vmcnt(5)
	v_mov_b32_e32 v90, v58
	scratch_load_dwordx4 v[50:53], off, off offset:2572 ; 16-byte Folded Reload
	scratch_load_dwordx4 v[54:57], off, off offset:2588 ; 16-byte Folded Reload
	;; [unrolled: 1-line block ×8, first 2 shown]
	s_waitcnt vmcnt(0)
	v_mov_b32_e32 v70, v102
	v_mov_b32_e32 v71, v103
	;; [unrolled: 1-line block ×11, first 2 shown]
	v_mov_b64_e32 v[112:113], v[26:27]
	scratch_load_dwordx4 v[134:137], off, off offset:2052 ; 16-byte Folded Reload
	scratch_load_dwordx4 v[138:141], off, off offset:2068 ; 16-byte Folded Reload
	;; [unrolled: 1-line block ×8, first 2 shown]
	v_mov_b64_e32 v[110:111], v[24:25]
	v_mov_b64_e32 v[108:109], v[22:23]
	v_mov_b64_e32 v[106:107], v[20:21]
	v_mov_b64_e32 v[104:105], v[18:19]
	v_mov_b64_e32 v[102:103], v[16:17]
	scratch_load_dwordx4 v[20:23], off, off offset:2700 ; 16-byte Folded Reload
	scratch_load_dwordx4 v[24:27], off, off offset:2716 ; 16-byte Folded Reload
	;; [unrolled: 1-line block ×8, first 2 shown]
	s_nop 0
	scratch_store_dwordx4 off, v[188:191], off offset:2828 ; 16-byte Folded Spill
	s_nop 0
	scratch_store_dwordx4 off, v[192:195], off offset:2844 ; 16-byte Folded Spill
	scratch_store_dwordx4 off, v[196:199], off offset:2860 ; 16-byte Folded Spill
	;; [unrolled: 1-line block ×7, first 2 shown]
	v_mov_b32_e32 v92, v80
	v_mov_b32_e32 v91, v59
	scratch_load_dwordx4 v[36:39], off, off offset:4 ; 16-byte Folded Reload
	scratch_load_dwordx4 v[40:43], off, off offset:20 ; 16-byte Folded Reload
	;; [unrolled: 1-line block ×8, first 2 shown]
	s_waitcnt vmcnt(4)
	v_mov_b64_e32 v[36:37], v[220:221]
	v_mov_b64_e32 v[38:39], v[222:223]
	;; [unrolled: 1-line block ×8, first 2 shown]
	s_waitcnt vmcnt(3)
	v_mov_b64_e32 v[52:53], v[236:237]
	v_mov_b32_e32 v93, v145
	v_mov_b32_e32 v96, v34
	;; [unrolled: 1-line block ×3, first 2 shown]
	scratch_store_dwordx4 off, v[82:85], off offset:3852 ; 16-byte Folded Spill
	s_nop 0
	scratch_store_dwordx4 off, v[86:89], off offset:3868 ; 16-byte Folded Spill
	scratch_store_dwordx4 off, v[90:93], off offset:3884 ; 16-byte Folded Spill
	;; [unrolled: 1-line block ×7, first 2 shown]
	scratch_load_dwordx4 v[134:137], off, off offset:516 ; 16-byte Folded Reload
	scratch_load_dwordx4 v[138:141], off, off offset:532 ; 16-byte Folded Reload
	scratch_load_dwordx4 v[142:145], off, off offset:548 ; 16-byte Folded Reload
	scratch_load_dwordx4 v[146:149], off, off offset:564 ; 16-byte Folded Reload
	scratch_load_dwordx4 v[150:153], off, off offset:580 ; 16-byte Folded Reload
	scratch_load_dwordx4 v[154:157], off, off offset:596 ; 16-byte Folded Reload
	scratch_load_dwordx4 v[158:161], off, off offset:612 ; 16-byte Folded Reload
	scratch_load_dwordx4 v[162:165], off, off offset:628 ; 16-byte Folded Reload
	v_mov_b64_e32 v[92:93], v[30:31]
	v_mov_b64_e32 v[90:91], v[28:29]
	v_mov_b64_e32 v[88:89], v[26:27]
	v_mov_b64_e32 v[86:87], v[24:25]
	v_mov_b64_e32 v[84:85], v[22:23]
	v_mov_b64_e32 v[82:83], v[20:21]
	v_mov_b32_e32 v96, v34
	v_mov_b32_e32 v95, v33
	;; [unrolled: 1-line block ×4, first 2 shown]
	s_waitcnt vmcnt(4)
	v_mov_b64_e32 v[202:203], v[148:149]
	v_mov_b64_e32 v[200:201], v[146:147]
	;; [unrolled: 1-line block ×3, first 2 shown]
	s_waitcnt vmcnt(1)
	v_mov_b32_e32 v214, v160
	scratch_store_dwordx4 off, v[214:217], off offset:516 ; 16-byte Folded Spill
	s_nop 0
	scratch_store_dwordx4 off, v[218:221], off offset:532 ; 16-byte Folded Spill
	scratch_store_dwordx4 off, v[222:225], off offset:548 ; 16-byte Folded Spill
	;; [unrolled: 1-line block ×7, first 2 shown]
	scratch_load_dwordx4 v[220:223], off, s2 ; 16-byte Folded Reload
	s_nop 0
	scratch_load_dwordx4 v[224:227], off, s2 offset:16 ; 16-byte Folded Reload
	scratch_load_dwordx4 v[228:231], off, s2 offset:32 ; 16-byte Folded Reload
	;; [unrolled: 1-line block ×7, first 2 shown]
	v_mov_b64_e32 v[196:197], v[142:143]
	v_mov_b64_e32 v[194:195], v[140:141]
	;; [unrolled: 1-line block ×5, first 2 shown]
	v_mov_b32_e32 v213, v159
	v_mov_b32_e32 v212, v158
	v_mov_b32_e32 v211, v157
	v_mov_b32_e32 v210, v156
	v_mov_b32_e32 v209, v155
	v_mov_b32_e32 v208, v154
	v_mov_b32_e32 v207, v153
	v_mov_b32_e32 v206, v152
	v_mov_b32_e32 v205, v151
	v_mov_b32_e32 v204, v150
	v_mov_b32_e32 v156, v80
	s_waitcnt vmcnt(16)
	v_mov_b64_e32 v[158:159], v[172:173]
	v_mov_b32_e32 v155, v79
	v_mov_b32_e32 v154, v78
	v_mov_b32_e32 v153, v77
	v_mov_b32_e32 v152, v76
	v_mov_b32_e32 v151, v75
	v_mov_b32_e32 v150, v74
	v_mov_b32_e32 v149, v73
	v_mov_b32_e32 v148, v72
	v_mov_b32_e32 v147, v71
	v_mov_b32_e32 v146, v70
	v_mov_b64_e32 v[76:77], v[128:129]
	v_mov_b64_e32 v[160:161], v[174:175]
	;; [unrolled: 1-line block ×9, first 2 shown]
	s_movk_i32 s2, 0x110c
	v_mov_b64_e32 v[180:181], v[110:111]
	v_mov_b64_e32 v[178:179], v[108:109]
	;; [unrolled: 1-line block ×5, first 2 shown]
	v_mov_b32_e32 v0, v188
	v_mov_b32_e32 v1, v189
	;; [unrolled: 1-line block ×3, first 2 shown]
	v_mov_b64_e32 v[22:23], v[216:217]
	v_mov_b64_e32 v[24:25], v[218:219]
	scratch_store_dwordx4 off, v[22:25], off offset:3724 ; 16-byte Folded Spill
	s_nop 0
	scratch_store_dwordx4 off, v[26:29], off offset:3740 ; 16-byte Folded Spill
	scratch_store_dwordx4 off, v[30:33], off offset:3756 ; 16-byte Folded Spill
	;; [unrolled: 1-line block ×7, first 2 shown]
	s_waitcnt vmcnt(15)
	v_mov_b32_e32 v2, v222
	scratch_load_dwordx4 v[216:219], off, off offset:2444 ; 16-byte Folded Reload
	scratch_load_dwordx4 v[220:223], off, off offset:2460 ; 16-byte Folded Reload
	;; [unrolled: 1-line block ×8, first 2 shown]
	s_nop 0
	scratch_store_dwordx4 off, v[76:79], s2 ; 16-byte Folded Spill
	s_nop 0
	scratch_store_dwordx4 off, v[80:83], s2 offset:16 ; 16-byte Folded Spill
	scratch_store_dwordx4 off, v[84:87], s2 offset:32 ; 16-byte Folded Spill
	;; [unrolled: 1-line block ×7, first 2 shown]
	v_mov_b32_e32 v70, v146
	v_mov_b32_e32 v71, v147
	;; [unrolled: 1-line block ×11, first 2 shown]
	s_movk_i32 s2, 0x118c
	v_mov_b32_e32 v17, v53
	v_mov_b32_e32 v3, v25
	s_waitcnt vmcnt(14)
	v_mov_b32_e32 v54, v216
	v_mov_b32_e32 v55, v217
	;; [unrolled: 1-line block ×5, first 2 shown]
	scratch_load_dwordx4 v[216:219], off, off offset:1156 ; 16-byte Folded Reload
	scratch_load_dwordx4 v[220:223], off, off offset:1172 ; 16-byte Folded Reload
	;; [unrolled: 1-line block ×8, first 2 shown]
	v_mov_b32_e32 v14, v96
	v_mov_b32_e32 v4, v58
	;; [unrolled: 1-line block ×3, first 2 shown]
	s_waitcnt vmcnt(6)
	v_mov_b32_e32 v6, v222
	scratch_load_dwordx4 v[216:219], off, off offset:900 ; 16-byte Folded Reload
	scratch_load_dwordx4 v[220:223], off, off offset:916 ; 16-byte Folded Reload
	;; [unrolled: 1-line block ×8, first 2 shown]
	s_waitcnt vmcnt(6)
	v_mov_b64_e32 v[26:27], v[216:217]
	v_mov_b64_e32 v[28:29], v[218:219]
	;; [unrolled: 1-line block ×4, first 2 shown]
	scratch_load_dwordx4 v[216:219], off, off offset:644 ; 16-byte Folded Reload
	scratch_load_dwordx4 v[220:223], off, off offset:660 ; 16-byte Folded Reload
	;; [unrolled: 1-line block ×8, first 2 shown]
	v_mov_b32_e32 v7, v33
	s_waitcnt vmcnt(5)
	v_mov_b32_e32 v8, v224
	scratch_load_dwordx4 v[216:219], off, off offset:2572 ; 16-byte Folded Reload
	scratch_load_dwordx4 v[220:223], off, off offset:2588 ; 16-byte Folded Reload
	;; [unrolled: 1-line block ×8, first 2 shown]
	s_waitcnt vmcnt(5)
	v_mov_b32_e32 v9, v225
	scratch_load_dwordx4 v[216:219], off, off offset:2052 ; 16-byte Folded Reload
	scratch_load_dwordx4 v[220:223], off, off offset:2068 ; 16-byte Folded Reload
	;; [unrolled: 1-line block ×16, first 2 shown]
	s_waitcnt vmcnt(13)
	v_mov_b64_e32 v[144:145], v[216:217]
	v_mov_b64_e32 v[146:147], v[218:219]
	v_mov_b64_e32 v[148:149], v[220:221]
	v_mov_b64_e32 v[150:151], v[222:223]
	v_mov_b64_e32 v[152:153], v[224:225]
	v_mov_b64_e32 v[154:155], v[226:227]
	scratch_load_dwordx4 v[222:225], off, off offset:2828 ; 16-byte Folded Reload
	scratch_load_dwordx4 v[226:229], off, off offset:2844 ; 16-byte Folded Reload
	scratch_load_dwordx4 v[230:233], off, off offset:2860 ; 16-byte Folded Reload
	scratch_load_dwordx4 v[234:237], off, off offset:2876 ; 16-byte Folded Reload
	scratch_load_dwordx4 v[238:241], off, off offset:2892 ; 16-byte Folded Reload
	scratch_load_dwordx4 v[242:245], off, off offset:2908 ; 16-byte Folded Reload
	scratch_load_dwordx4 v[246:249], off, off offset:2924 ; 16-byte Folded Reload
	scratch_load_dwordx4 v[250:253], off, off offset:2940 ; 16-byte Folded Reload
	s_nop 0
	scratch_store_dwordx4 off, v[36:39], off offset:3340 ; 16-byte Folded Spill
	s_nop 0
	scratch_store_dwordx4 off, v[40:43], off offset:3356 ; 16-byte Folded Spill
	scratch_store_dwordx4 off, v[44:47], off offset:3372 ; 16-byte Folded Spill
	;; [unrolled: 1-line block ×7, first 2 shown]
	s_waitcnt vmcnt(20)
	v_mov_b32_e32 v15, v97
	scratch_load_dwordx4 v[90:93], off, off offset:4 ; 16-byte Folded Reload
	scratch_load_dwordx4 v[94:97], off, off offset:20 ; 16-byte Folded Reload
	scratch_load_dwordx4 v[98:101], off, off offset:36 ; 16-byte Folded Reload
	scratch_load_dwordx4 v[102:105], off, off offset:52 ; 16-byte Folded Reload
	scratch_load_dwordx4 v[106:109], off, off offset:68 ; 16-byte Folded Reload
	scratch_load_dwordx4 v[110:113], off, off offset:84 ; 16-byte Folded Reload
	scratch_load_dwordx4 v[114:117], off, off offset:100 ; 16-byte Folded Reload
	scratch_load_dwordx4 v[118:121], off, off offset:116 ; 16-byte Folded Reload
	scratch_load_dwordx4 v[122:125], off, off offset:3852 ; 16-byte Folded Reload
	scratch_load_dwordx4 v[126:129], off, off offset:3868 ; 16-byte Folded Reload
	scratch_load_dwordx4 v[130:133], off, off offset:3884 ; 16-byte Folded Reload
	scratch_load_dwordx4 v[134:137], off, off offset:3900 ; 16-byte Folded Reload
	scratch_load_dwordx4 v[138:141], off, off offset:3916 ; 16-byte Folded Reload
	scratch_load_dwordx4 v[142:145], off, off offset:3932 ; 16-byte Folded Reload
	scratch_load_dwordx4 v[146:149], off, off offset:3948 ; 16-byte Folded Reload
	scratch_load_dwordx4 v[150:153], off, off offset:3964 ; 16-byte Folded Reload
	v_mov_b32_e32 v11, v155
	s_waitcnt vmcnt(25)
	v_mov_b32_e32 v246, v186
	v_mov_b32_e32 v222, v188
	;; [unrolled: 1-line block ×5, first 2 shown]
	v_mov_b64_e32 v[36:37], v[158:159]
	v_mov_b32_e32 v233, v155
	v_mov_b64_e32 v[38:39], v[160:161]
	v_mov_b64_e32 v[40:41], v[162:163]
	;; [unrolled: 1-line block ×5, first 2 shown]
	v_mov_b32_e32 v227, v81
	v_mov_b32_e32 v232, v80
	v_mov_b32_e32 v234, v170
	v_mov_b32_e32 v48, v170
	v_mov_b32_e32 v86, v58
	v_mov_b32_e32 v226, v58
	v_mov_b32_e32 v85, v57
	v_mov_b32_e32 v16, v238
	v_mov_b32_e32 v84, v56
	v_mov_b32_e32 v83, v55
	s_waitcnt vmcnt(11)
	v_mov_b32_e32 v18, v108
	s_waitcnt vmcnt(3)
	v_mov_b32_e32 v19, v141
	scratch_store_dwordx4 off, v[0:3], off offset:4 ; 16-byte Folded Spill
	s_nop 0
	scratch_store_dwordx4 off, v[4:7], off offset:20 ; 16-byte Folded Spill
	scratch_store_dwordx4 off, v[8:11], off offset:36 ; 16-byte Folded Spill
	;; [unrolled: 1-line block ×7, first 2 shown]
	scratch_load_dwordx4 v[116:119], off, off offset:260 ; 16-byte Folded Reload
	scratch_load_dwordx4 v[120:123], off, off offset:276 ; 16-byte Folded Reload
	;; [unrolled: 1-line block ×8, first 2 shown]
	v_mov_b32_e32 v82, v54
	v_mov_b64_e32 v[88:89], v[90:91]
	v_mov_b64_e32 v[90:91], v[92:93]
	;; [unrolled: 1-line block ×8, first 2 shown]
	v_mov_b32_e32 v104, v106
	v_mov_b32_e32 v105, v107
	;; [unrolled: 1-line block ×5, first 2 shown]
	s_waitcnt vmcnt(2)
	v_mov_b32_e32 v243, v137
	scratch_load_dwordx4 v[116:119], off, s2 ; 16-byte Folded Reload
	scratch_load_dwordx4 v[120:123], off, s2 offset:16 ; 16-byte Folded Reload
	scratch_load_dwordx4 v[124:127], off, s2 offset:32 ; 16-byte Folded Reload
	;; [unrolled: 1-line block ×7, first 2 shown]
	s_movk_i32 s2, 0x110c
	s_waitcnt vmcnt(7)
	v_mov_b32_e32 v12, v116
	v_mov_b32_e32 v13, v117
	;; [unrolled: 1-line block ×3, first 2 shown]
	scratch_load_dwordx4 v[112:115], off, off offset:1156 ; 16-byte Folded Reload
	scratch_load_dwordx4 v[116:119], off, off offset:1172 ; 16-byte Folded Reload
	;; [unrolled: 1-line block ×8, first 2 shown]
	v_mov_b32_e32 v224, v14
	s_waitcnt vmcnt(6)
	v_mov_b32_e32 v228, v118
	scratch_load_dwordx4 v[112:115], off, off offset:644 ; 16-byte Folded Reload
	scratch_load_dwordx4 v[116:119], off, off offset:660 ; 16-byte Folded Reload
	scratch_load_dwordx4 v[120:123], off, off offset:676 ; 16-byte Folded Reload
	scratch_load_dwordx4 v[124:127], off, off offset:692 ; 16-byte Folded Reload
	scratch_load_dwordx4 v[128:131], off, off offset:708 ; 16-byte Folded Reload
	scratch_load_dwordx4 v[132:135], off, off offset:724 ; 16-byte Folded Reload
	scratch_load_dwordx4 v[136:139], off, off offset:740 ; 16-byte Folded Reload
	scratch_load_dwordx4 v[140:143], off, off offset:756 ; 16-byte Folded Reload
	s_waitcnt vmcnt(5)
	v_mov_b32_e32 v2, v112
	v_mov_b32_e32 v3, v113
	;; [unrolled: 1-line block ×9, first 2 shown]
	scratch_load_dwordx4 v[112:115], off, off offset:2572 ; 16-byte Folded Reload
	scratch_load_dwordx4 v[116:119], off, off offset:2588 ; 16-byte Folded Reload
	scratch_load_dwordx4 v[120:123], off, off offset:2604 ; 16-byte Folded Reload
	scratch_load_dwordx4 v[124:127], off, off offset:2620 ; 16-byte Folded Reload
	scratch_load_dwordx4 v[128:131], off, off offset:2636 ; 16-byte Folded Reload
	scratch_load_dwordx4 v[132:135], off, off offset:2652 ; 16-byte Folded Reload
	scratch_load_dwordx4 v[136:139], off, off offset:2668 ; 16-byte Folded Reload
	scratch_load_dwordx4 v[140:143], off, off offset:2684 ; 16-byte Folded Reload
	s_nop 0
	scratch_store_dwordx4 off, v[172:175], off offset:1796 ; 16-byte Folded Spill
	s_nop 0
	scratch_store_dwordx4 off, v[176:179], off offset:1812 ; 16-byte Folded Spill
	scratch_store_dwordx4 off, v[180:183], off offset:1828 ; 16-byte Folded Spill
	scratch_store_dwordx4 off, v[184:187], off offset:1844 ; 16-byte Folded Spill
	scratch_store_dwordx4 off, v[188:191], off offset:1860 ; 16-byte Folded Spill
	scratch_store_dwordx4 off, v[192:195], off offset:1876 ; 16-byte Folded Spill
	scratch_store_dwordx4 off, v[196:199], off offset:1892 ; 16-byte Folded Spill
	scratch_store_dwordx4 off, v[200:203], off offset:1908 ; 16-byte Folded Spill
	v_mov_b32_e32 v230, v10
	v_mov_b32_e32 v184, v14
	;; [unrolled: 1-line block ×7, first 2 shown]
	s_waitcnt vmcnt(13)
	v_mov_b64_e32 v[0:1], v[112:113]
	v_mov_b64_e32 v[2:3], v[114:115]
	;; [unrolled: 1-line block ×5, first 2 shown]
	scratch_load_dwordx4 v[110:113], off, off offset:2700 ; 16-byte Folded Reload
	scratch_load_dwordx4 v[114:117], off, off offset:2716 ; 16-byte Folded Reload
	;; [unrolled: 1-line block ×8, first 2 shown]
	v_mov_b32_e32 v231, v9
	s_waitcnt vmcnt(4)
	v_mov_b32_e32 v32, v122
	v_mov_b32_e32 v33, v123
	;; [unrolled: 1-line block ×3, first 2 shown]
	scratch_load_dwordx4 v[110:113], off, off offset:3212 ; 16-byte Folded Reload
	scratch_load_dwordx4 v[114:117], off, off offset:3228 ; 16-byte Folded Reload
	;; [unrolled: 1-line block ×16, first 2 shown]
	v_mov_b32_e32 v236, v34
	s_waitcnt vmcnt(12)
	v_mov_b32_e32 v237, v125
	s_waitcnt vmcnt(3)
	v_mov_b32_e32 v238, v144
	scratch_load_dwordx4 v[128:131], off, off offset:3340 ; 16-byte Folded Reload
	scratch_load_dwordx4 v[132:135], off, off offset:3356 ; 16-byte Folded Reload
	;; [unrolled: 1-line block ×8, first 2 shown]
	s_waitcnt vmcnt(3)
	v_mov_b32_e32 v239, v145
	scratch_load_dwordx4 v[126:129], off, off offset:3852 ; 16-byte Folded Reload
	scratch_load_dwordx4 v[130:133], off, off offset:3868 ; 16-byte Folded Reload
	;; [unrolled: 1-line block ×8, first 2 shown]
	s_waitcnt vmcnt(4)
	v_mov_b64_e32 v[50:51], v[126:127]
	s_waitcnt vmcnt(3)
	v_mov_b64_e32 v[66:67], v[142:143]
	v_mov_b64_e32 v[52:53], v[128:129]
	;; [unrolled: 1-line block ×9, first 2 shown]
	scratch_load_dwordx4 v[128:131], off, off offset:4 ; 16-byte Folded Reload
	scratch_load_dwordx4 v[132:135], off, off offset:20 ; 16-byte Folded Reload
	;; [unrolled: 1-line block ×8, first 2 shown]
	v_mov_b32_e32 v241, v69
	s_waitcnt vmcnt(2)
	v_mov_b32_e32 v242, v148
	scratch_load_dwordx4 v[128:131], off, off offset:388 ; 16-byte Folded Reload
	scratch_load_dwordx4 v[132:135], off, off offset:404 ; 16-byte Folded Reload
	;; [unrolled: 1-line block ×8, first 2 shown]
	s_nop 0
	scratch_store_dwordx4 off, v[222:225], off offset:260 ; 16-byte Folded Spill
	s_nop 0
	scratch_store_dwordx4 off, v[226:229], off offset:276 ; 16-byte Folded Spill
	scratch_store_dwordx4 off, v[230:233], off offset:292 ; 16-byte Folded Spill
	;; [unrolled: 1-line block ×7, first 2 shown]
	v_mov_b32_e32 v226, v86
	v_mov_b32_e32 v234, v170
	;; [unrolled: 1-line block ×3, first 2 shown]
	s_waitcnt vmcnt(10)
	v_mov_b32_e32 v49, v151
	scratch_load_dwordx4 v[128:131], off, off offset:132 ; 16-byte Folded Reload
	scratch_load_dwordx4 v[132:135], off, off offset:148 ; 16-byte Folded Reload
	;; [unrolled: 1-line block ×8, first 2 shown]
	s_waitcnt vmcnt(2)
	v_mov_b32_e32 v244, v150
	scratch_load_dwordx4 v[138:141], off, off offset:3724 ; 16-byte Folded Reload
	scratch_load_dwordx4 v[142:145], off, off offset:3740 ; 16-byte Folded Reload
	;; [unrolled: 1-line block ×8, first 2 shown]
	s_waitcnt vmcnt(7)
	v_mov_b32_e32 v225, v141
	scratch_load_dwordx4 v[128:131], off, s2 ; 16-byte Folded Reload
	scratch_load_dwordx4 v[132:135], off, s2 offset:16 ; 16-byte Folded Reload
	scratch_load_dwordx4 v[136:139], off, s2 offset:32 ; 16-byte Folded Reload
	;; [unrolled: 1-line block ×7, first 2 shown]
	s_waitcnt vmcnt(6)
	v_mov_b32_e32 v227, v133
	scratch_load_dwordx4 v[128:131], off, off offset:1156 ; 16-byte Folded Reload
	scratch_load_dwordx4 v[132:135], off, off offset:1172 ; 16-byte Folded Reload
	;; [unrolled: 1-line block ×8, first 2 shown]
	s_waitcnt vmcnt(6)
	v_mov_b32_e32 v0, v128
	v_mov_b32_e32 v1, v129
	;; [unrolled: 1-line block ×7, first 2 shown]
	scratch_load_dwordx4 v[128:131], off, off offset:900 ; 16-byte Folded Reload
	scratch_load_dwordx4 v[132:135], off, off offset:916 ; 16-byte Folded Reload
	scratch_load_dwordx4 v[136:139], off, off offset:932 ; 16-byte Folded Reload
	scratch_load_dwordx4 v[140:143], off, off offset:948 ; 16-byte Folded Reload
	scratch_load_dwordx4 v[144:147], off, off offset:964 ; 16-byte Folded Reload
	scratch_load_dwordx4 v[148:151], off, off offset:980 ; 16-byte Folded Reload
	scratch_load_dwordx4 v[152:155], off, off offset:996 ; 16-byte Folded Reload
	scratch_load_dwordx4 v[156:159], off, off offset:1012 ; 16-byte Folded Reload
	scratch_load_dwordx4 v[138:141], off, off offset:2052 ; 16-byte Folded Reload
	scratch_load_dwordx4 v[142:145], off, off offset:2068 ; 16-byte Folded Reload
	scratch_load_dwordx4 v[146:149], off, off offset:2084 ; 16-byte Folded Reload
	scratch_load_dwordx4 v[150:153], off, off offset:2100 ; 16-byte Folded Reload
	scratch_load_dwordx4 v[154:157], off, off offset:2116 ; 16-byte Folded Reload
	scratch_load_dwordx4 v[158:161], off, off offset:2132 ; 16-byte Folded Reload
	scratch_load_dwordx4 v[162:165], off, off offset:2148 ; 16-byte Folded Reload
	scratch_load_dwordx4 v[166:169], off, off offset:2164 ; 16-byte Folded Reload
	s_nop 0
	scratch_store_dwordx4 off, v[36:39], off offset:2188 ; 16-byte Folded Spill
	s_nop 0
	scratch_store_dwordx4 off, v[40:43], off offset:2204 ; 16-byte Folded Spill
	scratch_store_dwordx4 off, v[44:47], off offset:2220 ; 16-byte Folded Spill
	;; [unrolled: 1-line block ×7, first 2 shown]
	v_mov_b32_e32 v228, v6
	v_mov_b32_e32 v62, v188
	;; [unrolled: 1-line block ×4, first 2 shown]
	s_waitcnt vmcnt(22)
	v_mov_b32_e32 v229, v135
	s_waitcnt vmcnt(13)
	v_mov_b32_e32 v233, v149
	scratch_load_dwordx4 v[138:141], off, off offset:1796 ; 16-byte Folded Reload
	scratch_load_dwordx4 v[142:145], off, off offset:1812 ; 16-byte Folded Reload
	;; [unrolled: 1-line block ×16, first 2 shown]
	s_waitcnt vmcnt(12)
	v_mov_b32_e32 v235, v151
	s_waitcnt vmcnt(3)
	v_mov_b32_e32 v238, v24
	scratch_load_dwordx4 v[8:11], off, off offset:3340 ; 16-byte Folded Reload
	scratch_load_dwordx4 v[12:15], off, off offset:3356 ; 16-byte Folded Reload
	;; [unrolled: 1-line block ×16, first 2 shown]
	s_waitcnt vmcnt(10)
	v_mov_b32_e32 v28, v184
	v_mov_b32_e32 v26, v188
	;; [unrolled: 1-line block ×4, first 2 shown]
	s_waitcnt vmcnt(2)
	v_mov_b32_e32 v242, v132
	scratch_load_dwordx4 v[112:115], off, off offset:260 ; 16-byte Folded Reload
	scratch_load_dwordx4 v[116:119], off, off offset:276 ; 16-byte Folded Reload
	scratch_load_dwordx4 v[120:123], off, off offset:292 ; 16-byte Folded Reload
	scratch_load_dwordx4 v[124:127], off, off offset:308 ; 16-byte Folded Reload
	scratch_load_dwordx4 v[128:131], off, off offset:324 ; 16-byte Folded Reload
	scratch_load_dwordx4 v[132:135], off, off offset:340 ; 16-byte Folded Reload
	scratch_load_dwordx4 v[136:139], off, off offset:356 ; 16-byte Folded Reload
	scratch_load_dwordx4 v[140:143], off, off offset:372 ; 16-byte Folded Reload
	s_waitcnt vmcnt(6)
	v_mov_b32_e32 v116, v86
	v_mov_b32_e32 v115, v85
	;; [unrolled: 1-line block ×11, first 2 shown]
	s_waitcnt vmcnt(2)
	v_mov_b32_e32 v243, v133
	scratch_load_dwordx4 v[130:133], off, off offset:3724 ; 16-byte Folded Reload
	scratch_load_dwordx4 v[134:137], off, off offset:3740 ; 16-byte Folded Reload
	;; [unrolled: 1-line block ×8, first 2 shown]
	s_waitcnt vmcnt(6)
	v_mov_b32_e32 v136, v28
	v_mov_b32_e32 v135, v27
	;; [unrolled: 1-line block ×3, first 2 shown]
	scratch_load_dwordx4 v[8:11], off, s2   ; 16-byte Folded Reload
	scratch_load_dwordx4 v[12:15], off, s2 offset:16 ; 16-byte Folded Reload
	scratch_load_dwordx4 v[16:19], off, s2 offset:32 ; 16-byte Folded Reload
	;; [unrolled: 1-line block ×7, first 2 shown]
	s_waitcnt vmcnt(13)
	v_mov_b32_e32 v140, v6
	s_waitcnt vmcnt(9)
	v_mov_b32_e32 v157, v49
	s_movk_i32 s2, 0x1470
	v_mov_b32_e32 v138, v116
	v_mov_b32_e32 v152, v106
	v_mov_b32_e32 v153, v69
	v_mov_b32_e32 v156, v244
	v_mov_b32_e32 v105, v157
	v_mov_b32_e32 v137, v133
	s_waitcnt vmcnt(6)
	v_mov_b64_e32 v[220:221], v[12:13]
	v_mov_b64_e32 v[218:219], v[10:11]
	;; [unrolled: 1-line block ×3, first 2 shown]
	scratch_load_dwordx4 v[0:3], off, off offset:900 ; 16-byte Folded Reload
	scratch_load_dwordx4 v[4:7], off, off offset:916 ; 16-byte Folded Reload
	;; [unrolled: 1-line block ×8, first 2 shown]
	v_mov_b32_e32 v139, v221
	v_mov_b32_e32 v67, v221
	s_waitcnt vmcnt(6)
	v_mov_b64_e32 v[48:49], v[6:7]
	v_mov_b64_e32 v[46:47], v[4:5]
	;; [unrolled: 1-line block ×4, first 2 shown]
	scratch_load_dwordx4 v[0:3], off, off offset:644 ; 16-byte Folded Reload
	scratch_load_dwordx4 v[4:7], off, off offset:660 ; 16-byte Folded Reload
	;; [unrolled: 1-line block ×8, first 2 shown]
	v_mov_b32_e32 v141, v49
	v_mov_b32_e32 v69, v49
	s_waitcnt vmcnt(5)
	v_mov_b32_e32 v142, v8
	scratch_load_dwordx4 v[0:3], off, off offset:2572 ; 16-byte Folded Reload
	scratch_load_dwordx4 v[4:7], off, off offset:2588 ; 16-byte Folded Reload
	;; [unrolled: 1-line block ×8, first 2 shown]
	s_nop 0
	scratch_store_dwordx4 off, v[70:73], s2 ; 16-byte Folded Spill
	s_nop 0
	scratch_store_dwordx4 off, v[74:77], s2 offset:16 ; 16-byte Folded Spill
	scratch_store_dwordx4 off, v[78:81], s2 offset:32 ; 16-byte Folded Spill
	;; [unrolled: 1-line block ×7, first 2 shown]
	s_movk_i32 s2, 0x120c
	v_mov_b32_e32 v84, v244
	v_mov_b32_e32 v85, v157
	v_mov_b64_e32 v[172:173], v[102:103]
	s_waitcnt vmcnt(13)
	v_mov_b32_e32 v143, v9
	scratch_load_dwordx4 v[0:3], off, off offset:2052 ; 16-byte Folded Reload
	scratch_load_dwordx4 v[4:7], off, off offset:2068 ; 16-byte Folded Reload
	;; [unrolled: 1-line block ×8, first 2 shown]
	v_mov_b32_e32 v144, v80
	v_mov_b64_e32 v[164:165], v[94:95]
	v_mov_b64_e32 v[162:163], v[92:93]
	;; [unrolled: 1-line block ×4, first 2 shown]
	v_mov_b32_e32 v72, v80
	v_mov_b32_e32 v80, v176
	v_mov_b64_e32 v[170:171], v[100:101]
	v_mov_b64_e32 v[168:169], v[98:99]
	;; [unrolled: 1-line block ×3, first 2 shown]
	s_waitcnt vmcnt(5)
	v_mov_b32_e32 v145, v11
	scratch_load_dwordx4 v[0:3], off, off offset:2188 ; 16-byte Folded Reload
	scratch_load_dwordx4 v[4:7], off, off offset:2204 ; 16-byte Folded Reload
	scratch_load_dwordx4 v[8:11], off, off offset:2220 ; 16-byte Folded Reload
	scratch_load_dwordx4 v[12:15], off, off offset:2236 ; 16-byte Folded Reload
	scratch_load_dwordx4 v[16:19], off, off offset:2252 ; 16-byte Folded Reload
	scratch_load_dwordx4 v[20:23], off, off offset:2268 ; 16-byte Folded Reload
	scratch_load_dwordx4 v[24:27], off, off offset:2284 ; 16-byte Folded Reload
	scratch_load_dwordx4 v[28:31], off, off offset:2300 ; 16-byte Folded Reload
	s_waitcnt vmcnt(4)
	v_mov_b32_e32 v146, v12
	scratch_load_dwordx4 v[0:3], off, off offset:1796 ; 16-byte Folded Reload
	scratch_load_dwordx4 v[4:7], off, off offset:1812 ; 16-byte Folded Reload
	scratch_load_dwordx4 v[8:11], off, off offset:1828 ; 16-byte Folded Reload
	scratch_load_dwordx4 v[12:15], off, off offset:1844 ; 16-byte Folded Reload
	scratch_load_dwordx4 v[16:19], off, off offset:1860 ; 16-byte Folded Reload
	scratch_load_dwordx4 v[20:23], off, off offset:1876 ; 16-byte Folded Reload
	scratch_load_dwordx4 v[24:27], off, off offset:1892 ; 16-byte Folded Reload
	scratch_load_dwordx4 v[28:31], off, off offset:1908 ; 16-byte Folded Reload
	;; [unrolled: 10-line block ×10, first 2 shown]
	v_mov_b32_e32 v78, v48
	s_waitcnt vmcnt(1)
	v_mov_b32_e32 v86, v24
	scratch_load_dwordx4 v[0:3], off, off offset:3724 ; 16-byte Folded Reload
	scratch_load_dwordx4 v[4:7], off, off offset:3740 ; 16-byte Folded Reload
	;; [unrolled: 1-line block ×8, first 2 shown]
	v_mov_b32_e32 v180, v86
	s_waitcnt vmcnt(7)
	v_mov_b32_e32 v65, v3
	scratch_load_dwordx4 v[0:3], off, off offset:1156 ; 16-byte Folded Reload
	scratch_load_dwordx4 v[4:7], off, off offset:1172 ; 16-byte Folded Reload
	scratch_load_dwordx4 v[8:11], off, off offset:1188 ; 16-byte Folded Reload
	scratch_load_dwordx4 v[12:15], off, off offset:1204 ; 16-byte Folded Reload
	scratch_load_dwordx4 v[16:19], off, off offset:1220 ; 16-byte Folded Reload
	scratch_load_dwordx4 v[20:23], off, off offset:1236 ; 16-byte Folded Reload
	scratch_load_dwordx4 v[24:27], off, off offset:1252 ; 16-byte Folded Reload
	scratch_load_dwordx4 v[28:31], off, off offset:1268 ; 16-byte Folded Reload
	s_waitcnt vmcnt(6)
	v_mov_b32_e32 v68, v6
	scratch_load_dwordx4 v[0:3], off, off offset:644 ; 16-byte Folded Reload
	scratch_load_dwordx4 v[4:7], off, off offset:660 ; 16-byte Folded Reload
	scratch_load_dwordx4 v[8:11], off, off offset:676 ; 16-byte Folded Reload
	scratch_load_dwordx4 v[12:15], off, off offset:692 ; 16-byte Folded Reload
	scratch_load_dwordx4 v[16:19], off, off offset:708 ; 16-byte Folded Reload
	scratch_load_dwordx4 v[20:23], off, off offset:724 ; 16-byte Folded Reload
	scratch_load_dwordx4 v[24:27], off, off offset:740 ; 16-byte Folded Reload
	scratch_load_dwordx4 v[28:31], off, off offset:756 ; 16-byte Folded Reload
	;; [unrolled: 10-line block ×11, first 2 shown]
	s_waitcnt vmcnt(4)
	v_mov_b64_e32 v[126:127], v[14:15]
	v_mov_b64_e32 v[124:125], v[12:13]
	s_waitcnt vmcnt(2)
	v_mov_b32_e32 v132, v20
	v_mov_b64_e32 v[122:123], v[10:11]
	v_mov_b64_e32 v[120:121], v[8:9]
	;; [unrolled: 1-line block ×6, first 2 shown]
	v_mov_b32_e32 v131, v19
	v_mov_b32_e32 v130, v18
	;; [unrolled: 1-line block ×4, first 2 shown]
	scratch_load_dwordx4 v[0:3], off, off offset:260 ; 16-byte Folded Reload
	scratch_load_dwordx4 v[4:7], off, off offset:276 ; 16-byte Folded Reload
	;; [unrolled: 1-line block ×8, first 2 shown]
	s_waitcnt lgkmcnt(0)
	s_barrier
	scratch_store_dword off, v254, s2       ; 4-byte Folded Spill
	s_movk_i32 s2, 0x13ec
	v_mov_b32_e32 v82, v132
	s_waitcnt vmcnt(2)
	v_mov_b32_e32 v24, v244
	v_mov_b64_e32 v[108:109], v[112:113]
	v_mov_b64_e32 v[110:111], v[114:115]
	;; [unrolled: 1-line block ×8, first 2 shown]
	v_mov_b32_e32 v124, v128
	v_mov_b32_e32 v125, v129
	;; [unrolled: 1-line block ×5, first 2 shown]
	s_waitcnt vmcnt(1)
	v_mov_b64_e32 v[40:41], v[14:15]
	v_mov_b64_e32 v[38:39], v[12:13]
	;; [unrolled: 1-line block ×8, first 2 shown]
	ds_read_b32 v0, v186
	v_mov_b64_e32 v[46:47], v[20:21]
	v_mov_b32_e32 v83, v47
	v_mov_b64_e32 v[44:45], v[18:19]
	v_mov_b64_e32 v[42:43], v[16:17]
	s_waitcnt lgkmcnt(0)
	scratch_store_dword off, v0, s2         ; 4-byte Folded Spill
	s_movk_i32 s2, 0x1290
	scratch_store_dwordx4 off, v[62:65], s2 ; 16-byte Folded Spill
	s_nop 0
	scratch_store_dwordx4 off, v[66:69], s2 offset:16 ; 16-byte Folded Spill
	scratch_store_dwordx4 off, v[70:73], s2 offset:32 ; 16-byte Folded Spill
	;; [unrolled: 1-line block ×7, first 2 shown]
	scratch_store_dwordx4 off, v[134:137], off offset:388 ; 16-byte Folded Spill
	s_nop 0
	scratch_store_dwordx4 off, v[138:141], off offset:404 ; 16-byte Folded Spill
	scratch_store_dwordx4 off, v[142:145], off offset:420 ; 16-byte Folded Spill
	scratch_store_dwordx4 off, v[146:149], off offset:436 ; 16-byte Folded Spill
	scratch_store_dwordx4 off, v[150:153], off offset:452 ; 16-byte Folded Spill
	scratch_store_dwordx4 off, v[154:157], off offset:468 ; 16-byte Folded Spill
	scratch_store_dwordx4 off, v[158:161], off offset:484 ; 16-byte Folded Spill
	scratch_store_dwordx4 off, v[162:165], off offset:500 ; 16-byte Folded Spill
	scratch_store_dwordx4 off, v[2:5], off offset:132 ; 16-byte Folded Spill
	s_nop 0
	scratch_store_dwordx4 off, v[6:9], off offset:148 ; 16-byte Folded Spill
	scratch_store_dwordx4 off, v[10:13], off offset:164 ; 16-byte Folded Spill
	scratch_store_dwordx4 off, v[14:17], off offset:180 ; 16-byte Folded Spill
	scratch_store_dwordx4 off, v[18:21], off offset:196 ; 16-byte Folded Spill
	scratch_store_dwordx4 off, v[22:25], off offset:212 ; 16-byte Folded Spill
	scratch_store_dwordx4 off, v[26:29], off offset:228 ; 16-byte Folded Spill
	scratch_store_dwordx4 off, v[30:33], off offset:244 ; 16-byte Folded Spill
	;; [unrolled: 9-line block ×3, first 2 shown]
	v_mov_b32_e32 v215, v47
	scratch_store_dwordx4 off, v[26:29], off offset:516 ; 16-byte Folded Spill
	s_nop 0
	scratch_store_dwordx4 off, v[30:33], off offset:532 ; 16-byte Folded Spill
	scratch_store_dwordx4 off, v[34:37], off offset:548 ; 16-byte Folded Spill
	;; [unrolled: 1-line block ×7, first 2 shown]
	scratch_load_dwordx4 v[0:3], off, off offset:3852 ; 16-byte Folded Reload
	s_nop 0
	scratch_load_dwordx4 v[4:7], off, off offset:3868 ; 16-byte Folded Reload
	scratch_load_dwordx4 v[8:11], off, off offset:3884 ; 16-byte Folded Reload
	;; [unrolled: 1-line block ×7, first 2 shown]
	s_movk_i32 s2, 0x1470
	v_mov_b64_e32 v[150:151], v[138:139]
	v_mov_b64_e32 v[142:143], v[130:131]
	v_mov_b32_e32 v142, v176
	v_mov_b64_e32 v[148:149], v[136:137]
	v_mov_b64_e32 v[146:147], v[134:135]
	;; [unrolled: 1-line block ×14, first 2 shown]
	s_waitcnt vmcnt(3)
	v_mov_b32_e32 v67, v19
	scratch_store_dwordx4 off, v[0:3], off offset:1028 ; 16-byte Folded Spill
	s_nop 0
	scratch_store_dwordx4 off, v[4:7], off offset:1044 ; 16-byte Folded Spill
	scratch_store_dwordx4 off, v[8:11], off offset:1060 ; 16-byte Folded Spill
	;; [unrolled: 1-line block ×4, first 2 shown]
	s_waitcnt vmcnt(7)
	scratch_store_dwordx4 off, v[20:23], off offset:1108 ; 16-byte Folded Spill
	s_waitcnt vmcnt(7)
	scratch_store_dwordx4 off, v[24:27], off offset:1124 ; 16-byte Folded Spill
	;; [unrolled: 2-line block ×3, first 2 shown]
	scratch_store_dwordx4 off, v[158:161], off offset:772 ; 16-byte Folded Spill
	s_nop 0
	scratch_store_dwordx4 off, v[162:165], off offset:788 ; 16-byte Folded Spill
	scratch_store_dwordx4 off, v[166:169], off offset:804 ; 16-byte Folded Spill
	;; [unrolled: 1-line block ×7, first 2 shown]
	scratch_load_dwordx4 v[68:71], off, off offset:3340 ; 16-byte Folded Reload
	scratch_load_dwordx4 v[72:75], off, off offset:3356 ; 16-byte Folded Reload
	;; [unrolled: 1-line block ×8, first 2 shown]
	v_mov_b32_e32 v168, v204
	v_mov_b32_e32 v169, v205
	;; [unrolled: 1-line block ×11, first 2 shown]
	v_mov_b64_e32 v[152:153], v[188:189]
	v_mov_b64_e32 v[154:155], v[190:191]
	v_mov_b64_e32 v[156:157], v[192:193]
	v_mov_b64_e32 v[158:159], v[194:195]
	v_mov_b64_e32 v[160:161], v[196:197]
	s_waitcnt vmcnt(3)
	v_mov_b32_e32 v117, v85
	scratch_store_dwordx4 off, v[68:71], off offset:1284 ; 16-byte Folded Spill
	s_nop 0
	scratch_store_dwordx4 off, v[72:75], off offset:1300 ; 16-byte Folded Spill
	scratch_store_dwordx4 off, v[76:79], off offset:1316 ; 16-byte Folded Spill
	;; [unrolled: 1-line block ×4, first 2 shown]
	s_waitcnt vmcnt(7)
	scratch_store_dwordx4 off, v[88:91], off offset:1364 ; 16-byte Folded Spill
	s_waitcnt vmcnt(7)
	scratch_store_dwordx4 off, v[92:95], off offset:1380 ; 16-byte Folded Spill
	;; [unrolled: 2-line block ×3, first 2 shown]
	scratch_load_dwordx4 v[0:3], off, off offset:2828 ; 16-byte Folded Reload
	scratch_load_dwordx4 v[4:7], off, off offset:2844 ; 16-byte Folded Reload
	;; [unrolled: 1-line block ×8, first 2 shown]
	v_mov_b64_e32 v[162:163], v[198:199]
	v_mov_b64_e32 v[164:165], v[200:201]
	v_mov_b64_e32 v[166:167], v[202:203]
	s_waitcnt vmcnt(3)
	v_mov_b32_e32 v144, v16
	scratch_store_dwordx4 off, v[0:3], off offset:1412 ; 16-byte Folded Spill
	s_nop 0
	scratch_store_dwordx4 off, v[4:7], off offset:1428 ; 16-byte Folded Spill
	scratch_store_dwordx4 off, v[8:11], off offset:1444 ; 16-byte Folded Spill
	;; [unrolled: 1-line block ×4, first 2 shown]
	s_waitcnt vmcnt(7)
	scratch_store_dwordx4 off, v[20:23], off offset:1492 ; 16-byte Folded Spill
	s_waitcnt vmcnt(7)
	scratch_store_dwordx4 off, v[24:27], off offset:1508 ; 16-byte Folded Spill
	;; [unrolled: 2-line block ×3, first 2 shown]
	scratch_load_dwordx4 v[0:3], off, off offset:3212 ; 16-byte Folded Reload
	s_nop 0
	scratch_load_dwordx4 v[4:7], off, off offset:3228 ; 16-byte Folded Reload
	scratch_load_dwordx4 v[8:11], off, off offset:3244 ; 16-byte Folded Reload
	;; [unrolled: 1-line block ×7, first 2 shown]
	s_waitcnt vmcnt(0)
	v_mov_b64_e32 v[38:39], v[14:15]
	v_mov_b64_e32 v[36:37], v[12:13]
	;; [unrolled: 1-line block ×8, first 2 shown]
	v_mov_b32_e32 v141, v39
	scratch_store_dwordx4 off, v[24:27], off offset:1668 ; 16-byte Folded Spill
	s_nop 0
	scratch_store_dwordx4 off, v[28:31], off offset:1684 ; 16-byte Folded Spill
	scratch_store_dwordx4 off, v[32:35], off offset:1700 ; 16-byte Folded Spill
	;; [unrolled: 1-line block ×7, first 2 shown]
	scratch_load_dwordx4 v[0:3], off, off offset:2700 ; 16-byte Folded Reload
	s_nop 0
	scratch_load_dwordx4 v[4:7], off, off offset:2716 ; 16-byte Folded Reload
	scratch_load_dwordx4 v[8:11], off, off offset:2732 ; 16-byte Folded Reload
	;; [unrolled: 1-line block ×7, first 2 shown]
	s_waitcnt vmcnt(0)
	v_mov_b64_e32 v[34:35], v[10:11]
	v_mov_b32_e32 v38, v14
	v_mov_b64_e32 v[32:33], v[8:9]
	v_mov_b64_e32 v[30:31], v[6:7]
	;; [unrolled: 1-line block ×5, first 2 shown]
	v_mov_b32_e32 v37, v13
	v_mov_b32_e32 v36, v12
	;; [unrolled: 1-line block ×3, first 2 shown]
	scratch_store_dwordx4 off, v[24:27], off offset:1540 ; 16-byte Folded Spill
	s_nop 0
	scratch_store_dwordx4 off, v[28:31], off offset:1556 ; 16-byte Folded Spill
	scratch_store_dwordx4 off, v[32:35], off offset:1572 ; 16-byte Folded Spill
	;; [unrolled: 1-line block ×7, first 2 shown]
	scratch_load_dwordx4 v[68:71], off, off offset:1796 ; 16-byte Folded Reload
	scratch_load_dwordx4 v[72:75], off, off offset:1812 ; 16-byte Folded Reload
	;; [unrolled: 1-line block ×8, first 2 shown]
	s_waitcnt vmcnt(5)
	v_mov_b64_e32 v[24:25], v[68:69]
	v_mov_b64_e32 v[26:27], v[70:71]
	;; [unrolled: 1-line block ×6, first 2 shown]
	s_waitcnt vmcnt(4)
	v_mov_b64_e32 v[36:37], v[80:81]
	v_mov_b32_e32 v147, v37
	scratch_store_dwordx4 off, v[24:27], off offset:1924 ; 16-byte Folded Spill
	s_nop 0
	scratch_store_dwordx4 off, v[28:31], off offset:1940 ; 16-byte Folded Spill
	scratch_store_dwordx4 off, v[32:35], off offset:1956 ; 16-byte Folded Spill
	;; [unrolled: 1-line block ×7, first 2 shown]
	scratch_load_dwordx4 v[0:3], off, off offset:2188 ; 16-byte Folded Reload
	s_nop 0
	scratch_load_dwordx4 v[4:7], off, off offset:2204 ; 16-byte Folded Reload
	scratch_load_dwordx4 v[8:11], off, off offset:2220 ; 16-byte Folded Reload
	;; [unrolled: 1-line block ×7, first 2 shown]
	s_waitcnt vmcnt(0)
	v_mov_b64_e32 v[34:35], v[10:11]
	v_mov_b64_e32 v[32:33], v[8:9]
	;; [unrolled: 1-line block ×6, first 2 shown]
	v_mov_b32_e32 v36, v12
	scratch_store_dwordx4 off, v[24:27], off offset:1796 ; 16-byte Folded Spill
	s_nop 0
	scratch_store_dwordx4 off, v[28:31], off offset:1812 ; 16-byte Folded Spill
	scratch_store_dwordx4 off, v[32:35], off offset:1828 ; 16-byte Folded Spill
	;; [unrolled: 1-line block ×7, first 2 shown]
	scratch_load_dwordx4 v[68:71], off, off offset:2052 ; 16-byte Folded Reload
	scratch_load_dwordx4 v[72:75], off, off offset:2068 ; 16-byte Folded Reload
	;; [unrolled: 1-line block ×8, first 2 shown]
	v_mov_b32_e32 v148, v12
	s_waitcnt vmcnt(5)
	v_mov_b64_e32 v[24:25], v[68:69]
	v_mov_b64_e32 v[26:27], v[70:71]
	;; [unrolled: 1-line block ×6, first 2 shown]
	v_mov_b32_e32 v149, v35
	scratch_store_dwordx4 off, v[24:27], off offset:2316 ; 16-byte Folded Spill
	s_nop 0
	scratch_store_dwordx4 off, v[28:31], off offset:2332 ; 16-byte Folded Spill
	scratch_store_dwordx4 off, v[32:35], off offset:2348 ; 16-byte Folded Spill
	;; [unrolled: 1-line block ×7, first 2 shown]
	scratch_load_dwordx4 v[24:27], off, s2  ; 16-byte Folded Reload
	s_nop 0
	scratch_load_dwordx4 v[28:31], off, s2 offset:16 ; 16-byte Folded Reload
	scratch_load_dwordx4 v[32:35], off, s2 offset:32 ; 16-byte Folded Reload
	;; [unrolled: 1-line block ×7, first 2 shown]
	s_movk_i32 s2, 0x100c
	s_waitcnt vmcnt(5)
	v_mov_b32_e32 v150, v34
	scratch_store_dwordx4 off, v[24:27], off offset:2188 ; 16-byte Folded Spill
	s_nop 0
	scratch_store_dwordx4 off, v[28:31], off offset:2204 ; 16-byte Folded Spill
	scratch_store_dwordx4 off, v[32:35], off offset:2220 ; 16-byte Folded Spill
	s_waitcnt vmcnt(7)
	scratch_store_dwordx4 off, v[36:39], off offset:2236 ; 16-byte Folded Spill
	s_waitcnt vmcnt(7)
	;; [unrolled: 2-line block ×5, first 2 shown]
	scratch_store_dwordx4 off, v[52:55], off offset:2300 ; 16-byte Folded Spill
	scratch_load_dwordx4 v[24:27], off, off offset:2572 ; 16-byte Folded Reload
	s_nop 0
	scratch_load_dwordx4 v[28:31], off, off offset:2588 ; 16-byte Folded Reload
	scratch_load_dwordx4 v[32:35], off, off offset:2604 ; 16-byte Folded Reload
	;; [unrolled: 1-line block ×7, first 2 shown]
	s_waitcnt vmcnt(5)
	v_mov_b32_e32 v151, v33
	scratch_store_dwordx4 off, v[24:27], off offset:3084 ; 16-byte Folded Spill
	s_nop 0
	scratch_store_dwordx4 off, v[28:31], off offset:3100 ; 16-byte Folded Spill
	scratch_store_dwordx4 off, v[32:35], off offset:3116 ; 16-byte Folded Spill
	s_waitcnt vmcnt(7)
	scratch_store_dwordx4 off, v[36:39], off offset:3132 ; 16-byte Folded Spill
	s_waitcnt vmcnt(7)
	scratch_store_dwordx4 off, v[40:43], off offset:3148 ; 16-byte Folded Spill
	s_waitcnt vmcnt(7)
	scratch_store_dwordx4 off, v[44:47], off offset:3164 ; 16-byte Folded Spill
	s_waitcnt vmcnt(7)
	scratch_store_dwordx4 off, v[48:51], off offset:3180 ; 16-byte Folded Spill
	s_waitcnt vmcnt(7)
	scratch_store_dwordx4 off, v[52:55], off offset:3196 ; 16-byte Folded Spill
	scratch_load_dwordx4 v[24:27], off, off offset:644 ; 16-byte Folded Reload
	s_nop 0
	scratch_load_dwordx4 v[28:31], off, off offset:660 ; 16-byte Folded Reload
	scratch_load_dwordx4 v[32:35], off, off offset:676 ; 16-byte Folded Reload
	scratch_load_dwordx4 v[36:39], off, off offset:692 ; 16-byte Folded Reload
	scratch_load_dwordx4 v[40:43], off, off offset:708 ; 16-byte Folded Reload
	scratch_load_dwordx4 v[44:47], off, off offset:724 ; 16-byte Folded Reload
	scratch_load_dwordx4 v[48:51], off, off offset:740 ; 16-byte Folded Reload
	scratch_load_dwordx4 v[52:55], off, off offset:756 ; 16-byte Folded Reload
	s_waitcnt vmcnt(7)
	scratch_store_dwordx4 off, v[24:27], off offset:2956 ; 16-byte Folded Spill
	s_waitcnt vmcnt(7)
	scratch_store_dwordx4 off, v[28:31], off offset:2972 ; 16-byte Folded Spill
	s_waitcnt vmcnt(7)
	scratch_store_dwordx4 off, v[32:35], off offset:2988 ; 16-byte Folded Spill
	s_waitcnt vmcnt(7)
	scratch_store_dwordx4 off, v[36:39], off offset:3004 ; 16-byte Folded Spill
	s_waitcnt vmcnt(7)
	scratch_store_dwordx4 off, v[40:43], off offset:3020 ; 16-byte Folded Spill
	s_waitcnt vmcnt(7)
	scratch_store_dwordx4 off, v[44:47], off offset:3036 ; 16-byte Folded Spill
	s_waitcnt vmcnt(7)
	scratch_store_dwordx4 off, v[48:51], off offset:3052 ; 16-byte Folded Spill
	s_waitcnt vmcnt(7)
	scratch_store_dwordx4 off, v[52:55], off offset:3068 ; 16-byte Folded Spill
	scratch_load_dwordx4 v[0:3], off, off offset:900 ; 16-byte Folded Reload
	s_nop 0
	scratch_load_dwordx4 v[4:7], off, off offset:916 ; 16-byte Folded Reload
	scratch_load_dwordx4 v[8:11], off, off offset:932 ; 16-byte Folded Reload
	scratch_load_dwordx4 v[12:15], off, off offset:948 ; 16-byte Folded Reload
	scratch_load_dwordx4 v[16:19], off, off offset:964 ; 16-byte Folded Reload
	scratch_load_dwordx4 v[20:23], off, off offset:980 ; 16-byte Folded Reload
	scratch_load_dwordx4 v[24:27], off, off offset:996 ; 16-byte Folded Reload
	scratch_load_dwordx4 v[28:31], off, off offset:1012 ; 16-byte Folded Reload
	s_waitcnt vmcnt(7)
	scratch_store_dwordx4 off, v[0:3], off offset:3596 ; 16-byte Folded Spill
	s_waitcnt vmcnt(7)
	scratch_store_dwordx4 off, v[4:7], off offset:3612 ; 16-byte Folded Spill
	s_waitcnt vmcnt(7)
	;; [unrolled: 25-line block ×3, first 2 shown]
	scratch_store_dwordx4 off, v[8:11], off offset:3500 ; 16-byte Folded Spill
	s_waitcnt vmcnt(7)
	scratch_store_dwordx4 off, v[12:15], off offset:3516 ; 16-byte Folded Spill
	s_waitcnt vmcnt(7)
	;; [unrolled: 2-line block ×5, first 2 shown]
	scratch_store_dwordx4 off, v[28:31], off offset:3580 ; 16-byte Folded Spill
	v_mov_b64_e32 v[24:25], v[216:217]
	v_mov_b64_e32 v[26:27], v[218:219]
	;; [unrolled: 1-line block ×3, first 2 shown]
	v_mov_b32_e32 v217, v29
	scratch_store_dwordx4 off, v[24:27], off offset:3980 ; 16-byte Folded Spill
	s_nop 0
	scratch_store_dwordx4 off, v[28:31], off offset:3996 ; 16-byte Folded Spill
	scratch_store_dwordx4 off, v[32:35], off offset:4012 ; 16-byte Folded Spill
	;; [unrolled: 1-line block ×7, first 2 shown]
	v_mov_b32_e32 v0, v56
	v_mov_b32_e32 v1, v57
	;; [unrolled: 1-line block ×5, first 2 shown]
	scratch_store_dwordx4 off, v[0:3], s2   ; 16-byte Folded Spill
	s_nop 0
	scratch_store_dwordx4 off, v[4:7], s2 offset:16 ; 16-byte Folded Spill
	scratch_store_dwordx4 off, v[8:11], s2 offset:32 ; 16-byte Folded Spill
	;; [unrolled: 1-line block ×7, first 2 shown]
	scratch_load_dwordx4 v[24:27], off, off offset:3724 ; 16-byte Folded Reload
	s_nop 0
	scratch_load_dwordx4 v[28:31], off, off offset:3740 ; 16-byte Folded Reload
	scratch_load_dwordx4 v[32:35], off, off offset:3756 ; 16-byte Folded Reload
	;; [unrolled: 1-line block ×7, first 2 shown]
	s_movk_i32 s2, 0x108c
	s_waitcnt vmcnt(7)
	v_mov_b32_e32 v77, v27
	scratch_store_dwordx4 off, v[24:27], s2 ; 16-byte Folded Spill
	s_waitcnt vmcnt(7)
	scratch_store_dwordx4 off, v[28:31], s2 offset:16 ; 16-byte Folded Spill
	s_waitcnt vmcnt(7)
	scratch_store_dwordx4 off, v[32:35], s2 offset:32 ; 16-byte Folded Spill
	;; [unrolled: 2-line block ×7, first 2 shown]
	v_mov_b32_e32 v24, v182
	v_mov_b32_e32 v26, v184
	;; [unrolled: 1-line block ×4, first 2 shown]
	s_movk_i32 s2, 0x1210
	scratch_store_dwordx4 off, v[24:27], s2 ; 16-byte Folded Spill
	s_nop 0
	scratch_store_dwordx4 off, v[28:31], s2 offset:16 ; 16-byte Folded Spill
	scratch_store_dwordx4 off, v[32:35], s2 offset:32 ; 16-byte Folded Spill
	;; [unrolled: 1-line block ×7, first 2 shown]
	s_movk_i32 s2, 0x13f0
	scratch_store_dwordx4 off, v[152:155], s2 ; 16-byte Folded Spill
	s_nop 0
	scratch_store_dwordx4 off, v[156:159], s2 offset:16 ; 16-byte Folded Spill
	scratch_store_dwordx4 off, v[160:163], s2 offset:32 ; 16-byte Folded Spill
	;; [unrolled: 1-line block ×7, first 2 shown]
	s_and_saveexec_b64 s[2:3], vcc
	s_cbranch_execz .LBB53_13
; %bb.12:
	v_mov_b32_e32 v54, v30
	scratch_load_dwordx4 v[0:3], off, off offset:2444 ; 16-byte Folded Reload
	scratch_load_dwordx4 v[4:7], off, off offset:2460 ; 16-byte Folded Reload
	;; [unrolled: 1-line block ×8, first 2 shown]
	s_movk_i32 s4, 0x13ec
	v_mov_b32_e32 v55, v77
	v_mov_b32_e32 v53, v217
	;; [unrolled: 1-line block ×16, first 2 shown]
	s_waitcnt vmcnt(6)
	v_mov_b32_e32 v52, v4
	scratch_load_dwordx4 v[0:3], off, off offset:1156 ; 16-byte Folded Reload
	scratch_load_dwordx4 v[4:7], off, off offset:1172 ; 16-byte Folded Reload
	scratch_load_dwordx4 v[8:11], off, off offset:1188 ; 16-byte Folded Reload
	scratch_load_dwordx4 v[12:15], off, off offset:1204 ; 16-byte Folded Reload
	scratch_load_dwordx4 v[16:19], off, off offset:1220 ; 16-byte Folded Reload
	scratch_load_dwordx4 v[20:23], off, off offset:1236 ; 16-byte Folded Reload
	scratch_load_dwordx4 v[24:27], off, off offset:1252 ; 16-byte Folded Reload
	scratch_load_dwordx4 v[28:31], off, off offset:1268 ; 16-byte Folded Reload
	s_waitcnt vmcnt(6)
	v_mov_b32_e32 v50, v6
	scratch_load_dwordx4 v[0:3], off, off offset:900 ; 16-byte Folded Reload
	scratch_load_dwordx4 v[4:7], off, off offset:916 ; 16-byte Folded Reload
	scratch_load_dwordx4 v[8:11], off, off offset:932 ; 16-byte Folded Reload
	scratch_load_dwordx4 v[12:15], off, off offset:948 ; 16-byte Folded Reload
	scratch_load_dwordx4 v[16:19], off, off offset:964 ; 16-byte Folded Reload
	scratch_load_dwordx4 v[20:23], off, off offset:980 ; 16-byte Folded Reload
	scratch_load_dwordx4 v[24:27], off, off offset:996 ; 16-byte Folded Reload
	scratch_load_dwordx4 v[28:31], off, off offset:1012 ; 16-byte Folded Reload
	;; [unrolled: 10-line block ×5, first 2 shown]
	s_waitcnt vmcnt(7)
	ds_read2_b32 v[0:1], v187 offset0:2 offset1:3
	ds_read2_b32 v[2:3], v187 offset0:4 offset1:5
	s_waitcnt vmcnt(6)
	ds_read2_b32 v[4:5], v187 offset0:6 offset1:7
	ds_read2_b32 v[6:7], v187 offset0:8 offset1:9
	scratch_load_dword v8, off, s4          ; 4-byte Folded Reload
	s_movk_i32 s4, 0x13f0
	s_waitcnt vmcnt(3)
	v_mov_b32_e32 v32, v22
	s_waitcnt vmcnt(0)
	v_mul_f32_e32 v40, v189, v8
	s_waitcnt lgkmcnt(3)
	v_pk_fma_f32 v[54:55], v[40:41], v[0:1], v[54:55] op_sel_hi:[0,1,1] neg_lo:[1,0,0] neg_hi:[1,0,0]
	s_waitcnt lgkmcnt(2)
	v_pk_fma_f32 v[52:53], v[40:41], v[2:3], v[52:53] op_sel_hi:[0,1,1] neg_lo:[1,0,0] neg_hi:[1,0,0]
	;; [unrolled: 2-line block ×4, first 2 shown]
	ds_read2_b32 v[0:1], v187 offset0:10 offset1:11
	ds_read2_b32 v[2:3], v187 offset0:12 offset1:13
	;; [unrolled: 1-line block ×4, first 2 shown]
	v_mov_b32_e32 v189, v40
	s_waitcnt lgkmcnt(3)
	v_pk_fma_f32 v[46:47], v[40:41], v[0:1], v[46:47] op_sel_hi:[0,1,1] neg_lo:[1,0,0] neg_hi:[1,0,0]
	s_waitcnt lgkmcnt(2)
	v_pk_fma_f32 v[44:45], v[40:41], v[2:3], v[44:45] op_sel_hi:[0,1,1] neg_lo:[1,0,0] neg_hi:[1,0,0]
	;; [unrolled: 2-line block ×4, first 2 shown]
	ds_read2_b32 v[0:1], v187 offset0:18 offset1:19
	ds_read2_b32 v[2:3], v187 offset0:20 offset1:21
	;; [unrolled: 1-line block ×4, first 2 shown]
	v_mov_b32_e32 v77, v55
	s_waitcnt lgkmcnt(3)
	v_pk_fma_f32 v[36:37], v[40:41], v[0:1], v[36:37] op_sel_hi:[0,1,1] neg_lo:[1,0,0] neg_hi:[1,0,0]
	scratch_load_dwordx2 v[0:1], off, off offset:2180 ; 8-byte Folded Reload
	s_waitcnt lgkmcnt(2)
	v_pk_fma_f32 v[34:35], v[40:41], v[2:3], v[34:35] op_sel_hi:[0,1,1] neg_lo:[1,0,0] neg_hi:[1,0,0]
	s_waitcnt lgkmcnt(1)
	v_pk_fma_f32 v[32:33], v[40:41], v[4:5], v[32:33] op_sel_hi:[0,1,1] neg_lo:[1,0,0] neg_hi:[1,0,0]
	v_mov_b32_e32 v154, v54
	v_mov_b32_e32 v155, v55
	;; [unrolled: 1-line block ×24, first 2 shown]
	s_waitcnt vmcnt(0)
	v_mov_b32_e32 v107, v0
	ds_read_b32 v0, v187 offset:104
	scratch_store_dwordx4 off, v[188:191], s4 ; 16-byte Folded Spill
	s_nop 0
	scratch_store_dwordx4 off, v[192:195], s4 offset:16 ; 16-byte Folded Spill
	scratch_store_dwordx4 off, v[196:199], s4 offset:32 ; 16-byte Folded Spill
	;; [unrolled: 1-line block ×7, first 2 shown]
	v_mov_b32_e32 v190, v54
	s_movk_i32 s4, 0x1210
	s_waitcnt lgkmcnt(1)
	v_pk_fma_f32 v[106:107], v[40:41], v[6:7], v[106:107] op_sel_hi:[0,1,1] neg_lo:[1,0,0] neg_hi:[1,0,0]
	s_waitcnt lgkmcnt(0)
	v_fma_f32 v1, -v40, v0, v1
	v_mov_b32_e32 v0, v107
	v_mov_b32_e32 v176, v106
	;; [unrolled: 1-line block ×5, first 2 shown]
	scratch_store_dwordx4 off, v[188:191], s4 ; 16-byte Folded Spill
	s_nop 0
	scratch_store_dwordx4 off, v[192:195], s4 offset:16 ; 16-byte Folded Spill
	scratch_store_dwordx4 off, v[196:199], s4 offset:32 ; 16-byte Folded Spill
	scratch_store_dwordx4 off, v[200:203], s4 offset:48 ; 16-byte Folded Spill
	scratch_store_dwordx4 off, v[204:207], s4 offset:64 ; 16-byte Folded Spill
	scratch_store_dwordx4 off, v[208:211], s4 offset:80 ; 16-byte Folded Spill
	scratch_store_dwordx4 off, v[212:215], s4 offset:96 ; 16-byte Folded Spill
	scratch_store_dwordx4 off, v[216:219], s4 offset:112 ; 16-byte Folded Spill
	v_mov_b32_e32 v191, v55
	s_movk_i32 s4, 0x108c
	scratch_store_dwordx4 off, v[188:191], s4 ; 16-byte Folded Spill
	s_nop 0
	scratch_store_dwordx4 off, v[192:195], s4 offset:16 ; 16-byte Folded Spill
	scratch_store_dwordx4 off, v[196:199], s4 offset:32 ; 16-byte Folded Spill
	scratch_store_dwordx4 off, v[200:203], s4 offset:48 ; 16-byte Folded Spill
	scratch_store_dwordx4 off, v[204:207], s4 offset:64 ; 16-byte Folded Spill
	scratch_store_dwordx4 off, v[208:211], s4 offset:80 ; 16-byte Folded Spill
	scratch_store_dwordx4 off, v[212:215], s4 offset:96 ; 16-byte Folded Spill
	scratch_store_dwordx4 off, v[216:219], s4 offset:112 ; 16-byte Folded Spill
	v_mov_b32_e32 v192, v52
	s_movk_i32 s4, 0x100c
	;; [unrolled: 11-line block ×3, first 2 shown]
	scratch_store_dwordx4 off, v[188:191], off offset:3980 ; 16-byte Folded Spill
	s_nop 0
	scratch_store_dwordx4 off, v[192:195], off offset:3996 ; 16-byte Folded Spill
	scratch_store_dwordx4 off, v[196:199], off offset:4012 ; 16-byte Folded Spill
	scratch_store_dwordx4 off, v[200:203], off offset:4028 ; 16-byte Folded Spill
	scratch_store_dwordx4 off, v[204:207], off offset:4044 ; 16-byte Folded Spill
	scratch_store_dwordx4 off, v[208:211], off offset:4060 ; 16-byte Folded Spill
	scratch_store_dwordx4 off, v[212:215], off offset:4076 ; 16-byte Folded Spill
	scratch_store_dwordx4 off, v[216:219], off offset:4092 ; 16-byte Folded Spill
	v_mov_b32_e32 v194, v50
	scratch_store_dwordx4 off, v[188:191], off offset:3468 ; 16-byte Folded Spill
	s_nop 0
	scratch_store_dwordx4 off, v[192:195], off offset:3484 ; 16-byte Folded Spill
	scratch_store_dwordx4 off, v[196:199], off offset:3500 ; 16-byte Folded Spill
	scratch_store_dwordx4 off, v[200:203], off offset:3516 ; 16-byte Folded Spill
	scratch_store_dwordx4 off, v[204:207], off offset:3532 ; 16-byte Folded Spill
	scratch_store_dwordx4 off, v[208:211], off offset:3548 ; 16-byte Folded Spill
	scratch_store_dwordx4 off, v[212:215], off offset:3564 ; 16-byte Folded Spill
	scratch_store_dwordx4 off, v[216:219], off offset:3580 ; 16-byte Folded Spill
	v_mov_b32_e32 v195, v51
	;; [unrolled: 10-line block ×15, first 2 shown]
	v_mov_b64_e32 v[120:121], v[188:189]
	v_mov_b64_e32 v[122:123], v[190:191]
	;; [unrolled: 1-line block ×16, first 2 shown]
	v_mov_b32_e32 v209, v35
	scratch_store_dwordx4 off, v[188:191], off offset:516 ; 16-byte Folded Spill
	s_nop 0
	scratch_store_dwordx4 off, v[192:195], off offset:532 ; 16-byte Folded Spill
	scratch_store_dwordx4 off, v[196:199], off offset:548 ; 16-byte Folded Spill
	;; [unrolled: 1-line block ×7, first 2 shown]
	v_mov_b32_e32 v210, v32
	v_mov_b32_e32 v144, v38
	;; [unrolled: 1-line block ×3, first 2 shown]
	scratch_store_dwordx4 off, v[188:191], off offset:260 ; 16-byte Folded Spill
	s_nop 0
	scratch_store_dwordx4 off, v[192:195], off offset:276 ; 16-byte Folded Spill
	scratch_store_dwordx4 off, v[196:199], off offset:292 ; 16-byte Folded Spill
	;; [unrolled: 1-line block ×7, first 2 shown]
	v_mov_b32_e32 v211, v33
	scratch_store_dwordx4 off, v[188:191], off offset:388 ; 16-byte Folded Spill
	s_nop 0
	scratch_store_dwordx4 off, v[192:195], off offset:404 ; 16-byte Folded Spill
	scratch_store_dwordx4 off, v[196:199], off offset:420 ; 16-byte Folded Spill
	;; [unrolled: 1-line block ×7, first 2 shown]
	s_nop 0
	v_mov_b32_e32 v212, v106
	scratch_store_dwordx4 off, v[188:191], s4 ; 16-byte Folded Spill
	s_nop 0
	scratch_store_dwordx4 off, v[192:195], s4 offset:16 ; 16-byte Folded Spill
	scratch_store_dwordx4 off, v[196:199], s4 offset:32 ; 16-byte Folded Spill
	;; [unrolled: 1-line block ×7, first 2 shown]
	scratch_store_dwordx2 off, v[0:1], off offset:2180 ; 8-byte Folded Spill
	scratch_store_dwordx4 off, v[48:51], off offset:2444 ; 16-byte Folded Spill
	s_nop 0
	scratch_store_dwordx4 off, v[52:55], off offset:2460 ; 16-byte Folded Spill
	scratch_store_dwordx4 off, v[56:59], off offset:2476 ; 16-byte Folded Spill
	;; [unrolled: 1-line block ×7, first 2 shown]
	v_mov_b64_e32 v[152:153], v[188:189]
	v_mov_b32_e32 v217, v53
	scratch_store_dwordx4 off, v[44:47], off offset:1156 ; 16-byte Folded Spill
	s_nop 0
	scratch_store_dwordx4 off, v[48:51], off offset:1172 ; 16-byte Folded Spill
	scratch_store_dwordx4 off, v[52:55], off offset:1188 ; 16-byte Folded Spill
	scratch_store_dwordx4 off, v[56:59], off offset:1204 ; 16-byte Folded Spill
	scratch_store_dwordx4 off, v[60:63], off offset:1220 ; 16-byte Folded Spill
	scratch_store_dwordx4 off, v[64:67], off offset:1236 ; 16-byte Folded Spill
	scratch_store_dwordx4 off, v[68:71], off offset:1252 ; 16-byte Folded Spill
	scratch_store_dwordx4 off, v[72:75], off offset:1268 ; 16-byte Folded Spill
	scratch_store_dwordx4 off, v[44:47], off offset:900 ; 16-byte Folded Spill
	s_nop 0
	scratch_store_dwordx4 off, v[48:51], off offset:916 ; 16-byte Folded Spill
	scratch_store_dwordx4 off, v[52:55], off offset:932 ; 16-byte Folded Spill
	scratch_store_dwordx4 off, v[56:59], off offset:948 ; 16-byte Folded Spill
	scratch_store_dwordx4 off, v[60:63], off offset:964 ; 16-byte Folded Spill
	scratch_store_dwordx4 off, v[64:67], off offset:980 ; 16-byte Folded Spill
	scratch_store_dwordx4 off, v[68:71], off offset:996 ; 16-byte Folded Spill
	scratch_store_dwordx4 off, v[72:75], off offset:1012 ; 16-byte Folded Spill
	;; [unrolled: 9-line block ×3, first 2 shown]
	v_mov_b32_e32 v148, v44
	v_mov_b32_e32 v147, v45
	;; [unrolled: 1-line block ×5, first 2 shown]
	scratch_store_dwordx4 off, v[14:17], off offset:4 ; 16-byte Folded Spill
	s_nop 0
	scratch_store_dwordx4 off, v[18:21], off offset:20 ; 16-byte Folded Spill
	scratch_store_dwordx4 off, v[22:25], off offset:36 ; 16-byte Folded Spill
	;; [unrolled: 1-line block ×7, first 2 shown]
	v_mov_b32_e32 v151, v49
	v_mov_b32_e32 v150, v46
	;; [unrolled: 1-line block ×4, first 2 shown]
	scratch_store_dwordx4 off, v[10:13], off offset:132 ; 16-byte Folded Spill
	s_nop 0
	scratch_store_dwordx4 off, v[14:17], off offset:148 ; 16-byte Folded Spill
	scratch_store_dwordx4 off, v[18:21], off offset:164 ; 16-byte Folded Spill
	;; [unrolled: 1-line block ×7, first 2 shown]
	v_mov_b32_e32 v105, v33
.LBB53_13:
	s_or_b64 exec, exec, s[2:3]
	s_movk_i32 s2, 0x1290
	scratch_load_dwordx4 v[32:35], off, s2  ; 16-byte Folded Reload
	scratch_load_dwordx4 v[36:39], off, s2 offset:16 ; 16-byte Folded Reload
	scratch_load_dwordx4 v[40:43], off, s2 offset:32 ; 16-byte Folded Reload
	;; [unrolled: 1-line block ×7, first 2 shown]
	s_movk_i32 s2, 0x120c
	s_waitcnt vmcnt(63) expcnt(7) lgkmcnt(15)
	s_barrier
	scratch_load_dword v249, off, s2        ; 4-byte Folded Reload
	s_waitcnt vmcnt(1)
	v_mov_b32_e32 v66, v56
	v_mov_b32_e32 v65, v55
	;; [unrolled: 1-line block ×9, first 2 shown]
	v_mov_b64_e32 v[56:57], v[46:47]
	v_mov_b64_e32 v[54:55], v[44:45]
	;; [unrolled: 1-line block ×8, first 2 shown]
	s_waitcnt vmcnt(0)
	v_cmp_eq_u32_e32 vcc, 2, v249
	s_and_saveexec_b64 s[2:3], vcc
	s_cbranch_execz .LBB53_16
; %bb.14:
	ds_write_b32 v246, v30
	ds_write2_b32 v187, v155, v156 offset0:3 offset1:4
	ds_write2_b32 v187, v157, v158 offset0:5 offset1:6
	;; [unrolled: 1-line block ×12, first 2 shown]
	ds_read_b32 v24, v246
	s_waitcnt lgkmcnt(0)
	v_cmp_neq_f32_e32 vcc, 0, v24
	s_and_b64 exec, exec, vcc
	s_cbranch_execz .LBB53_16
; %bb.15:
	v_div_scale_f32 v25, s[4:5], v24, v24, 1.0
	v_rcp_f32_e32 v26, v25
	v_div_scale_f32 v27, vcc, 1.0, v24, 1.0
	v_fma_f32 v28, -v25, v26, 1.0
	v_fmac_f32_e32 v26, v28, v26
	v_mul_f32_e32 v28, v27, v26
	v_fma_f32 v29, -v25, v28, v27
	v_fmac_f32_e32 v28, v29, v26
	v_fma_f32 v25, -v25, v28, v27
	v_div_fmas_f32 v25, v25, v26, v28
	v_div_fixup_f32 v24, v25, v24, 1.0
	ds_write_b32 v246, v24
.LBB53_16:
	s_or_b64 exec, exec, s[2:3]
	s_waitcnt lgkmcnt(0)
	s_barrier
	ds_read_b32 v24, v246
	v_cmp_lt_u32_e32 vcc, 2, v249
	s_waitcnt lgkmcnt(0)
	scratch_store_dword off, v24, off offset:2052 ; 4-byte Folded Spill
	s_and_saveexec_b64 s[2:3], vcc
	s_cbranch_execz .LBB53_18
; %bb.17:
	s_movk_i32 s4, 0x13f0
	scratch_load_dwordx4 v[78:81], off, s4  ; 16-byte Folded Reload
	scratch_load_dwordx4 v[82:85], off, s4 offset:16 ; 16-byte Folded Reload
	scratch_load_dwordx4 v[86:89], off, s4 offset:32 ; 16-byte Folded Reload
	;; [unrolled: 1-line block ×7, first 2 shown]
	scratch_load_dword v0, off, off offset:2052 ; 4-byte Folded Reload
	v_mov_b32_e32 v2, v155
	v_mov_b32_e32 v3, v156
	s_movk_i32 s4, 0x100c
	s_waitcnt vmcnt(8)
	v_mov_b32_e32 v210, v78
	v_mov_b32_e32 v211, v79
	v_mov_b32_e32 v120, v78
	v_mov_b32_e32 v121, v79
	v_mov_b32_e32 v42, v78
	v_mov_b32_e32 v43, v79
	v_mov_b32_e32 v152, v78
	v_mov_b32_e32 v153, v79
	s_waitcnt vmcnt(0)
	v_mul_f32_e32 v80, v30, v0
	ds_read2_b32 v[0:1], v187 offset0:3 offset1:4
	ds_read2_b32 v[4:5], v187 offset0:5 offset1:6
	ds_read2_b32 v[6:7], v187 offset0:7 offset1:8
	ds_read2_b32 v[8:9], v187 offset0:9 offset1:10
	v_mov_b32_e32 v212, v80
	v_mov_b32_e32 v122, v80
	v_mov_b32_e32 v44, v80
	s_waitcnt lgkmcnt(3)
	v_pk_fma_f32 v[24:25], v[80:81], v[0:1], v[2:3] op_sel_hi:[0,1,1] neg_lo:[1,0,0] neg_hi:[1,0,0]
	v_mov_b32_e32 v0, v157
	v_mov_b32_e32 v1, v158
	s_waitcnt lgkmcnt(2)
	v_pk_fma_f32 v[26:27], v[80:81], v[4:5], v[0:1] op_sel_hi:[0,1,1] neg_lo:[1,0,0] neg_hi:[1,0,0]
	v_mov_b32_e32 v0, v159
	v_mov_b32_e32 v1, v160
	s_waitcnt lgkmcnt(1)
	v_pk_fma_f32 v[28:29], v[80:81], v[6:7], v[0:1] op_sel_hi:[0,1,1] neg_lo:[1,0,0] neg_hi:[1,0,0]
	v_mov_b32_e32 v0, v161
	v_mov_b32_e32 v1, v162
	s_waitcnt lgkmcnt(0)
	v_pk_fma_f32 v[30:31], v[80:81], v[8:9], v[0:1] op_sel_hi:[0,1,1] neg_lo:[1,0,0] neg_hi:[1,0,0]
	ds_read2_b32 v[0:1], v187 offset0:11 offset1:12
	ds_read2_b32 v[4:5], v187 offset0:13 offset1:14
	ds_read2_b32 v[6:7], v187 offset0:15 offset1:16
	ds_read2_b32 v[8:9], v187 offset0:17 offset1:18
	v_mov_b32_e32 v2, v163
	v_mov_b32_e32 v3, v164
	v_mov_b32_e32 v154, v80
	s_waitcnt lgkmcnt(3)
	v_pk_fma_f32 v[32:33], v[80:81], v[0:1], v[2:3] op_sel_hi:[0,1,1] neg_lo:[1,0,0] neg_hi:[1,0,0]
	v_mov_b32_e32 v0, v165
	v_mov_b32_e32 v1, v166
	s_waitcnt lgkmcnt(2)
	v_pk_fma_f32 v[34:35], v[80:81], v[4:5], v[0:1] op_sel_hi:[0,1,1] neg_lo:[1,0,0] neg_hi:[1,0,0]
	v_mov_b32_e32 v0, v167
	v_mov_b32_e32 v1, v168
	s_waitcnt lgkmcnt(1)
	v_pk_fma_f32 v[36:37], v[80:81], v[6:7], v[0:1] op_sel_hi:[0,1,1] neg_lo:[1,0,0] neg_hi:[1,0,0]
	v_mov_b32_e32 v0, v169
	v_mov_b32_e32 v1, v170
	s_waitcnt lgkmcnt(0)
	v_pk_fma_f32 v[38:39], v[80:81], v[8:9], v[0:1] op_sel_hi:[0,1,1] neg_lo:[1,0,0] neg_hi:[1,0,0]
	;; [unrolled: 21-line block ×3, first 2 shown]
	v_mov_b32_e32 v0, v78
	v_mov_b32_e32 v1, v79
	;; [unrolled: 1-line block ×6, first 2 shown]
	scratch_store_dwordx4 off, v[0:3], s4   ; 16-byte Folded Spill
	s_nop 0
	scratch_store_dwordx4 off, v[4:7], s4 offset:16 ; 16-byte Folded Spill
	scratch_store_dwordx4 off, v[8:11], s4 offset:32 ; 16-byte Folded Spill
	;; [unrolled: 1-line block ×7, first 2 shown]
	v_mov_b32_e32 v222, v33
	v_mov_b32_e32 v223, v34
	;; [unrolled: 1-line block ×11, first 2 shown]
	s_movk_i32 s4, 0x108c
	v_mov_b32_e32 v131, v32
	v_mov_b32_e32 v132, v33
	;; [unrolled: 1-line block ×42, first 2 shown]
	scratch_store_dwordx4 off, v[0:3], off offset:3980 ; 16-byte Folded Spill
	s_nop 0
	scratch_store_dwordx4 off, v[4:7], off offset:3996 ; 16-byte Folded Spill
	scratch_store_dwordx4 off, v[8:11], off offset:4012 ; 16-byte Folded Spill
	scratch_store_dwordx4 off, v[12:15], off offset:4028 ; 16-byte Folded Spill
	scratch_store_dwordx4 off, v[16:19], off offset:4044 ; 16-byte Folded Spill
	scratch_store_dwordx4 off, v[20:23], off offset:4060 ; 16-byte Folded Spill
	scratch_store_dwordx4 off, v[24:27], off offset:4076 ; 16-byte Folded Spill
	scratch_store_dwordx4 off, v[28:31], off offset:4092 ; 16-byte Folded Spill
	v_mov_b32_e32 v6, v27
	scratch_store_dwordx4 off, v[0:3], off offset:3468 ; 16-byte Folded Spill
	s_nop 0
	scratch_store_dwordx4 off, v[4:7], off offset:3484 ; 16-byte Folded Spill
	scratch_store_dwordx4 off, v[8:11], off offset:3500 ; 16-byte Folded Spill
	scratch_store_dwordx4 off, v[12:15], off offset:3516 ; 16-byte Folded Spill
	scratch_store_dwordx4 off, v[16:19], off offset:3532 ; 16-byte Folded Spill
	scratch_store_dwordx4 off, v[20:23], off offset:3548 ; 16-byte Folded Spill
	scratch_store_dwordx4 off, v[24:27], off offset:3564 ; 16-byte Folded Spill
	scratch_store_dwordx4 off, v[28:31], off offset:3580 ; 16-byte Folded Spill
	v_mov_b32_e32 v7, v28
	;; [unrolled: 10-line block ×15, first 2 shown]
	v_mov_b32_e32 v21, v68
	v_mov_b32_e32 v123, v24
	;; [unrolled: 1-line block ×9, first 2 shown]
	scratch_store_dwordx4 off, v[0:3], off offset:516 ; 16-byte Folded Spill
	s_nop 0
	scratch_store_dwordx4 off, v[4:7], off offset:532 ; 16-byte Folded Spill
	scratch_store_dwordx4 off, v[8:11], off offset:548 ; 16-byte Folded Spill
	;; [unrolled: 1-line block ×7, first 2 shown]
	v_mov_b32_e32 v22, v69
	v_mov_b32_e32 v23, v70
	;; [unrolled: 1-line block ×10, first 2 shown]
	scratch_store_dwordx4 off, v[210:213], off offset:260 ; 16-byte Folded Spill
	s_nop 0
	scratch_store_dwordx4 off, v[214:217], off offset:276 ; 16-byte Folded Spill
	scratch_store_dwordx4 off, v[218:221], off offset:292 ; 16-byte Folded Spill
	;; [unrolled: 1-line block ×8, first 2 shown]
	s_nop 0
	scratch_store_dwordx4 off, v[4:7], off offset:404 ; 16-byte Folded Spill
	scratch_store_dwordx4 off, v[8:11], off offset:420 ; 16-byte Folded Spill
	;; [unrolled: 1-line block ×7, first 2 shown]
	scratch_store_dwordx2 off, v[72:73], off offset:2180 ; 8-byte Folded Spill
	scratch_store_dwordx4 off, v[78:81], s4 ; 16-byte Folded Spill
	s_nop 0
	scratch_store_dwordx4 off, v[82:85], s4 offset:16 ; 16-byte Folded Spill
	scratch_store_dwordx4 off, v[86:89], s4 offset:32 ; 16-byte Folded Spill
	;; [unrolled: 1-line block ×7, first 2 shown]
	s_movk_i32 s4, 0x1210
	v_mov_b32_e32 v215, v68
	scratch_store_dwordx4 off, v[78:81], s4 ; 16-byte Folded Spill
	s_nop 0
	scratch_store_dwordx4 off, v[82:85], s4 offset:16 ; 16-byte Folded Spill
	scratch_store_dwordx4 off, v[86:89], s4 offset:32 ; 16-byte Folded Spill
	;; [unrolled: 1-line block ×7, first 2 shown]
	v_mov_b32_e32 v45, v24
	v_mov_b32_e32 v46, v25
	;; [unrolled: 1-line block ×18, first 2 shown]
	scratch_store_dwordx4 off, v[20:23], off offset:2444 ; 16-byte Folded Spill
	s_nop 0
	scratch_store_dwordx4 off, v[24:27], off offset:2460 ; 16-byte Folded Spill
	scratch_store_dwordx4 off, v[28:31], off offset:2476 ; 16-byte Folded Spill
	;; [unrolled: 1-line block ×7, first 2 shown]
	v_mov_b32_e32 v105, v70
	v_mov_b32_e32 v24, v27
	;; [unrolled: 1-line block ×3, first 2 shown]
	scratch_store_dwordx4 off, v[18:21], off offset:1156 ; 16-byte Folded Spill
	s_nop 0
	scratch_store_dwordx4 off, v[22:25], off offset:1172 ; 16-byte Folded Spill
	scratch_store_dwordx4 off, v[26:29], off offset:1188 ; 16-byte Folded Spill
	scratch_store_dwordx4 off, v[30:33], off offset:1204 ; 16-byte Folded Spill
	scratch_store_dwordx4 off, v[34:37], off offset:1220 ; 16-byte Folded Spill
	scratch_store_dwordx4 off, v[38:41], off offset:1236 ; 16-byte Folded Spill
	scratch_store_dwordx4 off, v[42:45], off offset:1252 ; 16-byte Folded Spill
	scratch_store_dwordx4 off, v[46:49], off offset:1268 ; 16-byte Folded Spill
	v_mov_b32_e32 v25, v28
	scratch_store_dwordx4 off, v[18:21], off offset:900 ; 16-byte Folded Spill
	s_nop 0
	scratch_store_dwordx4 off, v[22:25], off offset:916 ; 16-byte Folded Spill
	scratch_store_dwordx4 off, v[26:29], off offset:932 ; 16-byte Folded Spill
	scratch_store_dwordx4 off, v[30:33], off offset:948 ; 16-byte Folded Spill
	scratch_store_dwordx4 off, v[34:37], off offset:964 ; 16-byte Folded Spill
	scratch_store_dwordx4 off, v[38:41], off offset:980 ; 16-byte Folded Spill
	scratch_store_dwordx4 off, v[42:45], off offset:996 ; 16-byte Folded Spill
	scratch_store_dwordx4 off, v[46:49], off offset:1012 ; 16-byte Folded Spill
	v_mov_b32_e32 v24, v29
	;; [unrolled: 10-line block ×3, first 2 shown]
	v_mov_b32_e32 v151, v30
	v_mov_b32_e32 v150, v31
	;; [unrolled: 1-line block ×6, first 2 shown]
	scratch_store_dwordx4 off, v[4:7], off offset:4 ; 16-byte Folded Spill
	s_nop 0
	scratch_store_dwordx4 off, v[8:11], off offset:20 ; 16-byte Folded Spill
	scratch_store_dwordx4 off, v[12:15], off offset:36 ; 16-byte Folded Spill
	;; [unrolled: 1-line block ×7, first 2 shown]
	v_mov_b32_e32 v141, v36
	v_mov_b32_e32 v144, v37
	;; [unrolled: 1-line block ×6, first 2 shown]
	scratch_store_dwordx4 off, v[2:5], off offset:132 ; 16-byte Folded Spill
	s_nop 0
	scratch_store_dwordx4 off, v[6:9], off offset:148 ; 16-byte Folded Spill
	scratch_store_dwordx4 off, v[10:13], off offset:164 ; 16-byte Folded Spill
	;; [unrolled: 1-line block ×7, first 2 shown]
.LBB53_18:
	s_or_b64 exec, exec, s[2:3]
	v_cmp_eq_u32_e32 vcc, 3, v249
	s_waitcnt vmcnt(63) expcnt(7) lgkmcnt(15)
	s_barrier
	s_and_saveexec_b64 s[2:3], vcc
	s_cbranch_execz .LBB53_21
; %bb.19:
	ds_write_b32 v246, v77
	ds_write2_b32 v187, v156, v157 offset0:4 offset1:5
	ds_write2_b32 v187, v158, v159 offset0:6 offset1:7
	;; [unrolled: 1-line block ×11, first 2 shown]
	scratch_load_dwordx2 v[0:1], off, off offset:2180 ; 8-byte Folded Reload
	s_waitcnt vmcnt(0)
	ds_write_b32 v187, v1 offset:104
	ds_read_b32 v24, v246
	s_waitcnt lgkmcnt(0)
	v_cmp_neq_f32_e32 vcc, 0, v24
	s_and_b64 exec, exec, vcc
	s_cbranch_execz .LBB53_21
; %bb.20:
	v_div_scale_f32 v25, s[4:5], v24, v24, 1.0
	v_rcp_f32_e32 v26, v25
	v_div_scale_f32 v27, vcc, 1.0, v24, 1.0
	v_fma_f32 v28, -v25, v26, 1.0
	v_fmac_f32_e32 v26, v28, v26
	v_mul_f32_e32 v28, v27, v26
	v_fma_f32 v29, -v25, v28, v27
	v_fmac_f32_e32 v28, v29, v26
	v_fma_f32 v25, -v25, v28, v27
	v_div_fmas_f32 v25, v25, v26, v28
	v_div_fixup_f32 v24, v25, v24, 1.0
	ds_write_b32 v246, v24
.LBB53_21:
	s_or_b64 exec, exec, s[2:3]
	s_waitcnt lgkmcnt(0)
	s_barrier
	ds_read_b32 v24, v246
	v_cmp_lt_u32_e32 vcc, 3, v249
	s_waitcnt lgkmcnt(0)
	scratch_store_dword off, v24, off offset:2572 ; 4-byte Folded Spill
	s_and_saveexec_b64 s[2:3], vcc
	s_cbranch_execz .LBB53_23
; %bb.22:
	ds_read2_b32 v[2:3], v187 offset0:4 offset1:5
	ds_read2_b32 v[4:5], v187 offset0:6 offset1:7
	;; [unrolled: 1-line block ×3, first 2 shown]
	scratch_load_dword v0, off, off offset:2572 ; 4-byte Folded Reload
	ds_read2_b32 v[8:9], v187 offset0:10 offset1:11
	s_movk_i32 s4, 0x1210
	s_waitcnt vmcnt(0)
	v_mul_f32_e32 v0, v77, v0
	s_waitcnt lgkmcnt(3)
	v_pk_fma_f32 v[152:153], v[0:1], v[2:3], v[156:157] op_sel_hi:[0,1,1] neg_lo:[1,0,0] neg_hi:[1,0,0]
	ds_read2_b32 v[2:3], v187 offset0:12 offset1:13
	s_waitcnt lgkmcnt(3)
	v_pk_fma_f32 v[68:69], v[0:1], v[4:5], v[158:159] op_sel_hi:[0,1,1] neg_lo:[1,0,0] neg_hi:[1,0,0]
	s_waitcnt lgkmcnt(2)
	v_pk_fma_f32 v[60:61], v[0:1], v[6:7], v[160:161] op_sel_hi:[0,1,1] neg_lo:[1,0,0] neg_hi:[1,0,0]
	;; [unrolled: 2-line block ×3, first 2 shown]
	ds_read2_b32 v[4:5], v187 offset0:14 offset1:15
	ds_read2_b32 v[6:7], v187 offset0:16 offset1:17
	ds_read2_b32 v[8:9], v187 offset0:18 offset1:19
	s_waitcnt lgkmcnt(3)
	v_pk_fma_f32 v[146:147], v[0:1], v[2:3], v[164:165] op_sel_hi:[0,1,1] neg_lo:[1,0,0] neg_hi:[1,0,0]
	ds_read2_b32 v[2:3], v187 offset0:20 offset1:21
	ds_read2_b32 v[10:11], v187 offset0:22 offset1:23
	;; [unrolled: 1-line block ×3, first 2 shown]
	ds_read_b32 v1, v187 offset:104
	v_mov_b32_e32 v151, v0
	v_mov_b32_e32 v95, v0
	;; [unrolled: 1-line block ×4, first 2 shown]
	s_waitcnt lgkmcnt(0)
	v_pk_fma_f32 v[38:39], v[0:1], v[4:5], v[166:167] op_sel_hi:[0,1,1] neg_lo:[1,0,0] neg_hi:[1,0,0]
	v_pk_fma_f32 v[132:133], v[0:1], v[6:7], v[168:169] op_sel_hi:[0,1,1] neg_lo:[1,0,0] neg_hi:[1,0,0]
	;; [unrolled: 1-line block ×6, first 2 shown]
	scratch_load_dwordx4 v[2:5], off, s4    ; 16-byte Folded Reload
	scratch_load_dwordx4 v[6:9], off, s4 offset:16 ; 16-byte Folded Reload
	scratch_load_dwordx4 v[10:13], off, s4 offset:32 ; 16-byte Folded Reload
	;; [unrolled: 1-line block ×7, first 2 shown]
	s_movk_i32 s4, 0x100c
	s_waitcnt vmcnt(7)
	v_mov_b32_e32 v5, v0
	v_mov_b32_e32 v43, v0
	;; [unrolled: 1-line block ×77, first 2 shown]
	scratch_store_dwordx4 off, v[148:151], s4 ; 16-byte Folded Spill
	s_nop 0
	scratch_store_dwordx4 off, v[152:155], s4 offset:16 ; 16-byte Folded Spill
	scratch_store_dwordx4 off, v[156:159], s4 offset:32 ; 16-byte Folded Spill
	;; [unrolled: 1-line block ×7, first 2 shown]
	v_mov_b32_e32 v116, v92
	v_mov_b32_e32 v117, v93
	;; [unrolled: 1-line block ×7, first 2 shown]
	s_movk_i32 s4, 0x108c
	v_mov_b32_e32 v62, v92
	v_mov_b32_e32 v63, v93
	;; [unrolled: 1-line block ×64, first 2 shown]
	s_waitcnt vmcnt(14)
	v_mov_b32_e32 v6, v152
	v_mov_b32_e32 v7, v153
	scratch_store_dwordx4 off, v[2:5], off offset:3980 ; 16-byte Folded Spill
	s_nop 0
	scratch_store_dwordx4 off, v[6:9], off offset:3996 ; 16-byte Folded Spill
	s_waitcnt vmcnt(15)
	scratch_store_dwordx4 off, v[10:13], off offset:4012 ; 16-byte Folded Spill
	s_waitcnt vmcnt(15)
	;; [unrolled: 2-line block ×6, first 2 shown]
	scratch_store_dwordx4 off, v[30:33], off offset:4092 ; 16-byte Folded Spill
	v_mov_b32_e32 v8, v68
	v_mov_b32_e32 v9, v69
	;; [unrolled: 1-line block ×28, first 2 shown]
	scratch_store_dwordx4 off, v[2:5], off offset:3596 ; 16-byte Folded Spill
	s_nop 0
	scratch_store_dwordx4 off, v[6:9], off offset:3612 ; 16-byte Folded Spill
	scratch_store_dwordx4 off, v[10:13], off offset:3628 ; 16-byte Folded Spill
	scratch_store_dwordx4 off, v[14:17], off offset:3644 ; 16-byte Folded Spill
	scratch_store_dwordx4 off, v[18:21], off offset:3660 ; 16-byte Folded Spill
	scratch_store_dwordx4 off, v[22:25], off offset:3676 ; 16-byte Folded Spill
	scratch_store_dwordx4 off, v[26:29], off offset:3692 ; 16-byte Folded Spill
	scratch_store_dwordx4 off, v[30:33], off offset:3708 ; 16-byte Folded Spill
	v_mov_b32_e32 v10, v60
	v_mov_b32_e32 v11, v61
	scratch_store_dwordx4 off, v[2:5], off offset:3084 ; 16-byte Folded Spill
	s_nop 0
	scratch_store_dwordx4 off, v[6:9], off offset:3100 ; 16-byte Folded Spill
	scratch_store_dwordx4 off, v[10:13], off offset:3116 ; 16-byte Folded Spill
	scratch_store_dwordx4 off, v[14:17], off offset:3132 ; 16-byte Folded Spill
	scratch_store_dwordx4 off, v[18:21], off offset:3148 ; 16-byte Folded Spill
	scratch_store_dwordx4 off, v[22:25], off offset:3164 ; 16-byte Folded Spill
	scratch_store_dwordx4 off, v[26:29], off offset:3180 ; 16-byte Folded Spill
	scratch_store_dwordx4 off, v[30:33], off offset:3196 ; 16-byte Folded Spill
	v_mov_b32_e32 v12, v50
	v_mov_b32_e32 v13, v51
	;; [unrolled: 11-line block ×4, first 2 shown]
	v_mov_b32_e32 v26, v94
	v_mov_b32_e32 v27, v0
	;; [unrolled: 1-line block ×10, first 2 shown]
	scratch_store_dwordx4 off, v[2:5], off offset:1668 ; 16-byte Folded Spill
	s_nop 0
	scratch_store_dwordx4 off, v[6:9], off offset:1684 ; 16-byte Folded Spill
	scratch_store_dwordx4 off, v[10:13], off offset:1700 ; 16-byte Folded Spill
	scratch_store_dwordx4 off, v[14:17], off offset:1716 ; 16-byte Folded Spill
	scratch_store_dwordx4 off, v[18:21], off offset:1732 ; 16-byte Folded Spill
	scratch_store_dwordx4 off, v[22:25], off offset:1748 ; 16-byte Folded Spill
	scratch_store_dwordx4 off, v[26:29], off offset:1764 ; 16-byte Folded Spill
	scratch_store_dwordx4 off, v[30:33], off offset:1780 ; 16-byte Folded Spill
	v_mov_b32_e32 v18, v132
	v_mov_b32_e32 v19, v133
	scratch_store_dwordx4 off, v[2:5], off offset:1284 ; 16-byte Folded Spill
	s_nop 0
	scratch_store_dwordx4 off, v[6:9], off offset:1300 ; 16-byte Folded Spill
	scratch_store_dwordx4 off, v[10:13], off offset:1316 ; 16-byte Folded Spill
	scratch_store_dwordx4 off, v[14:17], off offset:1332 ; 16-byte Folded Spill
	scratch_store_dwordx4 off, v[18:21], off offset:1348 ; 16-byte Folded Spill
	scratch_store_dwordx4 off, v[22:25], off offset:1364 ; 16-byte Folded Spill
	scratch_store_dwordx4 off, v[26:29], off offset:1380 ; 16-byte Folded Spill
	scratch_store_dwordx4 off, v[30:33], off offset:1396 ; 16-byte Folded Spill
	v_mov_b32_e32 v20, v114
	v_mov_b32_e32 v21, v115
	scratch_store_dwordx4 off, v[2:5], off offset:1028 ; 16-byte Folded Spill
	s_nop 0
	scratch_store_dwordx4 off, v[6:9], off offset:1044 ; 16-byte Folded Spill
	scratch_store_dwordx4 off, v[10:13], off offset:1060 ; 16-byte Folded Spill
	scratch_store_dwordx4 off, v[14:17], off offset:1076 ; 16-byte Folded Spill
	scratch_store_dwordx4 off, v[18:21], off offset:1092 ; 16-byte Folded Spill
	scratch_store_dwordx4 off, v[22:25], off offset:1108 ; 16-byte Folded Spill
	scratch_store_dwordx4 off, v[26:29], off offset:1124 ; 16-byte Folded Spill
	scratch_store_dwordx4 off, v[30:33], off offset:1140 ; 16-byte Folded Spill
	v_mov_b32_e32 v22, v90
	v_mov_b32_e32 v23, v91
	scratch_store_dwordx4 off, v[2:5], off offset:516 ; 16-byte Folded Spill
	s_nop 0
	scratch_store_dwordx4 off, v[6:9], off offset:532 ; 16-byte Folded Spill
	scratch_store_dwordx4 off, v[10:13], off offset:548 ; 16-byte Folded Spill
	;; [unrolled: 1-line block ×7, first 2 shown]
	scratch_load_dwordx2 v[2:3], off, off offset:2180 ; 8-byte Folded Reload
	s_waitcnt vmcnt(0)
	v_mov_b32_e32 v2, v94
	v_mov_b32_e32 v4, v152
	;; [unrolled: 1-line block ×21, first 2 shown]
	v_fma_f32 v186, -v0, v1, v3
	v_mov_b32_e32 v3, v0
	v_mov_b32_e32 v0, v92
	;; [unrolled: 1-line block ×3, first 2 shown]
	scratch_store_dwordx4 off, v[0:3], off offset:388 ; 16-byte Folded Spill
	s_nop 0
	scratch_store_dwordx4 off, v[4:7], off offset:404 ; 16-byte Folded Spill
	scratch_store_dwordx4 off, v[8:11], off offset:420 ; 16-byte Folded Spill
	;; [unrolled: 1-line block ×7, first 2 shown]
	scratch_store_dwordx4 off, v[92:95], s4 ; 16-byte Folded Spill
	s_nop 0
	scratch_store_dwordx4 off, v[96:99], s4 offset:16 ; 16-byte Folded Spill
	scratch_store_dwordx4 off, v[100:103], s4 offset:32 ; 16-byte Folded Spill
	;; [unrolled: 1-line block ×7, first 2 shown]
	v_mov_b32_e32 v0, v213
	v_mov_b32_e32 v1, v186
	;; [unrolled: 1-line block ×3, first 2 shown]
	scratch_store_dwordx2 off, v[0:1], off offset:2180 ; 8-byte Folded Spill
	v_mov_b64_e32 v[152:153], v[160:161]
	v_mov_b64_e32 v[154:155], v[162:163]
	v_mov_b64_e32 v[156:157], v[164:165]
	v_mov_b64_e32 v[158:159], v[166:167]
	v_mov_b64_e32 v[160:161], v[168:169]
	v_mov_b64_e32 v[162:163], v[170:171]
	v_mov_b64_e32 v[164:165], v[172:173]
	v_mov_b64_e32 v[166:167], v[174:175]
	v_mov_b32_e32 v168, v176
	v_mov_b32_e32 v169, v177
	;; [unrolled: 1-line block ×11, first 2 shown]
	scratch_store_dwordx4 off, v[88:91], off offset:2444 ; 16-byte Folded Spill
	s_nop 0
	scratch_store_dwordx4 off, v[92:95], off offset:2460 ; 16-byte Folded Spill
	scratch_store_dwordx4 off, v[96:99], off offset:2476 ; 16-byte Folded Spill
	;; [unrolled: 1-line block ×7, first 2 shown]
	v_mov_b32_e32 v92, v68
	scratch_store_dwordx4 off, v[86:89], off offset:1156 ; 16-byte Folded Spill
	s_nop 0
	scratch_store_dwordx4 off, v[90:93], off offset:1172 ; 16-byte Folded Spill
	scratch_store_dwordx4 off, v[94:97], off offset:1188 ; 16-byte Folded Spill
	scratch_store_dwordx4 off, v[98:101], off offset:1204 ; 16-byte Folded Spill
	scratch_store_dwordx4 off, v[102:105], off offset:1220 ; 16-byte Folded Spill
	scratch_store_dwordx4 off, v[106:109], off offset:1236 ; 16-byte Folded Spill
	scratch_store_dwordx4 off, v[110:113], off offset:1252 ; 16-byte Folded Spill
	scratch_store_dwordx4 off, v[114:117], off offset:1268 ; 16-byte Folded Spill
	scratch_store_dwordx4 off, v[62:65], off offset:3468 ; 16-byte Folded Spill
	s_nop 0
	scratch_store_dwordx4 off, v[66:69], off offset:3484 ; 16-byte Folded Spill
	scratch_store_dwordx4 off, v[70:73], off offset:3500 ; 16-byte Folded Spill
	scratch_store_dwordx4 off, v[74:77], off offset:3516 ; 16-byte Folded Spill
	scratch_store_dwordx4 off, v[78:81], off offset:3532 ; 16-byte Folded Spill
	scratch_store_dwordx4 off, v[82:85], off offset:3548 ; 16-byte Folded Spill
	scratch_store_dwordx4 off, v[86:89], off offset:3564 ; 16-byte Folded Spill
	scratch_store_dwordx4 off, v[90:93], off offset:3580 ; 16-byte Folded Spill
	;; [unrolled: 9-line block ×3, first 2 shown]
	v_mov_b32_e32 v62, v60
	scratch_store_dwordx4 off, v[54:57], off offset:644 ; 16-byte Folded Spill
	s_nop 0
	scratch_store_dwordx4 off, v[58:61], off offset:660 ; 16-byte Folded Spill
	scratch_store_dwordx4 off, v[62:65], off offset:676 ; 16-byte Folded Spill
	;; [unrolled: 1-line block ×8, first 2 shown]
	s_nop 0
	scratch_store_dwordx4 off, v[56:59], off offset:2972 ; 16-byte Folded Spill
	scratch_store_dwordx4 off, v[60:63], off offset:2988 ; 16-byte Folded Spill
	;; [unrolled: 1-line block ×7, first 2 shown]
	v_mov_b32_e32 v215, v91
	v_mov_b32_e32 v151, v61
	scratch_store_dwordx4 off, v[40:43], off offset:2188 ; 16-byte Folded Spill
	s_nop 0
	scratch_store_dwordx4 off, v[44:47], off offset:2204 ; 16-byte Folded Spill
	scratch_store_dwordx4 off, v[48:51], off offset:2220 ; 16-byte Folded Spill
	;; [unrolled: 1-line block ×7, first 2 shown]
	v_mov_b32_e32 v58, v204
	v_mov_b32_e32 v66, v212
	;; [unrolled: 1-line block ×11, first 2 shown]
	v_mov_b64_e32 v[42:43], v[188:189]
	v_mov_b64_e32 v[44:45], v[190:191]
	v_mov_b64_e32 v[46:47], v[192:193]
	v_mov_b64_e32 v[48:49], v[194:195]
	v_mov_b64_e32 v[50:51], v[196:197]
	v_mov_b64_e32 v[52:53], v[198:199]
	v_mov_b64_e32 v[54:55], v[200:201]
	scratch_store_dwordx4 off, v[134:137], off offset:1796 ; 16-byte Folded Spill
	s_nop 0
	scratch_store_dwordx4 off, v[138:141], off offset:1812 ; 16-byte Folded Spill
	scratch_store_dwordx4 off, v[142:145], off offset:1828 ; 16-byte Folded Spill
	;; [unrolled: 1-line block ×7, first 2 shown]
	v_mov_b32_e32 v146, v38
	scratch_store_dwordx4 off, v[24:27], off offset:1540 ; 16-byte Folded Spill
	s_nop 0
	scratch_store_dwordx4 off, v[28:31], off offset:1556 ; 16-byte Folded Spill
	scratch_store_dwordx4 off, v[32:35], off offset:1572 ; 16-byte Folded Spill
	;; [unrolled: 1-line block ×7, first 2 shown]
	v_mov_b32_e32 v144, v132
	v_mov_b32_e32 v24, v90
	v_mov_b64_e32 v[56:57], v[202:203]
	v_mov_b32_e32 v141, v39
	scratch_store_dwordx4 off, v[116:119], off offset:1412 ; 16-byte Folded Spill
	s_nop 0
	scratch_store_dwordx4 off, v[120:123], off offset:1428 ; 16-byte Folded Spill
	scratch_store_dwordx4 off, v[124:127], off offset:1444 ; 16-byte Folded Spill
	;; [unrolled: 1-line block ×7, first 2 shown]
	v_mov_b32_e32 v117, v133
	v_mov_b32_e32 v142, v114
	scratch_store_dwordx4 off, v[96:99], off offset:772 ; 16-byte Folded Spill
	s_nop 0
	scratch_store_dwordx4 off, v[100:103], off offset:788 ; 16-byte Folded Spill
	scratch_store_dwordx4 off, v[104:107], off offset:804 ; 16-byte Folded Spill
	;; [unrolled: 1-line block ×8, first 2 shown]
	s_nop 0
	scratch_store_dwordx4 off, v[8:11], off offset:20 ; 16-byte Folded Spill
	scratch_store_dwordx4 off, v[12:15], off offset:36 ; 16-byte Folded Spill
	;; [unrolled: 1-line block ×7, first 2 shown]
	v_mov_b32_e32 v24, v244
	v_mov_b64_e32 v[134:135], v[84:85]
	v_mov_b32_e32 v140, v90
	v_mov_b64_e32 v[132:133], v[82:83]
	v_mov_b64_e32 v[130:131], v[80:81]
	;; [unrolled: 1-line block ×7, first 2 shown]
	v_mov_b32_e32 v139, v89
	v_mov_b32_e32 v138, v88
	;; [unrolled: 1-line block ×4, first 2 shown]
	scratch_store_dwordx4 off, v[2:5], off offset:132 ; 16-byte Folded Spill
	s_nop 0
	scratch_store_dwordx4 off, v[6:9], off offset:148 ; 16-byte Folded Spill
	scratch_store_dwordx4 off, v[10:13], off offset:164 ; 16-byte Folded Spill
	;; [unrolled: 1-line block ×8, first 2 shown]
	s_nop 0
	scratch_store_dwordx4 off, v[226:229], off offset:276 ; 16-byte Folded Spill
	scratch_store_dwordx4 off, v[230:233], off offset:292 ; 16-byte Folded Spill
	;; [unrolled: 1-line block ×7, first 2 shown]
	v_mov_b32_e32 v67, v115
	v_mov_b32_e32 v105, v245
.LBB53_23:
	s_or_b64 exec, exec, s[2:3]
	s_waitcnt vmcnt(63) expcnt(7) lgkmcnt(15)
	s_barrier
	v_cmp_eq_u32_e32 vcc, 4, v249
	s_mov_b64 s[2:3], exec
	scratch_load_dwordx2 v[240:241], off, off offset:2180 ; 8-byte Folded Reload
	s_and_b64 s[4:5], s[2:3], vcc
	s_mov_b64 exec, s[4:5]
	s_cbranch_execz .LBB53_26
; %bb.24:
	scratch_load_dwordx4 v[68:71], off, off offset:2444 ; 16-byte Folded Reload
	scratch_load_dwordx4 v[72:75], off, off offset:2460 ; 16-byte Folded Reload
	;; [unrolled: 1-line block ×8, first 2 shown]
	s_waitcnt vmcnt(6)
	ds_write_b32 v246, v72
	ds_write2_b32 v187, v157, v158 offset0:5 offset1:6
	ds_write2_b32 v187, v159, v160 offset0:7 offset1:8
	;; [unrolled: 1-line block ×11, first 2 shown]
	ds_read_b32 v24, v246
	s_waitcnt lgkmcnt(0)
	v_cmp_neq_f32_e32 vcc, 0, v24
	s_and_b64 exec, exec, vcc
	s_cbranch_execz .LBB53_26
; %bb.25:
	v_div_scale_f32 v25, s[4:5], v24, v24, 1.0
	v_rcp_f32_e32 v26, v25
	v_div_scale_f32 v27, vcc, 1.0, v24, 1.0
	v_fma_f32 v28, -v25, v26, 1.0
	v_fmac_f32_e32 v26, v28, v26
	v_mul_f32_e32 v28, v27, v26
	v_fma_f32 v29, -v25, v28, v27
	v_fmac_f32_e32 v28, v29, v26
	v_fma_f32 v25, -v25, v28, v27
	v_div_fmas_f32 v25, v25, v26, v28
	v_div_fixup_f32 v24, v25, v24, 1.0
	ds_write_b32 v246, v24
.LBB53_26:
	s_or_b64 exec, exec, s[2:3]
	s_waitcnt lgkmcnt(0)
	s_barrier
	ds_read_b32 v244, v246
	v_cmp_lt_u32_e32 vcc, 4, v249
	s_and_saveexec_b64 s[2:3], vcc
	s_cbranch_execz .LBB53_28
; %bb.27:
	s_movk_i32 s4, 0x108c
	scratch_load_dwordx4 v[70:73], off, s4  ; 16-byte Folded Reload
	scratch_load_dwordx4 v[74:77], off, s4 offset:16 ; 16-byte Folded Reload
	scratch_load_dwordx4 v[78:81], off, s4 offset:32 ; 16-byte Folded Reload
	;; [unrolled: 1-line block ×7, first 2 shown]
	scratch_load_dwordx4 v[0:3], off, off offset:2444 ; 16-byte Folded Reload
	scratch_load_dwordx4 v[4:7], off, off offset:2460 ; 16-byte Folded Reload
	;; [unrolled: 1-line block ×8, first 2 shown]
	s_waitcnt vmcnt(7)
	ds_read2_b32 v[0:1], v187 offset0:5 offset1:6
	v_mov_b32_e32 v2, v157
	v_mov_b32_e32 v3, v158
	s_movk_i32 s4, 0x100c
	v_mov_b32_e32 v210, v70
	v_mov_b32_e32 v211, v71
	;; [unrolled: 1-line block ×9, first 2 shown]
	s_waitcnt vmcnt(6) lgkmcnt(1)
	v_mul_f32_e32 v74, v4, v244
	ds_read2_b32 v[4:5], v187 offset0:7 offset1:8
	ds_read2_b32 v[6:7], v187 offset0:9 offset1:10
	s_waitcnt vmcnt(5)
	ds_read2_b32 v[8:9], v187 offset0:11 offset1:12
	s_waitcnt vmcnt(1) lgkmcnt(3)
	v_pk_fma_f32 v[24:25], v[74:75], v[0:1], v[2:3] op_sel_hi:[0,1,1] neg_lo:[1,0,0] neg_hi:[1,0,0]
	v_mov_b32_e32 v0, v159
	v_mov_b32_e32 v1, v160
	s_waitcnt lgkmcnt(2)
	v_pk_fma_f32 v[26:27], v[74:75], v[4:5], v[0:1] op_sel_hi:[0,1,1] neg_lo:[1,0,0] neg_hi:[1,0,0]
	v_mov_b32_e32 v0, v161
	v_mov_b32_e32 v1, v162
	s_waitcnt vmcnt(0) lgkmcnt(1)
	v_pk_fma_f32 v[28:29], v[74:75], v[6:7], v[0:1] op_sel_hi:[0,1,1] neg_lo:[1,0,0] neg_hi:[1,0,0]
	v_mov_b32_e32 v0, v163
	v_mov_b32_e32 v1, v164
	s_waitcnt lgkmcnt(0)
	v_pk_fma_f32 v[30:31], v[74:75], v[8:9], v[0:1] op_sel_hi:[0,1,1] neg_lo:[1,0,0] neg_hi:[1,0,0]
	ds_read2_b32 v[0:1], v187 offset0:13 offset1:14
	ds_read2_b32 v[4:5], v187 offset0:15 offset1:16
	ds_read2_b32 v[6:7], v187 offset0:17 offset1:18
	ds_read2_b32 v[8:9], v187 offset0:19 offset1:20
	v_mov_b32_e32 v2, v165
	v_mov_b32_e32 v3, v166
	;; [unrolled: 1-line block ×3, first 2 shown]
	s_waitcnt lgkmcnt(3)
	v_pk_fma_f32 v[32:33], v[74:75], v[0:1], v[2:3] op_sel_hi:[0,1,1] neg_lo:[1,0,0] neg_hi:[1,0,0]
	v_mov_b32_e32 v0, v167
	v_mov_b32_e32 v1, v168
	s_waitcnt lgkmcnt(2)
	v_pk_fma_f32 v[34:35], v[74:75], v[4:5], v[0:1] op_sel_hi:[0,1,1] neg_lo:[1,0,0] neg_hi:[1,0,0]
	v_mov_b32_e32 v0, v169
	v_mov_b32_e32 v1, v170
	;; [unrolled: 4-line block ×3, first 2 shown]
	s_waitcnt lgkmcnt(0)
	v_pk_fma_f32 v[38:39], v[74:75], v[8:9], v[0:1] op_sel_hi:[0,1,1] neg_lo:[1,0,0] neg_hi:[1,0,0]
	ds_read2_b32 v[0:1], v187 offset0:21 offset1:22
	ds_read2_b32 v[4:5], v187 offset0:23 offset1:24
	;; [unrolled: 1-line block ×3, first 2 shown]
	v_mov_b32_e32 v2, v173
	v_mov_b32_e32 v3, v174
	;; [unrolled: 1-line block ×3, first 2 shown]
	s_waitcnt lgkmcnt(2)
	v_pk_fma_f32 v[40:41], v[74:75], v[0:1], v[2:3] op_sel_hi:[0,1,1] neg_lo:[1,0,0] neg_hi:[1,0,0]
	v_mov_b32_e32 v0, v175
	v_mov_b32_e32 v1, v176
	s_waitcnt lgkmcnt(1)
	v_pk_fma_f32 v[68:69], v[74:75], v[4:5], v[0:1] op_sel_hi:[0,1,1] neg_lo:[1,0,0] neg_hi:[1,0,0]
	v_mov_b32_e32 v0, v177
	v_mov_b32_e32 v1, v178
	;; [unrolled: 4-line block ×3, first 2 shown]
	v_mov_b32_e32 v2, v72
	v_mov_b32_e32 v3, v73
	;; [unrolled: 1-line block ×6, first 2 shown]
	scratch_store_dwordx4 off, v[0:3], off offset:3468 ; 16-byte Folded Spill
	s_nop 0
	scratch_store_dwordx4 off, v[4:7], off offset:3484 ; 16-byte Folded Spill
	scratch_store_dwordx4 off, v[8:11], off offset:3500 ; 16-byte Folded Spill
	;; [unrolled: 1-line block ×7, first 2 shown]
	v_mov_b32_e32 v224, v33
	v_mov_b32_e32 v225, v34
	;; [unrolled: 1-line block ×56, first 2 shown]
	scratch_store_dwordx4 off, v[0:3], off offset:3596 ; 16-byte Folded Spill
	s_nop 0
	scratch_store_dwordx4 off, v[4:7], off offset:3612 ; 16-byte Folded Spill
	scratch_store_dwordx4 off, v[8:11], off offset:3628 ; 16-byte Folded Spill
	scratch_store_dwordx4 off, v[12:15], off offset:3644 ; 16-byte Folded Spill
	scratch_store_dwordx4 off, v[16:19], off offset:3660 ; 16-byte Folded Spill
	scratch_store_dwordx4 off, v[20:23], off offset:3676 ; 16-byte Folded Spill
	scratch_store_dwordx4 off, v[24:27], off offset:3692 ; 16-byte Folded Spill
	scratch_store_dwordx4 off, v[28:31], off offset:3708 ; 16-byte Folded Spill
	v_mov_b32_e32 v8, v27
	scratch_store_dwordx4 off, v[0:3], off offset:2956 ; 16-byte Folded Spill
	s_nop 0
	scratch_store_dwordx4 off, v[4:7], off offset:2972 ; 16-byte Folded Spill
	scratch_store_dwordx4 off, v[8:11], off offset:2988 ; 16-byte Folded Spill
	scratch_store_dwordx4 off, v[12:15], off offset:3004 ; 16-byte Folded Spill
	scratch_store_dwordx4 off, v[16:19], off offset:3020 ; 16-byte Folded Spill
	scratch_store_dwordx4 off, v[20:23], off offset:3036 ; 16-byte Folded Spill
	scratch_store_dwordx4 off, v[24:27], off offset:3052 ; 16-byte Folded Spill
	scratch_store_dwordx4 off, v[28:31], off offset:3068 ; 16-byte Folded Spill
	v_mov_b32_e32 v9, v28
	;; [unrolled: 10-line block ×13, first 2 shown]
	v_mov_b32_e32 v21, v40
	v_mov_b32_e32 v125, v24
	;; [unrolled: 1-line block ×9, first 2 shown]
	scratch_store_dwordx4 off, v[0:3], off offset:516 ; 16-byte Folded Spill
	s_nop 0
	scratch_store_dwordx4 off, v[4:7], off offset:532 ; 16-byte Folded Spill
	scratch_store_dwordx4 off, v[8:11], off offset:548 ; 16-byte Folded Spill
	;; [unrolled: 1-line block ×7, first 2 shown]
	v_mov_b32_e32 v22, v41
	v_mov_b32_e32 v23, v68
	;; [unrolled: 1-line block ×10, first 2 shown]
	scratch_store_dwordx4 off, v[210:213], off offset:260 ; 16-byte Folded Spill
	s_nop 0
	scratch_store_dwordx4 off, v[214:217], off offset:276 ; 16-byte Folded Spill
	scratch_store_dwordx4 off, v[218:221], off offset:292 ; 16-byte Folded Spill
	scratch_store_dwordx4 off, v[222:225], off offset:308 ; 16-byte Folded Spill
	scratch_store_dwordx4 off, v[226:229], off offset:324 ; 16-byte Folded Spill
	scratch_store_dwordx4 off, v[230:233], off offset:340 ; 16-byte Folded Spill
	scratch_store_dwordx4 off, v[234:237], off offset:356 ; 16-byte Folded Spill
	scratch_store_dwordx4 off, v[238:241], off offset:372 ; 16-byte Folded Spill
	scratch_store_dwordx4 off, v[0:3], off offset:388 ; 16-byte Folded Spill
	s_nop 0
	scratch_store_dwordx4 off, v[4:7], off offset:404 ; 16-byte Folded Spill
	scratch_store_dwordx4 off, v[8:11], off offset:420 ; 16-byte Folded Spill
	scratch_store_dwordx4 off, v[12:15], off offset:436 ; 16-byte Folded Spill
	scratch_store_dwordx4 off, v[16:19], off offset:452 ; 16-byte Folded Spill
	scratch_store_dwordx4 off, v[20:23], off offset:468 ; 16-byte Folded Spill
	scratch_store_dwordx4 off, v[24:27], off offset:484 ; 16-byte Folded Spill
	scratch_store_dwordx4 off, v[28:31], off offset:500 ; 16-byte Folded Spill
	;; [unrolled: 9-line block ×3, first 2 shown]
	scratch_store_dwordx4 off, v[70:73], s4 ; 16-byte Folded Spill
	s_nop 0
	scratch_store_dwordx4 off, v[74:77], s4 offset:16 ; 16-byte Folded Spill
	scratch_store_dwordx4 off, v[78:81], s4 offset:32 ; 16-byte Folded Spill
	;; [unrolled: 1-line block ×7, first 2 shown]
	v_mov_b32_e32 v47, v24
	v_mov_b32_e32 v48, v25
	;; [unrolled: 1-line block ×18, first 2 shown]
	scratch_store_dwordx4 off, v[18:21], off offset:1156 ; 16-byte Folded Spill
	s_nop 0
	scratch_store_dwordx4 off, v[22:25], off offset:1172 ; 16-byte Folded Spill
	scratch_store_dwordx4 off, v[26:29], off offset:1188 ; 16-byte Folded Spill
	;; [unrolled: 1-line block ×7, first 2 shown]
	v_mov_b64_e32 v[240:241], v[76:77]
	v_mov_b32_e32 v25, v26
	scratch_store_dwordx4 off, v[18:21], off offset:900 ; 16-byte Folded Spill
	s_nop 0
	scratch_store_dwordx4 off, v[22:25], off offset:916 ; 16-byte Folded Spill
	scratch_store_dwordx4 off, v[26:29], off offset:932 ; 16-byte Folded Spill
	;; [unrolled: 1-line block ×7, first 2 shown]
	v_mov_b32_e32 v24, v27
	scratch_store_dwordx4 off, v[16:19], off offset:644 ; 16-byte Folded Spill
	s_nop 0
	scratch_store_dwordx4 off, v[20:23], off offset:660 ; 16-byte Folded Spill
	scratch_store_dwordx4 off, v[24:27], off offset:676 ; 16-byte Folded Spill
	;; [unrolled: 1-line block ×7, first 2 shown]
	v_mov_b32_e32 v24, v39
	v_mov_b32_e32 v151, v28
	;; [unrolled: 1-line block ×9, first 2 shown]
	scratch_store_dwordx4 off, v[4:7], off offset:4 ; 16-byte Folded Spill
	s_nop 0
	scratch_store_dwordx4 off, v[8:11], off offset:20 ; 16-byte Folded Spill
	scratch_store_dwordx4 off, v[12:15], off offset:36 ; 16-byte Folded Spill
	;; [unrolled: 1-line block ×7, first 2 shown]
	v_mov_b32_e32 v117, v36
	v_mov_b32_e32 v142, v37
	;; [unrolled: 1-line block ×5, first 2 shown]
	scratch_store_dwordx4 off, v[2:5], off offset:132 ; 16-byte Folded Spill
	s_nop 0
	scratch_store_dwordx4 off, v[6:9], off offset:148 ; 16-byte Folded Spill
	scratch_store_dwordx4 off, v[10:13], off offset:164 ; 16-byte Folded Spill
	;; [unrolled: 1-line block ×7, first 2 shown]
.LBB53_28:
	s_or_b64 exec, exec, s[2:3]
	v_cmp_eq_u32_e32 vcc, 5, v249
	s_waitcnt lgkmcnt(0)
	s_barrier
	s_and_saveexec_b64 s[2:3], vcc
	s_cbranch_execz .LBB53_31
; %bb.29:
	ds_write_b32 v246, v217
	ds_write2_b32 v187, v158, v159 offset0:6 offset1:7
	ds_write2_b32 v187, v160, v161 offset0:8 offset1:9
	;; [unrolled: 1-line block ×10, first 2 shown]
	s_waitcnt vmcnt(0)
	ds_write_b32 v187, v241 offset:104
	ds_read_b32 v24, v246
	s_waitcnt lgkmcnt(0)
	v_cmp_neq_f32_e32 vcc, 0, v24
	s_and_b64 exec, exec, vcc
	s_cbranch_execz .LBB53_31
; %bb.30:
	v_div_scale_f32 v25, s[4:5], v24, v24, 1.0
	v_rcp_f32_e32 v26, v25
	v_div_scale_f32 v27, vcc, 1.0, v24, 1.0
	v_fma_f32 v28, -v25, v26, 1.0
	v_fmac_f32_e32 v26, v28, v26
	v_mul_f32_e32 v28, v27, v26
	v_fma_f32 v29, -v25, v28, v27
	v_fmac_f32_e32 v28, v29, v26
	v_fma_f32 v25, -v25, v28, v27
	v_div_fmas_f32 v25, v25, v26, v28
	v_div_fixup_f32 v24, v25, v24, 1.0
	ds_write_b32 v246, v24
.LBB53_31:
	s_or_b64 exec, exec, s[2:3]
	s_waitcnt lgkmcnt(0)
	s_barrier
	ds_read_b32 v245, v246
	v_cmp_lt_u32_e32 vcc, 5, v249
	s_and_saveexec_b64 s[2:3], vcc
	s_cbranch_execz .LBB53_33
; %bb.32:
	ds_read2_b32 v[2:3], v187 offset0:6 offset1:7
	ds_read2_b32 v[4:5], v187 offset0:8 offset1:9
	;; [unrolled: 1-line block ×3, first 2 shown]
	s_waitcnt lgkmcnt(3)
	v_mul_f32_e32 v0, v217, v245
	ds_read2_b32 v[8:9], v187 offset0:12 offset1:13
	s_waitcnt lgkmcnt(3)
	v_pk_fma_f32 v[18:19], v[0:1], v[2:3], v[158:159] op_sel_hi:[0,1,1] neg_lo:[1,0,0] neg_hi:[1,0,0]
	ds_read2_b32 v[2:3], v187 offset0:14 offset1:15
	s_waitcnt lgkmcnt(3)
	v_pk_fma_f32 v[12:13], v[0:1], v[4:5], v[160:161] op_sel_hi:[0,1,1] neg_lo:[1,0,0] neg_hi:[1,0,0]
	s_waitcnt lgkmcnt(2)
	v_pk_fma_f32 v[46:47], v[0:1], v[6:7], v[162:163] op_sel_hi:[0,1,1] neg_lo:[1,0,0] neg_hi:[1,0,0]
	;; [unrolled: 2-line block ×3, first 2 shown]
	ds_read2_b32 v[4:5], v187 offset0:16 offset1:17
	ds_read2_b32 v[6:7], v187 offset0:18 offset1:19
	;; [unrolled: 1-line block ×3, first 2 shown]
	s_waitcnt lgkmcnt(3)
	v_pk_fma_f32 v[16:17], v[0:1], v[2:3], v[166:167] op_sel_hi:[0,1,1] neg_lo:[1,0,0] neg_hi:[1,0,0]
	ds_read2_b32 v[2:3], v187 offset0:22 offset1:23
	ds_read2_b32 v[10:11], v187 offset0:24 offset1:25
	ds_read_b32 v1, v187 offset:104
	s_movk_i32 s4, 0x100c
	v_mov_b32_e32 v41, v0
	v_mov_b32_e32 v121, v0
	;; [unrolled: 1-line block ×3, first 2 shown]
	s_waitcnt lgkmcnt(0)
	v_pk_fma_f32 v[238:239], v[0:1], v[4:5], v[168:169] op_sel_hi:[0,1,1] neg_lo:[1,0,0] neg_hi:[1,0,0]
	v_pk_fma_f32 v[54:55], v[0:1], v[6:7], v[170:171] op_sel_hi:[0,1,1] neg_lo:[1,0,0] neg_hi:[1,0,0]
	;; [unrolled: 1-line block ×3, first 2 shown]
	scratch_load_dwordx4 v[142:145], off, s4 ; 16-byte Folded Reload
	scratch_load_dwordx4 v[146:149], off, s4 offset:16 ; 16-byte Folded Reload
	scratch_load_dwordx4 v[150:153], off, s4 offset:32 ; 16-byte Folded Reload
	;; [unrolled: 1-line block ×7, first 2 shown]
	v_pk_fma_f32 v[24:25], v[0:1], v[2:3], v[174:175] op_sel_hi:[0,1,1] neg_lo:[1,0,0] neg_hi:[1,0,0]
	v_mov_b64_e32 v[8:9], v[18:19]
	v_mov_b32_e32 v7, v0
	s_waitcnt vmcnt(1)
	v_pk_fma_f32 v[166:167], v[0:1], v[10:11], v[176:177] op_sel_hi:[0,1,1] neg_lo:[1,0,0] neg_hi:[1,0,0]
	v_mov_b32_e32 v52, v238
	v_mov_b32_e32 v53, v239
	;; [unrolled: 1-line block ×6, first 2 shown]
	v_fma_f32 v214, -v0, v1, v241
	v_mov_b32_e32 v193, v0
	v_mov_b32_e32 v132, v238
	;; [unrolled: 1-line block ×13, first 2 shown]
	scratch_store_dwordx4 off, v[2:5], off offset:3596 ; 16-byte Folded Spill
	s_nop 0
	scratch_store_dwordx4 off, v[6:9], off offset:3612 ; 16-byte Folded Spill
	scratch_store_dwordx4 off, v[10:13], off offset:3628 ; 16-byte Folded Spill
	;; [unrolled: 1-line block ×7, first 2 shown]
	v_mov_b32_e32 v36, v216
	v_mov_b32_e32 v37, v217
	;; [unrolled: 1-line block ×16, first 2 shown]
	v_mov_b64_e32 v[10:11], v[12:13]
	v_mov_b64_e32 v[34:35], v[10:11]
	;; [unrolled: 1-line block ×6, first 2 shown]
	scratch_store_dwordx4 off, v[2:5], off offset:3084 ; 16-byte Folded Spill
	s_nop 0
	scratch_store_dwordx4 off, v[6:9], off offset:3100 ; 16-byte Folded Spill
	scratch_store_dwordx4 off, v[10:13], off offset:3116 ; 16-byte Folded Spill
	;; [unrolled: 1-line block ×7, first 2 shown]
	v_mov_b64_e32 v[12:13], v[46:47]
	v_mov_b32_e32 v44, v34
	v_mov_b32_e32 v45, v35
	v_mov_b32_e32 v230, v34
	v_mov_b32_e32 v231, v35
	v_mov_b32_e32 v124, v34
	v_mov_b32_e32 v125, v35
	v_mov_b64_e32 v[162:163], v[12:13]
	v_mov_b64_e32 v[160:161], v[10:11]
	v_mov_b64_e32 v[158:159], v[8:9]
	v_mov_b64_e32 v[156:157], v[6:7]
	v_mov_b64_e32 v[154:155], v[4:5]
	v_mov_b64_e32 v[152:153], v[2:3]
	scratch_store_dwordx4 off, v[2:5], off offset:2316 ; 16-byte Folded Spill
	s_nop 0
	scratch_store_dwordx4 off, v[6:9], off offset:2332 ; 16-byte Folded Spill
	scratch_store_dwordx4 off, v[10:13], off offset:2348 ; 16-byte Folded Spill
	;; [unrolled: 1-line block ×7, first 2 shown]
	v_mov_b32_e32 v46, v162
	v_mov_b32_e32 v47, v163
	v_mov_b32_e32 v126, v162
	v_mov_b32_e32 v127, v163
	v_mov_b32_e32 v232, v162
	v_mov_b32_e32 v233, v163
	s_waitcnt vmcnt(24)
	v_mov_b64_e32 v[178:179], v[12:13]
	v_mov_b64_e32 v[176:177], v[10:11]
	;; [unrolled: 1-line block ×7, first 2 shown]
	scratch_store_dwordx4 off, v[2:5], off offset:1924 ; 16-byte Folded Spill
	s_nop 0
	scratch_store_dwordx4 off, v[6:9], off offset:1940 ; 16-byte Folded Spill
	scratch_store_dwordx4 off, v[10:13], off offset:1956 ; 16-byte Folded Spill
	;; [unrolled: 1-line block ×7, first 2 shown]
	v_mov_b32_e32 v48, v180
	v_mov_b32_e32 v49, v181
	;; [unrolled: 1-line block ×6, first 2 shown]
	v_mov_b64_e32 v[62:63], v[8:9]
	v_mov_b64_e32 v[208:209], v[16:17]
	;; [unrolled: 1-line block ×12, first 2 shown]
	scratch_store_dwordx4 off, v[2:5], off offset:1668 ; 16-byte Folded Spill
	s_nop 0
	scratch_store_dwordx4 off, v[6:9], off offset:1684 ; 16-byte Folded Spill
	scratch_store_dwordx4 off, v[10:13], off offset:1700 ; 16-byte Folded Spill
	;; [unrolled: 1-line block ×7, first 2 shown]
	v_mov_b32_e32 v18, v238
	v_mov_b32_e32 v19, v239
	v_mov_b32_e32 v228, v62
	v_mov_b32_e32 v229, v63
	v_mov_b32_e32 v42, v62
	v_mov_b32_e32 v43, v63
	v_mov_b32_e32 v122, v62
	v_mov_b32_e32 v123, v63
	v_mov_b32_e32 v50, v208
	v_mov_b32_e32 v51, v209
	v_mov_b32_e32 v130, v208
	v_mov_b32_e32 v131, v209
	v_mov_b32_e32 v236, v208
	v_mov_b32_e32 v237, v209
	scratch_store_dwordx4 off, v[2:5], off offset:1284 ; 16-byte Folded Spill
	s_nop 0
	scratch_store_dwordx4 off, v[6:9], off offset:1300 ; 16-byte Folded Spill
	scratch_store_dwordx4 off, v[10:13], off offset:1316 ; 16-byte Folded Spill
	;; [unrolled: 1-line block ×7, first 2 shown]
	v_mov_b32_e32 v20, v54
	v_mov_b32_e32 v21, v55
	scratch_store_dwordx4 off, v[2:5], off offset:1028 ; 16-byte Folded Spill
	s_nop 0
	scratch_store_dwordx4 off, v[6:9], off offset:1044 ; 16-byte Folded Spill
	scratch_store_dwordx4 off, v[10:13], off offset:1060 ; 16-byte Folded Spill
	;; [unrolled: 1-line block ×7, first 2 shown]
	v_mov_b32_e32 v22, v136
	v_mov_b32_e32 v23, v137
	scratch_store_dwordx4 off, v[2:5], off offset:516 ; 16-byte Folded Spill
	s_nop 0
	scratch_store_dwordx4 off, v[6:9], off offset:532 ; 16-byte Folded Spill
	scratch_store_dwordx4 off, v[10:13], off offset:548 ; 16-byte Folded Spill
	scratch_store_dwordx4 off, v[14:17], off offset:564 ; 16-byte Folded Spill
	scratch_store_dwordx4 off, v[18:21], off offset:580 ; 16-byte Folded Spill
	scratch_store_dwordx4 off, v[22:25], off offset:596 ; 16-byte Folded Spill
	scratch_store_dwordx4 off, v[26:29], off offset:612 ; 16-byte Folded Spill
	scratch_store_dwordx4 off, v[30:33], off offset:628 ; 16-byte Folded Spill
	scratch_store_dwordx4 off, v[2:5], off offset:260 ; 16-byte Folded Spill
	s_nop 0
	scratch_store_dwordx4 off, v[6:9], off offset:276 ; 16-byte Folded Spill
	scratch_store_dwordx4 off, v[10:13], off offset:292 ; 16-byte Folded Spill
	scratch_store_dwordx4 off, v[14:17], off offset:308 ; 16-byte Folded Spill
	scratch_store_dwordx4 off, v[18:21], off offset:324 ; 16-byte Folded Spill
	scratch_store_dwordx4 off, v[22:25], off offset:340 ; 16-byte Folded Spill
	scratch_store_dwordx4 off, v[26:29], off offset:356 ; 16-byte Folded Spill
	scratch_store_dwordx4 off, v[30:33], off offset:372 ; 16-byte Folded Spill
	;; [unrolled: 9-line block ×3, first 2 shown]
	v_mov_b32_e32 v18, v54
	v_mov_b32_e32 v19, v55
	;; [unrolled: 1-line block ×19, first 2 shown]
	v_mov_b64_e32 v[114:115], v[34:35]
	v_mov_b32_e32 v6, v62
	v_mov_b32_e32 v7, v63
	scratch_store_dwordx4 off, v[36:39], off offset:772 ; 16-byte Folded Spill
	s_nop 0
	scratch_store_dwordx4 off, v[40:43], off offset:788 ; 16-byte Folded Spill
	scratch_store_dwordx4 off, v[44:47], off offset:804 ; 16-byte Folded Spill
	scratch_store_dwordx4 off, v[48:51], off offset:820 ; 16-byte Folded Spill
	scratch_store_dwordx4 off, v[52:55], off offset:836 ; 16-byte Folded Spill
	scratch_store_dwordx4 off, v[56:59], off offset:852 ; 16-byte Folded Spill
	scratch_store_dwordx4 off, v[60:63], off offset:868 ; 16-byte Folded Spill
	scratch_store_dwordx4 off, v[64:67], off offset:884 ; 16-byte Folded Spill
	scratch_load_dwordx4 v[46:49], off, off offset:260 ; 16-byte Folded Reload
	s_nop 0
	scratch_load_dwordx4 v[50:53], off, off offset:276 ; 16-byte Folded Reload
	scratch_load_dwordx4 v[54:57], off, off offset:292 ; 16-byte Folded Reload
	;; [unrolled: 1-line block ×7, first 2 shown]
	v_mov_b64_e32 v[112:113], v[32:33]
	v_mov_b64_e32 v[110:111], v[30:31]
	;; [unrolled: 1-line block ×12, first 2 shown]
	s_waitcnt vmcnt(2)
	v_mov_b64_e32 v[84:85], v[68:69]
	v_mov_b32_e32 v22, v84
	v_mov_b32_e32 v23, v85
	v_mov_b64_e32 v[82:83], v[66:67]
	v_mov_b64_e32 v[80:81], v[64:65]
	;; [unrolled: 1-line block ×3, first 2 shown]
	scratch_store_dwordx4 off, v[0:3], off offset:388 ; 16-byte Folded Spill
	s_nop 0
	scratch_store_dwordx4 off, v[4:7], off offset:404 ; 16-byte Folded Spill
	scratch_store_dwordx4 off, v[8:11], off offset:420 ; 16-byte Folded Spill
	;; [unrolled: 1-line block ×7, first 2 shown]
	scratch_load_dwordx4 v[70:73], off, off offset:3468 ; 16-byte Folded Reload
	scratch_load_dwordx4 v[74:77], off, off offset:3484 ; 16-byte Folded Reload
	;; [unrolled: 1-line block ×8, first 2 shown]
	s_nop 0
	scratch_store_dwordx4 off, v[106:109], off offset:2956 ; 16-byte Folded Spill
	s_nop 0
	scratch_store_dwordx4 off, v[110:113], off offset:2972 ; 16-byte Folded Spill
	scratch_store_dwordx4 off, v[114:117], off offset:2988 ; 16-byte Folded Spill
	scratch_store_dwordx4 off, v[118:121], off offset:3004 ; 16-byte Folded Spill
	scratch_store_dwordx4 off, v[122:125], off offset:3020 ; 16-byte Folded Spill
	scratch_store_dwordx4 off, v[126:129], off offset:3036 ; 16-byte Folded Spill
	scratch_store_dwordx4 off, v[130:133], off offset:3052 ; 16-byte Folded Spill
	scratch_store_dwordx4 off, v[134:137], off offset:3068 ; 16-byte Folded Spill
	scratch_store_dwordx4 off, v[152:155], off offset:2188 ; 16-byte Folded Spill
	s_nop 0
	scratch_store_dwordx4 off, v[156:159], off offset:2204 ; 16-byte Folded Spill
	scratch_store_dwordx4 off, v[160:163], off offset:2220 ; 16-byte Folded Spill
	scratch_store_dwordx4 off, v[164:167], off offset:2236 ; 16-byte Folded Spill
	scratch_store_dwordx4 off, v[168:171], off offset:2252 ; 16-byte Folded Spill
	scratch_store_dwordx4 off, v[172:175], off offset:2268 ; 16-byte Folded Spill
	scratch_store_dwordx4 off, v[176:179], off offset:2284 ; 16-byte Folded Spill
	scratch_store_dwordx4 off, v[180:183], off offset:2300 ; 16-byte Folded Spill
	;; [unrolled: 9-line block ×3, first 2 shown]
	scratch_load_dwordx4 v[78:81], off, off offset:772 ; 16-byte Folded Reload
	scratch_load_dwordx4 v[82:85], off, off offset:788 ; 16-byte Folded Reload
	;; [unrolled: 1-line block ×8, first 2 shown]
	v_mov_b64_e32 v[0:1], v[46:47]
	v_mov_b64_e32 v[2:3], v[48:49]
	;; [unrolled: 1-line block ×9, first 2 shown]
	v_mov_b32_e32 v164, v68
	v_mov_b32_e32 v165, v69
	v_mov_b64_e32 v[18:19], v[64:65]
	v_mov_b64_e32 v[20:21], v[66:67]
	;; [unrolled: 1-line block ×3, first 2 shown]
	v_mov_b32_e32 v158, v238
	v_mov_b32_e32 v159, v239
	;; [unrolled: 1-line block ×8, first 2 shown]
	s_waitcnt vmcnt(38)
	v_mov_b64_e32 v[62:63], v[70:71]
	v_mov_b32_e32 v148, v76
	v_mov_b32_e32 v149, v77
	v_mov_b32_e32 v194, v76
	s_waitcnt vmcnt(0)
	v_mov_b64_e32 v[116:117], v[92:93]
	v_mov_b64_e32 v[120:121], v[96:97]
	;; [unrolled: 1-line block ×18, first 2 shown]
	scratch_load_dwordx4 v[24:27], off, off offset:2956 ; 16-byte Folded Reload
	scratch_load_dwordx4 v[28:31], off, off offset:2972 ; 16-byte Folded Reload
	;; [unrolled: 1-line block ×8, first 2 shown]
	v_mov_b32_e32 v195, v77
	v_mov_b64_e32 v[64:65], v[72:73]
	v_mov_b64_e32 v[66:67], v[74:75]
	;; [unrolled: 1-line block ×4, first 2 shown]
	v_mov_b32_e32 v152, v162
	v_mov_b32_e32 v153, v163
	;; [unrolled: 1-line block ×6, first 2 shown]
	v_mov_b64_e32 v[98:99], v[134:135]
	v_mov_b64_e32 v[100:101], v[136:137]
	;; [unrolled: 1-line block ×3, first 2 shown]
	v_mov_b32_e32 v160, v120
	v_mov_b32_e32 v161, v121
	;; [unrolled: 1-line block ×4, first 2 shown]
	v_mov_b64_e32 v[124:125], v[144:145]
	v_mov_b64_e32 v[126:127], v[146:147]
	;; [unrolled: 1-line block ×19, first 2 shown]
	v_mov_b32_e32 v200, v160
	v_mov_b32_e32 v201, v161
	;; [unrolled: 1-line block ×13, first 2 shown]
	s_waitcnt vmcnt(5)
	v_mov_b64_e32 v[78:79], v[32:33]
	v_mov_b64_e32 v[76:77], v[30:31]
	;; [unrolled: 1-line block ×5, first 2 shown]
	scratch_load_dwordx4 v[24:27], off, off offset:2188 ; 16-byte Folded Reload
	scratch_load_dwordx4 v[28:31], off, off offset:2204 ; 16-byte Folded Reload
	;; [unrolled: 1-line block ×8, first 2 shown]
	s_nop 0
	scratch_store_dwordx4 off, v[148:151], off offset:1796 ; 16-byte Folded Spill
	s_nop 0
	scratch_store_dwordx4 off, v[152:155], off offset:1812 ; 16-byte Folded Spill
	scratch_store_dwordx4 off, v[156:159], off offset:1828 ; 16-byte Folded Spill
	;; [unrolled: 1-line block ×7, first 2 shown]
	v_mov_b32_e32 v196, v78
	v_mov_b32_e32 v197, v79
	;; [unrolled: 1-line block ×13, first 2 shown]
	s_waitcnt vmcnt(13)
	v_mov_b32_e32 v198, v34
	v_mov_b32_e32 v199, v35
	scratch_load_dwordx4 v[24:27], off, off offset:1540 ; 16-byte Folded Reload
	scratch_load_dwordx4 v[28:31], off, off offset:1556 ; 16-byte Folded Reload
	scratch_load_dwordx4 v[32:35], off, off offset:1572 ; 16-byte Folded Reload
	scratch_load_dwordx4 v[36:39], off, off offset:1588 ; 16-byte Folded Reload
	scratch_load_dwordx4 v[40:43], off, off offset:1604 ; 16-byte Folded Reload
	scratch_load_dwordx4 v[44:47], off, off offset:1620 ; 16-byte Folded Reload
	scratch_load_dwordx4 v[48:51], off, off offset:1636 ; 16-byte Folded Reload
	scratch_load_dwordx4 v[52:55], off, off offset:1652 ; 16-byte Folded Reload
	s_nop 0
	scratch_store_dwordx4 off, v[80:83], off offset:4 ; 16-byte Folded Spill
	s_nop 0
	scratch_store_dwordx4 off, v[84:87], off offset:20 ; 16-byte Folded Spill
	scratch_store_dwordx4 off, v[88:91], off offset:36 ; 16-byte Folded Spill
	;; [unrolled: 1-line block ×7, first 2 shown]
	v_mov_b64_e32 v[94:95], v[68:69]
	v_mov_b64_e32 v[92:93], v[66:67]
	v_mov_b64_e32 v[90:91], v[64:65]
	v_mov_b64_e32 v[88:89], v[62:63]
	scratch_store_dwordx4 off, v[216:219], off offset:3980 ; 16-byte Folded Spill
	s_nop 0
	scratch_store_dwordx4 off, v[220:223], off offset:3996 ; 16-byte Folded Spill
	scratch_store_dwordx4 off, v[224:227], off offset:4012 ; 16-byte Folded Spill
	scratch_store_dwordx4 off, v[228:231], off offset:4028 ; 16-byte Folded Spill
	scratch_store_dwordx4 off, v[232:235], off offset:4044 ; 16-byte Folded Spill
	scratch_store_dwordx4 off, v[236:239], off offset:4060 ; 16-byte Folded Spill
	scratch_store_dwordx4 off, v[240:243], off offset:4076 ; 16-byte Folded Spill
	scratch_store_dwordx4 off, v[244:247], off offset:4092 ; 16-byte Folded Spill
	scratch_store_dwordx4 off, v[88:91], off offset:1156 ; 16-byte Folded Spill
	s_nop 0
	scratch_store_dwordx4 off, v[92:95], off offset:1172 ; 16-byte Folded Spill
	scratch_store_dwordx4 off, v[96:99], off offset:1188 ; 16-byte Folded Spill
	scratch_store_dwordx4 off, v[100:103], off offset:1204 ; 16-byte Folded Spill
	scratch_store_dwordx4 off, v[104:107], off offset:1220 ; 16-byte Folded Spill
	scratch_store_dwordx4 off, v[108:111], off offset:1236 ; 16-byte Folded Spill
	scratch_store_dwordx4 off, v[112:115], off offset:1252 ; 16-byte Folded Spill
	scratch_store_dwordx4 off, v[116:119], off offset:1268 ; 16-byte Folded Spill
	;; [unrolled: 9-line block ×3, first 2 shown]
	v_mov_b32_e32 v240, v147
	v_mov_b32_e32 v241, v214
	s_waitcnt vmcnt(36)
	v_mov_b32_e32 v202, v38
	v_mov_b32_e32 v203, v39
	v_mov_b64_e32 v[152:153], v[188:189]
	v_mov_b64_e32 v[154:155], v[190:191]
	;; [unrolled: 1-line block ×8, first 2 shown]
	s_waitcnt vmcnt(32)
	v_mov_b64_e32 v[54:55], v[70:71]
	v_mov_b64_e32 v[56:57], v[72:73]
	;; [unrolled: 1-line block ×5, first 2 shown]
	scratch_store_dwordx4 off, v[54:57], off offset:644 ; 16-byte Folded Spill
	s_nop 0
	scratch_store_dwordx4 off, v[58:61], off offset:660 ; 16-byte Folded Spill
	scratch_store_dwordx4 off, v[62:65], off offset:676 ; 16-byte Folded Spill
	;; [unrolled: 1-line block ×7, first 2 shown]
	v_mov_b32_e32 v151, v63
	scratch_load_dwordx4 v[40:43], off, off offset:2188 ; 16-byte Folded Reload
	scratch_load_dwordx4 v[44:47], off, off offset:2204 ; 16-byte Folded Reload
	;; [unrolled: 1-line block ×8, first 2 shown]
	s_waitcnt vmcnt(1)
	v_mov_b32_e32 v58, v138
	v_mov_b32_e32 v59, v139
	;; [unrolled: 1-line block ×12, first 2 shown]
	v_mov_b64_e32 v[42:43], v[122:123]
	v_mov_b64_e32 v[44:45], v[124:125]
	;; [unrolled: 1-line block ×8, first 2 shown]
	scratch_load_dwordx4 v[116:119], off, off offset:1796 ; 16-byte Folded Reload
	scratch_load_dwordx4 v[120:123], off, off offset:1812 ; 16-byte Folded Reload
	;; [unrolled: 1-line block ×8, first 2 shown]
	s_waitcnt vmcnt(0)
	v_mov_b32_e32 v144, v238
	scratch_store_dwordx4 off, v[222:225], off offset:1412 ; 16-byte Folded Spill
	s_nop 0
	scratch_store_dwordx4 off, v[226:229], off offset:1428 ; 16-byte Folded Spill
	scratch_store_dwordx4 off, v[230:233], off offset:1444 ; 16-byte Folded Spill
	;; [unrolled: 1-line block ×7, first 2 shown]
	scratch_load_dwordx4 v[68:71], off, off offset:772 ; 16-byte Folded Reload
	scratch_load_dwordx4 v[72:75], off, off offset:788 ; 16-byte Folded Reload
	;; [unrolled: 1-line block ×16, first 2 shown]
	v_mov_b32_e32 v141, v39
	v_mov_b32_e32 v117, v239
	v_mov_b64_e32 v[146:147], v[128:129]
	v_mov_b32_e32 v148, v146
	v_mov_b32_e32 v146, v38
	s_waitcnt vmcnt(11)
	v_mov_b64_e32 v[114:115], v[86:87]
	s_waitcnt vmcnt(4)
	v_mov_b64_e32 v[120:121], v[194:195]
	s_waitcnt vmcnt(2)
	v_mov_b32_e32 v24, v214
	scratch_store_dwordx4 off, v[4:7], off offset:4 ; 16-byte Folded Spill
	s_nop 0
	scratch_store_dwordx4 off, v[8:11], off offset:20 ; 16-byte Folded Spill
	scratch_store_dwordx4 off, v[12:15], off offset:36 ; 16-byte Folded Spill
	;; [unrolled: 1-line block ×7, first 2 shown]
	v_mov_b32_e32 v136, v210
	v_mov_b32_e32 v142, v114
	;; [unrolled: 1-line block ×3, first 2 shown]
	v_mov_b64_e32 v[122:123], v[196:197]
	v_mov_b64_e32 v[124:125], v[198:199]
	;; [unrolled: 1-line block ×7, first 2 shown]
	v_mov_b32_e32 v137, v211
	v_mov_b32_e32 v138, v212
	;; [unrolled: 1-line block ×4, first 2 shown]
	v_mov_b64_e32 v[112:113], v[84:85]
	v_mov_b32_e32 v24, v22
	scratch_store_dwordx4 off, v[2:5], off offset:132 ; 16-byte Folded Spill
	s_nop 0
	scratch_store_dwordx4 off, v[6:9], off offset:148 ; 16-byte Folded Spill
	scratch_store_dwordx4 off, v[10:13], off offset:164 ; 16-byte Folded Spill
	;; [unrolled: 1-line block ×7, first 2 shown]
	v_mov_b32_e32 v105, v23
.LBB53_33:
	s_or_b64 exec, exec, s[2:3]
	v_cmp_eq_u32_e32 vcc, 6, v249
	s_waitcnt lgkmcnt(0)
	s_barrier
	s_and_saveexec_b64 s[2:3], vcc
	s_cbranch_execz .LBB53_36
; %bb.34:
	scratch_load_dwordx4 v[68:71], off, off offset:1156 ; 16-byte Folded Reload
	scratch_load_dwordx4 v[72:75], off, off offset:1172 ; 16-byte Folded Reload
	;; [unrolled: 1-line block ×8, first 2 shown]
	s_waitcnt vmcnt(6)
	ds_write_b32 v246, v74
	ds_write2_b32 v187, v159, v160 offset0:7 offset1:8
	ds_write2_b32 v187, v161, v162 offset0:9 offset1:10
	;; [unrolled: 1-line block ×10, first 2 shown]
	ds_read_b32 v24, v246
	s_waitcnt lgkmcnt(0)
	v_cmp_neq_f32_e32 vcc, 0, v24
	s_and_b64 exec, exec, vcc
	s_cbranch_execz .LBB53_36
; %bb.35:
	v_div_scale_f32 v25, s[4:5], v24, v24, 1.0
	v_rcp_f32_e32 v26, v25
	v_div_scale_f32 v27, vcc, 1.0, v24, 1.0
	v_fma_f32 v28, -v25, v26, 1.0
	v_fmac_f32_e32 v26, v28, v26
	v_mul_f32_e32 v28, v27, v26
	v_fma_f32 v29, -v25, v28, v27
	v_fmac_f32_e32 v28, v29, v26
	v_fma_f32 v25, -v25, v28, v27
	v_div_fmas_f32 v25, v25, v26, v28
	v_div_fixup_f32 v24, v25, v24, 1.0
	ds_write_b32 v246, v24
.LBB53_36:
	s_or_b64 exec, exec, s[2:3]
	s_waitcnt lgkmcnt(0)
	s_barrier
	ds_read_b32 v188, v246
	v_cmp_lt_u32_e32 vcc, 6, v249
	s_and_saveexec_b64 s[2:3], vcc
	s_cbranch_execz .LBB53_38
; %bb.37:
	scratch_load_dwordx4 v[68:71], off, off offset:3980 ; 16-byte Folded Reload
	scratch_load_dwordx4 v[72:75], off, off offset:3996 ; 16-byte Folded Reload
	scratch_load_dwordx4 v[76:79], off, off offset:4012 ; 16-byte Folded Reload
	scratch_load_dwordx4 v[80:83], off, off offset:4028 ; 16-byte Folded Reload
	scratch_load_dwordx4 v[84:87], off, off offset:4044 ; 16-byte Folded Reload
	scratch_load_dwordx4 v[88:91], off, off offset:4060 ; 16-byte Folded Reload
	scratch_load_dwordx4 v[92:95], off, off offset:4076 ; 16-byte Folded Reload
	scratch_load_dwordx4 v[96:99], off, off offset:4092 ; 16-byte Folded Reload
	scratch_load_dwordx4 v[0:3], off, off offset:1156 ; 16-byte Folded Reload
	scratch_load_dwordx4 v[4:7], off, off offset:1172 ; 16-byte Folded Reload
	scratch_load_dwordx4 v[8:11], off, off offset:1188 ; 16-byte Folded Reload
	scratch_load_dwordx4 v[12:15], off, off offset:1204 ; 16-byte Folded Reload
	scratch_load_dwordx4 v[16:19], off, off offset:1220 ; 16-byte Folded Reload
	scratch_load_dwordx4 v[20:23], off, off offset:1236 ; 16-byte Folded Reload
	scratch_load_dwordx4 v[24:27], off, off offset:1252 ; 16-byte Folded Reload
	scratch_load_dwordx4 v[28:31], off, off offset:1268 ; 16-byte Folded Reload
	s_waitcnt vmcnt(7)
	ds_read2_b32 v[0:1], v187 offset0:7 offset1:8
	v_mov_b32_e32 v2, v159
	v_mov_b32_e32 v3, v160
	;; [unrolled: 1-line block ×11, first 2 shown]
	s_waitcnt vmcnt(6) lgkmcnt(1)
	v_mul_f32_e32 v74, v6, v188
	ds_read2_b32 v[4:5], v187 offset0:9 offset1:10
	ds_read2_b32 v[6:7], v187 offset0:11 offset1:12
	s_waitcnt vmcnt(5)
	ds_read2_b32 v[8:9], v187 offset0:13 offset1:14
	s_waitcnt vmcnt(1) lgkmcnt(3)
	v_pk_fma_f32 v[24:25], v[74:75], v[0:1], v[2:3] op_sel_hi:[0,1,1] neg_lo:[1,0,0] neg_hi:[1,0,0]
	v_mov_b32_e32 v0, v161
	v_mov_b32_e32 v1, v162
	s_waitcnt lgkmcnt(2)
	v_pk_fma_f32 v[26:27], v[74:75], v[4:5], v[0:1] op_sel_hi:[0,1,1] neg_lo:[1,0,0] neg_hi:[1,0,0]
	v_mov_b32_e32 v0, v163
	v_mov_b32_e32 v1, v164
	s_waitcnt vmcnt(0) lgkmcnt(1)
	v_pk_fma_f32 v[28:29], v[74:75], v[6:7], v[0:1] op_sel_hi:[0,1,1] neg_lo:[1,0,0] neg_hi:[1,0,0]
	v_mov_b32_e32 v0, v165
	v_mov_b32_e32 v1, v166
	s_waitcnt lgkmcnt(0)
	v_pk_fma_f32 v[30:31], v[74:75], v[8:9], v[0:1] op_sel_hi:[0,1,1] neg_lo:[1,0,0] neg_hi:[1,0,0]
	ds_read2_b32 v[0:1], v187 offset0:15 offset1:16
	ds_read2_b32 v[4:5], v187 offset0:17 offset1:18
	;; [unrolled: 1-line block ×4, first 2 shown]
	v_mov_b32_e32 v2, v167
	v_mov_b32_e32 v3, v168
	;; [unrolled: 1-line block ×3, first 2 shown]
	s_waitcnt lgkmcnt(3)
	v_pk_fma_f32 v[32:33], v[74:75], v[0:1], v[2:3] op_sel_hi:[0,1,1] neg_lo:[1,0,0] neg_hi:[1,0,0]
	v_mov_b32_e32 v0, v169
	v_mov_b32_e32 v1, v170
	ds_read2_b32 v[2:3], v187 offset0:23 offset1:24
	s_waitcnt lgkmcnt(3)
	v_pk_fma_f32 v[34:35], v[74:75], v[4:5], v[0:1] op_sel_hi:[0,1,1] neg_lo:[1,0,0] neg_hi:[1,0,0]
	ds_read2_b32 v[4:5], v187 offset0:25 offset1:26
	v_mov_b32_e32 v0, v171
	v_mov_b32_e32 v1, v172
	s_waitcnt lgkmcnt(3)
	v_pk_fma_f32 v[36:37], v[74:75], v[6:7], v[0:1] op_sel_hi:[0,1,1] neg_lo:[1,0,0] neg_hi:[1,0,0]
	v_mov_b32_e32 v0, v173
	v_mov_b32_e32 v1, v174
	s_waitcnt lgkmcnt(2)
	v_pk_fma_f32 v[38:39], v[74:75], v[8:9], v[0:1] op_sel_hi:[0,1,1] neg_lo:[1,0,0] neg_hi:[1,0,0]
	;; [unrolled: 4-line block ×4, first 2 shown]
	v_mov_b32_e32 v0, v68
	v_mov_b32_e32 v1, v69
	;; [unrolled: 1-line block ×10, first 2 shown]
	scratch_store_dwordx4 off, v[0:3], off offset:2956 ; 16-byte Folded Spill
	s_nop 0
	scratch_store_dwordx4 off, v[4:7], off offset:2972 ; 16-byte Folded Spill
	scratch_store_dwordx4 off, v[8:11], off offset:2988 ; 16-byte Folded Spill
	;; [unrolled: 1-line block ×7, first 2 shown]
	v_mov_b32_e32 v225, v32
	v_mov_b32_e32 v226, v33
	;; [unrolled: 1-line block ×55, first 2 shown]
	scratch_store_dwordx4 off, v[0:3], off offset:3084 ; 16-byte Folded Spill
	s_nop 0
	scratch_store_dwordx4 off, v[4:7], off offset:3100 ; 16-byte Folded Spill
	scratch_store_dwordx4 off, v[8:11], off offset:3116 ; 16-byte Folded Spill
	scratch_store_dwordx4 off, v[12:15], off offset:3132 ; 16-byte Folded Spill
	scratch_store_dwordx4 off, v[16:19], off offset:3148 ; 16-byte Folded Spill
	scratch_store_dwordx4 off, v[20:23], off offset:3164 ; 16-byte Folded Spill
	scratch_store_dwordx4 off, v[24:27], off offset:3180 ; 16-byte Folded Spill
	scratch_store_dwordx4 off, v[28:31], off offset:3196 ; 16-byte Folded Spill
	v_mov_b32_e32 v10, v27
	scratch_store_dwordx4 off, v[0:3], off offset:2188 ; 16-byte Folded Spill
	s_nop 0
	scratch_store_dwordx4 off, v[4:7], off offset:2204 ; 16-byte Folded Spill
	scratch_store_dwordx4 off, v[8:11], off offset:2220 ; 16-byte Folded Spill
	scratch_store_dwordx4 off, v[12:15], off offset:2236 ; 16-byte Folded Spill
	scratch_store_dwordx4 off, v[16:19], off offset:2252 ; 16-byte Folded Spill
	scratch_store_dwordx4 off, v[20:23], off offset:2268 ; 16-byte Folded Spill
	scratch_store_dwordx4 off, v[24:27], off offset:2284 ; 16-byte Folded Spill
	scratch_store_dwordx4 off, v[28:31], off offset:2300 ; 16-byte Folded Spill
	v_mov_b32_e32 v11, v28
	scratch_store_dwordx4 off, v[0:3], off offset:2316 ; 16-byte Folded Spill
	s_nop 0
	scratch_store_dwordx4 off, v[4:7], off offset:2332 ; 16-byte Folded Spill
	scratch_store_dwordx4 off, v[8:11], off offset:2348 ; 16-byte Folded Spill
	scratch_store_dwordx4 off, v[12:15], off offset:2364 ; 16-byte Folded Spill
	scratch_store_dwordx4 off, v[16:19], off offset:2380 ; 16-byte Folded Spill
	scratch_store_dwordx4 off, v[20:23], off offset:2396 ; 16-byte Folded Spill
	scratch_store_dwordx4 off, v[24:27], off offset:2412 ; 16-byte Folded Spill
	scratch_store_dwordx4 off, v[28:31], off offset:2428 ; 16-byte Folded Spill
	v_mov_b32_e32 v12, v29
	scratch_store_dwordx4 off, v[0:3], off offset:1796 ; 16-byte Folded Spill
	s_nop 0
	scratch_store_dwordx4 off, v[4:7], off offset:1812 ; 16-byte Folded Spill
	scratch_store_dwordx4 off, v[8:11], off offset:1828 ; 16-byte Folded Spill
	scratch_store_dwordx4 off, v[12:15], off offset:1844 ; 16-byte Folded Spill
	scratch_store_dwordx4 off, v[16:19], off offset:1860 ; 16-byte Folded Spill
	scratch_store_dwordx4 off, v[20:23], off offset:1876 ; 16-byte Folded Spill
	scratch_store_dwordx4 off, v[24:27], off offset:1892 ; 16-byte Folded Spill
	scratch_store_dwordx4 off, v[28:31], off offset:1908 ; 16-byte Folded Spill
	v_mov_b32_e32 v13, v30
	scratch_store_dwordx4 off, v[0:3], off offset:1924 ; 16-byte Folded Spill
	s_nop 0
	scratch_store_dwordx4 off, v[4:7], off offset:1940 ; 16-byte Folded Spill
	scratch_store_dwordx4 off, v[8:11], off offset:1956 ; 16-byte Folded Spill
	scratch_store_dwordx4 off, v[12:15], off offset:1972 ; 16-byte Folded Spill
	scratch_store_dwordx4 off, v[16:19], off offset:1988 ; 16-byte Folded Spill
	scratch_store_dwordx4 off, v[20:23], off offset:2004 ; 16-byte Folded Spill
	scratch_store_dwordx4 off, v[24:27], off offset:2020 ; 16-byte Folded Spill
	scratch_store_dwordx4 off, v[28:31], off offset:2036 ; 16-byte Folded Spill
	v_mov_b32_e32 v14, v31
	scratch_store_dwordx4 off, v[0:3], off offset:1540 ; 16-byte Folded Spill
	s_nop 0
	scratch_store_dwordx4 off, v[4:7], off offset:1556 ; 16-byte Folded Spill
	scratch_store_dwordx4 off, v[8:11], off offset:1572 ; 16-byte Folded Spill
	scratch_store_dwordx4 off, v[12:15], off offset:1588 ; 16-byte Folded Spill
	scratch_store_dwordx4 off, v[16:19], off offset:1604 ; 16-byte Folded Spill
	scratch_store_dwordx4 off, v[20:23], off offset:1620 ; 16-byte Folded Spill
	scratch_store_dwordx4 off, v[24:27], off offset:1636 ; 16-byte Folded Spill
	scratch_store_dwordx4 off, v[28:31], off offset:1652 ; 16-byte Folded Spill
	v_mov_b32_e32 v15, v32
	scratch_store_dwordx4 off, v[0:3], off offset:1668 ; 16-byte Folded Spill
	s_nop 0
	scratch_store_dwordx4 off, v[4:7], off offset:1684 ; 16-byte Folded Spill
	scratch_store_dwordx4 off, v[8:11], off offset:1700 ; 16-byte Folded Spill
	scratch_store_dwordx4 off, v[12:15], off offset:1716 ; 16-byte Folded Spill
	scratch_store_dwordx4 off, v[16:19], off offset:1732 ; 16-byte Folded Spill
	scratch_store_dwordx4 off, v[20:23], off offset:1748 ; 16-byte Folded Spill
	scratch_store_dwordx4 off, v[24:27], off offset:1764 ; 16-byte Folded Spill
	scratch_store_dwordx4 off, v[28:31], off offset:1780 ; 16-byte Folded Spill
	v_mov_b32_e32 v16, v33
	scratch_store_dwordx4 off, v[0:3], off offset:1412 ; 16-byte Folded Spill
	s_nop 0
	scratch_store_dwordx4 off, v[4:7], off offset:1428 ; 16-byte Folded Spill
	scratch_store_dwordx4 off, v[8:11], off offset:1444 ; 16-byte Folded Spill
	scratch_store_dwordx4 off, v[12:15], off offset:1460 ; 16-byte Folded Spill
	scratch_store_dwordx4 off, v[16:19], off offset:1476 ; 16-byte Folded Spill
	scratch_store_dwordx4 off, v[20:23], off offset:1492 ; 16-byte Folded Spill
	scratch_store_dwordx4 off, v[24:27], off offset:1508 ; 16-byte Folded Spill
	scratch_store_dwordx4 off, v[28:31], off offset:1524 ; 16-byte Folded Spill
	v_mov_b32_e32 v17, v34
	scratch_store_dwordx4 off, v[0:3], off offset:1284 ; 16-byte Folded Spill
	s_nop 0
	scratch_store_dwordx4 off, v[4:7], off offset:1300 ; 16-byte Folded Spill
	scratch_store_dwordx4 off, v[8:11], off offset:1316 ; 16-byte Folded Spill
	scratch_store_dwordx4 off, v[12:15], off offset:1332 ; 16-byte Folded Spill
	scratch_store_dwordx4 off, v[16:19], off offset:1348 ; 16-byte Folded Spill
	scratch_store_dwordx4 off, v[20:23], off offset:1364 ; 16-byte Folded Spill
	scratch_store_dwordx4 off, v[24:27], off offset:1380 ; 16-byte Folded Spill
	scratch_store_dwordx4 off, v[28:31], off offset:1396 ; 16-byte Folded Spill
	v_mov_b32_e32 v18, v35
	scratch_store_dwordx4 off, v[0:3], off offset:772 ; 16-byte Folded Spill
	s_nop 0
	scratch_store_dwordx4 off, v[4:7], off offset:788 ; 16-byte Folded Spill
	scratch_store_dwordx4 off, v[8:11], off offset:804 ; 16-byte Folded Spill
	scratch_store_dwordx4 off, v[12:15], off offset:820 ; 16-byte Folded Spill
	scratch_store_dwordx4 off, v[16:19], off offset:836 ; 16-byte Folded Spill
	scratch_store_dwordx4 off, v[20:23], off offset:852 ; 16-byte Folded Spill
	scratch_store_dwordx4 off, v[24:27], off offset:868 ; 16-byte Folded Spill
	scratch_store_dwordx4 off, v[28:31], off offset:884 ; 16-byte Folded Spill
	v_mov_b32_e32 v19, v36
	scratch_store_dwordx4 off, v[0:3], off offset:1028 ; 16-byte Folded Spill
	s_nop 0
	scratch_store_dwordx4 off, v[4:7], off offset:1044 ; 16-byte Folded Spill
	scratch_store_dwordx4 off, v[8:11], off offset:1060 ; 16-byte Folded Spill
	scratch_store_dwordx4 off, v[12:15], off offset:1076 ; 16-byte Folded Spill
	scratch_store_dwordx4 off, v[16:19], off offset:1092 ; 16-byte Folded Spill
	scratch_store_dwordx4 off, v[20:23], off offset:1108 ; 16-byte Folded Spill
	scratch_store_dwordx4 off, v[24:27], off offset:1124 ; 16-byte Folded Spill
	scratch_store_dwordx4 off, v[28:31], off offset:1140 ; 16-byte Folded Spill
	v_mov_b32_e32 v20, v37
	v_mov_b32_e32 v21, v38
	v_mov_b32_e32 v127, v24
	;; [unrolled: 1-line block ×9, first 2 shown]
	scratch_store_dwordx4 off, v[0:3], off offset:516 ; 16-byte Folded Spill
	s_nop 0
	scratch_store_dwordx4 off, v[4:7], off offset:532 ; 16-byte Folded Spill
	scratch_store_dwordx4 off, v[8:11], off offset:548 ; 16-byte Folded Spill
	;; [unrolled: 1-line block ×7, first 2 shown]
	v_mov_b32_e32 v22, v39
	v_mov_b32_e32 v23, v40
	v_mov_b32_e32 v217, v24
	v_mov_b32_e32 v218, v25
	v_mov_b32_e32 v219, v26
	v_mov_b32_e32 v220, v27
	v_mov_b32_e32 v221, v28
	v_mov_b32_e32 v222, v29
	v_mov_b32_e32 v223, v30
	v_mov_b32_e32 v224, v31
	scratch_store_dwordx4 off, v[210:213], off offset:260 ; 16-byte Folded Spill
	s_nop 0
	scratch_store_dwordx4 off, v[214:217], off offset:276 ; 16-byte Folded Spill
	scratch_store_dwordx4 off, v[218:221], off offset:292 ; 16-byte Folded Spill
	scratch_store_dwordx4 off, v[222:225], off offset:308 ; 16-byte Folded Spill
	scratch_store_dwordx4 off, v[226:229], off offset:324 ; 16-byte Folded Spill
	scratch_store_dwordx4 off, v[230:233], off offset:340 ; 16-byte Folded Spill
	scratch_store_dwordx4 off, v[234:237], off offset:356 ; 16-byte Folded Spill
	scratch_store_dwordx4 off, v[238:241], off offset:372 ; 16-byte Folded Spill
	scratch_store_dwordx4 off, v[0:3], off offset:388 ; 16-byte Folded Spill
	s_nop 0
	scratch_store_dwordx4 off, v[4:7], off offset:404 ; 16-byte Folded Spill
	scratch_store_dwordx4 off, v[8:11], off offset:420 ; 16-byte Folded Spill
	scratch_store_dwordx4 off, v[12:15], off offset:436 ; 16-byte Folded Spill
	scratch_store_dwordx4 off, v[16:19], off offset:452 ; 16-byte Folded Spill
	scratch_store_dwordx4 off, v[20:23], off offset:468 ; 16-byte Folded Spill
	scratch_store_dwordx4 off, v[24:27], off offset:484 ; 16-byte Folded Spill
	scratch_store_dwordx4 off, v[28:31], off offset:500 ; 16-byte Folded Spill
	;; [unrolled: 9-line block ×4, first 2 shown]
	v_mov_b32_e32 v49, v24
	v_mov_b32_e32 v159, v24
	;; [unrolled: 1-line block ×18, first 2 shown]
	scratch_store_dwordx4 off, v[60:63], off offset:900 ; 16-byte Folded Spill
	s_nop 0
	scratch_store_dwordx4 off, v[64:67], off offset:916 ; 16-byte Folded Spill
	scratch_store_dwordx4 off, v[68:71], off offset:932 ; 16-byte Folded Spill
	;; [unrolled: 1-line block ×8, first 2 shown]
	s_nop 0
	scratch_store_dwordx4 off, v[20:23], off offset:660 ; 16-byte Folded Spill
	scratch_store_dwordx4 off, v[24:27], off offset:676 ; 16-byte Folded Spill
	;; [unrolled: 1-line block ×7, first 2 shown]
	v_mov_b64_e32 v[240:241], v[76:77]
	v_mov_b32_e32 v24, v37
	v_mov_b32_e32 v151, v26
	;; [unrolled: 1-line block ×11, first 2 shown]
	scratch_store_dwordx4 off, v[4:7], off offset:4 ; 16-byte Folded Spill
	s_nop 0
	scratch_store_dwordx4 off, v[8:11], off offset:20 ; 16-byte Folded Spill
	scratch_store_dwordx4 off, v[12:15], off offset:36 ; 16-byte Folded Spill
	;; [unrolled: 1-line block ×7, first 2 shown]
	v_mov_b32_e32 v67, v36
	v_mov_b32_e32 v215, v38
	;; [unrolled: 1-line block ×5, first 2 shown]
	scratch_store_dwordx4 off, v[2:5], off offset:132 ; 16-byte Folded Spill
	s_nop 0
	scratch_store_dwordx4 off, v[6:9], off offset:148 ; 16-byte Folded Spill
	scratch_store_dwordx4 off, v[10:13], off offset:164 ; 16-byte Folded Spill
	;; [unrolled: 1-line block ×7, first 2 shown]
.LBB53_38:
	s_or_b64 exec, exec, s[2:3]
	v_cmp_eq_u32_e32 vcc, 7, v249
	s_waitcnt lgkmcnt(0)
	s_barrier
	s_and_saveexec_b64 s[2:3], vcc
	s_cbranch_execz .LBB53_41
; %bb.39:
	scratch_load_dwordx4 v[68:71], off, off offset:900 ; 16-byte Folded Reload
	scratch_load_dwordx4 v[72:75], off, off offset:916 ; 16-byte Folded Reload
	;; [unrolled: 1-line block ×8, first 2 shown]
	s_waitcnt vmcnt(6)
	ds_write_b32 v246, v75
	ds_write2_b32 v187, v160, v161 offset0:8 offset1:9
	ds_write2_b32 v187, v162, v163 offset0:10 offset1:11
	;; [unrolled: 1-line block ×9, first 2 shown]
	ds_write_b32 v187, v241 offset:104
	ds_read_b32 v24, v246
	s_waitcnt lgkmcnt(0)
	v_cmp_neq_f32_e32 vcc, 0, v24
	s_and_b64 exec, exec, vcc
	s_cbranch_execz .LBB53_41
; %bb.40:
	v_div_scale_f32 v25, s[4:5], v24, v24, 1.0
	v_rcp_f32_e32 v26, v25
	v_div_scale_f32 v27, vcc, 1.0, v24, 1.0
	v_fma_f32 v28, -v25, v26, 1.0
	v_fmac_f32_e32 v26, v28, v26
	v_mul_f32_e32 v28, v27, v26
	v_fma_f32 v29, -v25, v28, v27
	v_fmac_f32_e32 v28, v29, v26
	v_fma_f32 v25, -v25, v28, v27
	v_div_fmas_f32 v25, v25, v26, v28
	v_div_fixup_f32 v24, v25, v24, 1.0
	ds_write_b32 v246, v24
.LBB53_41:
	s_or_b64 exec, exec, s[2:3]
	s_waitcnt lgkmcnt(0)
	s_barrier
	ds_read_b32 v248, v246
	v_cmp_lt_u32_e32 vcc, 7, v249
	s_and_saveexec_b64 s[2:3], vcc
	s_cbranch_execz .LBB53_43
; %bb.42:
	ds_read2_b32 v[2:3], v187 offset0:8 offset1:9
	ds_read2_b32 v[4:5], v187 offset0:10 offset1:11
	ds_read2_b32 v[6:7], v187 offset0:12 offset1:13
	scratch_load_dwordx4 v[8:11], off, off offset:900 ; 16-byte Folded Reload
	scratch_load_dwordx4 v[12:15], off, off offset:916 ; 16-byte Folded Reload
	scratch_load_dwordx4 v[16:19], off, off offset:932 ; 16-byte Folded Reload
	scratch_load_dwordx4 v[20:23], off, off offset:948 ; 16-byte Folded Reload
	scratch_load_dwordx4 v[24:27], off, off offset:964 ; 16-byte Folded Reload
	scratch_load_dwordx4 v[28:31], off, off offset:980 ; 16-byte Folded Reload
	scratch_load_dwordx4 v[32:35], off, off offset:996 ; 16-byte Folded Reload
	scratch_load_dwordx4 v[36:39], off, off offset:1012 ; 16-byte Folded Reload
	s_waitcnt vmcnt(7)
	ds_read2_b32 v[8:9], v187 offset0:14 offset1:15
	s_waitcnt vmcnt(6) lgkmcnt(4)
	v_mul_f32_e32 v0, v15, v248
	s_waitcnt lgkmcnt(3)
	v_pk_fma_f32 v[60:61], v[0:1], v[2:3], v[160:161] op_sel_hi:[0,1,1] neg_lo:[1,0,0] neg_hi:[1,0,0]
	ds_read2_b32 v[2:3], v187 offset0:16 offset1:17
	s_waitcnt lgkmcnt(3)
	v_pk_fma_f32 v[50:51], v[0:1], v[4:5], v[162:163] op_sel_hi:[0,1,1] neg_lo:[1,0,0] neg_hi:[1,0,0]
	s_waitcnt lgkmcnt(2)
	v_pk_fma_f32 v[228:229], v[0:1], v[6:7], v[164:165] op_sel_hi:[0,1,1] neg_lo:[1,0,0] neg_hi:[1,0,0]
	s_waitcnt vmcnt(0) lgkmcnt(1)
	v_pk_fma_f32 v[38:39], v[0:1], v[8:9], v[166:167] op_sel_hi:[0,1,1] neg_lo:[1,0,0] neg_hi:[1,0,0]
	ds_read2_b32 v[4:5], v187 offset0:18 offset1:19
	ds_read2_b32 v[6:7], v187 offset0:20 offset1:21
	;; [unrolled: 1-line block ×3, first 2 shown]
	s_waitcnt lgkmcnt(3)
	v_pk_fma_f32 v[18:19], v[0:1], v[2:3], v[168:169] op_sel_hi:[0,1,1] neg_lo:[1,0,0] neg_hi:[1,0,0]
	ds_read2_b32 v[2:3], v187 offset0:24 offset1:25
	ds_read_b32 v1, v187 offset:104
	scratch_load_dwordx4 v[62:65], off, off offset:3468 ; 16-byte Folded Reload
	scratch_load_dwordx4 v[66:69], off, off offset:3484 ; 16-byte Folded Reload
	;; [unrolled: 1-line block ×8, first 2 shown]
	v_mov_b32_e32 v10, v60
	v_mov_b32_e32 v11, v61
	s_waitcnt vmcnt(6)
	v_mov_b32_e32 v69, v0
	s_waitcnt lgkmcnt(0)
	v_pk_fma_f32 v[114:115], v[0:1], v[4:5], v[170:171] op_sel_hi:[0,1,1] neg_lo:[1,0,0] neg_hi:[1,0,0]
	v_pk_fma_f32 v[214:215], v[0:1], v[6:7], v[172:173] op_sel_hi:[0,1,1] neg_lo:[1,0,0] neg_hi:[1,0,0]
	;; [unrolled: 1-line block ×4, first 2 shown]
	v_mov_b32_e32 v9, v0
	v_mov_b32_e32 v59, v0
	;; [unrolled: 1-line block ×6, first 2 shown]
	s_waitcnt vmcnt(0)
	v_mov_b32_e32 v90, v114
	v_mov_b32_e32 v91, v115
	;; [unrolled: 1-line block ×5, first 2 shown]
	v_fma_f32 v186, -v0, v1, v241
	v_mov_b32_e32 v167, v0
	v_mov_b32_e32 v48, v60
	;; [unrolled: 1-line block ×60, first 2 shown]
	scratch_store_dwordx4 off, v[2:5], off offset:3084 ; 16-byte Folded Spill
	s_nop 0
	scratch_store_dwordx4 off, v[6:9], off offset:3100 ; 16-byte Folded Spill
	scratch_store_dwordx4 off, v[10:13], off offset:3116 ; 16-byte Folded Spill
	;; [unrolled: 1-line block ×7, first 2 shown]
	v_mov_b32_e32 v12, v50
	v_mov_b32_e32 v13, v51
	;; [unrolled: 1-line block ×60, first 2 shown]
	scratch_store_dwordx4 off, v[2:5], off offset:2316 ; 16-byte Folded Spill
	s_nop 0
	scratch_store_dwordx4 off, v[6:9], off offset:2332 ; 16-byte Folded Spill
	scratch_store_dwordx4 off, v[10:13], off offset:2348 ; 16-byte Folded Spill
	scratch_store_dwordx4 off, v[14:17], off offset:2364 ; 16-byte Folded Spill
	scratch_store_dwordx4 off, v[18:21], off offset:2380 ; 16-byte Folded Spill
	scratch_store_dwordx4 off, v[22:25], off offset:2396 ; 16-byte Folded Spill
	scratch_store_dwordx4 off, v[26:29], off offset:2412 ; 16-byte Folded Spill
	scratch_store_dwordx4 off, v[30:33], off offset:2428 ; 16-byte Folded Spill
	v_mov_b32_e32 v14, v228
	v_mov_b32_e32 v15, v229
	scratch_store_dwordx4 off, v[2:5], off offset:1924 ; 16-byte Folded Spill
	s_nop 0
	scratch_store_dwordx4 off, v[6:9], off offset:1940 ; 16-byte Folded Spill
	scratch_store_dwordx4 off, v[10:13], off offset:1956 ; 16-byte Folded Spill
	;; [unrolled: 1-line block ×7, first 2 shown]
	v_mov_b32_e32 v24, v62
	v_mov_b32_e32 v25, v63
	;; [unrolled: 1-line block ×12, first 2 shown]
	scratch_store_dwordx4 off, v[2:5], off offset:1668 ; 16-byte Folded Spill
	s_nop 0
	scratch_store_dwordx4 off, v[6:9], off offset:1684 ; 16-byte Folded Spill
	scratch_store_dwordx4 off, v[10:13], off offset:1700 ; 16-byte Folded Spill
	;; [unrolled: 1-line block ×7, first 2 shown]
	v_mov_b64_e32 v[84:85], v[16:17]
	v_mov_b64_e32 v[82:83], v[14:15]
	;; [unrolled: 1-line block ×9, first 2 shown]
	scratch_store_dwordx4 off, v[2:5], off offset:1284 ; 16-byte Folded Spill
	s_nop 0
	scratch_store_dwordx4 off, v[6:9], off offset:1300 ; 16-byte Folded Spill
	scratch_store_dwordx4 off, v[10:13], off offset:1316 ; 16-byte Folded Spill
	;; [unrolled: 1-line block ×7, first 2 shown]
	v_mov_b32_e32 v20, v114
	v_mov_b32_e32 v21, v115
	;; [unrolled: 1-line block ×20, first 2 shown]
	v_mov_b64_e32 v[132:133], v[18:19]
	scratch_store_dwordx4 off, v[2:5], off offset:1028 ; 16-byte Folded Spill
	s_nop 0
	scratch_store_dwordx4 off, v[6:9], off offset:1044 ; 16-byte Folded Spill
	scratch_store_dwordx4 off, v[10:13], off offset:1060 ; 16-byte Folded Spill
	;; [unrolled: 1-line block ×7, first 2 shown]
	v_mov_b32_e32 v22, v214
	v_mov_b32_e32 v23, v215
	;; [unrolled: 1-line block ×6, first 2 shown]
	scratch_store_dwordx4 off, v[2:5], off offset:516 ; 16-byte Folded Spill
	s_nop 0
	scratch_store_dwordx4 off, v[6:9], off offset:532 ; 16-byte Folded Spill
	scratch_store_dwordx4 off, v[10:13], off offset:548 ; 16-byte Folded Spill
	;; [unrolled: 1-line block ×7, first 2 shown]
	v_mov_b32_e32 v20, v214
	v_mov_b32_e32 v21, v215
	;; [unrolled: 1-line block ×4, first 2 shown]
	v_mov_b64_e32 v[156:157], v[16:17]
	v_mov_b64_e32 v[158:159], v[18:19]
	;; [unrolled: 1-line block ×9, first 2 shown]
	v_mov_b32_e32 v7, v0
	v_mov_b32_e32 v0, v62
	;; [unrolled: 1-line block ×19, first 2 shown]
	scratch_store_dwordx4 off, v[0:3], off offset:388 ; 16-byte Folded Spill
	s_nop 0
	scratch_store_dwordx4 off, v[4:7], off offset:404 ; 16-byte Folded Spill
	scratch_store_dwordx4 off, v[8:11], off offset:420 ; 16-byte Folded Spill
	scratch_store_dwordx4 off, v[12:15], off offset:436 ; 16-byte Folded Spill
	scratch_store_dwordx4 off, v[16:19], off offset:452 ; 16-byte Folded Spill
	scratch_store_dwordx4 off, v[20:23], off offset:468 ; 16-byte Folded Spill
	scratch_store_dwordx4 off, v[24:27], off offset:484 ; 16-byte Folded Spill
	scratch_store_dwordx4 off, v[28:31], off offset:500 ; 16-byte Folded Spill
	scratch_store_dwordx4 off, v[62:65], off offset:3596 ; 16-byte Folded Spill
	s_nop 0
	scratch_store_dwordx4 off, v[66:69], off offset:3612 ; 16-byte Folded Spill
	scratch_store_dwordx4 off, v[70:73], off offset:3628 ; 16-byte Folded Spill
	;; [unrolled: 1-line block ×7, first 2 shown]
	v_mov_b32_e32 v62, v60
	v_mov_b64_e32 v[0:1], v[142:143]
	v_mov_b64_e32 v[2:3], v[144:145]
	;; [unrolled: 1-line block ×8, first 2 shown]
	v_mov_b32_e32 v150, v50
	v_mov_b32_e32 v132, v158
	;; [unrolled: 1-line block ×7, first 2 shown]
	v_mov_b64_e32 v[16:17], v[158:159]
	scratch_store_dwordx4 off, v[54:57], off offset:644 ; 16-byte Folded Spill
	s_nop 0
	scratch_store_dwordx4 off, v[58:61], off offset:660 ; 16-byte Folded Spill
	scratch_store_dwordx4 off, v[62:65], off offset:676 ; 16-byte Folded Spill
	scratch_store_dwordx4 off, v[66:69], off offset:692 ; 16-byte Folded Spill
	scratch_store_dwordx4 off, v[70:73], off offset:708 ; 16-byte Folded Spill
	scratch_store_dwordx4 off, v[74:77], off offset:724 ; 16-byte Folded Spill
	scratch_store_dwordx4 off, v[78:81], off offset:740 ; 16-byte Folded Spill
	scratch_store_dwordx4 off, v[82:85], off offset:756 ; 16-byte Folded Spill
	scratch_store_dwordx4 off, v[52:55], off offset:2956 ; 16-byte Folded Spill
	s_nop 0
	scratch_store_dwordx4 off, v[56:59], off offset:2972 ; 16-byte Folded Spill
	scratch_store_dwordx4 off, v[60:63], off offset:2988 ; 16-byte Folded Spill
	;; [unrolled: 1-line block ×7, first 2 shown]
	v_mov_b32_e32 v151, v61
	scratch_store_dwordx4 off, v[40:43], off offset:2188 ; 16-byte Folded Spill
	s_nop 0
	scratch_store_dwordx4 off, v[44:47], off offset:2204 ; 16-byte Folded Spill
	scratch_store_dwordx4 off, v[48:51], off offset:2220 ; 16-byte Folded Spill
	;; [unrolled: 1-line block ×7, first 2 shown]
	v_mov_b32_e32 v58, v132
	v_mov_b32_e32 v59, v133
	;; [unrolled: 1-line block ×9, first 2 shown]
	v_mov_b64_e32 v[134:135], v[216:217]
	v_mov_b64_e32 v[136:137], v[218:219]
	;; [unrolled: 1-line block ×6, first 2 shown]
	v_mov_b32_e32 v149, v51
	v_mov_b64_e32 v[42:43], v[116:117]
	v_mov_b64_e32 v[44:45], v[118:119]
	v_mov_b64_e32 v[46:47], v[120:121]
	v_mov_b64_e32 v[48:49], v[122:123]
	v_mov_b64_e32 v[50:51], v[124:125]
	v_mov_b64_e32 v[52:53], v[126:127]
	v_mov_b64_e32 v[54:55], v[128:129]
	scratch_store_dwordx4 off, v[134:137], off offset:1796 ; 16-byte Folded Spill
	s_nop 0
	scratch_store_dwordx4 off, v[138:141], off offset:1812 ; 16-byte Folded Spill
	scratch_store_dwordx4 off, v[142:145], off offset:1828 ; 16-byte Folded Spill
	scratch_store_dwordx4 off, v[146:149], off offset:1844 ; 16-byte Folded Spill
	scratch_store_dwordx4 off, v[150:153], off offset:1860 ; 16-byte Folded Spill
	scratch_store_dwordx4 off, v[154:157], off offset:1876 ; 16-byte Folded Spill
	scratch_store_dwordx4 off, v[158:161], off offset:1892 ; 16-byte Folded Spill
	scratch_store_dwordx4 off, v[162:165], off offset:1908 ; 16-byte Folded Spill
	v_mov_b32_e32 v146, v38
	scratch_store_dwordx4 off, v[24:27], off offset:1540 ; 16-byte Folded Spill
	s_nop 0
	scratch_store_dwordx4 off, v[28:31], off offset:1556 ; 16-byte Folded Spill
	scratch_store_dwordx4 off, v[32:35], off offset:1572 ; 16-byte Folded Spill
	;; [unrolled: 1-line block ×7, first 2 shown]
	v_mov_b64_e32 v[56:57], v[130:131]
	v_mov_b64_e32 v[130:131], v[14:15]
	v_mov_b32_e32 v147, v229
	v_mov_b64_e32 v[128:129], v[12:13]
	v_mov_b64_e32 v[126:127], v[10:11]
	;; [unrolled: 1-line block ×7, first 2 shown]
	v_mov_b32_e32 v24, v214
	v_mov_b64_e32 v[132:133], v[158:159]
	v_mov_b32_e32 v144, v132
	v_mov_b32_e32 v141, v39
	scratch_store_dwordx4 off, v[116:119], off offset:1412 ; 16-byte Folded Spill
	s_nop 0
	scratch_store_dwordx4 off, v[120:123], off offset:1428 ; 16-byte Folded Spill
	scratch_store_dwordx4 off, v[124:127], off offset:1444 ; 16-byte Folded Spill
	;; [unrolled: 1-line block ×7, first 2 shown]
	v_mov_b64_e32 v[152:153], v[160:161]
	v_mov_b32_e32 v142, v114
	v_mov_b32_e32 v136, v210
	v_mov_b64_e32 v[154:155], v[162:163]
	v_mov_b64_e32 v[156:157], v[164:165]
	;; [unrolled: 1-line block ×7, first 2 shown]
	v_mov_b32_e32 v168, v176
	v_mov_b32_e32 v137, v211
	;; [unrolled: 1-line block ×17, first 2 shown]
	scratch_store_dwordx4 off, v[96:99], off offset:772 ; 16-byte Folded Spill
	s_nop 0
	scratch_store_dwordx4 off, v[100:103], off offset:788 ; 16-byte Folded Spill
	scratch_store_dwordx4 off, v[104:107], off offset:804 ; 16-byte Folded Spill
	;; [unrolled: 1-line block ×8, first 2 shown]
	s_nop 0
	scratch_store_dwordx4 off, v[8:11], off offset:20 ; 16-byte Folded Spill
	scratch_store_dwordx4 off, v[12:15], off offset:36 ; 16-byte Folded Spill
	;; [unrolled: 1-line block ×7, first 2 shown]
	v_mov_b32_e32 v24, v94
	v_mov_b64_e32 v[120:121], v[194:195]
	v_mov_b64_e32 v[122:123], v[196:197]
	v_mov_b64_e32 v[124:125], v[198:199]
	v_mov_b64_e32 v[126:127], v[200:201]
	v_mov_b64_e32 v[128:129], v[202:203]
	v_mov_b64_e32 v[130:131], v[204:205]
	v_mov_b64_e32 v[132:133], v[206:207]
	v_mov_b64_e32 v[134:135], v[208:209]
	scratch_store_dwordx4 off, v[2:5], off offset:132 ; 16-byte Folded Spill
	s_nop 0
	scratch_store_dwordx4 off, v[6:9], off offset:148 ; 16-byte Folded Spill
	scratch_store_dwordx4 off, v[10:13], off offset:164 ; 16-byte Folded Spill
	;; [unrolled: 1-line block ×8, first 2 shown]
	s_nop 0
	scratch_store_dwordx4 off, v[76:79], off offset:276 ; 16-byte Folded Spill
	scratch_store_dwordx4 off, v[80:83], off offset:292 ; 16-byte Folded Spill
	;; [unrolled: 1-line block ×7, first 2 shown]
	v_mov_b32_e32 v67, v115
	v_mov_b32_e32 v105, v95
.LBB53_43:
	s_or_b64 exec, exec, s[2:3]
	v_cmp_eq_u32_e32 vcc, 8, v249
	s_waitcnt lgkmcnt(0)
	s_barrier
	s_and_saveexec_b64 s[2:3], vcc
	s_cbranch_execz .LBB53_46
; %bb.44:
	scratch_load_dwordx4 v[68:71], off, off offset:644 ; 16-byte Folded Reload
	scratch_load_dwordx4 v[72:75], off, off offset:660 ; 16-byte Folded Reload
	;; [unrolled: 1-line block ×8, first 2 shown]
	s_waitcnt vmcnt(5)
	ds_write_b32 v246, v76
	ds_write2_b32 v187, v161, v162 offset0:9 offset1:10
	ds_write2_b32 v187, v163, v164 offset0:11 offset1:12
	;; [unrolled: 1-line block ×9, first 2 shown]
	ds_read_b32 v24, v246
	s_waitcnt lgkmcnt(0)
	v_cmp_neq_f32_e32 vcc, 0, v24
	s_and_b64 exec, exec, vcc
	s_cbranch_execz .LBB53_46
; %bb.45:
	v_div_scale_f32 v25, s[4:5], v24, v24, 1.0
	v_rcp_f32_e32 v26, v25
	v_div_scale_f32 v27, vcc, 1.0, v24, 1.0
	v_fma_f32 v28, -v25, v26, 1.0
	v_fmac_f32_e32 v26, v28, v26
	v_mul_f32_e32 v28, v27, v26
	v_fma_f32 v29, -v25, v28, v27
	v_fmac_f32_e32 v28, v29, v26
	v_fma_f32 v25, -v25, v28, v27
	v_div_fmas_f32 v25, v25, v26, v28
	v_div_fixup_f32 v24, v25, v24, 1.0
	ds_write_b32 v246, v24
.LBB53_46:
	s_or_b64 exec, exec, s[2:3]
	s_waitcnt lgkmcnt(0)
	s_barrier
	ds_read_b32 v189, v246
	v_cmp_lt_u32_e32 vcc, 8, v249
	s_and_saveexec_b64 s[2:3], vcc
	s_cbranch_execz .LBB53_48
; %bb.47:
	scratch_load_dwordx4 v[96:99], off, off offset:3596 ; 16-byte Folded Reload
	scratch_load_dwordx4 v[100:103], off, off offset:3612 ; 16-byte Folded Reload
	;; [unrolled: 1-line block ×16, first 2 shown]
	s_waitcnt vmcnt(7)
	ds_read2_b32 v[0:1], v187 offset0:9 offset1:10
	v_mov_b32_e32 v2, v161
	v_mov_b32_e32 v3, v162
	;; [unrolled: 1-line block ×12, first 2 shown]
	s_waitcnt vmcnt(5) lgkmcnt(1)
	v_mul_f32_e32 v104, v8, v189
	ds_read2_b32 v[4:5], v187 offset0:11 offset1:12
	ds_read2_b32 v[6:7], v187 offset0:13 offset1:14
	;; [unrolled: 1-line block ×3, first 2 shown]
	s_waitcnt vmcnt(1) lgkmcnt(3)
	v_pk_fma_f32 v[24:25], v[104:105], v[0:1], v[2:3] op_sel_hi:[0,1,1] neg_lo:[1,0,0] neg_hi:[1,0,0]
	v_mov_b32_e32 v0, v163
	v_mov_b32_e32 v1, v164
	s_waitcnt lgkmcnt(2)
	v_pk_fma_f32 v[26:27], v[104:105], v[4:5], v[0:1] op_sel_hi:[0,1,1] neg_lo:[1,0,0] neg_hi:[1,0,0]
	v_mov_b32_e32 v0, v165
	v_mov_b32_e32 v1, v166
	s_waitcnt vmcnt(0) lgkmcnt(1)
	v_pk_fma_f32 v[28:29], v[104:105], v[6:7], v[0:1] op_sel_hi:[0,1,1] neg_lo:[1,0,0] neg_hi:[1,0,0]
	v_mov_b32_e32 v0, v167
	v_mov_b32_e32 v1, v168
	s_waitcnt lgkmcnt(0)
	v_pk_fma_f32 v[30:31], v[104:105], v[8:9], v[0:1] op_sel_hi:[0,1,1] neg_lo:[1,0,0] neg_hi:[1,0,0]
	ds_read2_b32 v[0:1], v187 offset0:17 offset1:18
	v_mov_b32_e32 v2, v169
	v_mov_b32_e32 v3, v170
	ds_read2_b32 v[4:5], v187 offset0:19 offset1:20
	ds_read2_b32 v[6:7], v187 offset0:21 offset1:22
	;; [unrolled: 1-line block ×3, first 2 shown]
	v_mov_b32_e32 v10, v25
	s_waitcnt lgkmcnt(3)
	v_pk_fma_f32 v[32:33], v[104:105], v[0:1], v[2:3] op_sel_hi:[0,1,1] neg_lo:[1,0,0] neg_hi:[1,0,0]
	ds_read2_b32 v[2:3], v187 offset0:25 offset1:26
	v_mov_b32_e32 v0, v171
	v_mov_b32_e32 v1, v172
	s_waitcnt lgkmcnt(3)
	v_pk_fma_f32 v[34:35], v[104:105], v[4:5], v[0:1] op_sel_hi:[0,1,1] neg_lo:[1,0,0] neg_hi:[1,0,0]
	v_mov_b32_e32 v0, v173
	v_mov_b32_e32 v1, v174
	s_waitcnt lgkmcnt(2)
	v_pk_fma_f32 v[36:37], v[104:105], v[6:7], v[0:1] op_sel_hi:[0,1,1] neg_lo:[1,0,0] neg_hi:[1,0,0]
	;; [unrolled: 4-line block ×4, first 2 shown]
	v_mov_b32_e32 v0, v96
	v_mov_b32_e32 v1, v97
	;; [unrolled: 1-line block ×11, first 2 shown]
	scratch_store_dwordx4 off, v[0:3], off offset:2188 ; 16-byte Folded Spill
	s_nop 0
	scratch_store_dwordx4 off, v[4:7], off offset:2204 ; 16-byte Folded Spill
	scratch_store_dwordx4 off, v[8:11], off offset:2220 ; 16-byte Folded Spill
	;; [unrolled: 1-line block ×7, first 2 shown]
	v_mov_b32_e32 v218, v104
	v_mov_b32_e32 v227, v32
	;; [unrolled: 1-line block ×58, first 2 shown]
	scratch_store_dwordx4 off, v[0:3], off offset:2316 ; 16-byte Folded Spill
	s_nop 0
	scratch_store_dwordx4 off, v[4:7], off offset:2332 ; 16-byte Folded Spill
	scratch_store_dwordx4 off, v[8:11], off offset:2348 ; 16-byte Folded Spill
	scratch_store_dwordx4 off, v[12:15], off offset:2364 ; 16-byte Folded Spill
	scratch_store_dwordx4 off, v[16:19], off offset:2380 ; 16-byte Folded Spill
	scratch_store_dwordx4 off, v[20:23], off offset:2396 ; 16-byte Folded Spill
	scratch_store_dwordx4 off, v[24:27], off offset:2412 ; 16-byte Folded Spill
	scratch_store_dwordx4 off, v[28:31], off offset:2428 ; 16-byte Folded Spill
	v_mov_b32_e32 v12, v27
	scratch_store_dwordx4 off, v[0:3], off offset:1796 ; 16-byte Folded Spill
	s_nop 0
	scratch_store_dwordx4 off, v[4:7], off offset:1812 ; 16-byte Folded Spill
	scratch_store_dwordx4 off, v[8:11], off offset:1828 ; 16-byte Folded Spill
	scratch_store_dwordx4 off, v[12:15], off offset:1844 ; 16-byte Folded Spill
	scratch_store_dwordx4 off, v[16:19], off offset:1860 ; 16-byte Folded Spill
	scratch_store_dwordx4 off, v[20:23], off offset:1876 ; 16-byte Folded Spill
	scratch_store_dwordx4 off, v[24:27], off offset:1892 ; 16-byte Folded Spill
	scratch_store_dwordx4 off, v[28:31], off offset:1908 ; 16-byte Folded Spill
	v_mov_b32_e32 v13, v28
	;; [unrolled: 10-line block ×9, first 2 shown]
	v_mov_b32_e32 v21, v36
	v_mov_b32_e32 v129, v24
	;; [unrolled: 1-line block ×9, first 2 shown]
	scratch_store_dwordx4 off, v[0:3], off offset:516 ; 16-byte Folded Spill
	s_nop 0
	scratch_store_dwordx4 off, v[4:7], off offset:532 ; 16-byte Folded Spill
	scratch_store_dwordx4 off, v[8:11], off offset:548 ; 16-byte Folded Spill
	;; [unrolled: 1-line block ×7, first 2 shown]
	v_mov_b32_e32 v22, v37
	v_mov_b32_e32 v23, v38
	;; [unrolled: 1-line block ×10, first 2 shown]
	scratch_store_dwordx4 off, v[210:213], off offset:260 ; 16-byte Folded Spill
	s_nop 0
	scratch_store_dwordx4 off, v[214:217], off offset:276 ; 16-byte Folded Spill
	scratch_store_dwordx4 off, v[218:221], off offset:292 ; 16-byte Folded Spill
	scratch_store_dwordx4 off, v[222:225], off offset:308 ; 16-byte Folded Spill
	scratch_store_dwordx4 off, v[226:229], off offset:324 ; 16-byte Folded Spill
	scratch_store_dwordx4 off, v[230:233], off offset:340 ; 16-byte Folded Spill
	scratch_store_dwordx4 off, v[234:237], off offset:356 ; 16-byte Folded Spill
	scratch_store_dwordx4 off, v[238:241], off offset:372 ; 16-byte Folded Spill
	scratch_store_dwordx4 off, v[0:3], off offset:388 ; 16-byte Folded Spill
	s_nop 0
	scratch_store_dwordx4 off, v[4:7], off offset:404 ; 16-byte Folded Spill
	scratch_store_dwordx4 off, v[8:11], off offset:420 ; 16-byte Folded Spill
	scratch_store_dwordx4 off, v[12:15], off offset:436 ; 16-byte Folded Spill
	scratch_store_dwordx4 off, v[16:19], off offset:452 ; 16-byte Folded Spill
	scratch_store_dwordx4 off, v[20:23], off offset:468 ; 16-byte Folded Spill
	scratch_store_dwordx4 off, v[24:27], off offset:484 ; 16-byte Folded Spill
	scratch_store_dwordx4 off, v[28:31], off offset:500 ; 16-byte Folded Spill
	;; [unrolled: 9-line block ×4, first 2 shown]
	v_mov_b32_e32 v117, v32
	v_mov_b64_e32 v[240:241], v[40:41]
	v_mov_b32_e32 v215, v36
	v_mov_b32_e32 v105, v38
	;; [unrolled: 1-line block ×27, first 2 shown]
	scratch_store_dwordx4 off, v[4:7], off offset:4 ; 16-byte Folded Spill
	s_nop 0
	scratch_store_dwordx4 off, v[8:11], off offset:20 ; 16-byte Folded Spill
	scratch_store_dwordx4 off, v[12:15], off offset:36 ; 16-byte Folded Spill
	;; [unrolled: 1-line block ×7, first 2 shown]
	v_mov_b32_e32 v24, v37
	scratch_store_dwordx4 off, v[2:5], off offset:132 ; 16-byte Folded Spill
	s_nop 0
	scratch_store_dwordx4 off, v[6:9], off offset:148 ; 16-byte Folded Spill
	scratch_store_dwordx4 off, v[10:13], off offset:164 ; 16-byte Folded Spill
	;; [unrolled: 1-line block ×7, first 2 shown]
.LBB53_48:
	s_or_b64 exec, exec, s[2:3]
	v_cmp_eq_u32_e32 vcc, 9, v249
	s_waitcnt lgkmcnt(0)
	s_barrier
	s_and_saveexec_b64 s[2:3], vcc
	s_cbranch_execz .LBB53_51
; %bb.49:
	ds_write_b32 v246, v151
	ds_write2_b32 v187, v162, v163 offset0:10 offset1:11
	ds_write2_b32 v187, v164, v165 offset0:12 offset1:13
	;; [unrolled: 1-line block ×8, first 2 shown]
	s_waitcnt vmcnt(0)
	ds_write_b32 v187, v241 offset:104
	ds_read_b32 v24, v246
	s_waitcnt lgkmcnt(0)
	v_cmp_neq_f32_e32 vcc, 0, v24
	s_and_b64 exec, exec, vcc
	s_cbranch_execz .LBB53_51
; %bb.50:
	v_div_scale_f32 v25, s[4:5], v24, v24, 1.0
	v_rcp_f32_e32 v26, v25
	v_div_scale_f32 v27, vcc, 1.0, v24, 1.0
	v_fma_f32 v28, -v25, v26, 1.0
	v_fmac_f32_e32 v26, v28, v26
	v_mul_f32_e32 v28, v27, v26
	v_fma_f32 v29, -v25, v28, v27
	v_fmac_f32_e32 v28, v29, v26
	v_fma_f32 v25, -v25, v28, v27
	v_div_fmas_f32 v25, v25, v26, v28
	v_div_fixup_f32 v24, v25, v24, 1.0
	ds_write_b32 v246, v24
.LBB53_51:
	s_or_b64 exec, exec, s[2:3]
	s_waitcnt lgkmcnt(0)
	s_barrier
	ds_read_b32 v190, v246
	v_cmp_lt_u32_e32 vcc, 9, v249
	s_and_saveexec_b64 s[2:3], vcc
	s_cbranch_execz .LBB53_53
; %bb.52:
	ds_read2_b32 v[2:3], v187 offset0:10 offset1:11
	ds_read2_b32 v[4:5], v187 offset0:12 offset1:13
	;; [unrolled: 1-line block ×3, first 2 shown]
	s_waitcnt lgkmcnt(3)
	v_mul_f32_e32 v0, v151, v190
	ds_read2_b32 v[8:9], v187 offset0:16 offset1:17
	s_waitcnt lgkmcnt(3)
	v_pk_fma_f32 v[50:51], v[0:1], v[2:3], v[162:163] op_sel_hi:[0,1,1] neg_lo:[1,0,0] neg_hi:[1,0,0]
	s_waitcnt lgkmcnt(2)
	v_pk_fma_f32 v[228:229], v[0:1], v[4:5], v[164:165] op_sel_hi:[0,1,1] neg_lo:[1,0,0] neg_hi:[1,0,0]
	;; [unrolled: 2-line block ×3, first 2 shown]
	ds_read2_b32 v[2:3], v187 offset0:18 offset1:19
	ds_read2_b32 v[4:5], v187 offset0:20 offset1:21
	;; [unrolled: 1-line block ×4, first 2 shown]
	scratch_load_dwordx4 v[52:55], off, off offset:2956 ; 16-byte Folded Reload
	scratch_load_dwordx4 v[56:59], off, off offset:2972 ; 16-byte Folded Reload
	;; [unrolled: 1-line block ×8, first 2 shown]
	s_waitcnt lgkmcnt(4)
	v_pk_fma_f32 v[214:215], v[0:1], v[8:9], v[168:169] op_sel_hi:[0,1,1] neg_lo:[1,0,0] neg_hi:[1,0,0]
	s_waitcnt lgkmcnt(3)
	v_pk_fma_f32 v[114:115], v[0:1], v[2:3], v[170:171] op_sel_hi:[0,1,1] neg_lo:[1,0,0] neg_hi:[1,0,0]
	;; [unrolled: 2-line block ×3, first 2 shown]
	s_waitcnt vmcnt(10) lgkmcnt(1)
	v_pk_fma_f32 v[90:91], v[0:1], v[6:7], v[174:175] op_sel_hi:[0,1,1] neg_lo:[1,0,0] neg_hi:[1,0,0]
	s_waitcnt lgkmcnt(0)
	v_pk_fma_f32 v[140:141], v[0:1], v[10:11], v[176:177] op_sel_hi:[0,1,1] neg_lo:[1,0,0] neg_hi:[1,0,0]
	v_mov_b32_e32 v11, v0
	v_mov_b32_e32 v12, v50
	v_mov_b32_e32 v13, v51
	s_waitcnt vmcnt(5)
	v_mov_b32_e32 v61, v0
	v_mov_b32_e32 v49, v0
	v_mov_b32_e32 v225, v0
	v_mov_b32_e32 v207, v0
	v_mov_b32_e32 v105, v0
	s_waitcnt vmcnt(1)
	v_mov_b32_e32 v77, v0
	v_mov_b32_e32 v125, v0
	;; [unrolled: 6-line block ×3, first 2 shown]
	v_mov_b32_e32 v82, v38
	v_mov_b32_e32 v83, v39
	;; [unrolled: 1-line block ×58, first 2 shown]
	scratch_store_dwordx4 off, v[2:5], off offset:2316 ; 16-byte Folded Spill
	s_nop 0
	scratch_store_dwordx4 off, v[6:9], off offset:2332 ; 16-byte Folded Spill
	scratch_store_dwordx4 off, v[10:13], off offset:2348 ; 16-byte Folded Spill
	;; [unrolled: 1-line block ×7, first 2 shown]
	v_mov_b32_e32 v14, v228
	v_mov_b32_e32 v15, v229
	;; [unrolled: 1-line block ×61, first 2 shown]
	scratch_store_dwordx4 off, v[2:5], off offset:1924 ; 16-byte Folded Spill
	s_nop 0
	scratch_store_dwordx4 off, v[6:9], off offset:1940 ; 16-byte Folded Spill
	scratch_store_dwordx4 off, v[10:13], off offset:1956 ; 16-byte Folded Spill
	;; [unrolled: 1-line block ×7, first 2 shown]
	v_mov_b32_e32 v24, v52
	v_mov_b32_e32 v25, v53
	;; [unrolled: 1-line block ×12, first 2 shown]
	scratch_store_dwordx4 off, v[2:5], off offset:1668 ; 16-byte Folded Spill
	s_nop 0
	scratch_store_dwordx4 off, v[6:9], off offset:1684 ; 16-byte Folded Spill
	scratch_store_dwordx4 off, v[10:13], off offset:1700 ; 16-byte Folded Spill
	;; [unrolled: 1-line block ×7, first 2 shown]
	v_mov_b32_e32 v18, v214
	v_mov_b32_e32 v19, v215
	scratch_store_dwordx4 off, v[2:5], off offset:1284 ; 16-byte Folded Spill
	s_nop 0
	scratch_store_dwordx4 off, v[6:9], off offset:1300 ; 16-byte Folded Spill
	scratch_store_dwordx4 off, v[10:13], off offset:1316 ; 16-byte Folded Spill
	;; [unrolled: 1-line block ×7, first 2 shown]
	v_mov_b32_e32 v20, v114
	v_mov_b32_e32 v21, v115
	scratch_store_dwordx4 off, v[2:5], off offset:1028 ; 16-byte Folded Spill
	s_nop 0
	scratch_store_dwordx4 off, v[6:9], off offset:1044 ; 16-byte Folded Spill
	scratch_store_dwordx4 off, v[10:13], off offset:1060 ; 16-byte Folded Spill
	;; [unrolled: 1-line block ×7, first 2 shown]
	v_mov_b64_e32 v[136:137], v[22:23]
	v_mov_b64_e32 v[134:135], v[20:21]
	;; [unrolled: 1-line block ×3, first 2 shown]
	scratch_store_dwordx4 off, v[2:5], off offset:516 ; 16-byte Folded Spill
	s_nop 0
	scratch_store_dwordx4 off, v[6:9], off offset:532 ; 16-byte Folded Spill
	scratch_store_dwordx4 off, v[10:13], off offset:548 ; 16-byte Folded Spill
	;; [unrolled: 1-line block ×7, first 2 shown]
	ds_read_b32 v1, v187 offset:104
	v_mov_b32_e32 v88, v136
	v_mov_b32_e32 v89, v137
	;; [unrolled: 1-line block ×4, first 2 shown]
	s_waitcnt lgkmcnt(0)
	v_fma_f32 v186, -v0, v1, v241
	v_mov_b32_e32 v1, v53
	v_mov_b32_e32 v134, v114
	v_mov_b32_e32 v135, v115
	v_mov_b32_e32 v241, v186
	v_mov_b64_e32 v[156:157], v[16:17]
	v_mov_b64_e32 v[162:163], v[22:23]
	v_mov_b64_e32 v[154:155], v[14:15]
	v_mov_b64_e32 v[152:153], v[12:13]
	v_mov_b64_e32 v[150:151], v[10:11]
	v_mov_b64_e32 v[148:149], v[8:9]
	v_mov_b64_e32 v[146:147], v[6:7]
	v_mov_b64_e32 v[144:145], v[4:5]
	v_mov_b64_e32 v[142:143], v[2:3]
	v_mov_b64_e32 v[160:161], v[20:21]
	v_mov_b64_e32 v[158:159], v[18:19]
	v_mov_b32_e32 v9, v0
	v_mov_b32_e32 v0, v52
	;; [unrolled: 1-line block ×23, first 2 shown]
	scratch_store_dwordx4 off, v[0:3], off offset:388 ; 16-byte Folded Spill
	s_nop 0
	scratch_store_dwordx4 off, v[4:7], off offset:404 ; 16-byte Folded Spill
	scratch_store_dwordx4 off, v[8:11], off offset:420 ; 16-byte Folded Spill
	;; [unrolled: 1-line block ×7, first 2 shown]
	v_mov_b64_e32 v[16:17], v[158:159]
	v_mov_b32_e32 v136, v162
	v_mov_b32_e32 v137, v163
	v_mov_b64_e32 v[18:19], v[160:161]
	v_mov_b64_e32 v[20:21], v[162:163]
	v_mov_b32_e32 v160, v52
	v_mov_b32_e32 v161, v53
	;; [unrolled: 1-line block ×4, first 2 shown]
	scratch_store_dwordx4 off, v[52:55], off offset:3084 ; 16-byte Folded Spill
	s_nop 0
	scratch_store_dwordx4 off, v[56:59], off offset:3100 ; 16-byte Folded Spill
	scratch_store_dwordx4 off, v[60:63], off offset:3116 ; 16-byte Folded Spill
	;; [unrolled: 1-line block ×7, first 2 shown]
	v_mov_b64_e32 v[0:1], v[142:143]
	v_mov_b64_e32 v[2:3], v[144:145]
	;; [unrolled: 1-line block ×8, first 2 shown]
	v_mov_b32_e32 v150, v50
	v_mov_b32_e32 v148, v228
	;; [unrolled: 1-line block ×5, first 2 shown]
	scratch_store_dwordx4 off, v[40:43], off offset:2188 ; 16-byte Folded Spill
	s_nop 0
	scratch_store_dwordx4 off, v[44:47], off offset:2204 ; 16-byte Folded Spill
	scratch_store_dwordx4 off, v[48:51], off offset:2220 ; 16-byte Folded Spill
	;; [unrolled: 1-line block ×7, first 2 shown]
	v_mov_b32_e32 v58, v132
	v_mov_b32_e32 v59, v133
	;; [unrolled: 1-line block ×9, first 2 shown]
	v_mov_b64_e32 v[134:135], v[216:217]
	v_mov_b64_e32 v[136:137], v[218:219]
	;; [unrolled: 1-line block ×6, first 2 shown]
	v_mov_b32_e32 v149, v51
	v_mov_b64_e32 v[42:43], v[116:117]
	v_mov_b64_e32 v[44:45], v[118:119]
	v_mov_b64_e32 v[46:47], v[120:121]
	v_mov_b64_e32 v[48:49], v[122:123]
	v_mov_b64_e32 v[50:51], v[124:125]
	v_mov_b64_e32 v[52:53], v[126:127]
	v_mov_b64_e32 v[54:55], v[128:129]
	scratch_store_dwordx4 off, v[134:137], off offset:1796 ; 16-byte Folded Spill
	s_nop 0
	scratch_store_dwordx4 off, v[138:141], off offset:1812 ; 16-byte Folded Spill
	scratch_store_dwordx4 off, v[142:145], off offset:1828 ; 16-byte Folded Spill
	;; [unrolled: 1-line block ×7, first 2 shown]
	v_mov_b32_e32 v147, v229
	v_mov_b32_e32 v146, v38
	scratch_store_dwordx4 off, v[24:27], off offset:1540 ; 16-byte Folded Spill
	s_nop 0
	scratch_store_dwordx4 off, v[28:31], off offset:1556 ; 16-byte Folded Spill
	scratch_store_dwordx4 off, v[32:35], off offset:1572 ; 16-byte Folded Spill
	;; [unrolled: 1-line block ×7, first 2 shown]
	v_mov_b32_e32 v144, v214
	scratch_store_dwordx4 off, v[198:201], off offset:1412 ; 16-byte Folded Spill
	s_nop 0
	scratch_store_dwordx4 off, v[202:205], off offset:1428 ; 16-byte Folded Spill
	scratch_store_dwordx4 off, v[206:209], off offset:1444 ; 16-byte Folded Spill
	;; [unrolled: 1-line block ×7, first 2 shown]
	v_mov_b64_e32 v[56:57], v[130:131]
	v_mov_b32_e32 v142, v114
	v_mov_b64_e32 v[152:153], v[160:161]
	v_mov_b64_e32 v[154:155], v[162:163]
	;; [unrolled: 1-line block ×5, first 2 shown]
	v_mov_b32_e32 v117, v215
	v_mov_b64_e32 v[214:215], v[20:21]
	v_mov_b32_e32 v24, v214
	scratch_store_dwordx4 off, v[96:99], off offset:772 ; 16-byte Folded Spill
	s_nop 0
	scratch_store_dwordx4 off, v[100:103], off offset:788 ; 16-byte Folded Spill
	scratch_store_dwordx4 off, v[104:107], off offset:804 ; 16-byte Folded Spill
	;; [unrolled: 1-line block ×7, first 2 shown]
	v_mov_b64_e32 v[212:213], v[18:19]
	v_mov_b64_e32 v[210:211], v[16:17]
	scratch_store_dwordx4 off, v[4:7], off offset:4 ; 16-byte Folded Spill
	s_nop 0
	scratch_store_dwordx4 off, v[8:11], off offset:20 ; 16-byte Folded Spill
	scratch_store_dwordx4 off, v[12:15], off offset:36 ; 16-byte Folded Spill
	;; [unrolled: 1-line block ×7, first 2 shown]
	v_mov_b32_e32 v24, v90
	v_mov_b64_e32 v[162:163], v[170:171]
	v_mov_b64_e32 v[164:165], v[172:173]
	;; [unrolled: 1-line block ×3, first 2 shown]
	v_mov_b32_e32 v168, v176
	v_mov_b32_e32 v136, v210
	;; [unrolled: 1-line block ×19, first 2 shown]
	v_mov_b64_e32 v[134:135], v[14:15]
	v_mov_b64_e32 v[132:133], v[12:13]
	;; [unrolled: 1-line block ×8, first 2 shown]
	scratch_store_dwordx4 off, v[2:5], off offset:132 ; 16-byte Folded Spill
	s_nop 0
	scratch_store_dwordx4 off, v[6:9], off offset:148 ; 16-byte Folded Spill
	scratch_store_dwordx4 off, v[10:13], off offset:164 ; 16-byte Folded Spill
	;; [unrolled: 1-line block ×8, first 2 shown]
	s_nop 0
	scratch_store_dwordx4 off, v[72:75], off offset:276 ; 16-byte Folded Spill
	scratch_store_dwordx4 off, v[76:79], off offset:292 ; 16-byte Folded Spill
	;; [unrolled: 1-line block ×7, first 2 shown]
	v_mov_b32_e32 v105, v91
.LBB53_53:
	s_or_b64 exec, exec, s[2:3]
	v_cmp_eq_u32_e32 vcc, 10, v249
	s_waitcnt lgkmcnt(0)
	s_barrier
	s_and_saveexec_b64 s[2:3], vcc
	s_cbranch_execz .LBB53_56
; %bb.54:
	ds_write_b32 v246, v150
	ds_write2_b32 v187, v163, v164 offset0:11 offset1:12
	ds_write2_b32 v187, v165, v166 offset0:13 offset1:14
	;; [unrolled: 1-line block ×8, first 2 shown]
	ds_read_b32 v24, v246
	s_waitcnt lgkmcnt(0)
	v_cmp_neq_f32_e32 vcc, 0, v24
	s_and_b64 exec, exec, vcc
	s_cbranch_execz .LBB53_56
; %bb.55:
	v_div_scale_f32 v25, s[4:5], v24, v24, 1.0
	v_rcp_f32_e32 v26, v25
	v_div_scale_f32 v27, vcc, 1.0, v24, 1.0
	v_fma_f32 v28, -v25, v26, 1.0
	v_fmac_f32_e32 v26, v28, v26
	v_mul_f32_e32 v28, v27, v26
	v_fma_f32 v29, -v25, v28, v27
	v_fmac_f32_e32 v28, v29, v26
	v_fma_f32 v25, -v25, v28, v27
	v_div_fmas_f32 v25, v25, v26, v28
	v_div_fixup_f32 v24, v25, v24, 1.0
	ds_write_b32 v246, v24
.LBB53_56:
	s_or_b64 exec, exec, s[2:3]
	s_waitcnt lgkmcnt(0)
	s_barrier
	ds_read_b32 v191, v246
	v_cmp_lt_u32_e32 vcc, 10, v249
	s_and_saveexec_b64 s[2:3], vcc
	s_cbranch_execz .LBB53_58
; %bb.57:
	scratch_load_dwordx4 v[96:99], off, off offset:3084 ; 16-byte Folded Reload
	scratch_load_dwordx4 v[100:103], off, off offset:3100 ; 16-byte Folded Reload
	;; [unrolled: 1-line block ×8, first 2 shown]
	ds_read2_b32 v[0:1], v187 offset0:11 offset1:12
	ds_read2_b32 v[4:5], v187 offset0:13 offset1:14
	;; [unrolled: 1-line block ×4, first 2 shown]
	s_waitcnt vmcnt(5) lgkmcnt(4)
	v_mul_f32_e32 v106, v150, v191
	v_mov_b32_e32 v2, v163
	v_mov_b32_e32 v3, v164
	;; [unrolled: 1-line block ×9, first 2 shown]
	s_waitcnt lgkmcnt(3)
	v_pk_fma_f32 v[24:25], v[106:107], v[0:1], v[2:3] op_sel_hi:[0,1,1] neg_lo:[1,0,0] neg_hi:[1,0,0]
	v_mov_b32_e32 v0, v165
	v_mov_b32_e32 v1, v166
	s_waitcnt lgkmcnt(2)
	v_pk_fma_f32 v[26:27], v[106:107], v[4:5], v[0:1] op_sel_hi:[0,1,1] neg_lo:[1,0,0] neg_hi:[1,0,0]
	v_mov_b32_e32 v0, v167
	v_mov_b32_e32 v1, v168
	;; [unrolled: 4-line block ×3, first 2 shown]
	s_waitcnt lgkmcnt(0)
	v_pk_fma_f32 v[30:31], v[106:107], v[8:9], v[0:1] op_sel_hi:[0,1,1] neg_lo:[1,0,0] neg_hi:[1,0,0]
	ds_read2_b32 v[0:1], v187 offset0:19 offset1:20
	ds_read2_b32 v[4:5], v187 offset0:21 offset1:22
	;; [unrolled: 1-line block ×4, first 2 shown]
	v_mov_b32_e32 v2, v171
	v_mov_b32_e32 v3, v172
	;; [unrolled: 1-line block ×3, first 2 shown]
	s_waitcnt lgkmcnt(3)
	v_pk_fma_f32 v[32:33], v[106:107], v[0:1], v[2:3] op_sel_hi:[0,1,1] neg_lo:[1,0,0] neg_hi:[1,0,0]
	v_mov_b32_e32 v0, v173
	v_mov_b32_e32 v1, v174
	s_waitcnt lgkmcnt(2)
	v_pk_fma_f32 v[34:35], v[106:107], v[4:5], v[0:1] op_sel_hi:[0,1,1] neg_lo:[1,0,0] neg_hi:[1,0,0]
	v_mov_b32_e32 v0, v175
	v_mov_b32_e32 v1, v176
	;; [unrolled: 4-line block ×4, first 2 shown]
	v_mov_b32_e32 v2, v98
	v_mov_b32_e32 v3, v99
	;; [unrolled: 1-line block ×10, first 2 shown]
	scratch_store_dwordx4 off, v[0:3], off offset:1796 ; 16-byte Folded Spill
	s_nop 0
	scratch_store_dwordx4 off, v[4:7], off offset:1812 ; 16-byte Folded Spill
	scratch_store_dwordx4 off, v[8:11], off offset:1828 ; 16-byte Folded Spill
	scratch_store_dwordx4 off, v[12:15], off offset:1844 ; 16-byte Folded Spill
	scratch_store_dwordx4 off, v[16:19], off offset:1860 ; 16-byte Folded Spill
	scratch_store_dwordx4 off, v[20:23], off offset:1876 ; 16-byte Folded Spill
	scratch_store_dwordx4 off, v[24:27], off offset:1892 ; 16-byte Folded Spill
	scratch_store_dwordx4 off, v[28:31], off offset:1908 ; 16-byte Folded Spill
	v_mov_b32_e32 v212, v98
	v_mov_b32_e32 v213, v99
	;; [unrolled: 1-line block ×12, first 2 shown]
	s_waitcnt vmcnt(9)
	v_mov_b32_e32 v120, v96
	v_mov_b32_e32 v121, v97
	;; [unrolled: 1-line block ×4, first 2 shown]
	s_waitcnt vmcnt(8)
	v_mov_b32_e32 v124, v100
	v_mov_b32_e32 v125, v101
	;; [unrolled: 1-line block ×45, first 2 shown]
	scratch_store_dwordx4 off, v[0:3], off offset:1924 ; 16-byte Folded Spill
	s_nop 0
	scratch_store_dwordx4 off, v[4:7], off offset:1940 ; 16-byte Folded Spill
	scratch_store_dwordx4 off, v[8:11], off offset:1956 ; 16-byte Folded Spill
	scratch_store_dwordx4 off, v[12:15], off offset:1972 ; 16-byte Folded Spill
	scratch_store_dwordx4 off, v[16:19], off offset:1988 ; 16-byte Folded Spill
	scratch_store_dwordx4 off, v[20:23], off offset:2004 ; 16-byte Folded Spill
	scratch_store_dwordx4 off, v[24:27], off offset:2020 ; 16-byte Folded Spill
	scratch_store_dwordx4 off, v[28:31], off offset:2036 ; 16-byte Folded Spill
	v_mov_b32_e32 v14, v27
	scratch_store_dwordx4 off, v[0:3], off offset:1540 ; 16-byte Folded Spill
	s_nop 0
	scratch_store_dwordx4 off, v[4:7], off offset:1556 ; 16-byte Folded Spill
	scratch_store_dwordx4 off, v[8:11], off offset:1572 ; 16-byte Folded Spill
	scratch_store_dwordx4 off, v[12:15], off offset:1588 ; 16-byte Folded Spill
	scratch_store_dwordx4 off, v[16:19], off offset:1604 ; 16-byte Folded Spill
	scratch_store_dwordx4 off, v[20:23], off offset:1620 ; 16-byte Folded Spill
	scratch_store_dwordx4 off, v[24:27], off offset:1636 ; 16-byte Folded Spill
	scratch_store_dwordx4 off, v[28:31], off offset:1652 ; 16-byte Folded Spill
	v_mov_b32_e32 v15, v28
	;; [unrolled: 10-line block ×7, first 2 shown]
	v_mov_b32_e32 v21, v34
	v_mov_b32_e32 v131, v24
	;; [unrolled: 1-line block ×9, first 2 shown]
	scratch_store_dwordx4 off, v[0:3], off offset:516 ; 16-byte Folded Spill
	s_nop 0
	scratch_store_dwordx4 off, v[4:7], off offset:532 ; 16-byte Folded Spill
	scratch_store_dwordx4 off, v[8:11], off offset:548 ; 16-byte Folded Spill
	;; [unrolled: 1-line block ×7, first 2 shown]
	v_mov_b32_e32 v22, v35
	v_mov_b32_e32 v23, v36
	;; [unrolled: 1-line block ×10, first 2 shown]
	scratch_store_dwordx4 off, v[210:213], off offset:260 ; 16-byte Folded Spill
	s_nop 0
	scratch_store_dwordx4 off, v[214:217], off offset:276 ; 16-byte Folded Spill
	scratch_store_dwordx4 off, v[218:221], off offset:292 ; 16-byte Folded Spill
	scratch_store_dwordx4 off, v[222:225], off offset:308 ; 16-byte Folded Spill
	scratch_store_dwordx4 off, v[226:229], off offset:324 ; 16-byte Folded Spill
	scratch_store_dwordx4 off, v[230:233], off offset:340 ; 16-byte Folded Spill
	scratch_store_dwordx4 off, v[234:237], off offset:356 ; 16-byte Folded Spill
	scratch_store_dwordx4 off, v[238:241], off offset:372 ; 16-byte Folded Spill
	scratch_store_dwordx4 off, v[0:3], off offset:388 ; 16-byte Folded Spill
	s_nop 0
	scratch_store_dwordx4 off, v[4:7], off offset:404 ; 16-byte Folded Spill
	scratch_store_dwordx4 off, v[8:11], off offset:420 ; 16-byte Folded Spill
	scratch_store_dwordx4 off, v[12:15], off offset:436 ; 16-byte Folded Spill
	scratch_store_dwordx4 off, v[16:19], off offset:452 ; 16-byte Folded Spill
	scratch_store_dwordx4 off, v[20:23], off offset:468 ; 16-byte Folded Spill
	scratch_store_dwordx4 off, v[24:27], off offset:484 ; 16-byte Folded Spill
	scratch_store_dwordx4 off, v[28:31], off offset:500 ; 16-byte Folded Spill
	;; [unrolled: 9-line block ×4, first 2 shown]
	v_mov_b64_e32 v[240:241], v[38:39]
	v_mov_b32_e32 v105, v36
	v_mov_b32_e32 v53, v24
	;; [unrolled: 1-line block ×26, first 2 shown]
	scratch_store_dwordx4 off, v[4:7], off offset:4 ; 16-byte Folded Spill
	s_nop 0
	scratch_store_dwordx4 off, v[8:11], off offset:20 ; 16-byte Folded Spill
	scratch_store_dwordx4 off, v[12:15], off offset:36 ; 16-byte Folded Spill
	;; [unrolled: 1-line block ×7, first 2 shown]
	v_mov_b32_e32 v215, v34
	v_mov_b32_e32 v24, v35
	scratch_store_dwordx4 off, v[2:5], off offset:132 ; 16-byte Folded Spill
	s_nop 0
	scratch_store_dwordx4 off, v[6:9], off offset:148 ; 16-byte Folded Spill
	scratch_store_dwordx4 off, v[10:13], off offset:164 ; 16-byte Folded Spill
	;; [unrolled: 1-line block ×7, first 2 shown]
.LBB53_58:
	s_or_b64 exec, exec, s[2:3]
	v_cmp_eq_u32_e32 vcc, 11, v249
	s_waitcnt lgkmcnt(0)
	s_barrier
	s_and_saveexec_b64 s[2:3], vcc
	s_cbranch_execz .LBB53_61
; %bb.59:
	ds_write_b32 v246, v149
	ds_write2_b32 v187, v164, v165 offset0:12 offset1:13
	ds_write2_b32 v187, v166, v167 offset0:14 offset1:15
	;; [unrolled: 1-line block ×7, first 2 shown]
	s_waitcnt vmcnt(0)
	ds_write_b32 v187, v241 offset:104
	ds_read_b32 v24, v246
	s_waitcnt lgkmcnt(0)
	v_cmp_neq_f32_e32 vcc, 0, v24
	s_and_b64 exec, exec, vcc
	s_cbranch_execz .LBB53_61
; %bb.60:
	v_div_scale_f32 v25, s[4:5], v24, v24, 1.0
	v_rcp_f32_e32 v26, v25
	v_div_scale_f32 v27, vcc, 1.0, v24, 1.0
	v_fma_f32 v28, -v25, v26, 1.0
	v_fmac_f32_e32 v26, v28, v26
	v_mul_f32_e32 v28, v27, v26
	v_fma_f32 v29, -v25, v28, v27
	v_fmac_f32_e32 v28, v29, v26
	v_fma_f32 v25, -v25, v28, v27
	v_div_fmas_f32 v25, v25, v26, v28
	v_div_fixup_f32 v24, v25, v24, 1.0
	ds_write_b32 v246, v24
.LBB53_61:
	s_or_b64 exec, exec, s[2:3]
	s_waitcnt lgkmcnt(0)
	s_barrier
	ds_read_b32 v192, v246
	v_cmp_lt_u32_e32 vcc, 11, v249
	s_and_saveexec_b64 s[2:3], vcc
	s_cbranch_execz .LBB53_63
; %bb.62:
	ds_read2_b32 v[2:3], v187 offset0:12 offset1:13
	ds_read2_b32 v[4:5], v187 offset0:14 offset1:15
	;; [unrolled: 1-line block ×4, first 2 shown]
	s_waitcnt lgkmcnt(4)
	v_mul_f32_e32 v0, v149, v192
	s_waitcnt lgkmcnt(3)
	v_pk_fma_f32 v[14:15], v[0:1], v[2:3], v[164:165] op_sel_hi:[0,1,1] neg_lo:[1,0,0] neg_hi:[1,0,0]
	s_waitcnt lgkmcnt(2)
	v_pk_fma_f32 v[38:39], v[0:1], v[4:5], v[166:167] op_sel_hi:[0,1,1] neg_lo:[1,0,0] neg_hi:[1,0,0]
	;; [unrolled: 2-line block ×3, first 2 shown]
	ds_read2_b32 v[2:3], v187 offset0:20 offset1:21
	ds_read2_b32 v[4:5], v187 offset0:22 offset1:23
	;; [unrolled: 1-line block ×3, first 2 shown]
	s_waitcnt lgkmcnt(3)
	v_pk_fma_f32 v[114:115], v[0:1], v[8:9], v[170:171] op_sel_hi:[0,1,1] neg_lo:[1,0,0] neg_hi:[1,0,0]
	ds_read_b32 v1, v187 offset:104
	scratch_load_dwordx4 v[42:45], off, off offset:2188 ; 16-byte Folded Reload
	scratch_load_dwordx4 v[46:49], off, off offset:2204 ; 16-byte Folded Reload
	;; [unrolled: 1-line block ×8, first 2 shown]
	v_mov_b32_e32 v13, v0
	s_waitcnt vmcnt(1)
	v_mov_b64_e32 v[66:67], v[14:15]
	v_mov_b32_e32 v53, v0
	s_waitcnt lgkmcnt(0)
	v_pk_fma_f32 v[214:215], v[0:1], v[2:3], v[172:173] op_sel_hi:[0,1,1] neg_lo:[1,0,0] neg_hi:[1,0,0]
	v_pk_fma_f32 v[90:91], v[0:1], v[4:5], v[174:175] op_sel_hi:[0,1,1] neg_lo:[1,0,0] neg_hi:[1,0,0]
	;; [unrolled: 1-line block ×3, first 2 shown]
	v_mov_b32_e32 v35, v0
	v_mov_b32_e32 v227, v0
	;; [unrolled: 1-line block ×6, first 2 shown]
	v_fma_f32 v186, -v0, v1, v241
	v_mov_b32_e32 v171, v0
	v_mov_b32_e32 v36, v66
	;; [unrolled: 1-line block ×65, first 2 shown]
	v_mov_b64_e32 v[64:65], v[12:13]
	v_mov_b64_e32 v[62:63], v[10:11]
	;; [unrolled: 1-line block ×6, first 2 shown]
	scratch_store_dwordx4 off, v[2:5], off offset:1924 ; 16-byte Folded Spill
	s_nop 0
	scratch_store_dwordx4 off, v[6:9], off offset:1940 ; 16-byte Folded Spill
	scratch_store_dwordx4 off, v[10:13], off offset:1956 ; 16-byte Folded Spill
	;; [unrolled: 1-line block ×7, first 2 shown]
	v_mov_b32_e32 v24, v42
	v_mov_b32_e32 v25, v43
	;; [unrolled: 1-line block ×15, first 2 shown]
	s_waitcnt vmcnt(8)
	v_mov_b32_e32 v70, v44
	v_mov_b32_e32 v71, v45
	;; [unrolled: 1-line block ×40, first 2 shown]
	scratch_store_dwordx4 off, v[2:5], off offset:1668 ; 16-byte Folded Spill
	s_nop 0
	scratch_store_dwordx4 off, v[6:9], off offset:1684 ; 16-byte Folded Spill
	scratch_store_dwordx4 off, v[10:13], off offset:1700 ; 16-byte Folded Spill
	;; [unrolled: 1-line block ×7, first 2 shown]
	v_mov_b32_e32 v18, v232
	v_mov_b32_e32 v19, v233
	;; [unrolled: 1-line block ×27, first 2 shown]
	scratch_store_dwordx4 off, v[2:5], off offset:1284 ; 16-byte Folded Spill
	s_nop 0
	scratch_store_dwordx4 off, v[6:9], off offset:1300 ; 16-byte Folded Spill
	scratch_store_dwordx4 off, v[10:13], off offset:1316 ; 16-byte Folded Spill
	scratch_store_dwordx4 off, v[14:17], off offset:1332 ; 16-byte Folded Spill
	scratch_store_dwordx4 off, v[18:21], off offset:1348 ; 16-byte Folded Spill
	scratch_store_dwordx4 off, v[22:25], off offset:1364 ; 16-byte Folded Spill
	scratch_store_dwordx4 off, v[26:29], off offset:1380 ; 16-byte Folded Spill
	scratch_store_dwordx4 off, v[30:33], off offset:1396 ; 16-byte Folded Spill
	v_mov_b32_e32 v20, v114
	v_mov_b32_e32 v21, v115
	scratch_store_dwordx4 off, v[2:5], off offset:1028 ; 16-byte Folded Spill
	s_nop 0
	scratch_store_dwordx4 off, v[6:9], off offset:1044 ; 16-byte Folded Spill
	scratch_store_dwordx4 off, v[10:13], off offset:1060 ; 16-byte Folded Spill
	scratch_store_dwordx4 off, v[14:17], off offset:1076 ; 16-byte Folded Spill
	scratch_store_dwordx4 off, v[18:21], off offset:1092 ; 16-byte Folded Spill
	scratch_store_dwordx4 off, v[22:25], off offset:1108 ; 16-byte Folded Spill
	scratch_store_dwordx4 off, v[26:29], off offset:1124 ; 16-byte Folded Spill
	scratch_store_dwordx4 off, v[30:33], off offset:1140 ; 16-byte Folded Spill
	v_mov_b32_e32 v22, v214
	v_mov_b32_e32 v23, v215
	scratch_store_dwordx4 off, v[2:5], off offset:516 ; 16-byte Folded Spill
	s_nop 0
	scratch_store_dwordx4 off, v[6:9], off offset:532 ; 16-byte Folded Spill
	scratch_store_dwordx4 off, v[10:13], off offset:548 ; 16-byte Folded Spill
	scratch_store_dwordx4 off, v[14:17], off offset:564 ; 16-byte Folded Spill
	scratch_store_dwordx4 off, v[18:21], off offset:580 ; 16-byte Folded Spill
	scratch_store_dwordx4 off, v[22:25], off offset:596 ; 16-byte Folded Spill
	scratch_store_dwordx4 off, v[26:29], off offset:612 ; 16-byte Folded Spill
	scratch_store_dwordx4 off, v[30:33], off offset:628 ; 16-byte Folded Spill
	v_mov_b32_e32 v16, v232
	v_mov_b32_e32 v17, v233
	v_mov_b32_e32 v18, v114
	v_mov_b32_e32 v19, v115
	;; [unrolled: 1-line block ×6, first 2 shown]
	v_mov_b64_e32 v[152:153], v[12:13]
	v_mov_b64_e32 v[154:155], v[14:15]
	;; [unrolled: 1-line block ×7, first 2 shown]
	v_mov_b32_e32 v11, v0
	v_mov_b32_e32 v0, v42
	;; [unrolled: 1-line block ×15, first 2 shown]
	scratch_store_dwordx4 off, v[0:3], off offset:388 ; 16-byte Folded Spill
	s_nop 0
	scratch_store_dwordx4 off, v[4:7], off offset:404 ; 16-byte Folded Spill
	scratch_store_dwordx4 off, v[8:11], off offset:420 ; 16-byte Folded Spill
	;; [unrolled: 1-line block ×8, first 2 shown]
	s_nop 0
	scratch_store_dwordx4 off, v[46:49], off offset:2332 ; 16-byte Folded Spill
	scratch_store_dwordx4 off, v[50:53], off offset:2348 ; 16-byte Folded Spill
	;; [unrolled: 1-line block ×7, first 2 shown]
	v_mov_b64_e32 v[58:59], v[132:133]
	v_mov_b64_e32 v[60:61], v[134:135]
	;; [unrolled: 1-line block ×12, first 2 shown]
	v_mov_b32_e32 v128, v154
	v_mov_b32_e32 v129, v155
	v_mov_b64_e32 v[42:43], v[116:117]
	v_mov_b32_e32 v148, v146
	v_mov_b32_e32 v172, v154
	;; [unrolled: 1-line block ×3, first 2 shown]
	v_mov_b64_e32 v[44:45], v[118:119]
	v_mov_b64_e32 v[46:47], v[120:121]
	;; [unrolled: 1-line block ×6, first 2 shown]
	scratch_store_dwordx4 off, v[134:137], off offset:1796 ; 16-byte Folded Spill
	s_nop 0
	scratch_store_dwordx4 off, v[138:141], off offset:1812 ; 16-byte Folded Spill
	scratch_store_dwordx4 off, v[142:145], off offset:1828 ; 16-byte Folded Spill
	scratch_store_dwordx4 off, v[146:149], off offset:1844 ; 16-byte Folded Spill
	scratch_store_dwordx4 off, v[150:153], off offset:1860 ; 16-byte Folded Spill
	scratch_store_dwordx4 off, v[154:157], off offset:1876 ; 16-byte Folded Spill
	scratch_store_dwordx4 off, v[158:161], off offset:1892 ; 16-byte Folded Spill
	scratch_store_dwordx4 off, v[162:165], off offset:1908 ; 16-byte Folded Spill
	v_mov_b32_e32 v146, v38
	v_mov_b64_e32 v[56:57], v[130:131]
	v_mov_b64_e32 v[116:117], v[216:217]
	v_mov_b32_e32 v144, v232
	v_mov_b64_e32 v[118:119], v[218:219]
	v_mov_b64_e32 v[120:121], v[220:221]
	v_mov_b64_e32 v[122:123], v[222:223]
	v_mov_b64_e32 v[124:125], v[224:225]
	v_mov_b64_e32 v[126:127], v[226:227]
	scratch_store_dwordx4 off, v[24:27], off offset:1540 ; 16-byte Folded Spill
	s_nop 0
	scratch_store_dwordx4 off, v[28:31], off offset:1556 ; 16-byte Folded Spill
	scratch_store_dwordx4 off, v[32:35], off offset:1572 ; 16-byte Folded Spill
	;; [unrolled: 1-line block ×7, first 2 shown]
	v_mov_b64_e32 v[128:129], v[228:229]
	v_mov_b64_e32 v[130:131], v[230:231]
	v_mov_b32_e32 v24, v214
	v_mov_b32_e32 v240, v67
	v_mov_b64_e32 v[152:153], v[160:161]
	v_mov_b64_e32 v[154:155], v[162:163]
	v_mov_b64_e32 v[156:157], v[164:165]
	v_mov_b64_e32 v[158:159], v[166:167]
	v_mov_b64_e32 v[160:161], v[168:169]
	v_mov_b64_e32 v[162:163], v[170:171]
	v_mov_b64_e32 v[164:165], v[172:173]
	v_mov_b64_e32 v[166:167], v[174:175]
	v_mov_b32_e32 v168, v176
	v_mov_b32_e32 v169, v177
	;; [unrolled: 1-line block ×13, first 2 shown]
	scratch_store_dwordx4 off, v[116:119], off offset:1412 ; 16-byte Folded Spill
	s_nop 0
	scratch_store_dwordx4 off, v[120:123], off offset:1428 ; 16-byte Folded Spill
	scratch_store_dwordx4 off, v[124:127], off offset:1444 ; 16-byte Folded Spill
	;; [unrolled: 1-line block ×7, first 2 shown]
	v_mov_b32_e32 v117, v233
	v_mov_b32_e32 v142, v114
	v_mov_b32_e32 v136, v210
	v_mov_b32_e32 v137, v211
	v_mov_b32_e32 v138, v212
	v_mov_b32_e32 v139, v213
	v_mov_b32_e32 v140, v214
	scratch_store_dwordx4 off, v[96:99], off offset:772 ; 16-byte Folded Spill
	s_nop 0
	scratch_store_dwordx4 off, v[100:103], off offset:788 ; 16-byte Folded Spill
	scratch_store_dwordx4 off, v[104:107], off offset:804 ; 16-byte Folded Spill
	;; [unrolled: 1-line block ×8, first 2 shown]
	s_nop 0
	scratch_store_dwordx4 off, v[8:11], off offset:20 ; 16-byte Folded Spill
	scratch_store_dwordx4 off, v[12:15], off offset:36 ; 16-byte Folded Spill
	;; [unrolled: 1-line block ×7, first 2 shown]
	v_mov_b32_e32 v24, v90
	v_mov_b64_e32 v[120:121], v[194:195]
	v_mov_b64_e32 v[122:123], v[196:197]
	;; [unrolled: 1-line block ×8, first 2 shown]
	scratch_store_dwordx4 off, v[2:5], off offset:132 ; 16-byte Folded Spill
	s_nop 0
	scratch_store_dwordx4 off, v[6:9], off offset:148 ; 16-byte Folded Spill
	scratch_store_dwordx4 off, v[10:13], off offset:164 ; 16-byte Folded Spill
	;; [unrolled: 1-line block ×8, first 2 shown]
	s_nop 0
	scratch_store_dwordx4 off, v[72:75], off offset:276 ; 16-byte Folded Spill
	scratch_store_dwordx4 off, v[76:79], off offset:292 ; 16-byte Folded Spill
	;; [unrolled: 1-line block ×7, first 2 shown]
	v_mov_b32_e32 v67, v115
	v_mov_b32_e32 v105, v91
.LBB53_63:
	s_or_b64 exec, exec, s[2:3]
	v_cmp_eq_u32_e32 vcc, 12, v249
	s_waitcnt lgkmcnt(0)
	s_barrier
	s_and_saveexec_b64 s[2:3], vcc
	s_cbranch_execz .LBB53_66
; %bb.64:
	ds_write_b32 v246, v148
	ds_write2_b32 v187, v165, v166 offset0:13 offset1:14
	ds_write2_b32 v187, v167, v168 offset0:15 offset1:16
	;; [unrolled: 1-line block ×7, first 2 shown]
	ds_read_b32 v24, v246
	s_waitcnt lgkmcnt(0)
	v_cmp_neq_f32_e32 vcc, 0, v24
	s_and_b64 exec, exec, vcc
	s_cbranch_execz .LBB53_66
; %bb.65:
	v_div_scale_f32 v25, s[4:5], v24, v24, 1.0
	v_rcp_f32_e32 v26, v25
	v_div_scale_f32 v27, vcc, 1.0, v24, 1.0
	v_fma_f32 v28, -v25, v26, 1.0
	v_fmac_f32_e32 v26, v28, v26
	v_mul_f32_e32 v28, v27, v26
	v_fma_f32 v29, -v25, v28, v27
	v_fmac_f32_e32 v28, v29, v26
	v_fma_f32 v25, -v25, v28, v27
	v_div_fmas_f32 v25, v25, v26, v28
	v_div_fixup_f32 v24, v25, v24, 1.0
	ds_write_b32 v246, v24
.LBB53_66:
	s_or_b64 exec, exec, s[2:3]
	s_waitcnt lgkmcnt(0)
	s_barrier
	ds_read_b32 v193, v246
	v_cmp_lt_u32_e32 vcc, 12, v249
	s_and_saveexec_b64 s[2:3], vcc
	s_cbranch_execz .LBB53_68
; %bb.67:
	scratch_load_dwordx4 v[96:99], off, off offset:2316 ; 16-byte Folded Reload
	scratch_load_dwordx4 v[100:103], off, off offset:2332 ; 16-byte Folded Reload
	scratch_load_dwordx4 v[104:107], off, off offset:2348 ; 16-byte Folded Reload
	scratch_load_dwordx4 v[108:111], off, off offset:2364 ; 16-byte Folded Reload
	scratch_load_dwordx4 v[112:115], off, off offset:2380 ; 16-byte Folded Reload
	scratch_load_dwordx4 v[116:119], off, off offset:2396 ; 16-byte Folded Reload
	scratch_load_dwordx4 v[120:123], off, off offset:2412 ; 16-byte Folded Reload
	scratch_load_dwordx4 v[124:127], off, off offset:2428 ; 16-byte Folded Reload
	ds_read2_b32 v[0:1], v187 offset0:13 offset1:14
	ds_read2_b32 v[4:5], v187 offset0:15 offset1:16
	;; [unrolled: 1-line block ×4, first 2 shown]
	s_waitcnt vmcnt(4) lgkmcnt(4)
	v_mul_f32_e32 v108, v148, v193
	v_mov_b32_e32 v2, v165
	v_mov_b32_e32 v3, v166
	;; [unrolled: 1-line block ×10, first 2 shown]
	s_waitcnt lgkmcnt(3)
	v_pk_fma_f32 v[24:25], v[108:109], v[0:1], v[2:3] op_sel_hi:[0,1,1] neg_lo:[1,0,0] neg_hi:[1,0,0]
	v_mov_b32_e32 v0, v167
	v_mov_b32_e32 v1, v168
	s_waitcnt lgkmcnt(2)
	v_pk_fma_f32 v[26:27], v[108:109], v[4:5], v[0:1] op_sel_hi:[0,1,1] neg_lo:[1,0,0] neg_hi:[1,0,0]
	v_mov_b32_e32 v0, v169
	v_mov_b32_e32 v1, v170
	;; [unrolled: 4-line block ×3, first 2 shown]
	s_waitcnt lgkmcnt(0)
	v_pk_fma_f32 v[30:31], v[108:109], v[8:9], v[0:1] op_sel_hi:[0,1,1] neg_lo:[1,0,0] neg_hi:[1,0,0]
	ds_read2_b32 v[0:1], v187 offset0:21 offset1:22
	ds_read2_b32 v[4:5], v187 offset0:23 offset1:24
	ds_read2_b32 v[6:7], v187 offset0:25 offset1:26
	v_mov_b32_e32 v2, v173
	v_mov_b32_e32 v3, v174
	;; [unrolled: 1-line block ×3, first 2 shown]
	s_waitcnt lgkmcnt(2)
	v_pk_fma_f32 v[32:33], v[108:109], v[0:1], v[2:3] op_sel_hi:[0,1,1] neg_lo:[1,0,0] neg_hi:[1,0,0]
	v_mov_b32_e32 v0, v175
	v_mov_b32_e32 v1, v176
	s_waitcnt lgkmcnt(1)
	v_pk_fma_f32 v[34:35], v[108:109], v[4:5], v[0:1] op_sel_hi:[0,1,1] neg_lo:[1,0,0] neg_hi:[1,0,0]
	v_mov_b32_e32 v0, v177
	v_mov_b32_e32 v1, v178
	;; [unrolled: 4-line block ×3, first 2 shown]
	v_mov_b32_e32 v2, v98
	v_mov_b32_e32 v3, v99
	;; [unrolled: 1-line block ×11, first 2 shown]
	scratch_store_dwordx4 off, v[0:3], off offset:1540 ; 16-byte Folded Spill
	s_nop 0
	scratch_store_dwordx4 off, v[4:7], off offset:1556 ; 16-byte Folded Spill
	scratch_store_dwordx4 off, v[8:11], off offset:1572 ; 16-byte Folded Spill
	;; [unrolled: 1-line block ×7, first 2 shown]
	v_mov_b32_e32 v212, v98
	v_mov_b32_e32 v213, v99
	;; [unrolled: 1-line block ×12, first 2 shown]
	s_waitcnt vmcnt(9)
	v_mov_b32_e32 v120, v96
	v_mov_b32_e32 v121, v97
	;; [unrolled: 1-line block ×4, first 2 shown]
	s_waitcnt vmcnt(8)
	v_mov_b32_e32 v124, v100
	v_mov_b32_e32 v125, v101
	;; [unrolled: 1-line block ×43, first 2 shown]
	scratch_store_dwordx4 off, v[0:3], off offset:1668 ; 16-byte Folded Spill
	s_nop 0
	scratch_store_dwordx4 off, v[4:7], off offset:1684 ; 16-byte Folded Spill
	scratch_store_dwordx4 off, v[8:11], off offset:1700 ; 16-byte Folded Spill
	scratch_store_dwordx4 off, v[12:15], off offset:1716 ; 16-byte Folded Spill
	scratch_store_dwordx4 off, v[16:19], off offset:1732 ; 16-byte Folded Spill
	scratch_store_dwordx4 off, v[20:23], off offset:1748 ; 16-byte Folded Spill
	scratch_store_dwordx4 off, v[24:27], off offset:1764 ; 16-byte Folded Spill
	scratch_store_dwordx4 off, v[28:31], off offset:1780 ; 16-byte Folded Spill
	v_mov_b32_e32 v16, v27
	scratch_store_dwordx4 off, v[0:3], off offset:1412 ; 16-byte Folded Spill
	s_nop 0
	scratch_store_dwordx4 off, v[4:7], off offset:1428 ; 16-byte Folded Spill
	scratch_store_dwordx4 off, v[8:11], off offset:1444 ; 16-byte Folded Spill
	scratch_store_dwordx4 off, v[12:15], off offset:1460 ; 16-byte Folded Spill
	scratch_store_dwordx4 off, v[16:19], off offset:1476 ; 16-byte Folded Spill
	scratch_store_dwordx4 off, v[20:23], off offset:1492 ; 16-byte Folded Spill
	scratch_store_dwordx4 off, v[24:27], off offset:1508 ; 16-byte Folded Spill
	scratch_store_dwordx4 off, v[28:31], off offset:1524 ; 16-byte Folded Spill
	v_mov_b32_e32 v17, v28
	scratch_store_dwordx4 off, v[0:3], off offset:1284 ; 16-byte Folded Spill
	s_nop 0
	scratch_store_dwordx4 off, v[4:7], off offset:1300 ; 16-byte Folded Spill
	scratch_store_dwordx4 off, v[8:11], off offset:1316 ; 16-byte Folded Spill
	scratch_store_dwordx4 off, v[12:15], off offset:1332 ; 16-byte Folded Spill
	scratch_store_dwordx4 off, v[16:19], off offset:1348 ; 16-byte Folded Spill
	scratch_store_dwordx4 off, v[20:23], off offset:1364 ; 16-byte Folded Spill
	scratch_store_dwordx4 off, v[24:27], off offset:1380 ; 16-byte Folded Spill
	scratch_store_dwordx4 off, v[28:31], off offset:1396 ; 16-byte Folded Spill
	v_mov_b32_e32 v18, v29
	scratch_store_dwordx4 off, v[0:3], off offset:772 ; 16-byte Folded Spill
	s_nop 0
	scratch_store_dwordx4 off, v[4:7], off offset:788 ; 16-byte Folded Spill
	scratch_store_dwordx4 off, v[8:11], off offset:804 ; 16-byte Folded Spill
	scratch_store_dwordx4 off, v[12:15], off offset:820 ; 16-byte Folded Spill
	scratch_store_dwordx4 off, v[16:19], off offset:836 ; 16-byte Folded Spill
	scratch_store_dwordx4 off, v[20:23], off offset:852 ; 16-byte Folded Spill
	scratch_store_dwordx4 off, v[24:27], off offset:868 ; 16-byte Folded Spill
	scratch_store_dwordx4 off, v[28:31], off offset:884 ; 16-byte Folded Spill
	v_mov_b32_e32 v19, v30
	scratch_store_dwordx4 off, v[0:3], off offset:1028 ; 16-byte Folded Spill
	s_nop 0
	scratch_store_dwordx4 off, v[4:7], off offset:1044 ; 16-byte Folded Spill
	scratch_store_dwordx4 off, v[8:11], off offset:1060 ; 16-byte Folded Spill
	scratch_store_dwordx4 off, v[12:15], off offset:1076 ; 16-byte Folded Spill
	scratch_store_dwordx4 off, v[16:19], off offset:1092 ; 16-byte Folded Spill
	scratch_store_dwordx4 off, v[20:23], off offset:1108 ; 16-byte Folded Spill
	scratch_store_dwordx4 off, v[24:27], off offset:1124 ; 16-byte Folded Spill
	scratch_store_dwordx4 off, v[28:31], off offset:1140 ; 16-byte Folded Spill
	v_mov_b32_e32 v21, v32
	v_mov_b32_e32 v20, v31
	v_mov_b32_e32 v133, v24
	v_mov_b32_e32 v134, v25
	v_mov_b32_e32 v135, v26
	v_mov_b32_e32 v136, v27
	v_mov_b32_e32 v137, v28
	v_mov_b32_e32 v138, v29
	v_mov_b32_e32 v139, v30
	v_mov_b32_e32 v140, v31
	scratch_store_dwordx4 off, v[0:3], off offset:516 ; 16-byte Folded Spill
	s_nop 0
	scratch_store_dwordx4 off, v[4:7], off offset:532 ; 16-byte Folded Spill
	scratch_store_dwordx4 off, v[8:11], off offset:548 ; 16-byte Folded Spill
	;; [unrolled: 1-line block ×7, first 2 shown]
	v_mov_b32_e32 v22, v33
	v_mov_b32_e32 v23, v34
	;; [unrolled: 1-line block ×10, first 2 shown]
	scratch_store_dwordx4 off, v[210:213], off offset:260 ; 16-byte Folded Spill
	s_nop 0
	scratch_store_dwordx4 off, v[214:217], off offset:276 ; 16-byte Folded Spill
	scratch_store_dwordx4 off, v[218:221], off offset:292 ; 16-byte Folded Spill
	scratch_store_dwordx4 off, v[222:225], off offset:308 ; 16-byte Folded Spill
	scratch_store_dwordx4 off, v[226:229], off offset:324 ; 16-byte Folded Spill
	scratch_store_dwordx4 off, v[230:233], off offset:340 ; 16-byte Folded Spill
	scratch_store_dwordx4 off, v[234:237], off offset:356 ; 16-byte Folded Spill
	scratch_store_dwordx4 off, v[238:241], off offset:372 ; 16-byte Folded Spill
	scratch_store_dwordx4 off, v[0:3], off offset:388 ; 16-byte Folded Spill
	s_nop 0
	scratch_store_dwordx4 off, v[4:7], off offset:404 ; 16-byte Folded Spill
	scratch_store_dwordx4 off, v[8:11], off offset:420 ; 16-byte Folded Spill
	scratch_store_dwordx4 off, v[12:15], off offset:436 ; 16-byte Folded Spill
	scratch_store_dwordx4 off, v[16:19], off offset:452 ; 16-byte Folded Spill
	scratch_store_dwordx4 off, v[20:23], off offset:468 ; 16-byte Folded Spill
	scratch_store_dwordx4 off, v[24:27], off offset:484 ; 16-byte Folded Spill
	scratch_store_dwordx4 off, v[28:31], off offset:500 ; 16-byte Folded Spill
	;; [unrolled: 9-line block ×4, first 2 shown]
	v_mov_b64_e32 v[240:241], v[36:37]
	v_mov_b32_e32 v55, v24
	v_mov_b32_e32 v165, v24
	;; [unrolled: 1-line block ×24, first 2 shown]
	scratch_store_dwordx4 off, v[4:7], off offset:4 ; 16-byte Folded Spill
	s_nop 0
	scratch_store_dwordx4 off, v[8:11], off offset:20 ; 16-byte Folded Spill
	scratch_store_dwordx4 off, v[12:15], off offset:36 ; 16-byte Folded Spill
	;; [unrolled: 1-line block ×7, first 2 shown]
	v_mov_b32_e32 v215, v32
	v_mov_b32_e32 v24, v33
	;; [unrolled: 1-line block ×4, first 2 shown]
	scratch_store_dwordx4 off, v[2:5], off offset:132 ; 16-byte Folded Spill
	s_nop 0
	scratch_store_dwordx4 off, v[6:9], off offset:148 ; 16-byte Folded Spill
	scratch_store_dwordx4 off, v[10:13], off offset:164 ; 16-byte Folded Spill
	;; [unrolled: 1-line block ×7, first 2 shown]
.LBB53_68:
	s_or_b64 exec, exec, s[2:3]
	v_cmp_eq_u32_e32 vcc, 13, v249
	s_waitcnt lgkmcnt(0)
	s_barrier
	s_and_saveexec_b64 s[2:3], vcc
	s_cbranch_execz .LBB53_71
; %bb.69:
	ds_write_b32 v246, v147
	ds_write2_b32 v187, v166, v167 offset0:14 offset1:15
	ds_write2_b32 v187, v168, v169 offset0:16 offset1:17
	;; [unrolled: 1-line block ×6, first 2 shown]
	s_waitcnt vmcnt(0)
	ds_write_b32 v187, v241 offset:104
	ds_read_b32 v24, v246
	s_waitcnt lgkmcnt(0)
	v_cmp_neq_f32_e32 vcc, 0, v24
	s_and_b64 exec, exec, vcc
	s_cbranch_execz .LBB53_71
; %bb.70:
	v_div_scale_f32 v25, s[4:5], v24, v24, 1.0
	v_rcp_f32_e32 v26, v25
	v_div_scale_f32 v27, vcc, 1.0, v24, 1.0
	v_fma_f32 v28, -v25, v26, 1.0
	v_fmac_f32_e32 v26, v28, v26
	v_mul_f32_e32 v28, v27, v26
	v_fma_f32 v29, -v25, v28, v27
	v_fmac_f32_e32 v28, v29, v26
	v_fma_f32 v25, -v25, v28, v27
	v_div_fmas_f32 v25, v25, v26, v28
	v_div_fixup_f32 v24, v25, v24, 1.0
	ds_write_b32 v246, v24
.LBB53_71:
	s_or_b64 exec, exec, s[2:3]
	s_waitcnt lgkmcnt(0)
	s_barrier
	ds_read_b32 v252, v246
	v_cmp_lt_u32_e32 vcc, 13, v249
	s_and_saveexec_b64 s[2:3], vcc
	s_cbranch_execz .LBB53_73
; %bb.72:
	ds_read2_b32 v[2:3], v187 offset0:14 offset1:15
	ds_read2_b32 v[4:5], v187 offset0:16 offset1:17
	;; [unrolled: 1-line block ×4, first 2 shown]
	s_waitcnt lgkmcnt(4)
	v_mul_f32_e32 v0, v147, v252
	v_mov_b32_e32 v147, v0
	s_waitcnt lgkmcnt(3)
	v_pk_fma_f32 v[38:39], v[0:1], v[2:3], v[166:167] op_sel_hi:[0,1,1] neg_lo:[1,0,0] neg_hi:[1,0,0]
	s_waitcnt lgkmcnt(2)
	v_pk_fma_f32 v[132:133], v[0:1], v[4:5], v[168:169] op_sel_hi:[0,1,1] neg_lo:[1,0,0] neg_hi:[1,0,0]
	ds_read2_b32 v[2:3], v187 offset0:22 offset1:23
	ds_read2_b32 v[4:5], v187 offset0:24 offset1:25
	s_waitcnt lgkmcnt(3)
	v_pk_fma_f32 v[114:115], v[0:1], v[6:7], v[170:171] op_sel_hi:[0,1,1] neg_lo:[1,0,0] neg_hi:[1,0,0]
	s_waitcnt vmcnt(2) lgkmcnt(2)
	v_pk_fma_f32 v[88:89], v[0:1], v[8:9], v[172:173] op_sel_hi:[0,1,1] neg_lo:[1,0,0] neg_hi:[1,0,0]
	ds_read_b32 v1, v187 offset:104
	v_mov_b32_e32 v37, v0
	v_mov_b32_e32 v129, v0
	;; [unrolled: 1-line block ×4, first 2 shown]
	s_waitcnt lgkmcnt(0)
	v_pk_fma_f32 v[238:239], v[0:1], v[2:3], v[174:175] op_sel_hi:[0,1,1] neg_lo:[1,0,0] neg_hi:[1,0,0]
	v_pk_fma_f32 v[66:67], v[0:1], v[4:5], v[176:177] op_sel_hi:[0,1,1] neg_lo:[1,0,0] neg_hi:[1,0,0]
	scratch_load_dwordx4 v[2:5], off, off offset:1796 ; 16-byte Folded Reload
	scratch_load_dwordx4 v[6:9], off, off offset:1812 ; 16-byte Folded Reload
	;; [unrolled: 1-line block ×8, first 2 shown]
	s_waitcnt vmcnt(4)
	v_mov_b32_e32 v15, v0
	v_mov_b32_e32 v16, v38
	;; [unrolled: 1-line block ×5, first 2 shown]
	v_fma_f32 v186, -v0, v1, v241
	v_mov_b32_e32 v173, v0
	v_mov_b32_e32 v130, v38
	;; [unrolled: 1-line block ×46, first 2 shown]
	v_mov_b64_e32 v[144:145], v[12:13]
	v_mov_b64_e32 v[142:143], v[10:11]
	;; [unrolled: 1-line block ×6, first 2 shown]
	s_waitcnt vmcnt(2)
	v_mov_b32_e32 v24, v134
	v_mov_b32_e32 v25, v135
	s_waitcnt vmcnt(1)
	v_mov_b32_e32 v26, v136
	v_mov_b32_e32 v27, v137
	;; [unrolled: 1-line block ×4, first 2 shown]
	s_waitcnt vmcnt(0)
	v_mov_b32_e32 v30, v140
	v_mov_b32_e32 v31, v141
	;; [unrolled: 1-line block ×6, first 2 shown]
	scratch_store_dwordx4 off, v[2:5], off offset:1668 ; 16-byte Folded Spill
	s_nop 0
	scratch_store_dwordx4 off, v[6:9], off offset:1684 ; 16-byte Folded Spill
	scratch_store_dwordx4 off, v[10:13], off offset:1700 ; 16-byte Folded Spill
	;; [unrolled: 1-line block ×7, first 2 shown]
	v_mov_b32_e32 v18, v132
	v_mov_b32_e32 v19, v133
	;; [unrolled: 1-line block ×73, first 2 shown]
	scratch_store_dwordx4 off, v[2:5], off offset:1284 ; 16-byte Folded Spill
	s_nop 0
	scratch_store_dwordx4 off, v[6:9], off offset:1300 ; 16-byte Folded Spill
	scratch_store_dwordx4 off, v[10:13], off offset:1316 ; 16-byte Folded Spill
	;; [unrolled: 1-line block ×7, first 2 shown]
	v_mov_b32_e32 v20, v114
	v_mov_b32_e32 v21, v115
	;; [unrolled: 1-line block ×10, first 2 shown]
	scratch_store_dwordx4 off, v[2:5], off offset:1028 ; 16-byte Folded Spill
	s_nop 0
	scratch_store_dwordx4 off, v[6:9], off offset:1044 ; 16-byte Folded Spill
	scratch_store_dwordx4 off, v[10:13], off offset:1060 ; 16-byte Folded Spill
	;; [unrolled: 1-line block ×7, first 2 shown]
	v_mov_b32_e32 v22, v88
	v_mov_b32_e32 v23, v89
	;; [unrolled: 1-line block ×3, first 2 shown]
	scratch_store_dwordx4 off, v[2:5], off offset:516 ; 16-byte Folded Spill
	s_nop 0
	scratch_store_dwordx4 off, v[6:9], off offset:532 ; 16-byte Folded Spill
	scratch_store_dwordx4 off, v[10:13], off offset:548 ; 16-byte Folded Spill
	scratch_store_dwordx4 off, v[14:17], off offset:564 ; 16-byte Folded Spill
	scratch_store_dwordx4 off, v[18:21], off offset:580 ; 16-byte Folded Spill
	scratch_store_dwordx4 off, v[22:25], off offset:596 ; 16-byte Folded Spill
	scratch_store_dwordx4 off, v[26:29], off offset:612 ; 16-byte Folded Spill
	scratch_store_dwordx4 off, v[30:33], off offset:628 ; 16-byte Folded Spill
	v_mov_b32_e32 v13, v0
	v_mov_b32_e32 v0, v134
	v_mov_b32_e32 v2, v136
	v_mov_b32_e32 v3, v137
	v_mov_b32_e32 v4, v138
	v_mov_b32_e32 v5, v139
	v_mov_b32_e32 v6, v140
	v_mov_b32_e32 v7, v141
	v_mov_b32_e32 v8, v142
	v_mov_b32_e32 v9, v143
	v_mov_b32_e32 v10, v144
	v_mov_b32_e32 v11, v145
	v_mov_b32_e32 v15, v39
	v_mov_b32_e32 v16, v132
	v_mov_b32_e32 v17, v133
	v_mov_b32_e32 v18, v114
	v_mov_b32_e32 v19, v115
	v_mov_b32_e32 v20, v88
	v_mov_b32_e32 v21, v89
	v_mov_b32_e32 v22, v238
	v_mov_b32_e32 v23, v239
	v_mov_b32_e32 v228, v14
	v_mov_b32_e32 v12, v14
	v_mov_b32_e32 v14, v38
	scratch_store_dwordx4 off, v[0:3], off offset:388 ; 16-byte Folded Spill
	s_nop 0
	scratch_store_dwordx4 off, v[4:7], off offset:404 ; 16-byte Folded Spill
	scratch_store_dwordx4 off, v[8:11], off offset:420 ; 16-byte Folded Spill
	;; [unrolled: 1-line block ×8, first 2 shown]
	s_nop 0
	scratch_store_dwordx4 off, v[138:141], off offset:1940 ; 16-byte Folded Spill
	scratch_store_dwordx4 off, v[142:145], off offset:1956 ; 16-byte Folded Spill
	;; [unrolled: 1-line block ×7, first 2 shown]
	v_mov_b32_e32 v146, v38
	v_mov_b32_e32 v144, v132
	scratch_store_dwordx4 off, v[24:27], off offset:1540 ; 16-byte Folded Spill
	s_nop 0
	scratch_store_dwordx4 off, v[28:31], off offset:1556 ; 16-byte Folded Spill
	scratch_store_dwordx4 off, v[32:35], off offset:1572 ; 16-byte Folded Spill
	;; [unrolled: 1-line block ×7, first 2 shown]
	v_mov_b32_e32 v24, v88
	v_mov_b64_e32 v[152:153], v[160:161]
	v_mov_b64_e32 v[154:155], v[162:163]
	v_mov_b64_e32 v[156:157], v[164:165]
	v_mov_b64_e32 v[158:159], v[166:167]
	v_mov_b64_e32 v[160:161], v[168:169]
	v_mov_b64_e32 v[162:163], v[170:171]
	v_mov_b64_e32 v[164:165], v[172:173]
	v_mov_b64_e32 v[166:167], v[174:175]
	v_mov_b32_e32 v168, v176
	v_mov_b32_e32 v169, v177
	;; [unrolled: 1-line block ×13, first 2 shown]
	scratch_store_dwordx4 off, v[116:119], off offset:1412 ; 16-byte Folded Spill
	s_nop 0
	scratch_store_dwordx4 off, v[120:123], off offset:1428 ; 16-byte Folded Spill
	scratch_store_dwordx4 off, v[124:127], off offset:1444 ; 16-byte Folded Spill
	scratch_store_dwordx4 off, v[128:131], off offset:1460 ; 16-byte Folded Spill
	scratch_store_dwordx4 off, v[132:135], off offset:1476 ; 16-byte Folded Spill
	scratch_store_dwordx4 off, v[136:139], off offset:1492 ; 16-byte Folded Spill
	scratch_store_dwordx4 off, v[140:143], off offset:1508 ; 16-byte Folded Spill
	scratch_store_dwordx4 off, v[144:147], off offset:1524 ; 16-byte Folded Spill
	v_mov_b32_e32 v117, v133
	v_mov_b32_e32 v142, v114
	scratch_store_dwordx4 off, v[96:99], off offset:772 ; 16-byte Folded Spill
	s_nop 0
	scratch_store_dwordx4 off, v[100:103], off offset:788 ; 16-byte Folded Spill
	scratch_store_dwordx4 off, v[104:107], off offset:804 ; 16-byte Folded Spill
	;; [unrolled: 1-line block ×8, first 2 shown]
	s_nop 0
	scratch_store_dwordx4 off, v[8:11], off offset:20 ; 16-byte Folded Spill
	scratch_store_dwordx4 off, v[12:15], off offset:36 ; 16-byte Folded Spill
	;; [unrolled: 1-line block ×7, first 2 shown]
	v_mov_b32_e32 v24, v238
	v_mov_b64_e32 v[134:135], v[82:83]
	v_mov_b32_e32 v140, v88
	v_mov_b64_e32 v[132:133], v[80:81]
	v_mov_b64_e32 v[130:131], v[78:79]
	;; [unrolled: 1-line block ×7, first 2 shown]
	v_mov_b32_e32 v139, v87
	v_mov_b32_e32 v138, v86
	;; [unrolled: 1-line block ×4, first 2 shown]
	scratch_store_dwordx4 off, v[2:5], off offset:132 ; 16-byte Folded Spill
	s_nop 0
	scratch_store_dwordx4 off, v[6:9], off offset:148 ; 16-byte Folded Spill
	scratch_store_dwordx4 off, v[10:13], off offset:164 ; 16-byte Folded Spill
	;; [unrolled: 1-line block ×8, first 2 shown]
	s_nop 0
	scratch_store_dwordx4 off, v[220:223], off offset:276 ; 16-byte Folded Spill
	scratch_store_dwordx4 off, v[224:227], off offset:292 ; 16-byte Folded Spill
	;; [unrolled: 1-line block ×7, first 2 shown]
	v_mov_b32_e32 v67, v115
	v_mov_b32_e32 v105, v239
.LBB53_73:
	s_or_b64 exec, exec, s[2:3]
	s_waitcnt lgkmcnt(0)
	s_barrier
	v_cmp_eq_u32_e32 vcc, 14, v249
	s_mov_b64 s[2:3], exec
	s_and_b64 s[4:5], s[2:3], vcc
	s_waitcnt vmcnt(0)
	v_mov_b64_e32 v[30:31], v[240:241]
	s_mov_b64 exec, s[4:5]
	s_cbranch_execz .LBB53_76
; %bb.74:
	ds_write_b32 v246, v146
	ds_write2_b32 v187, v167, v168 offset0:15 offset1:16
	ds_write2_b32 v187, v169, v170 offset0:17 offset1:18
	;; [unrolled: 1-line block ×6, first 2 shown]
	ds_read_b32 v24, v246
	s_waitcnt lgkmcnt(0)
	v_cmp_neq_f32_e32 vcc, 0, v24
	s_and_b64 exec, exec, vcc
	s_cbranch_execz .LBB53_76
; %bb.75:
	v_div_scale_f32 v25, s[4:5], v24, v24, 1.0
	v_rcp_f32_e32 v26, v25
	v_div_scale_f32 v27, vcc, 1.0, v24, 1.0
	v_fma_f32 v28, -v25, v26, 1.0
	v_fmac_f32_e32 v26, v28, v26
	v_mul_f32_e32 v28, v27, v26
	v_fma_f32 v29, -v25, v28, v27
	v_fmac_f32_e32 v28, v29, v26
	v_fma_f32 v25, -v25, v28, v27
	v_div_fmas_f32 v25, v25, v26, v28
	v_div_fixup_f32 v24, v25, v24, 1.0
	ds_write_b32 v246, v24
.LBB53_76:
	s_or_b64 exec, exec, s[2:3]
	s_waitcnt lgkmcnt(0)
	s_barrier
	ds_read_b32 v253, v246
	v_cmp_lt_u32_e32 vcc, 14, v249
	s_and_saveexec_b64 s[2:3], vcc
	s_cbranch_execz .LBB53_78
; %bb.77:
	scratch_load_dwordx4 v[96:99], off, off offset:1924 ; 16-byte Folded Reload
	scratch_load_dwordx4 v[100:103], off, off offset:1940 ; 16-byte Folded Reload
	;; [unrolled: 1-line block ×8, first 2 shown]
	ds_read2_b32 v[0:1], v187 offset0:15 offset1:16
	ds_read2_b32 v[4:5], v187 offset0:17 offset1:18
	ds_read2_b32 v[6:7], v187 offset0:19 offset1:20
	ds_read2_b32 v[8:9], v187 offset0:21 offset1:22
	s_waitcnt vmcnt(4) lgkmcnt(4)
	v_mul_f32_e32 v110, v146, v253
	v_mov_b32_e32 v2, v167
	v_mov_b32_e32 v3, v168
	;; [unrolled: 1-line block ×10, first 2 shown]
	s_waitcnt lgkmcnt(3)
	v_pk_fma_f32 v[24:25], v[110:111], v[0:1], v[2:3] op_sel_hi:[0,1,1] neg_lo:[1,0,0] neg_hi:[1,0,0]
	v_mov_b32_e32 v0, v169
	v_mov_b32_e32 v1, v170
	ds_read2_b32 v[2:3], v187 offset0:23 offset1:24
	s_waitcnt lgkmcnt(3)
	v_pk_fma_f32 v[26:27], v[110:111], v[4:5], v[0:1] op_sel_hi:[0,1,1] neg_lo:[1,0,0] neg_hi:[1,0,0]
	ds_read2_b32 v[4:5], v187 offset0:25 offset1:26
	v_mov_b32_e32 v0, v171
	v_mov_b32_e32 v1, v172
	s_waitcnt lgkmcnt(3)
	v_pk_fma_f32 v[28:29], v[110:111], v[6:7], v[0:1] op_sel_hi:[0,1,1] neg_lo:[1,0,0] neg_hi:[1,0,0]
	v_mov_b32_e32 v0, v173
	v_mov_b32_e32 v1, v174
	s_waitcnt lgkmcnt(2)
	v_pk_fma_f32 v[30:31], v[110:111], v[8:9], v[0:1] op_sel_hi:[0,1,1] neg_lo:[1,0,0] neg_hi:[1,0,0]
	;; [unrolled: 4-line block ×4, first 2 shown]
	v_mov_b32_e32 v0, v96
	v_mov_b32_e32 v1, v97
	;; [unrolled: 1-line block ×16, first 2 shown]
	scratch_store_dwordx4 off, v[0:3], off offset:1412 ; 16-byte Folded Spill
	s_nop 0
	scratch_store_dwordx4 off, v[4:7], off offset:1428 ; 16-byte Folded Spill
	scratch_store_dwordx4 off, v[8:11], off offset:1444 ; 16-byte Folded Spill
	;; [unrolled: 1-line block ×7, first 2 shown]
	v_mov_b32_e32 v212, v98
	v_mov_b32_e32 v213, v99
	;; [unrolled: 1-line block ×12, first 2 shown]
	s_waitcnt vmcnt(9)
	v_mov_b32_e32 v120, v96
	v_mov_b32_e32 v121, v97
	;; [unrolled: 1-line block ×4, first 2 shown]
	s_waitcnt vmcnt(8)
	v_mov_b32_e32 v124, v100
	v_mov_b32_e32 v125, v101
	;; [unrolled: 1-line block ×45, first 2 shown]
	scratch_store_dwordx4 off, v[0:3], off offset:1284 ; 16-byte Folded Spill
	s_nop 0
	scratch_store_dwordx4 off, v[4:7], off offset:1300 ; 16-byte Folded Spill
	scratch_store_dwordx4 off, v[8:11], off offset:1316 ; 16-byte Folded Spill
	scratch_store_dwordx4 off, v[12:15], off offset:1332 ; 16-byte Folded Spill
	scratch_store_dwordx4 off, v[16:19], off offset:1348 ; 16-byte Folded Spill
	scratch_store_dwordx4 off, v[20:23], off offset:1364 ; 16-byte Folded Spill
	scratch_store_dwordx4 off, v[24:27], off offset:1380 ; 16-byte Folded Spill
	scratch_store_dwordx4 off, v[28:31], off offset:1396 ; 16-byte Folded Spill
	v_mov_b32_e32 v18, v27
	scratch_store_dwordx4 off, v[0:3], off offset:772 ; 16-byte Folded Spill
	s_nop 0
	scratch_store_dwordx4 off, v[4:7], off offset:788 ; 16-byte Folded Spill
	scratch_store_dwordx4 off, v[8:11], off offset:804 ; 16-byte Folded Spill
	scratch_store_dwordx4 off, v[12:15], off offset:820 ; 16-byte Folded Spill
	scratch_store_dwordx4 off, v[16:19], off offset:836 ; 16-byte Folded Spill
	scratch_store_dwordx4 off, v[20:23], off offset:852 ; 16-byte Folded Spill
	scratch_store_dwordx4 off, v[24:27], off offset:868 ; 16-byte Folded Spill
	scratch_store_dwordx4 off, v[28:31], off offset:884 ; 16-byte Folded Spill
	v_mov_b32_e32 v19, v28
	;; [unrolled: 10-line block ×3, first 2 shown]
	v_mov_b32_e32 v21, v30
	v_mov_b32_e32 v135, v24
	;; [unrolled: 1-line block ×7, first 2 shown]
	scratch_store_dwordx4 off, v[0:3], off offset:516 ; 16-byte Folded Spill
	s_nop 0
	scratch_store_dwordx4 off, v[4:7], off offset:532 ; 16-byte Folded Spill
	scratch_store_dwordx4 off, v[8:11], off offset:548 ; 16-byte Folded Spill
	;; [unrolled: 1-line block ×7, first 2 shown]
	v_mov_b32_e32 v23, v32
	v_mov_b32_e32 v225, v24
	;; [unrolled: 1-line block ×10, first 2 shown]
	scratch_store_dwordx4 off, v[210:213], off offset:260 ; 16-byte Folded Spill
	s_nop 0
	scratch_store_dwordx4 off, v[214:217], off offset:276 ; 16-byte Folded Spill
	scratch_store_dwordx4 off, v[218:221], off offset:292 ; 16-byte Folded Spill
	scratch_store_dwordx4 off, v[222:225], off offset:308 ; 16-byte Folded Spill
	scratch_store_dwordx4 off, v[226:229], off offset:324 ; 16-byte Folded Spill
	scratch_store_dwordx4 off, v[230:233], off offset:340 ; 16-byte Folded Spill
	scratch_store_dwordx4 off, v[234:237], off offset:356 ; 16-byte Folded Spill
	scratch_store_dwordx4 off, v[238:241], off offset:372 ; 16-byte Folded Spill
	scratch_store_dwordx4 off, v[0:3], off offset:388 ; 16-byte Folded Spill
	s_nop 0
	scratch_store_dwordx4 off, v[4:7], off offset:404 ; 16-byte Folded Spill
	scratch_store_dwordx4 off, v[8:11], off offset:420 ; 16-byte Folded Spill
	scratch_store_dwordx4 off, v[12:15], off offset:436 ; 16-byte Folded Spill
	scratch_store_dwordx4 off, v[16:19], off offset:452 ; 16-byte Folded Spill
	scratch_store_dwordx4 off, v[20:23], off offset:468 ; 16-byte Folded Spill
	scratch_store_dwordx4 off, v[24:27], off offset:484 ; 16-byte Folded Spill
	scratch_store_dwordx4 off, v[28:31], off offset:500 ; 16-byte Folded Spill
	;; [unrolled: 9-line block ×4, first 2 shown]
	v_mov_b32_e32 v57, v24
	v_mov_b32_e32 v167, v24
	;; [unrolled: 1-line block ×22, first 2 shown]
	scratch_store_dwordx4 off, v[4:7], off offset:4 ; 16-byte Folded Spill
	s_nop 0
	scratch_store_dwordx4 off, v[8:11], off offset:20 ; 16-byte Folded Spill
	scratch_store_dwordx4 off, v[12:15], off offset:36 ; 16-byte Folded Spill
	;; [unrolled: 1-line block ×7, first 2 shown]
	v_mov_b32_e32 v215, v30
	v_mov_b32_e32 v24, v31
	v_mov_b64_e32 v[30:31], v[34:35]
	scratch_store_dwordx4 off, v[2:5], off offset:132 ; 16-byte Folded Spill
	s_nop 0
	scratch_store_dwordx4 off, v[6:9], off offset:148 ; 16-byte Folded Spill
	scratch_store_dwordx4 off, v[10:13], off offset:164 ; 16-byte Folded Spill
	;; [unrolled: 1-line block ×7, first 2 shown]
	v_mov_b32_e32 v105, v32
	v_mov_b32_e32 v180, v33
.LBB53_78:
	s_or_b64 exec, exec, s[2:3]
	v_cmp_eq_u32_e32 vcc, 15, v249
	s_waitcnt lgkmcnt(0)
	s_barrier
	s_and_saveexec_b64 s[2:3], vcc
	s_cbranch_execz .LBB53_81
; %bb.79:
	ds_write_b32 v246, v141
	ds_write2_b32 v187, v168, v169 offset0:16 offset1:17
	ds_write2_b32 v187, v170, v171 offset0:18 offset1:19
	;; [unrolled: 1-line block ×5, first 2 shown]
	ds_write_b32 v187, v31 offset:104
	ds_read_b32 v24, v246
	s_waitcnt lgkmcnt(0)
	v_cmp_neq_f32_e32 vcc, 0, v24
	s_and_b64 exec, exec, vcc
	s_cbranch_execz .LBB53_81
; %bb.80:
	v_div_scale_f32 v25, s[4:5], v24, v24, 1.0
	v_rcp_f32_e32 v26, v25
	v_div_scale_f32 v27, vcc, 1.0, v24, 1.0
	v_fma_f32 v28, -v25, v26, 1.0
	v_fmac_f32_e32 v26, v28, v26
	v_mul_f32_e32 v28, v27, v26
	v_fma_f32 v29, -v25, v28, v27
	v_fmac_f32_e32 v28, v29, v26
	v_fma_f32 v25, -v25, v28, v27
	v_div_fmas_f32 v25, v25, v26, v28
	v_div_fixup_f32 v24, v25, v24, 1.0
	ds_write_b32 v246, v24
.LBB53_81:
	s_or_b64 exec, exec, s[2:3]
	s_waitcnt lgkmcnt(0)
	s_barrier
	ds_read_b32 v247, v246
	v_cmp_lt_u32_e32 vcc, 15, v249
	s_and_saveexec_b64 s[2:3], vcc
	s_cbranch_execz .LBB53_83
; %bb.82:
	ds_read2_b32 v[2:3], v187 offset0:16 offset1:17
	ds_read2_b32 v[4:5], v187 offset0:18 offset1:19
	;; [unrolled: 1-line block ×4, first 2 shown]
	s_waitcnt lgkmcnt(4)
	v_mul_f32_e32 v0, v141, v247
	v_mov_b32_e32 v59, v31
	s_waitcnt lgkmcnt(2)
	v_pk_fma_f32 v[114:115], v[0:1], v[4:5], v[170:171] op_sel_hi:[0,1,1] neg_lo:[1,0,0] neg_hi:[1,0,0]
	v_pk_fma_f32 v[132:133], v[0:1], v[2:3], v[168:169] op_sel_hi:[0,1,1] neg_lo:[1,0,0] neg_hi:[1,0,0]
	ds_read2_b32 v[2:3], v187 offset0:24 offset1:25
	s_waitcnt lgkmcnt(2)
	v_pk_fma_f32 v[214:215], v[0:1], v[6:7], v[172:173] op_sel_hi:[0,1,1] neg_lo:[1,0,0] neg_hi:[1,0,0]
	s_waitcnt lgkmcnt(1)
	v_pk_fma_f32 v[90:91], v[0:1], v[8:9], v[174:175] op_sel_hi:[0,1,1] neg_lo:[1,0,0] neg_hi:[1,0,0]
	ds_read_b32 v1, v187 offset:104
	scratch_load_dwordx4 v[24:27], off, off offset:1540 ; 16-byte Folded Reload
	scratch_load_dwordx4 v[28:31], off, off offset:1556 ; 16-byte Folded Reload
	;; [unrolled: 1-line block ×8, first 2 shown]
	v_mov_b32_e32 v17, v0
	v_mov_b32_e32 v18, v132
	;; [unrolled: 1-line block ×3, first 2 shown]
	s_waitcnt lgkmcnt(0)
	v_pk_fma_f32 v[66:67], v[0:1], v[2:3], v[176:177] op_sel_hi:[0,1,1] neg_lo:[1,0,0] neg_hi:[1,0,0]
	s_waitcnt vmcnt(4)
	v_mov_b32_e32 v39, v0
	v_mov_b32_e32 v131, v0
	v_mov_b32_e32 v111, v0
	v_mov_b32_e32 v209, v0
	v_mov_b32_e32 v83, v0
	v_mov_b32_e32 v57, v0
	v_fma_f32 v186, -v0, v1, v59
	v_mov_b32_e32 v175, v0
	v_mov_b32_e32 v144, v132
	;; [unrolled: 1-line block ×57, first 2 shown]
	scratch_store_dwordx4 off, v[2:5], off offset:1284 ; 16-byte Folded Spill
	s_nop 0
	scratch_store_dwordx4 off, v[6:9], off offset:1300 ; 16-byte Folded Spill
	scratch_store_dwordx4 off, v[10:13], off offset:1316 ; 16-byte Folded Spill
	;; [unrolled: 1-line block ×7, first 2 shown]
	v_mov_b32_e32 v20, v114
	v_mov_b32_e32 v21, v115
	;; [unrolled: 1-line block ×7, first 2 shown]
	s_waitcnt vmcnt(8)
	v_mov_b32_e32 v52, v34
	v_mov_b32_e32 v53, v35
	;; [unrolled: 1-line block ×35, first 2 shown]
	scratch_store_dwordx4 off, v[2:5], off offset:1028 ; 16-byte Folded Spill
	s_nop 0
	scratch_store_dwordx4 off, v[6:9], off offset:1044 ; 16-byte Folded Spill
	scratch_store_dwordx4 off, v[10:13], off offset:1060 ; 16-byte Folded Spill
	;; [unrolled: 1-line block ×7, first 2 shown]
	v_mov_b32_e32 v22, v214
	v_mov_b32_e32 v23, v215
	;; [unrolled: 1-line block ×12, first 2 shown]
	scratch_store_dwordx4 off, v[2:5], off offset:516 ; 16-byte Folded Spill
	s_nop 0
	scratch_store_dwordx4 off, v[6:9], off offset:532 ; 16-byte Folded Spill
	scratch_store_dwordx4 off, v[10:13], off offset:548 ; 16-byte Folded Spill
	;; [unrolled: 1-line block ×7, first 2 shown]
	v_mov_b32_e32 v15, v0
	v_mov_b32_e32 v10, v34
	;; [unrolled: 1-line block ×32, first 2 shown]
	scratch_store_dwordx4 off, v[0:3], off offset:388 ; 16-byte Folded Spill
	s_nop 0
	scratch_store_dwordx4 off, v[4:7], off offset:404 ; 16-byte Folded Spill
	scratch_store_dwordx4 off, v[8:11], off offset:420 ; 16-byte Folded Spill
	;; [unrolled: 1-line block ×7, first 2 shown]
	v_mov_b32_e32 v50, v32
	v_mov_b32_e32 v51, v33
	;; [unrolled: 1-line block ×22, first 2 shown]
	scratch_store_dwordx4 off, v[24:27], off offset:1668 ; 16-byte Folded Spill
	s_nop 0
	scratch_store_dwordx4 off, v[28:31], off offset:1684 ; 16-byte Folded Spill
	scratch_store_dwordx4 off, v[32:35], off offset:1700 ; 16-byte Folded Spill
	;; [unrolled: 1-line block ×8, first 2 shown]
	s_nop 0
	scratch_store_dwordx4 off, v[120:123], off offset:1428 ; 16-byte Folded Spill
	scratch_store_dwordx4 off, v[124:127], off offset:1444 ; 16-byte Folded Spill
	;; [unrolled: 1-line block ×7, first 2 shown]
	v_mov_b32_e32 v30, v67
	v_mov_b32_e32 v31, v186
	v_mov_b32_e32 v24, v214
	v_mov_b32_e32 v142, v114
	v_mov_b64_e32 v[152:153], v[160:161]
	v_mov_b32_e32 v136, v210
	v_mov_b64_e32 v[154:155], v[162:163]
	v_mov_b64_e32 v[156:157], v[164:165]
	;; [unrolled: 1-line block ×7, first 2 shown]
	v_mov_b32_e32 v168, v176
	v_mov_b32_e32 v137, v211
	;; [unrolled: 1-line block ×17, first 2 shown]
	scratch_store_dwordx4 off, v[96:99], off offset:772 ; 16-byte Folded Spill
	s_nop 0
	scratch_store_dwordx4 off, v[100:103], off offset:788 ; 16-byte Folded Spill
	scratch_store_dwordx4 off, v[104:107], off offset:804 ; 16-byte Folded Spill
	;; [unrolled: 1-line block ×8, first 2 shown]
	s_nop 0
	scratch_store_dwordx4 off, v[8:11], off offset:20 ; 16-byte Folded Spill
	scratch_store_dwordx4 off, v[12:15], off offset:36 ; 16-byte Folded Spill
	scratch_store_dwordx4 off, v[16:19], off offset:52 ; 16-byte Folded Spill
	scratch_store_dwordx4 off, v[20:23], off offset:68 ; 16-byte Folded Spill
	scratch_store_dwordx4 off, v[24:27], off offset:84 ; 16-byte Folded Spill
	scratch_store_dwordx4 off, v[28:31], off offset:100 ; 16-byte Folded Spill
	scratch_store_dwordx4 off, v[32:35], off offset:116 ; 16-byte Folded Spill
	v_mov_b32_e32 v24, v90
	scratch_store_dwordx4 off, v[2:5], off offset:132 ; 16-byte Folded Spill
	s_nop 0
	scratch_store_dwordx4 off, v[6:9], off offset:148 ; 16-byte Folded Spill
	scratch_store_dwordx4 off, v[10:13], off offset:164 ; 16-byte Folded Spill
	scratch_store_dwordx4 off, v[14:17], off offset:180 ; 16-byte Folded Spill
	scratch_store_dwordx4 off, v[18:21], off offset:196 ; 16-byte Folded Spill
	scratch_store_dwordx4 off, v[22:25], off offset:212 ; 16-byte Folded Spill
	scratch_store_dwordx4 off, v[26:29], off offset:228 ; 16-byte Folded Spill
	scratch_store_dwordx4 off, v[30:33], off offset:244 ; 16-byte Folded Spill
	scratch_store_dwordx4 off, v[68:71], off offset:260 ; 16-byte Folded Spill
	s_nop 0
	scratch_store_dwordx4 off, v[72:75], off offset:276 ; 16-byte Folded Spill
	scratch_store_dwordx4 off, v[76:79], off offset:292 ; 16-byte Folded Spill
	;; [unrolled: 1-line block ×7, first 2 shown]
	v_mov_b64_e32 v[120:121], v[194:195]
	v_mov_b32_e32 v67, v115
	v_mov_b64_e32 v[122:123], v[196:197]
	v_mov_b64_e32 v[124:125], v[198:199]
	v_mov_b64_e32 v[126:127], v[200:201]
	v_mov_b64_e32 v[128:129], v[202:203]
	v_mov_b64_e32 v[130:131], v[204:205]
	v_mov_b64_e32 v[132:133], v[206:207]
	v_mov_b64_e32 v[134:135], v[208:209]
	v_mov_b32_e32 v105, v91
.LBB53_83:
	s_or_b64 exec, exec, s[2:3]
	v_cmp_eq_u32_e32 vcc, 16, v249
	s_waitcnt lgkmcnt(0)
	s_barrier
	s_and_saveexec_b64 s[2:3], vcc
	s_cbranch_execz .LBB53_86
; %bb.84:
	ds_write_b32 v246, v144
	ds_write2_b32 v187, v169, v170 offset0:17 offset1:18
	ds_write2_b32 v187, v171, v172 offset0:19 offset1:20
	;; [unrolled: 1-line block ×5, first 2 shown]
	ds_read_b32 v24, v246
	s_waitcnt lgkmcnt(0)
	v_cmp_neq_f32_e32 vcc, 0, v24
	s_and_b64 exec, exec, vcc
	s_cbranch_execz .LBB53_86
; %bb.85:
	v_div_scale_f32 v25, s[4:5], v24, v24, 1.0
	v_rcp_f32_e32 v26, v25
	v_div_scale_f32 v27, vcc, 1.0, v24, 1.0
	v_fma_f32 v28, -v25, v26, 1.0
	v_fmac_f32_e32 v26, v28, v26
	v_mul_f32_e32 v28, v27, v26
	v_fma_f32 v29, -v25, v28, v27
	v_fmac_f32_e32 v28, v29, v26
	v_fma_f32 v25, -v25, v28, v27
	v_div_fmas_f32 v25, v25, v26, v28
	v_div_fixup_f32 v24, v25, v24, 1.0
	ds_write_b32 v246, v24
.LBB53_86:
	s_or_b64 exec, exec, s[2:3]
	s_waitcnt lgkmcnt(0)
	s_barrier
	ds_read_b32 v194, v246
	v_cmp_lt_u32_e32 vcc, 16, v249
	s_and_saveexec_b64 s[2:3], vcc
	s_cbranch_execz .LBB53_88
; %bb.87:
	scratch_load_dwordx4 v[96:99], off, off offset:1668 ; 16-byte Folded Reload
	scratch_load_dwordx4 v[100:103], off, off offset:1684 ; 16-byte Folded Reload
	;; [unrolled: 1-line block ×8, first 2 shown]
	ds_read2_b32 v[0:1], v187 offset0:17 offset1:18
	s_waitcnt vmcnt(3) lgkmcnt(1)
	v_mul_f32_e32 v112, v144, v194
	v_mov_b32_e32 v2, v169
	v_mov_b32_e32 v3, v170
	ds_read2_b32 v[4:5], v187 offset0:19 offset1:20
	ds_read2_b32 v[6:7], v187 offset0:21 offset1:22
	;; [unrolled: 1-line block ×3, first 2 shown]
	v_mov_b32_e32 v16, v112
	v_mov_b32_e32 v226, v112
	v_mov_b32_e32 v136, v112
	v_mov_b32_e32 v58, v112
	v_mov_b32_e32 v168, v112
	v_mov_b32_e32 v210, v96
	v_mov_b32_e32 v211, v97
	v_mov_b32_e32 v10, v106
	v_mov_b32_e32 v11, v107
	s_waitcnt lgkmcnt(3)
	v_pk_fma_f32 v[24:25], v[112:113], v[0:1], v[2:3] op_sel_hi:[0,1,1] neg_lo:[1,0,0] neg_hi:[1,0,0]
	ds_read2_b32 v[2:3], v187 offset0:25 offset1:26
	v_mov_b32_e32 v0, v171
	v_mov_b32_e32 v1, v172
	s_waitcnt lgkmcnt(3)
	v_pk_fma_f32 v[26:27], v[112:113], v[4:5], v[0:1] op_sel_hi:[0,1,1] neg_lo:[1,0,0] neg_hi:[1,0,0]
	v_mov_b32_e32 v0, v173
	v_mov_b32_e32 v1, v174
	s_waitcnt lgkmcnt(2)
	v_pk_fma_f32 v[28:29], v[112:113], v[6:7], v[0:1] op_sel_hi:[0,1,1] neg_lo:[1,0,0] neg_hi:[1,0,0]
	;; [unrolled: 4-line block ×4, first 2 shown]
	v_mov_b32_e32 v0, v96
	v_mov_b32_e32 v1, v97
	;; [unrolled: 1-line block ×17, first 2 shown]
	scratch_store_dwordx4 off, v[0:3], off offset:772 ; 16-byte Folded Spill
	s_nop 0
	scratch_store_dwordx4 off, v[4:7], off offset:788 ; 16-byte Folded Spill
	scratch_store_dwordx4 off, v[8:11], off offset:804 ; 16-byte Folded Spill
	;; [unrolled: 1-line block ×7, first 2 shown]
	v_mov_b32_e32 v212, v98
	v_mov_b32_e32 v213, v99
	v_mov_b32_e32 v214, v100
	v_mov_b32_e32 v215, v101
	v_mov_b32_e32 v216, v102
	v_mov_b32_e32 v217, v103
	v_mov_b32_e32 v218, v104
	v_mov_b32_e32 v219, v105
	v_mov_b32_e32 v220, v106
	v_mov_b32_e32 v221, v107
	v_mov_b32_e32 v222, v108
	v_mov_b32_e32 v223, v109
	v_mov_b32_e32 v224, v110
	v_mov_b32_e32 v225, v111
	s_waitcnt vmcnt(9)
	v_mov_b32_e32 v120, v96
	v_mov_b32_e32 v121, v97
	;; [unrolled: 1-line block ×4, first 2 shown]
	s_waitcnt vmcnt(8)
	v_mov_b32_e32 v124, v100
	v_mov_b32_e32 v125, v101
	;; [unrolled: 1-line block ×47, first 2 shown]
	scratch_store_dwordx4 off, v[0:3], off offset:1028 ; 16-byte Folded Spill
	s_nop 0
	scratch_store_dwordx4 off, v[4:7], off offset:1044 ; 16-byte Folded Spill
	scratch_store_dwordx4 off, v[8:11], off offset:1060 ; 16-byte Folded Spill
	;; [unrolled: 1-line block ×7, first 2 shown]
	v_mov_b32_e32 v20, v27
	v_mov_b32_e32 v21, v28
	;; [unrolled: 1-line block ×6, first 2 shown]
	scratch_store_dwordx4 off, v[0:3], off offset:516 ; 16-byte Folded Spill
	s_nop 0
	scratch_store_dwordx4 off, v[4:7], off offset:532 ; 16-byte Folded Spill
	scratch_store_dwordx4 off, v[8:11], off offset:548 ; 16-byte Folded Spill
	;; [unrolled: 1-line block ×7, first 2 shown]
	v_mov_b32_e32 v227, v24
	v_mov_b32_e32 v228, v25
	;; [unrolled: 1-line block ×8, first 2 shown]
	scratch_store_dwordx4 off, v[210:213], off offset:260 ; 16-byte Folded Spill
	s_nop 0
	scratch_store_dwordx4 off, v[214:217], off offset:276 ; 16-byte Folded Spill
	scratch_store_dwordx4 off, v[218:221], off offset:292 ; 16-byte Folded Spill
	scratch_store_dwordx4 off, v[222:225], off offset:308 ; 16-byte Folded Spill
	scratch_store_dwordx4 off, v[226:229], off offset:324 ; 16-byte Folded Spill
	scratch_store_dwordx4 off, v[230:233], off offset:340 ; 16-byte Folded Spill
	scratch_store_dwordx4 off, v[234:237], off offset:356 ; 16-byte Folded Spill
	scratch_store_dwordx4 off, v[238:241], off offset:372 ; 16-byte Folded Spill
	scratch_store_dwordx4 off, v[0:3], off offset:388 ; 16-byte Folded Spill
	s_nop 0
	scratch_store_dwordx4 off, v[4:7], off offset:404 ; 16-byte Folded Spill
	scratch_store_dwordx4 off, v[8:11], off offset:420 ; 16-byte Folded Spill
	scratch_store_dwordx4 off, v[12:15], off offset:436 ; 16-byte Folded Spill
	scratch_store_dwordx4 off, v[16:19], off offset:452 ; 16-byte Folded Spill
	scratch_store_dwordx4 off, v[20:23], off offset:468 ; 16-byte Folded Spill
	scratch_store_dwordx4 off, v[24:27], off offset:484 ; 16-byte Folded Spill
	scratch_store_dwordx4 off, v[28:31], off offset:500 ; 16-byte Folded Spill
	scratch_store_dwordx4 off, v[96:99], off offset:1284 ; 16-byte Folded Spill
	s_nop 0
	scratch_store_dwordx4 off, v[100:103], off offset:1300 ; 16-byte Folded Spill
	scratch_store_dwordx4 off, v[104:107], off offset:1316 ; 16-byte Folded Spill
	scratch_store_dwordx4 off, v[108:111], off offset:1332 ; 16-byte Folded Spill
	scratch_store_dwordx4 off, v[112:115], off offset:1348 ; 16-byte Folded Spill
	scratch_store_dwordx4 off, v[116:119], off offset:1364 ; 16-byte Folded Spill
	scratch_store_dwordx4 off, v[120:123], off offset:1380 ; 16-byte Folded Spill
	scratch_store_dwordx4 off, v[124:127], off offset:1396 ; 16-byte Folded Spill
	scratch_store_dwordx4 off, v[96:99], off offset:1412 ; 16-byte Folded Spill
	s_nop 0
	scratch_store_dwordx4 off, v[100:103], off offset:1428 ; 16-byte Folded Spill
	scratch_store_dwordx4 off, v[104:107], off offset:1444 ; 16-byte Folded Spill
	scratch_store_dwordx4 off, v[108:111], off offset:1460 ; 16-byte Folded Spill
	scratch_store_dwordx4 off, v[112:115], off offset:1476 ; 16-byte Folded Spill
	scratch_store_dwordx4 off, v[116:119], off offset:1492 ; 16-byte Folded Spill
	scratch_store_dwordx4 off, v[120:123], off offset:1508 ; 16-byte Folded Spill
	scratch_store_dwordx4 off, v[124:127], off offset:1524 ; 16-byte Folded Spill
	v_mov_b32_e32 v59, v24
	v_mov_b32_e32 v169, v24
	;; [unrolled: 1-line block ×20, first 2 shown]
	scratch_store_dwordx4 off, v[4:7], off offset:4 ; 16-byte Folded Spill
	s_nop 0
	scratch_store_dwordx4 off, v[8:11], off offset:20 ; 16-byte Folded Spill
	scratch_store_dwordx4 off, v[12:15], off offset:36 ; 16-byte Folded Spill
	scratch_store_dwordx4 off, v[16:19], off offset:52 ; 16-byte Folded Spill
	scratch_store_dwordx4 off, v[20:23], off offset:68 ; 16-byte Folded Spill
	scratch_store_dwordx4 off, v[24:27], off offset:84 ; 16-byte Folded Spill
	scratch_store_dwordx4 off, v[28:31], off offset:100 ; 16-byte Folded Spill
	scratch_store_dwordx4 off, v[32:35], off offset:116 ; 16-byte Folded Spill
	v_mov_b32_e32 v24, v29
	v_mov_b32_e32 v215, v28
	scratch_store_dwordx4 off, v[2:5], off offset:132 ; 16-byte Folded Spill
	s_nop 0
	scratch_store_dwordx4 off, v[6:9], off offset:148 ; 16-byte Folded Spill
	scratch_store_dwordx4 off, v[10:13], off offset:164 ; 16-byte Folded Spill
	;; [unrolled: 1-line block ×7, first 2 shown]
	v_mov_b32_e32 v105, v30
	v_mov_b32_e32 v180, v31
	v_mov_b64_e32 v[30:31], v[32:33]
.LBB53_88:
	s_or_b64 exec, exec, s[2:3]
	v_cmp_eq_u32_e32 vcc, 17, v249
	s_waitcnt lgkmcnt(0)
	s_barrier
	s_and_saveexec_b64 s[2:3], vcc
	s_cbranch_execz .LBB53_91
; %bb.89:
	ds_write_b32 v246, v117
	ds_write2_b32 v187, v170, v171 offset0:18 offset1:19
	ds_write2_b32 v187, v172, v173 offset0:20 offset1:21
	;; [unrolled: 1-line block ×4, first 2 shown]
	ds_write_b32 v187, v31 offset:104
	ds_read_b32 v24, v246
	s_waitcnt lgkmcnt(0)
	v_cmp_neq_f32_e32 vcc, 0, v24
	s_and_b64 exec, exec, vcc
	s_cbranch_execz .LBB53_91
; %bb.90:
	v_div_scale_f32 v25, s[4:5], v24, v24, 1.0
	v_rcp_f32_e32 v26, v25
	v_div_scale_f32 v27, vcc, 1.0, v24, 1.0
	v_fma_f32 v28, -v25, v26, 1.0
	v_fmac_f32_e32 v26, v28, v26
	v_mul_f32_e32 v28, v27, v26
	v_fma_f32 v29, -v25, v28, v27
	v_fmac_f32_e32 v28, v29, v26
	v_fma_f32 v25, -v25, v28, v27
	v_div_fmas_f32 v25, v25, v26, v28
	v_div_fixup_f32 v24, v25, v24, 1.0
	ds_write_b32 v246, v24
.LBB53_91:
	s_or_b64 exec, exec, s[2:3]
	s_waitcnt lgkmcnt(0)
	s_barrier
	ds_read_b32 v195, v246
	v_cmp_lt_u32_e32 vcc, 17, v249
	s_and_saveexec_b64 s[2:3], vcc
	s_cbranch_execz .LBB53_93
; %bb.92:
	ds_read2_b32 v[0:1], v187 offset0:18 offset1:19
	ds_read2_b32 v[2:3], v187 offset0:20 offset1:21
	;; [unrolled: 1-line block ×4, first 2 shown]
	s_waitcnt lgkmcnt(4)
	v_mul_f32_e32 v8, v117, v195
	s_waitcnt lgkmcnt(3)
	v_pk_fma_f32 v[228:229], v[8:9], v[0:1], v[170:171] op_sel_hi:[0,1,1] neg_lo:[1,0,0] neg_hi:[1,0,0]
	ds_read_b32 v0, v187 offset:104
	scratch_load_dwordx4 v[128:131], off, off offset:1412 ; 16-byte Folded Reload
	scratch_load_dwordx4 v[132:135], off, off offset:1428 ; 16-byte Folded Reload
	;; [unrolled: 1-line block ×8, first 2 shown]
	v_mov_b32_e32 v27, v8
	v_mov_b32_e32 v28, v228
	;; [unrolled: 1-line block ×4, first 2 shown]
	s_waitcnt lgkmcnt(3)
	v_pk_fma_f32 v[94:95], v[8:9], v[2:3], v[172:173] op_sel_hi:[0,1,1] neg_lo:[1,0,0] neg_hi:[1,0,0]
	s_waitcnt lgkmcnt(2)
	v_pk_fma_f32 v[118:119], v[8:9], v[4:5], v[174:175] op_sel_hi:[0,1,1] neg_lo:[1,0,0] neg_hi:[1,0,0]
	;; [unrolled: 2-line block ×3, first 2 shown]
	s_waitcnt vmcnt(3)
	v_mov_b32_e32 v145, v8
	v_mov_b32_e32 v227, v8
	;; [unrolled: 1-line block ×5, first 2 shown]
	s_waitcnt lgkmcnt(0)
	v_fma_f32 v186, -v8, v0, v1
	v_mov_b32_e32 v177, v8
	v_mov_b32_e32 v92, v228
	;; [unrolled: 1-line block ×38, first 2 shown]
	scratch_store_dwordx4 off, v[10:13], off offset:1028 ; 16-byte Folded Spill
	s_nop 0
	scratch_store_dwordx4 off, v[14:17], off offset:1044 ; 16-byte Folded Spill
	scratch_store_dwordx4 off, v[18:21], off offset:1060 ; 16-byte Folded Spill
	scratch_store_dwordx4 off, v[22:25], off offset:1076 ; 16-byte Folded Spill
	scratch_store_dwordx4 off, v[26:29], off offset:1092 ; 16-byte Folded Spill
	scratch_store_dwordx4 off, v[30:33], off offset:1108 ; 16-byte Folded Spill
	scratch_store_dwordx4 off, v[34:37], off offset:1124 ; 16-byte Folded Spill
	scratch_store_dwordx4 off, v[38:41], off offset:1140 ; 16-byte Folded Spill
	v_mov_b32_e32 v30, v94
	v_mov_b32_e32 v31, v95
	;; [unrolled: 1-line block ×58, first 2 shown]
	scratch_store_dwordx4 off, v[10:13], off offset:516 ; 16-byte Folded Spill
	s_nop 0
	scratch_store_dwordx4 off, v[14:17], off offset:532 ; 16-byte Folded Spill
	scratch_store_dwordx4 off, v[18:21], off offset:548 ; 16-byte Folded Spill
	;; [unrolled: 1-line block ×7, first 2 shown]
	v_mov_b32_e32 v17, v8
	v_mov_b32_e32 v8, v136
	;; [unrolled: 1-line block ×53, first 2 shown]
	scratch_store_dwordx4 off, v[0:3], off offset:388 ; 16-byte Folded Spill
	s_nop 0
	scratch_store_dwordx4 off, v[4:7], off offset:404 ; 16-byte Folded Spill
	scratch_store_dwordx4 off, v[8:11], off offset:420 ; 16-byte Folded Spill
	;; [unrolled: 1-line block ×8, first 2 shown]
	s_nop 0
	scratch_store_dwordx4 off, v[132:135], off offset:1300 ; 16-byte Folded Spill
	scratch_store_dwordx4 off, v[136:139], off offset:1316 ; 16-byte Folded Spill
	;; [unrolled: 1-line block ×4, first 2 shown]
	s_waitcnt vmcnt(31)
	scratch_store_dwordx4 off, v[148:151], off offset:1364 ; 16-byte Folded Spill
	s_waitcnt vmcnt(31)
	scratch_store_dwordx4 off, v[152:155], off offset:1380 ; 16-byte Folded Spill
	;; [unrolled: 2-line block ×3, first 2 shown]
	v_mov_b32_e32 v30, v67
	v_mov_b32_e32 v31, v186
	;; [unrolled: 1-line block ×4, first 2 shown]
	scratch_store_dwordx4 off, v[210:213], off offset:772 ; 16-byte Folded Spill
	s_nop 0
	scratch_store_dwordx4 off, v[214:217], off offset:788 ; 16-byte Folded Spill
	scratch_store_dwordx4 off, v[218:221], off offset:804 ; 16-byte Folded Spill
	;; [unrolled: 1-line block ×7, first 2 shown]
	v_mov_b64_e32 v[134:135], v[88:89]
	v_mov_b64_e32 v[126:127], v[80:81]
	;; [unrolled: 1-line block ×6, first 2 shown]
	v_mov_b32_e32 v140, v94
	v_mov_b64_e32 v[154:155], v[162:163]
	v_mov_b64_e32 v[156:157], v[164:165]
	;; [unrolled: 1-line block ×7, first 2 shown]
	v_mov_b32_e32 v168, v176
	v_mov_b64_e32 v[132:133], v[86:87]
	v_mov_b64_e32 v[130:131], v[84:85]
	;; [unrolled: 1-line block ×3, first 2 shown]
	v_mov_b32_e32 v139, v93
	v_mov_b32_e32 v138, v92
	;; [unrolled: 1-line block ×16, first 2 shown]
	scratch_store_dwordx4 off, v[4:7], off offset:4 ; 16-byte Folded Spill
	s_nop 0
	scratch_store_dwordx4 off, v[8:11], off offset:20 ; 16-byte Folded Spill
	scratch_store_dwordx4 off, v[12:15], off offset:36 ; 16-byte Folded Spill
	;; [unrolled: 1-line block ×7, first 2 shown]
	v_mov_b32_e32 v24, v118
	scratch_store_dwordx4 off, v[2:5], off offset:132 ; 16-byte Folded Spill
	s_nop 0
	scratch_store_dwordx4 off, v[6:9], off offset:148 ; 16-byte Folded Spill
	scratch_store_dwordx4 off, v[10:13], off offset:164 ; 16-byte Folded Spill
	;; [unrolled: 1-line block ×8, first 2 shown]
	s_nop 0
	scratch_store_dwordx4 off, v[100:103], off offset:276 ; 16-byte Folded Spill
	scratch_store_dwordx4 off, v[104:107], off offset:292 ; 16-byte Folded Spill
	;; [unrolled: 1-line block ×7, first 2 shown]
	v_mov_b32_e32 v67, v229
	v_mov_b32_e32 v105, v119
.LBB53_93:
	s_or_b64 exec, exec, s[2:3]
	v_cmp_eq_u32_e32 vcc, 18, v249
	s_waitcnt lgkmcnt(0)
	s_barrier
	s_and_saveexec_b64 s[2:3], vcc
	s_cbranch_execz .LBB53_96
; %bb.94:
	ds_write_b32 v246, v142
	ds_write2_b32 v187, v171, v172 offset0:19 offset1:20
	ds_write2_b32 v187, v173, v174 offset0:21 offset1:22
	;; [unrolled: 1-line block ×4, first 2 shown]
	ds_read_b32 v24, v246
	s_waitcnt lgkmcnt(0)
	v_cmp_neq_f32_e32 vcc, 0, v24
	s_and_b64 exec, exec, vcc
	s_cbranch_execz .LBB53_96
; %bb.95:
	v_div_scale_f32 v25, s[4:5], v24, v24, 1.0
	v_rcp_f32_e32 v26, v25
	v_div_scale_f32 v27, vcc, 1.0, v24, 1.0
	v_fma_f32 v28, -v25, v26, 1.0
	v_fmac_f32_e32 v26, v28, v26
	v_mul_f32_e32 v28, v27, v26
	v_fma_f32 v29, -v25, v28, v27
	v_fmac_f32_e32 v28, v29, v26
	v_fma_f32 v25, -v25, v28, v27
	v_div_fmas_f32 v25, v25, v26, v28
	v_div_fixup_f32 v24, v25, v24, 1.0
	ds_write_b32 v246, v24
.LBB53_96:
	s_or_b64 exec, exec, s[2:3]
	s_waitcnt lgkmcnt(0)
	s_barrier
	ds_read_b32 v36, v246
	v_cmp_lt_u32_e32 vcc, 18, v249
	s_and_saveexec_b64 s[2:3], vcc
	s_cbranch_execz .LBB53_98
; %bb.97:
	scratch_load_dwordx4 v[96:99], off, off offset:1284 ; 16-byte Folded Reload
	scratch_load_dwordx4 v[100:103], off, off offset:1300 ; 16-byte Folded Reload
	;; [unrolled: 1-line block ×8, first 2 shown]
	ds_read2_b32 v[0:1], v187 offset0:19 offset1:20
	ds_read2_b32 v[4:5], v187 offset0:21 offset1:22
	;; [unrolled: 1-line block ×4, first 2 shown]
	s_waitcnt vmcnt(3) lgkmcnt(4)
	v_mul_f32_e32 v114, v142, v36
	v_mov_b32_e32 v2, v171
	v_mov_b32_e32 v3, v172
	;; [unrolled: 1-line block ×11, first 2 shown]
	s_waitcnt lgkmcnt(3)
	v_pk_fma_f32 v[24:25], v[114:115], v[0:1], v[2:3] op_sel_hi:[0,1,1] neg_lo:[1,0,0] neg_hi:[1,0,0]
	v_mov_b32_e32 v0, v173
	v_mov_b32_e32 v1, v174
	s_waitcnt lgkmcnt(2)
	v_pk_fma_f32 v[26:27], v[114:115], v[4:5], v[0:1] op_sel_hi:[0,1,1] neg_lo:[1,0,0] neg_hi:[1,0,0]
	v_mov_b32_e32 v0, v175
	v_mov_b32_e32 v1, v176
	;; [unrolled: 4-line block ×4, first 2 shown]
	v_mov_b32_e32 v2, v98
	v_mov_b32_e32 v3, v99
	;; [unrolled: 1-line block ×20, first 2 shown]
	scratch_store_dwordx4 off, v[0:3], off offset:516 ; 16-byte Folded Spill
	s_nop 0
	scratch_store_dwordx4 off, v[4:7], off offset:532 ; 16-byte Folded Spill
	scratch_store_dwordx4 off, v[8:11], off offset:548 ; 16-byte Folded Spill
	;; [unrolled: 1-line block ×7, first 2 shown]
	v_mov_b32_e32 v212, v98
	v_mov_b32_e32 v213, v99
	;; [unrolled: 1-line block ×16, first 2 shown]
	s_waitcnt vmcnt(9)
	v_mov_b32_e32 v120, v96
	v_mov_b32_e32 v121, v97
	;; [unrolled: 1-line block ×4, first 2 shown]
	s_waitcnt vmcnt(8)
	v_mov_b32_e32 v124, v100
	v_mov_b32_e32 v125, v101
	;; [unrolled: 1-line block ×58, first 2 shown]
	scratch_store_dwordx4 off, v[210:213], off offset:260 ; 16-byte Folded Spill
	s_nop 0
	scratch_store_dwordx4 off, v[214:217], off offset:276 ; 16-byte Folded Spill
	scratch_store_dwordx4 off, v[218:221], off offset:292 ; 16-byte Folded Spill
	scratch_store_dwordx4 off, v[222:225], off offset:308 ; 16-byte Folded Spill
	scratch_store_dwordx4 off, v[226:229], off offset:324 ; 16-byte Folded Spill
	scratch_store_dwordx4 off, v[230:233], off offset:340 ; 16-byte Folded Spill
	scratch_store_dwordx4 off, v[234:237], off offset:356 ; 16-byte Folded Spill
	scratch_store_dwordx4 off, v[238:241], off offset:372 ; 16-byte Folded Spill
	scratch_store_dwordx4 off, v[0:3], off offset:388 ; 16-byte Folded Spill
	s_nop 0
	scratch_store_dwordx4 off, v[4:7], off offset:404 ; 16-byte Folded Spill
	scratch_store_dwordx4 off, v[8:11], off offset:420 ; 16-byte Folded Spill
	scratch_store_dwordx4 off, v[12:15], off offset:436 ; 16-byte Folded Spill
	scratch_store_dwordx4 off, v[16:19], off offset:452 ; 16-byte Folded Spill
	scratch_store_dwordx4 off, v[20:23], off offset:468 ; 16-byte Folded Spill
	scratch_store_dwordx4 off, v[24:27], off offset:484 ; 16-byte Folded Spill
	scratch_store_dwordx4 off, v[28:31], off offset:500 ; 16-byte Folded Spill
	;; [unrolled: 9-line block ×4, first 2 shown]
	v_mov_b64_e32 v[30:31], v[32:33]
	v_mov_b32_e32 v61, v24
	v_mov_b32_e32 v171, v24
	;; [unrolled: 1-line block ×14, first 2 shown]
	scratch_store_dwordx4 off, v[4:7], off offset:4 ; 16-byte Folded Spill
	s_nop 0
	scratch_store_dwordx4 off, v[8:11], off offset:20 ; 16-byte Folded Spill
	scratch_store_dwordx4 off, v[12:15], off offset:36 ; 16-byte Folded Spill
	;; [unrolled: 1-line block ×7, first 2 shown]
	v_mov_b32_e32 v24, v27
	v_mov_b32_e32 v215, v26
	scratch_store_dwordx4 off, v[2:5], off offset:132 ; 16-byte Folded Spill
	s_nop 0
	scratch_store_dwordx4 off, v[6:9], off offset:148 ; 16-byte Folded Spill
	scratch_store_dwordx4 off, v[10:13], off offset:164 ; 16-byte Folded Spill
	;; [unrolled: 1-line block ×7, first 2 shown]
	v_mov_b32_e32 v105, v28
	v_mov_b32_e32 v180, v29
.LBB53_98:
	s_or_b64 exec, exec, s[2:3]
	v_cmp_eq_u32_e32 vcc, 19, v249
	s_waitcnt lgkmcnt(0)
	s_barrier
	s_and_saveexec_b64 s[2:3], vcc
	s_cbranch_execz .LBB53_101
; %bb.99:
	ds_write_b32 v246, v67
	ds_write2_b32 v187, v172, v173 offset0:20 offset1:21
	ds_write2_b32 v187, v174, v175 offset0:22 offset1:23
	;; [unrolled: 1-line block ×3, first 2 shown]
	ds_write_b32 v187, v31 offset:104
	ds_read_b32 v24, v246
	s_waitcnt lgkmcnt(0)
	v_cmp_neq_f32_e32 vcc, 0, v24
	s_and_b64 exec, exec, vcc
	s_cbranch_execz .LBB53_101
; %bb.100:
	v_div_scale_f32 v25, s[4:5], v24, v24, 1.0
	v_rcp_f32_e32 v26, v25
	v_div_scale_f32 v27, vcc, 1.0, v24, 1.0
	v_fma_f32 v28, -v25, v26, 1.0
	v_fmac_f32_e32 v26, v28, v26
	v_mul_f32_e32 v28, v27, v26
	v_fma_f32 v29, -v25, v28, v27
	v_fmac_f32_e32 v28, v29, v26
	v_fma_f32 v25, -v25, v28, v27
	v_div_fmas_f32 v25, v25, v26, v28
	v_div_fixup_f32 v24, v25, v24, 1.0
	ds_write_b32 v246, v24
.LBB53_101:
	s_or_b64 exec, exec, s[2:3]
	s_waitcnt lgkmcnt(0)
	s_barrier
	ds_read_b32 v35, v246
	v_cmp_lt_u32_e32 vcc, 19, v249
	s_and_saveexec_b64 s[2:3], vcc
	s_cbranch_execz .LBB53_103
; %bb.102:
	ds_read2_b32 v[0:1], v187 offset0:20 offset1:21
	ds_read2_b32 v[2:3], v187 offset0:22 offset1:23
	;; [unrolled: 1-line block ×3, first 2 shown]
	ds_read_b32 v6, v187 offset:104
	scratch_load_dwordx4 v[120:123], off, off offset:772 ; 16-byte Folded Reload
	scratch_load_dwordx4 v[124:127], off, off offset:788 ; 16-byte Folded Reload
	;; [unrolled: 1-line block ×8, first 2 shown]
	s_waitcnt lgkmcnt(4)
	v_mul_f32_e32 v24, v67, v35
	s_waitcnt lgkmcnt(3)
	v_pk_fma_f32 v[240:241], v[24:25], v[0:1], v[172:173] op_sel_hi:[0,1,1] neg_lo:[1,0,0] neg_hi:[1,0,0]
	s_waitcnt lgkmcnt(2)
	v_pk_fma_f32 v[118:119], v[24:25], v[2:3], v[174:175] op_sel_hi:[0,1,1] neg_lo:[1,0,0] neg_hi:[1,0,0]
	;; [unrolled: 2-line block ×3, first 2 shown]
	s_waitcnt lgkmcnt(0)
	v_fma_f32 v178, -v24, v6, v31
	v_mov_b32_e32 v19, v24
	v_mov_b32_e32 v20, v240
	;; [unrolled: 1-line block ×3, first 2 shown]
	s_waitcnt vmcnt(3)
	v_mov_b32_e32 v139, v24
	v_mov_b32_e32 v239, v24
	;; [unrolled: 1-line block ×35, first 2 shown]
	scratch_store_dwordx4 off, v[0:3], off offset:516 ; 16-byte Folded Spill
	s_nop 0
	scratch_store_dwordx4 off, v[4:7], off offset:532 ; 16-byte Folded Spill
	scratch_store_dwordx4 off, v[8:11], off offset:548 ; 16-byte Folded Spill
	;; [unrolled: 1-line block ×7, first 2 shown]
	v_mov_b32_e32 v22, v118
	v_mov_b32_e32 v23, v119
	;; [unrolled: 1-line block ×73, first 2 shown]
	scratch_store_dwordx4 off, v[0:3], off offset:388 ; 16-byte Folded Spill
	s_nop 0
	scratch_store_dwordx4 off, v[4:7], off offset:404 ; 16-byte Folded Spill
	scratch_store_dwordx4 off, v[8:11], off offset:420 ; 16-byte Folded Spill
	scratch_store_dwordx4 off, v[12:15], off offset:436 ; 16-byte Folded Spill
	scratch_store_dwordx4 off, v[16:19], off offset:452 ; 16-byte Folded Spill
	scratch_store_dwordx4 off, v[20:23], off offset:468 ; 16-byte Folded Spill
	scratch_store_dwordx4 off, v[24:27], off offset:484 ; 16-byte Folded Spill
	scratch_store_dwordx4 off, v[28:31], off offset:500 ; 16-byte Folded Spill
	v_mov_b32_e32 v165, v133
	v_mov_b32_e32 v166, v134
	;; [unrolled: 1-line block ×8, first 2 shown]
	scratch_store_dwordx4 off, v[120:123], off offset:1028 ; 16-byte Folded Spill
	s_nop 0
	scratch_store_dwordx4 off, v[124:127], off offset:1044 ; 16-byte Folded Spill
	scratch_store_dwordx4 off, v[128:131], off offset:1060 ; 16-byte Folded Spill
	;; [unrolled: 1-line block ×4, first 2 shown]
	s_waitcnt vmcnt(23)
	scratch_store_dwordx4 off, v[140:143], off offset:1108 ; 16-byte Folded Spill
	s_waitcnt vmcnt(23)
	scratch_store_dwordx4 off, v[144:147], off offset:1124 ; 16-byte Folded Spill
	;; [unrolled: 2-line block ×3, first 2 shown]
	v_mov_b64_e32 v[120:121], v[220:221]
	v_mov_b64_e32 v[122:123], v[222:223]
	v_mov_b64_e32 v[124:125], v[224:225]
	v_mov_b64_e32 v[126:127], v[226:227]
	v_mov_b32_e32 v136, v236
	v_mov_b64_e32 v[128:129], v[228:229]
	v_mov_b64_e32 v[130:131], v[230:231]
	;; [unrolled: 1-line block ×4, first 2 shown]
	v_mov_b32_e32 v137, v237
	v_mov_b32_e32 v138, v238
	;; [unrolled: 1-line block ×7, first 2 shown]
	scratch_store_dwordx4 off, v[4:7], off offset:4 ; 16-byte Folded Spill
	s_nop 0
	scratch_store_dwordx4 off, v[8:11], off offset:20 ; 16-byte Folded Spill
	scratch_store_dwordx4 off, v[12:15], off offset:36 ; 16-byte Folded Spill
	;; [unrolled: 1-line block ×7, first 2 shown]
	v_mov_b32_e32 v24, v118
	scratch_store_dwordx4 off, v[2:5], off offset:132 ; 16-byte Folded Spill
	s_nop 0
	scratch_store_dwordx4 off, v[6:9], off offset:148 ; 16-byte Folded Spill
	scratch_store_dwordx4 off, v[10:13], off offset:164 ; 16-byte Folded Spill
	;; [unrolled: 1-line block ×8, first 2 shown]
	s_nop 0
	scratch_store_dwordx4 off, v[100:103], off offset:276 ; 16-byte Folded Spill
	scratch_store_dwordx4 off, v[104:107], off offset:292 ; 16-byte Folded Spill
	;; [unrolled: 1-line block ×7, first 2 shown]
	v_mov_b32_e32 v105, v119
.LBB53_103:
	s_or_b64 exec, exec, s[2:3]
	v_cmp_eq_u32_e32 vcc, 20, v249
	s_waitcnt lgkmcnt(0)
	s_barrier
	s_and_saveexec_b64 s[2:3], vcc
	s_cbranch_execz .LBB53_106
; %bb.104:
	scratch_load_dwordx4 v[68:71], off, off offset:4 ; 16-byte Folded Reload
	scratch_load_dwordx4 v[72:75], off, off offset:20 ; 16-byte Folded Reload
	;; [unrolled: 1-line block ×8, first 2 shown]
	s_waitcnt vmcnt(2)
	ds_write_b32 v246, v88
	ds_write2_b32 v187, v173, v174 offset0:21 offset1:22
	ds_write2_b32 v187, v175, v176 offset0:23 offset1:24
	;; [unrolled: 1-line block ×3, first 2 shown]
	ds_read_b32 v24, v246
	s_waitcnt lgkmcnt(0)
	v_cmp_neq_f32_e32 vcc, 0, v24
	s_and_b64 exec, exec, vcc
	s_cbranch_execz .LBB53_106
; %bb.105:
	v_div_scale_f32 v25, s[4:5], v24, v24, 1.0
	v_rcp_f32_e32 v26, v25
	v_div_scale_f32 v27, vcc, 1.0, v24, 1.0
	v_fma_f32 v28, -v25, v26, 1.0
	v_fmac_f32_e32 v26, v28, v26
	v_mul_f32_e32 v28, v27, v26
	v_fma_f32 v29, -v25, v28, v27
	v_fmac_f32_e32 v28, v29, v26
	v_fma_f32 v25, -v25, v28, v27
	v_div_fmas_f32 v25, v25, v26, v28
	v_div_fixup_f32 v24, v25, v24, 1.0
	ds_write_b32 v246, v24
.LBB53_106:
	s_or_b64 exec, exec, s[2:3]
	s_waitcnt lgkmcnt(0)
	s_barrier
	ds_read_b32 v118, v246
	v_cmp_lt_u32_e32 vcc, 20, v249
	s_and_saveexec_b64 s[2:3], vcc
	s_cbranch_execz .LBB53_108
; %bb.107:
	scratch_load_dwordx4 v[120:123], off, off offset:1028 ; 16-byte Folded Reload
	scratch_load_dwordx4 v[124:127], off, off offset:1044 ; 16-byte Folded Reload
	;; [unrolled: 1-line block ×16, first 2 shown]
	s_waitcnt vmcnt(7)
	ds_read2_b32 v[0:1], v187 offset0:21 offset1:22
	s_waitcnt vmcnt(6)
	ds_read2_b32 v[4:5], v187 offset0:23 offset1:24
	ds_read2_b32 v[6:7], v187 offset0:25 offset1:26
	v_mov_b32_e32 v2, v173
	v_mov_b32_e32 v3, v174
	;; [unrolled: 1-line block ×15, first 2 shown]
	s_waitcnt vmcnt(2) lgkmcnt(3)
	v_mul_f32_e32 v140, v20, v118
	s_waitcnt vmcnt(1) lgkmcnt(2)
	v_pk_fma_f32 v[24:25], v[140:141], v[0:1], v[2:3] op_sel_hi:[0,1,1] neg_lo:[1,0,0] neg_hi:[1,0,0]
	v_mov_b32_e32 v0, v175
	v_mov_b32_e32 v1, v176
	s_waitcnt lgkmcnt(1)
	v_pk_fma_f32 v[26:27], v[140:141], v[4:5], v[0:1] op_sel_hi:[0,1,1] neg_lo:[1,0,0] neg_hi:[1,0,0]
	v_mov_b32_e32 v0, v177
	v_mov_b32_e32 v1, v178
	s_waitcnt vmcnt(0) lgkmcnt(0)
	v_pk_fma_f32 v[30:31], v[140:141], v[6:7], v[0:1] op_sel_hi:[0,1,1] neg_lo:[1,0,0] neg_hi:[1,0,0]
	v_mov_b32_e32 v223, v133
	v_mov_b32_e32 v224, v134
	;; [unrolled: 1-line block ×35, first 2 shown]
	scratch_store_dwordx4 off, v[210:213], off offset:260 ; 16-byte Folded Spill
	s_nop 0
	scratch_store_dwordx4 off, v[214:217], off offset:276 ; 16-byte Folded Spill
	scratch_store_dwordx4 off, v[218:221], off offset:292 ; 16-byte Folded Spill
	;; [unrolled: 1-line block ×8, first 2 shown]
	s_nop 0
	scratch_store_dwordx4 off, v[4:7], off offset:404 ; 16-byte Folded Spill
	scratch_store_dwordx4 off, v[8:11], off offset:420 ; 16-byte Folded Spill
	;; [unrolled: 1-line block ×7, first 2 shown]
	v_mov_b32_e32 v42, v120
	v_mov_b32_e32 v43, v121
	;; [unrolled: 1-line block ×42, first 2 shown]
	scratch_store_dwordx4 off, v[120:123], off offset:516 ; 16-byte Folded Spill
	s_nop 0
	scratch_store_dwordx4 off, v[124:127], off offset:532 ; 16-byte Folded Spill
	scratch_store_dwordx4 off, v[128:131], off offset:548 ; 16-byte Folded Spill
	;; [unrolled: 1-line block ×7, first 2 shown]
	v_mov_b32_e32 v63, v24
	v_mov_b32_e32 v181, v24
	;; [unrolled: 1-line block ×12, first 2 shown]
	scratch_store_dwordx4 off, v[2:5], off offset:132 ; 16-byte Folded Spill
	s_nop 0
	scratch_store_dwordx4 off, v[6:9], off offset:148 ; 16-byte Folded Spill
	scratch_store_dwordx4 off, v[10:13], off offset:164 ; 16-byte Folded Spill
	;; [unrolled: 1-line block ×7, first 2 shown]
	v_mov_b64_e32 v[152:153], v[160:161]
	v_mov_b64_e32 v[154:155], v[162:163]
	;; [unrolled: 1-line block ×16, first 2 shown]
	v_mov_b32_e32 v105, v26
	v_mov_b32_e32 v180, v27
.LBB53_108:
	s_or_b64 exec, exec, s[2:3]
	v_cmp_eq_u32_e32 vcc, 21, v249
	s_waitcnt lgkmcnt(0)
	s_barrier
	s_and_saveexec_b64 s[2:3], vcc
	s_cbranch_execz .LBB53_111
; %bb.109:
	ds_write_b32 v246, v215
	ds_write2_b32 v187, v174, v175 offset0:22 offset1:23
	ds_write2_b32 v187, v176, v177 offset0:24 offset1:25
	ds_write_b32 v187, v31 offset:104
	ds_read_b32 v24, v246
	s_waitcnt lgkmcnt(0)
	v_cmp_neq_f32_e32 vcc, 0, v24
	s_and_b64 exec, exec, vcc
	s_cbranch_execz .LBB53_111
; %bb.110:
	v_div_scale_f32 v25, s[4:5], v24, v24, 1.0
	v_rcp_f32_e32 v26, v25
	v_div_scale_f32 v27, vcc, 1.0, v24, 1.0
	v_fma_f32 v28, -v25, v26, 1.0
	v_fmac_f32_e32 v26, v28, v26
	v_mul_f32_e32 v28, v27, v26
	v_fma_f32 v29, -v25, v28, v27
	v_fmac_f32_e32 v28, v29, v26
	v_fma_f32 v25, -v25, v28, v27
	v_div_fmas_f32 v25, v25, v26, v28
	v_div_fixup_f32 v24, v25, v24, 1.0
	ds_write_b32 v246, v24
.LBB53_111:
	s_or_b64 exec, exec, s[2:3]
	s_waitcnt lgkmcnt(0)
	s_barrier
	ds_read_b32 v115, v246
	v_cmp_lt_u32_e32 vcc, 21, v249
	s_and_saveexec_b64 s[2:3], vcc
	s_cbranch_execz .LBB53_113
; %bb.112:
	ds_read2_b32 v[0:1], v187 offset0:22 offset1:23
	ds_read2_b32 v[4:5], v187 offset0:24 offset1:25
	ds_read_b32 v6, v187 offset:104
	s_waitcnt lgkmcnt(3)
	v_mul_f32_e32 v24, v215, v115
	v_mov_b32_e32 v2, v174
	v_mov_b32_e32 v3, v175
	s_waitcnt lgkmcnt(2)
	v_pk_fma_f32 v[242:243], v[24:25], v[0:1], v[2:3] op_sel_hi:[0,1,1] neg_lo:[1,0,0] neg_hi:[1,0,0]
	v_mov_b32_e32 v0, v176
	v_mov_b32_e32 v1, v177
	s_waitcnt lgkmcnt(1)
	v_pk_fma_f32 v[66:67], v[24:25], v[4:5], v[0:1] op_sel_hi:[0,1,1] neg_lo:[1,0,0] neg_hi:[1,0,0]
	s_waitcnt lgkmcnt(0)
	v_fma_f32 v114, -v24, v6, v31
	v_mov_b32_e32 v0, v120
	v_mov_b32_e32 v1, v121
	;; [unrolled: 1-line block ×26, first 2 shown]
	scratch_store_dwordx4 off, v[0:3], off offset:388 ; 16-byte Folded Spill
	s_nop 0
	scratch_store_dwordx4 off, v[4:7], off offset:404 ; 16-byte Folded Spill
	scratch_store_dwordx4 off, v[8:11], off offset:420 ; 16-byte Folded Spill
	;; [unrolled: 1-line block ×7, first 2 shown]
	v_mov_b32_e32 v220, v120
	v_mov_b32_e32 v221, v121
	;; [unrolled: 1-line block ×48, first 2 shown]
	s_waitcnt vmcnt(9)
	v_mov_b32_e32 v92, v124
	v_mov_b32_e32 v93, v125
	v_mov_b32_e32 v94, v126
	v_mov_b32_e32 v95, v127
	s_waitcnt vmcnt(8)
	v_mov_b32_e32 v96, v128
	v_mov_b32_e32 v97, v129
	;; [unrolled: 1-line block ×15, first 2 shown]
	scratch_store_dwordx4 off, v[120:123], off offset:516 ; 16-byte Folded Spill
	s_nop 0
	scratch_store_dwordx4 off, v[124:127], off offset:532 ; 16-byte Folded Spill
	scratch_store_dwordx4 off, v[128:131], off offset:548 ; 16-byte Folded Spill
	;; [unrolled: 1-line block ×7, first 2 shown]
	v_mov_b32_e32 v112, v66
	v_mov_b32_e32 v113, v67
	;; [unrolled: 1-line block ×5, first 2 shown]
	scratch_store_dwordx4 off, v[2:5], off offset:132 ; 16-byte Folded Spill
	s_nop 0
	scratch_store_dwordx4 off, v[6:9], off offset:148 ; 16-byte Folded Spill
	scratch_store_dwordx4 off, v[10:13], off offset:164 ; 16-byte Folded Spill
	;; [unrolled: 1-line block ×8, first 2 shown]
	s_nop 0
	scratch_store_dwordx4 off, v[224:227], off offset:276 ; 16-byte Folded Spill
	scratch_store_dwordx4 off, v[228:231], off offset:292 ; 16-byte Folded Spill
	;; [unrolled: 1-line block ×7, first 2 shown]
	v_mov_b64_e32 v[182:183], v[118:119]
	v_mov_b64_e32 v[180:181], v[116:117]
	;; [unrolled: 1-line block ×16, first 2 shown]
	v_mov_b32_e32 v31, v114
	v_mov_b32_e32 v30, v67
	;; [unrolled: 1-line block ×4, first 2 shown]
.LBB53_113:
	s_or_b64 exec, exec, s[2:3]
	v_cmp_eq_u32_e32 vcc, 22, v249
	s_waitcnt lgkmcnt(0)
	s_barrier
	s_and_saveexec_b64 s[2:3], vcc
	s_cbranch_execz .LBB53_116
; %bb.114:
	scratch_load_dwordx4 v[120:123], off, off offset:132 ; 16-byte Folded Reload
	scratch_load_dwordx4 v[124:127], off, off offset:148 ; 16-byte Folded Reload
	;; [unrolled: 1-line block ×8, first 2 shown]
	s_waitcnt vmcnt(2)
	ds_write_b32 v246, v142
	ds_write2_b32 v187, v175, v176 offset0:23 offset1:24
	ds_write2_b32 v187, v177, v178 offset0:25 offset1:26
	ds_read_b32 v24, v246
	s_waitcnt lgkmcnt(0)
	v_cmp_neq_f32_e32 vcc, 0, v24
	s_and_b64 exec, exec, vcc
	s_cbranch_execz .LBB53_116
; %bb.115:
	v_div_scale_f32 v25, s[4:5], v24, v24, 1.0
	v_rcp_f32_e32 v26, v25
	v_div_scale_f32 v27, vcc, 1.0, v24, 1.0
	v_fma_f32 v28, -v25, v26, 1.0
	v_fmac_f32_e32 v26, v28, v26
	v_mul_f32_e32 v28, v27, v26
	v_fma_f32 v29, -v25, v28, v27
	v_fmac_f32_e32 v28, v29, v26
	v_fma_f32 v25, -v25, v28, v27
	v_div_fmas_f32 v25, v25, v26, v28
	v_div_fixup_f32 v24, v25, v24, 1.0
	ds_write_b32 v246, v24
.LBB53_116:
	s_or_b64 exec, exec, s[2:3]
	s_waitcnt lgkmcnt(0)
	s_barrier
	ds_read_b32 v34, v246
	v_cmp_lt_u32_e32 vcc, 22, v249
	s_mov_b64 s[2:3], exec
	scratch_load_dwordx4 v[120:123], off, off offset:388 ; 16-byte Folded Reload
	scratch_load_dwordx4 v[124:127], off, off offset:404 ; 16-byte Folded Reload
	;; [unrolled: 1-line block ×8, first 2 shown]
	s_and_b64 s[4:5], s[2:3], vcc
                                        ; kill: def $vgpr120_vgpr121_vgpr122_vgpr123_vgpr124_vgpr125_vgpr126_vgpr127_vgpr128_vgpr129_vgpr130_vgpr131_vgpr132_vgpr133_vgpr134_vgpr135 killed $vgpr120_vgpr121_vgpr122_vgpr123_vgpr124_vgpr125_vgpr126_vgpr127_vgpr128_vgpr129_vgpr130_vgpr131_vgpr132_vgpr133_vgpr134_vgpr135 def $vgpr145 def $vgpr147_vgpr148_vgpr149_vgpr150_vgpr151
	s_mov_b64 exec, s[4:5]
	s_cbranch_execz .LBB53_118
; %bb.117:
	ds_read2_b32 v[0:1], v187 offset0:23 offset1:24
	scratch_load_dwordx4 v[2:5], off, off offset:132 ; 16-byte Folded Reload
	scratch_load_dwordx4 v[6:9], off, off offset:148 ; 16-byte Folded Reload
	;; [unrolled: 1-line block ×16, first 2 shown]
	s_waitcnt vmcnt(15)
	ds_read2_b32 v[4:5], v187 offset0:25 offset1:26
	v_mov_b32_e32 v3, v176
	v_mov_b32_e32 v2, v175
	s_waitcnt vmcnt(2) lgkmcnt(2)
	v_mul_f32_e32 v90, v24, v34
	v_mov_b32_e32 v182, v90
	v_mov_b32_e32 v64, v90
	v_mov_b32_e32 v160, v68
	v_mov_b32_e32 v161, v69
	v_mov_b32_e32 v162, v70
	v_mov_b32_e32 v163, v71
	v_mov_b32_e32 v164, v72
	s_waitcnt lgkmcnt(1)
	v_pk_fma_f32 v[32:33], v[90:91], v[0:1], v[2:3] op_sel_hi:[0,1,1] neg_lo:[1,0,0] neg_hi:[1,0,0]
	v_mov_b32_e32 v1, v178
	v_mov_b32_e32 v0, v177
	s_waitcnt lgkmcnt(0)
	v_pk_fma_f32 v[30:31], v[90:91], v[4:5], v[0:1] op_sel_hi:[0,1,1] neg_lo:[1,0,0] neg_hi:[1,0,0]
	v_mov_b32_e32 v165, v73
	v_mov_b32_e32 v166, v74
	v_mov_b32_e32 v167, v75
	v_mov_b32_e32 v168, v76
	v_mov_b32_e32 v169, v77
	v_mov_b32_e32 v170, v78
	v_mov_b32_e32 v171, v79
	v_mov_b32_e32 v172, v80
	v_mov_b32_e32 v173, v81
	v_mov_b32_e32 v174, v82
	v_mov_b32_e32 v175, v83
	v_mov_b32_e32 v176, v84
	v_mov_b32_e32 v177, v85
	v_mov_b32_e32 v178, v86
	v_mov_b32_e32 v179, v87
	v_mov_b32_e32 v180, v88
	v_mov_b32_e32 v181, v89
	v_mov_b32_e32 v183, v32
	v_mov_b32_e32 v184, v33
	v_mov_b32_e32 v185, v30
	v_mov_b32_e32 v186, v31
	v_mov_b64_e32 v[152:153], v[160:161]
	v_mov_b32_e32 v91, v32
	v_mov_b64_e32 v[154:155], v[162:163]
	v_mov_b64_e32 v[156:157], v[164:165]
	;; [unrolled: 1-line block ×14, first 2 shown]
	s_waitcnt vmcnt(0)
	v_mov_b64_e32 v[150:151], v[98:99]
	v_mov_b32_e32 v42, v68
	v_mov_b32_e32 v43, v69
	;; [unrolled: 1-line block ×24, first 2 shown]
	v_mov_b64_e32 v[182:183], v[190:191]
	v_mov_b64_e32 v[148:149], v[96:97]
	;; [unrolled: 1-line block ×16, first 2 shown]
	v_mov_b32_e32 v105, v32
	v_mov_b32_e32 v180, v33
	scratch_store_dwordx4 off, v[68:71], off offset:260 ; 16-byte Folded Spill
	s_nop 0
	scratch_store_dwordx4 off, v[72:75], off offset:276 ; 16-byte Folded Spill
	scratch_store_dwordx4 off, v[76:79], off offset:292 ; 16-byte Folded Spill
	;; [unrolled: 1-line block ×7, first 2 shown]
.LBB53_118:
	s_or_b64 exec, exec, s[2:3]
	v_cmp_eq_u32_e32 vcc, 23, v249
	s_waitcnt lgkmcnt(0)
	s_barrier
	s_and_saveexec_b64 s[2:3], vcc
	s_cbranch_execz .LBB53_121
; %bb.119:
	ds_write_b32 v246, v105
	ds_write2_b32 v187, v176, v177 offset0:24 offset1:25
	ds_write_b32 v187, v31 offset:104
	ds_read_b32 v24, v246
	s_waitcnt lgkmcnt(0)
	v_cmp_neq_f32_e32 vcc, 0, v24
	s_and_b64 exec, exec, vcc
	s_cbranch_execz .LBB53_121
; %bb.120:
	v_div_scale_f32 v25, s[4:5], v24, v24, 1.0
	v_rcp_f32_e32 v26, v25
	v_div_scale_f32 v27, vcc, 1.0, v24, 1.0
	v_fma_f32 v28, -v25, v26, 1.0
	v_fmac_f32_e32 v26, v28, v26
	v_mul_f32_e32 v28, v27, v26
	v_fma_f32 v29, -v25, v28, v27
	v_fmac_f32_e32 v28, v29, v26
	v_fma_f32 v25, -v25, v28, v27
	v_div_fmas_f32 v25, v25, v26, v28
	v_div_fixup_f32 v24, v25, v24, 1.0
	ds_write_b32 v246, v24
.LBB53_121:
	s_or_b64 exec, exec, s[2:3]
	s_waitcnt lgkmcnt(0)
	s_barrier
	ds_read_b32 v33, v246
	v_cmp_lt_u32_e32 vcc, 23, v249
	s_and_saveexec_b64 s[2:3], vcc
	s_cbranch_execz .LBB53_123
; %bb.122:
	ds_read2_b32 v[0:1], v187 offset0:24 offset1:25
	ds_read_b32 v3, v187 offset:104
	scratch_load_dwordx4 v[68:71], off, off offset:260 ; 16-byte Folded Reload
	scratch_load_dwordx4 v[72:75], off, off offset:276 ; 16-byte Folded Reload
	;; [unrolled: 1-line block ×8, first 2 shown]
	s_waitcnt lgkmcnt(2)
	v_mul_f32_e32 v2, v105, v33
	v_mov_b32_e32 v4, v176
	v_mov_b32_e32 v5, v177
	s_waitcnt lgkmcnt(0)
	v_pk_fma_f32 v[66:67], v[2:3], v[0:1], v[4:5] op_sel_hi:[0,1,1] neg_lo:[1,0,0] neg_hi:[1,0,0]
	v_fma_f32 v32, -v2, v3, v31
	v_mov_b32_e32 v29, v2
	v_mov_b32_e32 v30, v66
	;; [unrolled: 1-line block ×3, first 2 shown]
	s_waitcnt vmcnt(2)
	v_mov_b32_e32 v91, v2
	v_mov_b32_e32 v65, v2
	;; [unrolled: 1-line block ×25, first 2 shown]
	v_mov_b64_e32 v[182:183], v[36:37]
	v_mov_b64_e32 v[180:181], v[34:35]
	s_waitcnt vmcnt(0)
	v_mov_b64_e32 v[150:151], v[98:99]
	v_mov_b32_e32 v42, v68
	v_mov_b32_e32 v43, v69
	;; [unrolled: 1-line block ×23, first 2 shown]
	v_mov_b64_e32 v[178:179], v[32:33]
	v_mov_b64_e32 v[176:177], v[30:31]
	;; [unrolled: 1-line block ×29, first 2 shown]
	v_mov_b32_e32 v180, v66
	v_mov_b32_e32 v30, v67
	;; [unrolled: 1-line block ×3, first 2 shown]
.LBB53_123:
	s_or_b64 exec, exec, s[2:3]
	v_cmp_eq_u32_e32 vcc, 24, v249
	s_waitcnt lgkmcnt(0)
	s_barrier
	s_and_saveexec_b64 s[2:3], vcc
	s_cbranch_execz .LBB53_126
; %bb.124:
	ds_write_b32 v246, v180
	ds_write2_b32 v187, v177, v178 offset0:25 offset1:26
	ds_read_b32 v24, v246
	s_waitcnt lgkmcnt(0)
	v_cmp_neq_f32_e32 vcc, 0, v24
	s_and_b64 exec, exec, vcc
	s_cbranch_execz .LBB53_126
; %bb.125:
	v_div_scale_f32 v25, s[4:5], v24, v24, 1.0
	v_rcp_f32_e32 v26, v25
	v_div_scale_f32 v27, vcc, 1.0, v24, 1.0
	v_fma_f32 v28, -v25, v26, 1.0
	v_fmac_f32_e32 v26, v28, v26
	v_mul_f32_e32 v28, v27, v26
	v_fma_f32 v29, -v25, v28, v27
	v_fmac_f32_e32 v28, v29, v26
	v_fma_f32 v25, -v25, v28, v27
	v_div_fmas_f32 v25, v25, v26, v28
	v_div_fixup_f32 v24, v25, v24, 1.0
	ds_write_b32 v246, v24
.LBB53_126:
	s_or_b64 exec, exec, s[2:3]
	s_waitcnt lgkmcnt(0)
	s_barrier
	ds_read_b32 v27, v246
	v_cmp_lt_u32_e32 vcc, 24, v249
	s_and_saveexec_b64 s[2:3], vcc
	s_cbranch_execz .LBB53_128
; %bb.127:
	s_movk_i32 s4, 0x120c
	scratch_load_dword v249, off, s4        ; 4-byte Folded Reload
	ds_read2_b32 v[28:29], v187 offset0:25 offset1:26
	s_waitcnt vmcnt(2) lgkmcnt(1)
	v_mul_f32_e32 v144, v180, v27
	v_mov_b32_e32 v31, v178
	v_mov_b32_e32 v30, v177
	s_waitcnt lgkmcnt(0)
	v_pk_fma_f32 v[30:31], v[144:145], v[28:29], v[30:31] op_sel_hi:[0,1,1] neg_lo:[1,0,0] neg_hi:[1,0,0]
	v_mov_b32_e32 v145, v30
	v_mov_b32_e32 v146, v31
	s_waitcnt vmcnt(1)
	v_mov_b64_e32 v[182:183], v[150:151]
	v_mov_b64_e32 v[42:43], v[120:121]
	v_mov_b64_e32 v[178:179], v[146:147]
	v_mov_b64_e32 v[176:177], v[144:145]
	v_mov_b64_e32 v[174:175], v[142:143]
	v_mov_b64_e32 v[172:173], v[140:141]
	v_mov_b64_e32 v[170:171], v[138:139]
	v_mov_b64_e32 v[168:169], v[136:137]
	v_mov_b64_e32 v[166:167], v[134:135]
	v_mov_b64_e32 v[164:165], v[132:133]
	v_mov_b64_e32 v[162:163], v[130:131]
	v_mov_b64_e32 v[160:161], v[128:129]
	v_mov_b64_e32 v[158:159], v[126:127]
	v_mov_b64_e32 v[156:157], v[124:125]
	v_mov_b64_e32 v[154:155], v[122:123]
	v_mov_b64_e32 v[152:153], v[120:121]
	v_mov_b64_e32 v[44:45], v[122:123]
	v_mov_b64_e32 v[46:47], v[124:125]
	v_mov_b64_e32 v[48:49], v[126:127]
	v_mov_b64_e32 v[50:51], v[128:129]
	v_mov_b64_e32 v[52:53], v[130:131]
	v_mov_b64_e32 v[54:55], v[132:133]
	v_mov_b64_e32 v[56:57], v[134:135]
	v_mov_b64_e32 v[58:59], v[136:137]
	v_mov_b64_e32 v[60:61], v[138:139]
	v_mov_b64_e32 v[62:63], v[140:141]
	v_mov_b64_e32 v[64:65], v[142:143]
	v_mov_b64_e32 v[66:67], v[144:145]
	v_mov_b64_e32 v[68:69], v[146:147]
	v_mov_b64_e32 v[70:71], v[148:149]
	v_mov_b64_e32 v[72:73], v[150:151]
	v_mov_b64_e32 v[180:181], v[148:149]
.LBB53_128:
	s_or_b64 exec, exec, s[2:3]
	s_waitcnt vmcnt(0)
	v_cmp_eq_u32_e32 vcc, 25, v249
	s_waitcnt lgkmcnt(0)
	s_barrier
	s_and_saveexec_b64 s[2:3], vcc
	s_cbranch_execz .LBB53_131
; %bb.129:
	ds_write_b32 v246, v30
	ds_write_b32 v187, v31 offset:104
	ds_read_b32 v0, v246
	s_waitcnt lgkmcnt(0)
	v_cmp_neq_f32_e32 vcc, 0, v0
	s_and_b64 exec, exec, vcc
	s_cbranch_execz .LBB53_131
; %bb.130:
	v_div_scale_f32 v1, s[4:5], v0, v0, 1.0
	v_rcp_f32_e32 v2, v1
	v_div_scale_f32 v3, vcc, 1.0, v0, 1.0
	v_fma_f32 v4, -v1, v2, 1.0
	v_fmac_f32_e32 v2, v4, v2
	v_mul_f32_e32 v4, v3, v2
	v_fma_f32 v5, -v1, v4, v3
	v_fmac_f32_e32 v4, v5, v2
	v_fma_f32 v1, -v1, v4, v3
	v_div_fmas_f32 v1, v1, v2, v4
	v_div_fixup_f32 v0, v1, v0, 1.0
	ds_write_b32 v246, v0
.LBB53_131:
	s_or_b64 exec, exec, s[2:3]
	s_waitcnt lgkmcnt(0)
	s_barrier
	ds_read_b32 v2, v246
	v_cmp_lt_u32_e32 vcc, 25, v249
	s_and_saveexec_b64 s[2:3], vcc
	s_cbranch_execz .LBB53_133
; %bb.132:
	ds_read_b32 v0, v187 offset:104
	s_waitcnt lgkmcnt(1)
	v_mul_f32_e32 v67, v30, v2
	s_waitcnt lgkmcnt(0)
	v_fma_f32 v68, -v67, v0, v31
	v_mov_b64_e32 v[182:183], v[72:73]
	v_mov_b64_e32 v[178:179], v[68:69]
	;; [unrolled: 1-line block ×15, first 2 shown]
	v_mov_b32_e32 v31, v68
	v_mov_b64_e32 v[180:181], v[70:71]
.LBB53_133:
	s_or_b64 exec, exec, s[2:3]
	v_cmp_eq_u32_e32 vcc, 26, v249
	s_waitcnt lgkmcnt(0)
	s_barrier
	s_and_saveexec_b64 s[2:3], vcc
	s_cbranch_execz .LBB53_136
; %bb.134:
	v_cmp_neq_f32_e32 vcc, 0, v31
	ds_write_b32 v246, v31
	s_and_b64 exec, exec, vcc
	s_cbranch_execz .LBB53_136
; %bb.135:
	v_div_scale_f32 v0, s[4:5], v31, v31, 1.0
	v_rcp_f32_e32 v1, v0
	v_div_scale_f32 v3, vcc, 1.0, v31, 1.0
	v_fma_f32 v4, -v0, v1, 1.0
	v_fmac_f32_e32 v1, v4, v1
	v_mul_f32_e32 v4, v3, v1
	v_fma_f32 v5, -v0, v4, v3
	v_fmac_f32_e32 v4, v5, v1
	v_fma_f32 v0, -v0, v4, v3
	v_div_fmas_f32 v0, v0, v1, v4
	v_div_fixup_f32 v0, v0, v31, 1.0
	ds_write_b32 v246, v0
.LBB53_136:
	s_or_b64 exec, exec, s[2:3]
	s_waitcnt lgkmcnt(0)
	s_barrier
	ds_read_b32 v3, v246
	s_waitcnt lgkmcnt(0)
	s_barrier
	s_and_saveexec_b64 s[2:3], s[0:1]
	s_cbranch_execz .LBB53_139
; %bb.137:
	s_movk_i32 s0, 0x13e8
	scratch_load_dword v0, off, s0          ; 4-byte Folded Reload
	s_movk_i32 s0, 0x13ec
	scratch_load_dword v1, off, s0          ; 4-byte Folded Reload
	s_waitcnt vmcnt(1)
	v_cmp_eq_f32_e32 vcc, 0, v0
	s_nop 1
	v_cndmask_b32_e64 v0, 0, 1, vcc
	s_waitcnt vmcnt(0)
	v_cmp_neq_f32_e64 s[0:1], 0, v1
	scratch_load_dword v1, off, off offset:2052 ; 4-byte Folded Reload
	s_or_b64 vcc, s[0:1], vcc
	v_cndmask_b32_e32 v0, 2, v0, vcc
	v_cmp_eq_u32_e64 s[0:1], 0, v0
	s_waitcnt vmcnt(0)
	v_cmp_eq_f32_e32 vcc, 0, v1
	scratch_load_dword v1, off, off offset:2572 ; 4-byte Folded Reload
	s_and_b64 s[0:1], vcc, s[0:1]
	v_cndmask_b32_e64 v0, v0, 3, s[0:1]
	v_cmp_eq_u32_e64 s[0:1], 0, v0
	s_waitcnt vmcnt(0)
	v_cmp_eq_f32_e32 vcc, 0, v1
	s_and_b64 s[0:1], vcc, s[0:1]
	v_cndmask_b32_e64 v0, v0, 4, s[0:1]
	v_cmp_eq_f32_e32 vcc, 0, v244
	v_cmp_eq_u32_e64 s[0:1], 0, v0
	s_and_b64 s[0:1], vcc, s[0:1]
	v_cmp_eq_f32_e32 vcc, 0, v245
	v_cndmask_b32_e64 v0, v0, 5, s[0:1]
	v_cmp_eq_u32_e64 s[0:1], 0, v0
	s_and_b64 s[0:1], vcc, s[0:1]
	v_cmp_eq_f32_e32 vcc, 0, v188
	v_cndmask_b32_e64 v0, v0, 6, s[0:1]
	v_cmp_eq_u32_e64 s[0:1], 0, v0
	s_and_b64 s[0:1], vcc, s[0:1]
	v_mov_b32_e32 v1, s7
	v_cndmask_b32_e64 v4, v0, 7, s[0:1]
	s_movk_i32 s0, 0x14f0
	v_mov_b32_e32 v0, s6
	scratch_load_dwordx2 v[6:7], off, s0    ; 8-byte Folded Reload
	v_cmp_eq_f32_e32 vcc, 0, v248
	v_cmp_eq_u32_e64 s[0:1], 0, v4
	s_and_b64 s[0:1], vcc, s[0:1]
	v_cmp_eq_f32_e32 vcc, 0, v189
	v_cndmask_b32_e64 v4, v4, 8, s[0:1]
	v_cmp_eq_u32_e64 s[0:1], 0, v4
	s_and_b64 s[0:1], vcc, s[0:1]
	v_cmp_eq_f32_e32 vcc, 0, v190
	v_cndmask_b32_e64 v4, v4, 9, s[0:1]
	;; [unrolled: 4-line block ×19, first 2 shown]
	v_cmp_eq_u32_e64 s[0:1], 0, v2
	s_and_b64 s[0:1], vcc, s[0:1]
	s_waitcnt vmcnt(0)
	v_lshl_add_u64 v[0:1], v[6:7], 2, v[0:1]
	global_load_dword v5, v[0:1], off
	v_cndmask_b32_e64 v2, v2, 27, s[0:1]
	v_cmp_ne_u32_e64 s[0:1], 0, v2
	s_waitcnt vmcnt(0)
	v_cmp_eq_u32_e32 vcc, 0, v5
	s_and_b64 s[0:1], vcc, s[0:1]
	s_and_b64 exec, exec, s[0:1]
	s_cbranch_execz .LBB53_139
; %bb.138:
	v_add_u32_e32 v2, s9, v2
	global_store_dword v[0:1], v2, off
.LBB53_139:
	s_or_b64 exec, exec, s[2:3]
	s_movk_i32 s0, 0x1310
	v_mul_f32_e32 v0, v31, v3
	scratch_load_dwordx2 v[2:3], off, s0    ; 8-byte Folded Reload
	s_movk_i32 s0, 0x1318
	v_cmp_lt_u32_e32 vcc, 26, v249
	s_waitcnt vmcnt(0)
	global_store_dword v[2:3], v152, off
	scratch_load_dwordx2 v[2:3], off, s0    ; 8-byte Folded Reload
	s_movk_i32 s0, 0x1320
	v_cndmask_b32_e32 v0, v178, v0, vcc
	s_waitcnt vmcnt(0)
	global_store_dword v[2:3], v153, off
	scratch_load_dwordx2 v[2:3], off, s0    ; 8-byte Folded Reload
	s_movk_i32 s0, 0x1328
	s_waitcnt vmcnt(0)
	global_store_dword v[2:3], v154, off
	scratch_load_dwordx2 v[2:3], off, s0    ; 8-byte Folded Reload
	s_movk_i32 s0, 0x1330
	s_waitcnt vmcnt(0)
	global_store_dword v[2:3], v155, off
	scratch_load_dwordx2 v[2:3], off, s0    ; 8-byte Folded Reload
	s_movk_i32 s0, 0x1338
	s_waitcnt vmcnt(0)
	global_store_dword v[2:3], v156, off
	scratch_load_dwordx2 v[2:3], off, s0    ; 8-byte Folded Reload
	s_movk_i32 s0, 0x1340
	s_waitcnt vmcnt(0)
	global_store_dword v[2:3], v157, off
	scratch_load_dwordx2 v[2:3], off, s0    ; 8-byte Folded Reload
	s_movk_i32 s0, 0x1348
	s_waitcnt vmcnt(0)
	global_store_dword v[2:3], v158, off
	scratch_load_dwordx2 v[2:3], off, s0    ; 8-byte Folded Reload
	s_movk_i32 s0, 0x1350
	s_waitcnt vmcnt(0)
	global_store_dword v[2:3], v159, off
	scratch_load_dwordx2 v[2:3], off, s0    ; 8-byte Folded Reload
	s_movk_i32 s0, 0x1358
	s_waitcnt vmcnt(0)
	global_store_dword v[2:3], v160, off
	scratch_load_dwordx2 v[2:3], off, s0    ; 8-byte Folded Reload
	s_movk_i32 s0, 0x1360
	s_waitcnt vmcnt(0)
	global_store_dword v[2:3], v161, off
	scratch_load_dwordx2 v[2:3], off, s0    ; 8-byte Folded Reload
	s_movk_i32 s0, 0x1368
	s_waitcnt vmcnt(0)
	global_store_dword v[2:3], v162, off
	scratch_load_dwordx2 v[2:3], off, s0    ; 8-byte Folded Reload
	s_movk_i32 s0, 0x1370
	s_waitcnt vmcnt(0)
	global_store_dword v[2:3], v163, off
	scratch_load_dwordx2 v[2:3], off, s0    ; 8-byte Folded Reload
	s_movk_i32 s0, 0x1378
	s_waitcnt vmcnt(0)
	global_store_dword v[2:3], v164, off
	scratch_load_dwordx2 v[2:3], off, s0    ; 8-byte Folded Reload
	s_movk_i32 s0, 0x1380
	s_waitcnt vmcnt(0)
	global_store_dword v[2:3], v165, off
	scratch_load_dwordx2 v[2:3], off, s0    ; 8-byte Folded Reload
	s_movk_i32 s0, 0x1388
	s_waitcnt vmcnt(0)
	global_store_dword v[2:3], v166, off
	scratch_load_dwordx2 v[2:3], off, s0    ; 8-byte Folded Reload
	s_movk_i32 s0, 0x1390
	s_waitcnt vmcnt(0)
	global_store_dword v[2:3], v167, off
	scratch_load_dwordx2 v[2:3], off, s0    ; 8-byte Folded Reload
	s_movk_i32 s0, 0x1398
	s_waitcnt vmcnt(0)
	global_store_dword v[2:3], v168, off
	scratch_load_dwordx2 v[2:3], off, s0    ; 8-byte Folded Reload
	s_movk_i32 s0, 0x13a0
	s_waitcnt vmcnt(0)
	global_store_dword v[2:3], v169, off
	scratch_load_dwordx2 v[2:3], off, s0    ; 8-byte Folded Reload
	s_movk_i32 s0, 0x13a8
	s_waitcnt vmcnt(0)
	global_store_dword v[2:3], v170, off
	scratch_load_dwordx2 v[2:3], off, s0    ; 8-byte Folded Reload
	s_movk_i32 s0, 0x13b0
	s_waitcnt vmcnt(0)
	global_store_dword v[2:3], v171, off
	scratch_load_dwordx2 v[2:3], off, s0    ; 8-byte Folded Reload
	s_movk_i32 s0, 0x13b8
	s_waitcnt vmcnt(0)
	global_store_dword v[2:3], v172, off
	scratch_load_dwordx2 v[2:3], off, s0    ; 8-byte Folded Reload
	s_movk_i32 s0, 0x13c0
	s_waitcnt vmcnt(0)
	global_store_dword v[2:3], v173, off
	scratch_load_dwordx2 v[2:3], off, s0    ; 8-byte Folded Reload
	s_movk_i32 s0, 0x13c8
	s_waitcnt vmcnt(0)
	global_store_dword v[2:3], v174, off
	scratch_load_dwordx2 v[2:3], off, s0    ; 8-byte Folded Reload
	s_movk_i32 s0, 0x13d0
	s_waitcnt vmcnt(0)
	global_store_dword v[2:3], v175, off
	scratch_load_dwordx2 v[2:3], off, s0    ; 8-byte Folded Reload
	s_movk_i32 s0, 0x13d8
	s_waitcnt vmcnt(0)
	global_store_dword v[2:3], v176, off
	scratch_load_dwordx2 v[2:3], off, s0    ; 8-byte Folded Reload
	s_movk_i32 s0, 0x13e0
	s_waitcnt vmcnt(0)
	global_store_dword v[2:3], v177, off
	scratch_load_dwordx2 v[2:3], off, s0    ; 8-byte Folded Reload
	s_waitcnt vmcnt(0)
	global_store_dword v[2:3], v0, off
.LBB53_140:
	s_endpgm
	.section	.rodata,"a",@progbits
	.p2align	6, 0x0
	.amdhsa_kernel _ZN9rocsolver6v33100L23getf2_npvt_small_kernelILi27EfiiPfEEvT1_T3_lS3_lPT2_S3_S3_
		.amdhsa_group_segment_fixed_size 0
		.amdhsa_private_segment_fixed_size 5368
		.amdhsa_kernarg_size 312
		.amdhsa_user_sgpr_count 2
		.amdhsa_user_sgpr_dispatch_ptr 0
		.amdhsa_user_sgpr_queue_ptr 0
		.amdhsa_user_sgpr_kernarg_segment_ptr 1
		.amdhsa_user_sgpr_dispatch_id 0
		.amdhsa_user_sgpr_kernarg_preload_length 0
		.amdhsa_user_sgpr_kernarg_preload_offset 0
		.amdhsa_user_sgpr_private_segment_size 0
		.amdhsa_uses_dynamic_stack 0
		.amdhsa_enable_private_segment 1
		.amdhsa_system_sgpr_workgroup_id_x 1
		.amdhsa_system_sgpr_workgroup_id_y 1
		.amdhsa_system_sgpr_workgroup_id_z 0
		.amdhsa_system_sgpr_workgroup_info 0
		.amdhsa_system_vgpr_workitem_id 1
		.amdhsa_next_free_vgpr 255
		.amdhsa_next_free_sgpr 16
		.amdhsa_accum_offset 256
		.amdhsa_reserve_vcc 1
		.amdhsa_float_round_mode_32 0
		.amdhsa_float_round_mode_16_64 0
		.amdhsa_float_denorm_mode_32 3
		.amdhsa_float_denorm_mode_16_64 3
		.amdhsa_dx10_clamp 1
		.amdhsa_ieee_mode 1
		.amdhsa_fp16_overflow 0
		.amdhsa_tg_split 0
		.amdhsa_exception_fp_ieee_invalid_op 0
		.amdhsa_exception_fp_denorm_src 0
		.amdhsa_exception_fp_ieee_div_zero 0
		.amdhsa_exception_fp_ieee_overflow 0
		.amdhsa_exception_fp_ieee_underflow 0
		.amdhsa_exception_fp_ieee_inexact 0
		.amdhsa_exception_int_div_zero 0
	.end_amdhsa_kernel
	.section	.text._ZN9rocsolver6v33100L23getf2_npvt_small_kernelILi27EfiiPfEEvT1_T3_lS3_lPT2_S3_S3_,"axG",@progbits,_ZN9rocsolver6v33100L23getf2_npvt_small_kernelILi27EfiiPfEEvT1_T3_lS3_lPT2_S3_S3_,comdat
.Lfunc_end53:
	.size	_ZN9rocsolver6v33100L23getf2_npvt_small_kernelILi27EfiiPfEEvT1_T3_lS3_lPT2_S3_S3_, .Lfunc_end53-_ZN9rocsolver6v33100L23getf2_npvt_small_kernelILi27EfiiPfEEvT1_T3_lS3_lPT2_S3_S3_
                                        ; -- End function
	.set _ZN9rocsolver6v33100L23getf2_npvt_small_kernelILi27EfiiPfEEvT1_T3_lS3_lPT2_S3_S3_.num_vgpr, 255
	.set _ZN9rocsolver6v33100L23getf2_npvt_small_kernelILi27EfiiPfEEvT1_T3_lS3_lPT2_S3_S3_.num_agpr, 0
	.set _ZN9rocsolver6v33100L23getf2_npvt_small_kernelILi27EfiiPfEEvT1_T3_lS3_lPT2_S3_S3_.numbered_sgpr, 16
	.set _ZN9rocsolver6v33100L23getf2_npvt_small_kernelILi27EfiiPfEEvT1_T3_lS3_lPT2_S3_S3_.num_named_barrier, 0
	.set _ZN9rocsolver6v33100L23getf2_npvt_small_kernelILi27EfiiPfEEvT1_T3_lS3_lPT2_S3_S3_.private_seg_size, 5368
	.set _ZN9rocsolver6v33100L23getf2_npvt_small_kernelILi27EfiiPfEEvT1_T3_lS3_lPT2_S3_S3_.uses_vcc, 1
	.set _ZN9rocsolver6v33100L23getf2_npvt_small_kernelILi27EfiiPfEEvT1_T3_lS3_lPT2_S3_S3_.uses_flat_scratch, 0
	.set _ZN9rocsolver6v33100L23getf2_npvt_small_kernelILi27EfiiPfEEvT1_T3_lS3_lPT2_S3_S3_.has_dyn_sized_stack, 0
	.set _ZN9rocsolver6v33100L23getf2_npvt_small_kernelILi27EfiiPfEEvT1_T3_lS3_lPT2_S3_S3_.has_recursion, 0
	.set _ZN9rocsolver6v33100L23getf2_npvt_small_kernelILi27EfiiPfEEvT1_T3_lS3_lPT2_S3_S3_.has_indirect_call, 0
	.section	.AMDGPU.csdata,"",@progbits
; Kernel info:
; codeLenInByte = 68752
; TotalNumSgprs: 22
; NumVgprs: 255
; NumAgprs: 0
; TotalNumVgprs: 255
; ScratchSize: 5368
; MemoryBound: 0
; FloatMode: 240
; IeeeMode: 1
; LDSByteSize: 0 bytes/workgroup (compile time only)
; SGPRBlocks: 2
; VGPRBlocks: 31
; NumSGPRsForWavesPerEU: 22
; NumVGPRsForWavesPerEU: 255
; AccumOffset: 256
; Occupancy: 2
; WaveLimiterHint : 0
; COMPUTE_PGM_RSRC2:SCRATCH_EN: 1
; COMPUTE_PGM_RSRC2:USER_SGPR: 2
; COMPUTE_PGM_RSRC2:TRAP_HANDLER: 0
; COMPUTE_PGM_RSRC2:TGID_X_EN: 1
; COMPUTE_PGM_RSRC2:TGID_Y_EN: 1
; COMPUTE_PGM_RSRC2:TGID_Z_EN: 0
; COMPUTE_PGM_RSRC2:TIDIG_COMP_CNT: 1
; COMPUTE_PGM_RSRC3_GFX90A:ACCUM_OFFSET: 63
; COMPUTE_PGM_RSRC3_GFX90A:TG_SPLIT: 0
	.section	.text._ZN9rocsolver6v33100L18getf2_small_kernelILi28EfiiPfEEvT1_T3_lS3_lPS3_llPT2_S3_S3_S5_l,"axG",@progbits,_ZN9rocsolver6v33100L18getf2_small_kernelILi28EfiiPfEEvT1_T3_lS3_lPS3_llPT2_S3_S3_S5_l,comdat
	.globl	_ZN9rocsolver6v33100L18getf2_small_kernelILi28EfiiPfEEvT1_T3_lS3_lPS3_llPT2_S3_S3_S5_l ; -- Begin function _ZN9rocsolver6v33100L18getf2_small_kernelILi28EfiiPfEEvT1_T3_lS3_lPS3_llPT2_S3_S3_S5_l
	.p2align	8
	.type	_ZN9rocsolver6v33100L18getf2_small_kernelILi28EfiiPfEEvT1_T3_lS3_lPS3_llPT2_S3_S3_S5_l,@function
_ZN9rocsolver6v33100L18getf2_small_kernelILi28EfiiPfEEvT1_T3_lS3_lPS3_llPT2_S3_S3_S5_l: ; @_ZN9rocsolver6v33100L18getf2_small_kernelILi28EfiiPfEEvT1_T3_lS3_lPS3_llPT2_S3_S3_S5_l
; %bb.0:
	s_load_dword s2, s[0:1], 0x6c
	s_load_dwordx2 s[14:15], s[0:1], 0x48
	v_bfe_u32 v4, v0, 10, 10
	s_waitcnt lgkmcnt(0)
	s_lshr_b32 s2, s2, 16
	s_mul_i32 s3, s3, s2
	v_add_u32_e32 v6, s3, v4
	v_cmp_gt_i32_e32 vcc, s14, v6
	s_and_saveexec_b64 s[2:3], vcc
	s_cbranch_execz .LBB54_476
; %bb.1:
	s_load_dwordx4 s[4:7], s[0:1], 0x50
	v_ashrrev_i32_e32 v7, 31, v6
	v_mov_b64_e32 v[2:3], 0
	s_movk_i32 s2, 0x118c
	scratch_store_dwordx2 off, v[2:3], s2   ; 8-byte Folded Spill
	s_waitcnt lgkmcnt(0)
	s_cmp_eq_u64 s[4:5], 0
	s_cselect_b64 s[16:17], -1, 0
	s_and_b64 vcc, exec, s[16:17]
	s_cbranch_vccnz .LBB54_3
; %bb.2:
	v_mul_lo_u32 v1, s7, v6
	v_mul_lo_u32 v5, s6, v7
	v_mad_u64_u32 v[2:3], s[2:3], s6, v6, 0
	v_add3_u32 v3, v3, v5, v1
	v_lshl_add_u64 v[2:3], v[2:3], 2, s[4:5]
	s_movk_i32 s2, 0x118c
	s_nop 1
	scratch_store_dwordx2 off, v[2:3], s2   ; 8-byte Folded Spill
.LBB54_3:
	s_load_dwordx4 s[24:27], s[0:1], 0x8
	s_load_dwordx8 s[4:11], s[0:1], 0x20
	s_load_dword s12, s[0:1], 0x18
	s_load_dword s22, s[0:1], 0x0
	s_movk_i32 s2, 0x141c
	scratch_store_dwordx2 off, v[6:7], s2   ; 8-byte Folded Spill
	s_waitcnt lgkmcnt(0)
	v_mul_lo_u32 v1, s5, v6
	v_mul_lo_u32 v5, s4, v7
	v_mad_u64_u32 v[6:7], s[2:3], s4, v6, 0
	v_mov_b32_e32 v2, s24
	v_mov_b32_e32 v3, s25
	v_add3_u32 v7, v7, v5, v1
	v_lshl_add_u64 v[2:3], v[6:7], 2, v[2:3]
	v_and_b32_e32 v1, 0x3ff, v0
	v_lshl_add_u64 v[46:47], s[26:27], 2, v[2:3]
	v_lshlrev_b32_e32 v2, 2, v1
	v_mov_b32_e32 v3, 0
	v_lshl_add_u64 v[6:7], v[46:47], 0, v[2:3]
	global_load_dword v0, v[6:7], off
	s_max_i32 s2, s22, 28
	s_add_i32 s14, s12, s12
	v_mul_lo_u32 v31, s2, v4
	v_add_u32_e32 v4, s14, v1
	v_add_u32_e32 v8, s12, v4
	;; [unrolled: 1-line block ×5, first 2 shown]
	s_ashr_i32 s13, s12, 31
	v_ashrrev_i32_e32 v5, 31, v4
	v_add_u32_e32 v16, s12, v14
	v_ashrrev_i32_e32 v9, 31, v8
	v_lshl_add_u64 v[4:5], v[4:5], 2, v[46:47]
	v_ashrrev_i32_e32 v11, 31, v10
	v_lshl_add_u64 v[6:7], s[12:13], 2, v[6:7]
	v_ashrrev_i32_e32 v13, 31, v12
	v_ashrrev_i32_e32 v15, 31, v14
	v_ashrrev_i32_e32 v17, 31, v16
	v_lshl_add_u64 v[8:9], v[8:9], 2, v[46:47]
	v_lshl_add_u64 v[10:11], v[10:11], 2, v[46:47]
	;; [unrolled: 1-line block ×5, first 2 shown]
	global_load_dword v141, v[6:7], off
	global_load_dword v60, v[4:5], off
	;; [unrolled: 1-line block ×7, first 2 shown]
	v_add_u32_e32 v4, s12, v16
	v_add_u32_e32 v6, s12, v4
	v_add_u32_e32 v8, s12, v6
	v_add_u32_e32 v10, s12, v8
	v_add_u32_e32 v12, s12, v10
	v_add_u32_e32 v14, s12, v12
	v_add_u32_e32 v16, s12, v14
	v_add_u32_e32 v18, s12, v16
	v_add_u32_e32 v20, s12, v18
	v_add_u32_e32 v22, s12, v20
	v_add_u32_e32 v24, s12, v22
	v_add_u32_e32 v26, s12, v24
	v_add_u32_e32 v28, s12, v26
	v_ashrrev_i32_e32 v29, 31, v28
	v_lshl_add_u64 v[32:33], v[28:29], 2, v[46:47]
	v_add_u32_e32 v28, s12, v28
	v_ashrrev_i32_e32 v29, 31, v28
	v_lshl_add_u64 v[34:35], v[28:29], 2, v[46:47]
	v_add_u32_e32 v28, s12, v28
	;; [unrolled: 3-line block ×6, first 2 shown]
	v_lshl_add_u32 v254, v31, 2, 0
	v_ashrrev_i32_e32 v29, 31, v28
	v_add_u32_e32 v2, v254, v2
	s_load_dwordx2 s[4:5], s[0:1], 0x40
	v_ashrrev_i32_e32 v5, 31, v4
	v_lshl_add_u64 v[44:45], v[28:29], 2, v[46:47]
	v_add_u32_e32 v28, s12, v28
	s_movk_i32 s0, 0x1414
	v_lshl_add_u64 v[4:5], v[4:5], 2, v[46:47]
	v_ashrrev_i32_e32 v7, 31, v6
	v_ashrrev_i32_e32 v9, 31, v8
	;; [unrolled: 1-line block ×12, first 2 shown]
	scratch_store_dwordx2 off, v[46:47], s0 ; 8-byte Folded Spill
	v_lshl_add_u64 v[6:7], v[6:7], 2, v[46:47]
	v_lshl_add_u64 v[8:9], v[8:9], 2, v[46:47]
	s_waitcnt vmcnt(8)
	ds_write_b32 v2, v0
	v_lshl_add_u64 v[10:11], v[10:11], 2, v[46:47]
	v_lshl_add_u64 v[12:13], v[12:13], 2, v[46:47]
	;; [unrolled: 1-line block ×9, first 2 shown]
	global_load_dword v253, v[44:45], off
	v_lshl_add_u64 v[28:29], v[28:29], 2, v[46:47]
	global_load_dword v52, v[4:5], off
	global_load_dword v53, v[6:7], off
	;; [unrolled: 1-line block ×13, first 2 shown]
	v_mov_b32_e32 v164, v0
	s_cmp_lt_i32 s22, 2
	scratch_store_dwordx4 off, v[38:41], off offset:260 ; 16-byte Folded Spill
	s_waitcnt vmcnt(4)
	scratch_store_dwordx4 off, v[42:45], off offset:276 ; 16-byte Folded Spill
	s_waitcnt vmcnt(4)
	scratch_store_dwordx4 off, v[46:49], off offset:292 ; 16-byte Folded Spill
	scratch_store_dwordx4 off, v[50:53], off offset:308 ; 16-byte Folded Spill
	;; [unrolled: 1-line block ×3, first 2 shown]
	s_waitcnt vmcnt(5)
	scratch_store_dwordx4 off, v[58:61], off offset:340 ; 16-byte Folded Spill
	scratch_store_dwordx4 off, v[62:65], off offset:356 ; 16-byte Folded Spill
	scratch_store_dwordx4 off, v[66:69], off offset:372 ; 16-byte Folded Spill
	global_load_dword v57, v[34:35], off
	s_nop 0
	global_load_dword v58, v[36:37], off
                                        ; kill: killed $vgpr26_vgpr27
                                        ; kill: killed $vgpr8_vgpr9
                                        ; kill: killed $vgpr32_vgpr33
                                        ; kill: killed $vgpr10_vgpr11
                                        ; kill: killed $vgpr34_vgpr35
                                        ; kill: killed $vgpr12_vgpr13
                                        ; kill: killed $vgpr36_vgpr37
                                        ; kill: killed $vgpr14_vgpr15
                                        ; kill: killed $vgpr16_vgpr17
                                        ; kill: killed $vgpr18_vgpr19
                                        ; kill: killed $vgpr20_vgpr21
                                        ; kill: killed $vgpr22_vgpr23
                                        ; kill: killed $vgpr4_vgpr5
                                        ; kill: killed $vgpr24_vgpr25
                                        ; kill: killed $vgpr6_vgpr7
	global_load_dword v27, v[38:39], off
	global_load_dword v24, v[40:41], off
                                        ; kill: killed $vgpr38_vgpr39
                                        ; kill: killed $vgpr40_vgpr41
                                        ; kill: killed $vgpr42_vgpr43
	s_nop 0
	scratch_store_dwordx4 off, v[0:3], off offset:644 ; 16-byte Folded Spill
	s_nop 0
	scratch_store_dwordx4 off, v[4:7], off offset:660 ; 16-byte Folded Spill
	scratch_store_dwordx4 off, v[8:11], off offset:676 ; 16-byte Folded Spill
	;; [unrolled: 1-line block ×5, first 2 shown]
	s_waitcnt vmcnt(6)
	scratch_store_dwordx4 off, v[24:27], off offset:740 ; 16-byte Folded Spill
	scratch_store_dwordx4 off, v[28:31], off offset:756 ; 16-byte Folded Spill
	global_load_dword v33, v[28:29], off
	s_nop 0
	scratch_store_dwordx4 off, v[6:9], off offset:2436 ; 16-byte Folded Spill
	s_nop 0
	scratch_store_dwordx4 off, v[10:13], off offset:2452 ; 16-byte Folded Spill
	scratch_store_dwordx4 off, v[14:17], off offset:2468 ; 16-byte Folded Spill
	;; [unrolled: 1-line block ×5, first 2 shown]
	s_waitcnt vmcnt(6)
	scratch_store_dwordx4 off, v[30:33], off offset:2532 ; 16-byte Folded Spill
	scratch_store_dwordx4 off, v[34:37], off offset:2548 ; 16-byte Folded Spill
	global_load_dword v159, v[42:43], off
	s_waitcnt lgkmcnt(0)
	s_barrier
	ds_read_b32 v2, v254
                                        ; kill: killed $vgpr28_vgpr29
	v_lshlrev_b32_e32 v0, 2, v31
	scratch_store_dword off, v0, off offset:2692 ; 4-byte Folded Spill
	s_cbranch_scc1 .LBB54_6
; %bb.4:
	scratch_load_dword v0, off, off offset:2692 ; 4-byte Folded Reload
	v_mov_b32_e32 v3, 0
	s_mov_b32 s0, 1
	s_waitcnt vmcnt(0)
	v_add3_u32 v4, v0, 0, 4
.LBB54_5:                               ; =>This Inner Loop Header: Depth=1
	ds_read_b32 v5, v4
	v_mov_b32_e32 v6, s0
	s_add_i32 s0, s0, 1
	v_add_u32_e32 v4, 4, v4
	s_cmp_eq_u32 s22, s0
	s_waitcnt lgkmcnt(0)
	v_cmp_lt_f32_e64 vcc, |v2|, |v5|
	s_nop 1
	v_cndmask_b32_e32 v2, v2, v5, vcc
	v_cndmask_b32_e32 v3, v3, v6, vcc
	s_cbranch_scc0 .LBB54_5
.LBB54_6:
	v_cmp_ne_u32_e32 vcc, v1, v3
                                        ; implicit-def: $vgpr255
	s_and_saveexec_b64 s[0:1], vcc
	s_xor_b64 s[0:1], exec, s[0:1]
	s_cbranch_execz .LBB54_12
; %bb.7:
	v_cmp_eq_u32_e32 vcc, 0, v1
	s_and_saveexec_b64 s[2:3], vcc
	s_cbranch_execz .LBB54_11
; %bb.8:
	v_cmp_ne_u32_e32 vcc, 0, v3
	s_xor_b64 s[18:19], s[16:17], -1
	s_and_b64 s[20:21], s[18:19], vcc
	s_and_saveexec_b64 s[18:19], s[20:21]
	s_cbranch_execz .LBB54_10
; %bb.9:
	s_movk_i32 s20, 0x118c
	scratch_load_dwordx2 v[8:9], off, s20   ; 8-byte Folded Reload
	v_ashrrev_i32_e32 v5, 31, v3
	v_mov_b32_e32 v4, v3
	s_waitcnt vmcnt(0)
	v_lshl_add_u64 v[4:5], v[4:5], 2, v[8:9]
	global_load_dword v1, v[4:5], off
	global_load_dword v6, v[8:9], off
	s_waitcnt vmcnt(1)
	global_store_dword v[8:9], v1, off
	s_waitcnt vmcnt(1)
	global_store_dword v[4:5], v6, off
.LBB54_10:
	s_or_b64 exec, exec, s[18:19]
	v_mov_b32_e32 v1, v3
.LBB54_11:
	s_or_b64 exec, exec, s[2:3]
	v_mov_b32_e32 v255, v1
                                        ; implicit-def: $vgpr1
.LBB54_12:
	s_or_saveexec_b64 s[0:1], s[0:1]
	scratch_store_dword off, v255, off offset:3080 ; 4-byte Folded Spill
	s_xor_b64 exec, exec, s[0:1]
	s_cbranch_execz .LBB54_14
; %bb.13:
	ds_write2_b32 v254, v141, v60 offset0:1 offset1:2
	ds_write2_b32 v254, v217, v56 offset0:3 offset1:4
	;; [unrolled: 1-line block ×9, first 2 shown]
	scratch_load_dwordx4 v[82:85], off, off offset:260 ; 16-byte Folded Reload
	scratch_load_dwordx4 v[86:89], off, off offset:276 ; 16-byte Folded Reload
	;; [unrolled: 1-line block ×8, first 2 shown]
	v_mov_b32_e32 v255, 0
	s_waitcnt vmcnt(2)
	ds_write2_b32 v254, v75, v102 offset0:19 offset1:20
	ds_write2_b32 v254, v57, v58 offset0:21 offset1:22
	scratch_load_dwordx4 v[76:79], off, off offset:644 ; 16-byte Folded Reload
	scratch_load_dwordx4 v[80:83], off, off offset:660 ; 16-byte Folded Reload
	;; [unrolled: 1-line block ×8, first 2 shown]
	s_waitcnt vmcnt(1)
	ds_write2_b32 v254, v27, v100 offset0:23 offset1:24
	ds_write2_b32 v254, v159, v253 offset0:25 offset1:26
	scratch_load_dwordx4 v[76:79], off, off offset:2436 ; 16-byte Folded Reload
	scratch_load_dwordx4 v[80:83], off, off offset:2452 ; 16-byte Folded Reload
	;; [unrolled: 1-line block ×8, first 2 shown]
	s_waitcnt vmcnt(1)
	ds_write_b32 v254, v103 offset:108
	scratch_store_dword off, v1, off offset:3080 ; 4-byte Folded Spill
.LBB54_14:
	s_or_b64 exec, exec, s[0:1]
	s_waitcnt lgkmcnt(0)
	v_cmp_eq_f32_e64 s[0:1], 0, v2
	v_cmp_gt_i32_e32 vcc, 1, v255
	s_barrier
	s_and_saveexec_b64 s[2:3], vcc
	s_xor_b64 s[2:3], exec, s[2:3]
; %bb.15:
                                        ; implicit-def: $vgpr2
; %bb.16:
	s_andn2_saveexec_b64 s[2:3], s[2:3]
	s_cbranch_execz .LBB54_18
; %bb.17:
	v_mov_b32_e32 v7, v56
	v_mov_b32_e32 v9, v54
	;; [unrolled: 1-line block ×13, first 2 shown]
	scratch_load_dwordx4 v[82:85], off, off offset:260 ; 16-byte Folded Reload
	scratch_load_dwordx4 v[86:89], off, off offset:276 ; 16-byte Folded Reload
	scratch_load_dwordx4 v[90:93], off, off offset:292 ; 16-byte Folded Reload
	scratch_load_dwordx4 v[94:97], off, off offset:308 ; 16-byte Folded Reload
	scratch_load_dwordx4 v[98:101], off, off offset:324 ; 16-byte Folded Reload
	scratch_load_dwordx4 v[102:105], off, off offset:340 ; 16-byte Folded Reload
	scratch_load_dwordx4 v[106:109], off, off offset:356 ; 16-byte Folded Reload
	scratch_load_dwordx4 v[110:113], off, off offset:372 ; 16-byte Folded Reload
	v_mov_b32_e32 v24, v57
	v_mov_b32_e32 v25, v58
	scratch_load_dwordx4 v[28:31], off, off offset:644 ; 16-byte Folded Reload
	scratch_load_dwordx4 v[32:35], off, off offset:660 ; 16-byte Folded Reload
	;; [unrolled: 1-line block ×8, first 2 shown]
	v_div_scale_f32 v1, s[18:19], v2, v2, 1.0
	v_rcp_f32_e32 v3, v1
	v_mov_b32_e32 v0, v164
	v_mov_b32_e32 v4, v141
	;; [unrolled: 1-line block ×3, first 2 shown]
	s_waitcnt vmcnt(7)
	v_fma_f32 v28, -v1, v3, 1.0
	v_fmac_f32_e32 v3, v28, v3
	v_div_scale_f32 v28, vcc, 1.0, v2, 1.0
	v_mul_f32_e32 v29, v28, v3
	v_fma_f32 v30, -v1, v29, v28
	v_fmac_f32_e32 v29, v30, v3
	v_fma_f32 v1, -v1, v29, v28
	v_div_fmas_f32 v1, v1, v3, v29
	v_div_fixup_f32 v1, v1, v2, 1.0
	v_cndmask_b32_e64 v1, v1, v2, s[0:1]
	ds_read2_b32 v[2:3], v254 offset0:1 offset1:2
	ds_read2_b32 v[28:29], v254 offset0:3 offset1:4
	;; [unrolled: 1-line block ×3, first 2 shown]
	v_mov_b32_e32 v6, v217
	v_mov_b32_e32 v8, v199
	v_mul_f32_e32 v0, v0, v1
	s_waitcnt vmcnt(6)
	ds_read2_b32 v[32:33], v254 offset0:7 offset1:8
	s_waitcnt lgkmcnt(3)
	v_pk_fma_f32 v[2:3], v[0:1], v[2:3], v[4:5] op_sel_hi:[0,1,1] neg_lo:[1,0,0] neg_hi:[1,0,0]
	s_waitcnt lgkmcnt(2)
	v_pk_fma_f32 v[4:5], v[0:1], v[28:29], v[6:7] op_sel_hi:[0,1,1] neg_lo:[1,0,0] neg_hi:[1,0,0]
	;; [unrolled: 2-line block ×3, first 2 shown]
	ds_read2_b32 v[8:9], v254 offset0:9 offset1:10
	ds_read2_b32 v[28:29], v254 offset0:11 offset1:12
	;; [unrolled: 1-line block ×4, first 2 shown]
	v_mov_b32_e32 v16, v237
	s_waitcnt lgkmcnt(4)
	v_pk_fma_f32 v[10:11], v[0:1], v[32:33], v[10:11] op_sel_hi:[0,1,1] neg_lo:[1,0,0] neg_hi:[1,0,0]
	s_waitcnt lgkmcnt(3)
	v_pk_fma_f32 v[8:9], v[0:1], v[8:9], v[12:13] op_sel_hi:[0,1,1] neg_lo:[1,0,0] neg_hi:[1,0,0]
	s_waitcnt lgkmcnt(2)
	v_pk_fma_f32 v[12:13], v[0:1], v[28:29], v[14:15] op_sel_hi:[0,1,1] neg_lo:[1,0,0] neg_hi:[1,0,0]
	s_waitcnt lgkmcnt(1)
	v_pk_fma_f32 v[14:15], v[0:1], v[30:31], v[16:17] op_sel_hi:[0,1,1] neg_lo:[1,0,0] neg_hi:[1,0,0]
	s_waitcnt lgkmcnt(0)
	v_pk_fma_f32 v[16:17], v[0:1], v[34:35], v[18:19] op_sel_hi:[0,1,1] neg_lo:[1,0,0] neg_hi:[1,0,0]
	ds_read2_b32 v[18:19], v254 offset0:17 offset1:18
	ds_read2_b32 v[28:29], v254 offset0:19 offset1:20
	;; [unrolled: 1-line block ×4, first 2 shown]
	ds_read_b32 v1, v254 offset:108
	ds_read2_b32 v[34:35], v254 offset0:25 offset1:26
	v_mov_b32_e32 v22, v75
	v_mov_b32_e32 v26, v27
	;; [unrolled: 1-line block ×3, first 2 shown]
	s_waitcnt lgkmcnt(1)
	v_pk_fma_f32 v[18:19], v[0:1], v[18:19], v[20:21] op_sel_hi:[0,1,1] neg_lo:[1,0,0] neg_hi:[1,0,0]
	s_waitcnt lgkmcnt(0)
	v_pk_fma_f32 v[252:253], v[0:1], v[34:35], v[252:253] op_sel_hi:[0,1,1] neg_lo:[1,0,0] neg_hi:[1,0,0]
	v_mov_b32_e32 v164, v0
	v_mov_b32_e32 v141, v2
	v_mov_b32_e32 v60, v3
	v_mov_b32_e32 v217, v4
	v_mov_b32_e32 v199, v6
	v_mov_b32_e32 v237, v14
	v_mov_b32_e32 v159, v252
	v_mov_b32_e32 v23, v102
	v_pk_fma_f32 v[20:21], v[0:1], v[28:29], v[22:23] op_sel_hi:[0,1,1] neg_lo:[1,0,0] neg_hi:[1,0,0]
	v_pk_fma_f32 v[22:23], v[0:1], v[30:31], v[24:25] op_sel_hi:[0,1,1] neg_lo:[1,0,0] neg_hi:[1,0,0]
	v_mov_b32_e32 v75, v20
	s_waitcnt vmcnt(1)
	v_mov_b32_e32 v27, v52
	v_pk_fma_f32 v[24:25], v[0:1], v[32:33], v[26:27] op_sel_hi:[0,1,1] neg_lo:[1,0,0] neg_hi:[1,0,0]
	scratch_load_dwordx4 v[26:29], off, off offset:2436 ; 16-byte Folded Reload
	scratch_load_dwordx4 v[30:33], off, off offset:2452 ; 16-byte Folded Reload
	;; [unrolled: 1-line block ×8, first 2 shown]
	v_mov_b32_e32 v20, v21
	s_waitcnt vmcnt(1)
	v_fma_f32 v53, -v0, v1, v53
	scratch_store_dwordx4 off, v[26:29], off offset:2436 ; 16-byte Folded Spill
	s_nop 0
	scratch_store_dwordx4 off, v[30:33], off offset:2452 ; 16-byte Folded Spill
	scratch_store_dwordx4 off, v[34:37], off offset:2468 ; 16-byte Folded Spill
	;; [unrolled: 1-line block ×6, first 2 shown]
	s_waitcnt vmcnt(7)
	scratch_store_dwordx4 off, v[54:57], off offset:2548 ; 16-byte Folded Spill
	v_mov_b32_e32 v30, v15
	v_mov_b32_e32 v52, v11
	;; [unrolled: 1-line block ×13, first 2 shown]
	scratch_store_dwordx4 off, v[0:3], off offset:260 ; 16-byte Folded Spill
	s_nop 0
	scratch_store_dwordx4 off, v[4:7], off offset:276 ; 16-byte Folded Spill
	scratch_store_dwordx4 off, v[8:11], off offset:292 ; 16-byte Folded Spill
	;; [unrolled: 1-line block ×7, first 2 shown]
	v_mov_b32_e32 v57, v22
	v_mov_b32_e32 v58, v23
	;; [unrolled: 1-line block ×4, first 2 shown]
	scratch_store_dwordx4 off, v[0:3], off offset:644 ; 16-byte Folded Spill
	s_nop 0
	scratch_store_dwordx4 off, v[4:7], off offset:660 ; 16-byte Folded Spill
	scratch_store_dwordx4 off, v[8:11], off offset:676 ; 16-byte Folded Spill
	;; [unrolled: 1-line block ×7, first 2 shown]
.LBB54_18:
	s_or_b64 exec, exec, s[2:3]
	v_lshl_add_u32 v1, v255, 2, v254
	s_barrier
	ds_write_b32 v1, v141
	s_waitcnt lgkmcnt(0)
	s_barrier
	ds_read_b32 v74, v254 offset:4
	s_mov_b32 s2, 2
	s_cmp_lt_i32 s22, 3
	v_mov_b32_e32 v2, 1
	s_cbranch_scc1 .LBB54_21
; %bb.19:
	scratch_load_dword v0, off, off offset:2692 ; 4-byte Folded Reload
	v_mov_b32_e32 v2, 1
	s_waitcnt vmcnt(0)
	v_add3_u32 v1, v0, 0, 8
.LBB54_20:                              ; =>This Inner Loop Header: Depth=1
	ds_read_b32 v3, v1
	v_mov_b32_e32 v4, s2
	s_add_i32 s2, s2, 1
	v_add_u32_e32 v1, 4, v1
	s_cmp_lg_u32 s22, s2
	s_waitcnt lgkmcnt(0)
	v_cmp_lt_f32_e64 vcc, |v74|, |v3|
	s_nop 1
	v_cndmask_b32_e32 v74, v74, v3, vcc
	v_cndmask_b32_e32 v2, v2, v4, vcc
	s_cbranch_scc1 .LBB54_20
.LBB54_21:
	v_cmp_ne_u32_e32 vcc, v255, v2
	s_and_saveexec_b64 s[2:3], vcc
	s_xor_b64 s[2:3], exec, s[2:3]
	s_cbranch_execz .LBB54_27
; %bb.22:
	v_cmp_eq_u32_e32 vcc, 1, v255
	s_and_saveexec_b64 s[18:19], vcc
	s_cbranch_execz .LBB54_26
; %bb.23:
	v_cmp_ne_u32_e32 vcc, 1, v2
	s_xor_b64 s[20:21], s[16:17], -1
	s_and_b64 s[24:25], s[20:21], vcc
	s_and_saveexec_b64 s[20:21], s[24:25]
	s_cbranch_execz .LBB54_25
; %bb.24:
	s_movk_i32 s23, 0x118c
	scratch_load_dwordx2 v[6:7], off, s23   ; 8-byte Folded Reload
	v_ashrrev_i32_e32 v3, 31, v2
	s_waitcnt vmcnt(0)
	v_lshl_add_u64 v[4:5], v[2:3], 2, v[6:7]
	global_load_dword v1, v[4:5], off
	global_load_dword v3, v[6:7], off offset:4
	s_waitcnt vmcnt(1)
	global_store_dword v[6:7], v1, off offset:4
	s_waitcnt vmcnt(1)
	global_store_dword v[4:5], v3, off
.LBB54_25:
	s_or_b64 exec, exec, s[20:21]
	v_mov_b32_e32 v1, v2
	v_mov_b32_e32 v255, v2
	scratch_store_dword off, v1, off offset:3080 ; 4-byte Folded Spill
.LBB54_26:
	s_or_b64 exec, exec, s[18:19]
.LBB54_27:
	s_or_saveexec_b64 s[2:3], s[2:3]
	v_mov_b32_e32 v1, v141
	v_mov_b32_e32 v2, v60
	;; [unrolled: 1-line block ×11, first 2 shown]
	scratch_load_dwordx4 v[108:111], off, off offset:260 ; 16-byte Folded Reload
	scratch_load_dwordx4 v[112:115], off, off offset:276 ; 16-byte Folded Reload
	;; [unrolled: 1-line block ×8, first 2 shown]
	s_nop 0
	scratch_store_dwordx4 off, v[0:3], off offset:516 ; 16-byte Folded Spill
	s_nop 0
	scratch_store_dwordx4 off, v[4:7], off offset:532 ; 16-byte Folded Spill
	scratch_store_dwordx4 off, v[8:11], off offset:548 ; 16-byte Folded Spill
	;; [unrolled: 1-line block ×7, first 2 shown]
	s_waitcnt vmcnt(17)
	v_mov_b32_e32 v106, v44
	v_mov_b32_e32 v180, v44
	;; [unrolled: 1-line block ×29, first 2 shown]
	scratch_load_dwordx4 v[14:17], off, off offset:644 ; 16-byte Folded Reload
	scratch_load_dwordx4 v[18:21], off, off offset:660 ; 16-byte Folded Reload
	;; [unrolled: 1-line block ×8, first 2 shown]
	s_waitcnt vmcnt(18)
	v_mov_b32_e32 v184, v128
	s_waitcnt vmcnt(1)
	v_mov_b32_e32 v188, v38
	scratch_load_dwordx4 v[14:17], off, off offset:2436 ; 16-byte Folded Reload
	scratch_load_dwordx4 v[18:21], off, off offset:2452 ; 16-byte Folded Reload
	;; [unrolled: 1-line block ×8, first 2 shown]
	s_waitcnt vmcnt(1)
	v_mov_b32_e32 v191, v41
	s_xor_b64 exec, exec, s[2:3]
	s_cbranch_execz .LBB54_29
; %bb.28:
	ds_write2_b32 v254, v2, v3 offset0:2 offset1:3
	ds_write2_b32 v254, v4, v199 offset0:4 offset1:5
	;; [unrolled: 1-line block ×9, first 2 shown]
	scratch_load_dwordx4 v[14:17], off, off offset:260 ; 16-byte Folded Reload
	scratch_load_dwordx4 v[18:21], off, off offset:276 ; 16-byte Folded Reload
	;; [unrolled: 1-line block ×8, first 2 shown]
	v_mov_b32_e32 v255, 1
	s_waitcnt vmcnt(2)
	ds_write2_b32 v254, v34, v107 offset0:20 offset1:21
	scratch_load_dwordx4 v[14:17], off, off offset:516 ; 16-byte Folded Reload
	scratch_load_dwordx4 v[18:21], off, off offset:532 ; 16-byte Folded Reload
	scratch_load_dwordx4 v[22:25], off, off offset:548 ; 16-byte Folded Reload
	scratch_load_dwordx4 v[26:29], off, off offset:564 ; 16-byte Folded Reload
	scratch_load_dwordx4 v[30:33], off, off offset:580 ; 16-byte Folded Reload
	scratch_load_dwordx4 v[34:37], off, off offset:596 ; 16-byte Folded Reload
	scratch_load_dwordx4 v[38:41], off, off offset:612 ; 16-byte Folded Reload
	scratch_load_dwordx4 v[42:45], off, off offset:628 ; 16-byte Folded Reload
	s_waitcnt vmcnt(2)
	ds_write2_b32 v254, v36, v63 offset0:22 offset1:23
	scratch_load_dwordx4 v[14:17], off, off offset:644 ; 16-byte Folded Reload
	scratch_load_dwordx4 v[18:21], off, off offset:660 ; 16-byte Folded Reload
	scratch_load_dwordx4 v[22:25], off, off offset:676 ; 16-byte Folded Reload
	scratch_load_dwordx4 v[26:29], off, off offset:692 ; 16-byte Folded Reload
	scratch_load_dwordx4 v[30:33], off, off offset:708 ; 16-byte Folded Reload
	scratch_load_dwordx4 v[34:37], off, off offset:724 ; 16-byte Folded Reload
	scratch_load_dwordx4 v[38:41], off, off offset:740 ; 16-byte Folded Reload
	scratch_load_dwordx4 v[42:45], off, off offset:756 ; 16-byte Folded Reload
	;; [unrolled: 10-line block ×3, first 2 shown]
	s_waitcnt vmcnt(1)
	ds_write2_b32 v254, v253, v41 offset0:26 offset1:27
.LBB54_29:
	s_or_b64 exec, exec, s[2:3]
	v_mov_b32_e32 v24, v164
	v_mov_b32_e32 v34, v2
	v_mov_b32_e32 v17, v3
	v_mov_b32_e32 v16, v2
	v_mov_b32_e32 v22, v4
	v_mov_b32_e32 v20, v2
	v_mov_b32_e32 v21, v3
	v_mov_b32_e32 v196, v2
	v_mov_b32_e32 v197, v3
	v_mov_b32_e32 v198, v4
	v_mov_b32_e32 v30, v6
	v_mov_b32_e32 v25, v1
	v_mov_b32_e32 v26, v2
	v_mov_b32_e32 v27, v3
	v_mov_b32_e32 v28, v4
	v_mov_b32_e32 v29, v199
	v_mov_b32_e32 v35, v3
	v_mov_b32_e32 v36, v4
	v_mov_b32_e32 v38, v6
	v_mov_b32_e32 v62, v8
	v_mov_b32_e32 v57, v3
	v_mov_b32_e32 v58, v4
	v_mov_b32_e32 v60, v6
	v_mov_b32_e32 v67, v3
	v_mov_b32_e32 v68, v4
	v_mov_b32_e32 v70, v6
	v_mov_b32_e32 v72, v8
	v_mov_b32_e32 v85, v3
	v_mov_b32_e32 v86, v4
	v_mov_b32_e32 v88, v6
	v_mov_b32_e32 v2, v24
	v_mov_b32_e32 v8, v30
	v_mov_b32_e32 v32, v164
	v_mov_b32_e32 v33, v1
	s_waitcnt vmcnt(0)
	v_mov_b32_e32 v42, v34
	v_mov_b32_e32 v39, v55
	;; [unrolled: 1-line block ×32, first 2 shown]
	v_mov_b64_e32 v[42:43], v[16:17]
	v_mov_b32_e32 v23, v21
	v_mov_b32_e32 v22, v20
	;; [unrolled: 1-line block ×17, first 2 shown]
	v_mov_b64_e32 v[40:41], v[14:15]
	v_mov_b32_e32 v59, v23
	v_mov_b32_e32 v58, v22
	;; [unrolled: 1-line block ×12, first 2 shown]
	scratch_store_dwordx4 off, v[40:43], off offset:900 ; 16-byte Folded Spill
	s_nop 0
	scratch_store_dwordx4 off, v[44:47], off offset:916 ; 16-byte Folded Spill
	scratch_store_dwordx4 off, v[48:51], off offset:932 ; 16-byte Folded Spill
	;; [unrolled: 1-line block ×7, first 2 shown]
	v_mov_b32_e32 v28, v32
	v_mov_b32_e32 v29, v33
	;; [unrolled: 1-line block ×56, first 2 shown]
	s_movk_i32 s2, 0x110c
	s_movk_i32 s18, 0x1314
	v_cmp_lt_i32_e32 vcc, 1, v255
	v_mov_b32_e32 v114, v52
	v_mov_b32_e32 v23, v53
	;; [unrolled: 1-line block ×8, first 2 shown]
	v_mov_b64_e32 v[50:51], v[38:39]
	v_mov_b64_e32 v[30:31], v[24:25]
	;; [unrolled: 1-line block ×15, first 2 shown]
	v_mov_b32_e32 v32, v12
	scratch_store_dwordx4 off, v[0:3], off offset:772 ; 16-byte Folded Spill
	s_nop 0
	scratch_store_dwordx4 off, v[4:7], off offset:788 ; 16-byte Folded Spill
	scratch_store_dwordx4 off, v[8:11], off offset:804 ; 16-byte Folded Spill
	;; [unrolled: 1-line block ×7, first 2 shown]
	v_mov_b32_e32 v228, v60
	v_mov_b32_e32 v231, v51
	scratch_store_dwordx4 off, v[44:47], off offset:1796 ; 16-byte Folded Spill
	s_nop 0
	scratch_store_dwordx4 off, v[48:51], off offset:1812 ; 16-byte Folded Spill
	scratch_store_dwordx4 off, v[52:55], off offset:1828 ; 16-byte Folded Spill
	;; [unrolled: 1-line block ×6, first 2 shown]
	s_waitcnt lgkmcnt(0)
	scratch_store_dwordx4 off, v[72:75], off offset:1908 ; 16-byte Folded Spill
	v_mov_b32_e32 v82, v108
	v_mov_b32_e32 v230, v114
	;; [unrolled: 1-line block ×20, first 2 shown]
	v_mov_b64_e32 v[118:119], v[130:131]
	v_mov_b32_e32 v233, v139
	v_mov_b64_e32 v[68:69], v[194:195]
	v_mov_b64_e32 v[120:121], v[132:133]
	;; [unrolled: 1-line block ×5, first 2 shown]
	v_mov_b32_e32 v130, v142
	v_mov_b64_e32 v[72:73], v[198:199]
	v_mov_b32_e32 v140, v152
	v_mov_b32_e32 v14, v222
	;; [unrolled: 1-line block ×19, first 2 shown]
	v_mov_b64_e32 v[142:143], v[224:225]
	v_mov_b64_e32 v[70:71], v[196:197]
	;; [unrolled: 1-line block ×9, first 2 shown]
	v_mov_b32_e32 v236, v12
	v_mov_b64_e32 v[154:155], v[236:237]
	v_mov_b32_e32 v13, v155
	v_mov_b32_e32 v34, v56
	;; [unrolled: 1-line block ×6, first 2 shown]
	v_mov_b64_e32 v[56:57], v[94:95]
	v_mov_b64_e32 v[66:67], v[104:105]
	v_mov_b32_e32 v4, v38
	v_mov_b32_e32 v7, v51
	;; [unrolled: 1-line block ×3, first 2 shown]
	scratch_store_dwordx4 off, v[0:3], off offset:2180 ; 16-byte Folded Spill
	s_nop 0
	scratch_store_dwordx4 off, v[4:7], off offset:2196 ; 16-byte Folded Spill
	scratch_store_dwordx4 off, v[8:11], off offset:2212 ; 16-byte Folded Spill
	scratch_store_dwordx4 off, v[12:15], off offset:2228 ; 16-byte Folded Spill
	scratch_store_dwordx4 off, v[16:19], off offset:2244 ; 16-byte Folded Spill
	scratch_store_dwordx4 off, v[20:23], off offset:2260 ; 16-byte Folded Spill
	scratch_store_dwordx4 off, v[24:27], off offset:2276 ; 16-byte Folded Spill
	scratch_store_dwordx4 off, v[28:31], off offset:2292 ; 16-byte Folded Spill
	v_mov_b32_e32 v15, v209
	scratch_load_dwordx4 v[194:197], off, off offset:772 ; 16-byte Folded Reload
	scratch_load_dwordx4 v[198:201], off, off offset:788 ; 16-byte Folded Reload
	scratch_load_dwordx4 v[202:205], off, off offset:804 ; 16-byte Folded Reload
	scratch_load_dwordx4 v[206:209], off, off offset:820 ; 16-byte Folded Reload
	scratch_load_dwordx4 v[210:213], off, off offset:836 ; 16-byte Folded Reload
	scratch_load_dwordx4 v[214:217], off, off offset:852 ; 16-byte Folded Reload
	scratch_load_dwordx4 v[218:221], off, off offset:868 ; 16-byte Folded Reload
	scratch_load_dwordx4 v[222:225], off, off offset:884 ; 16-byte Folded Reload
	v_mov_b64_e32 v[58:59], v[96:97]
	v_mov_b64_e32 v[60:61], v[98:99]
	;; [unrolled: 1-line block ×4, first 2 shown]
	v_mov_b32_e32 v3, v43
	v_mov_b32_e32 v4, v38
	v_mov_b32_e32 v5, v73
	v_mov_b32_e32 v6, v88
	v_mov_b32_e32 v8, v116
	v_mov_b32_e32 v9, v127
	v_mov_b64_e32 v[100:101], v[66:67]
	v_mov_b64_e32 v[98:99], v[64:65]
	;; [unrolled: 1-line block ×6, first 2 shown]
	s_waitcnt vmcnt(0)
	v_mov_b64_e32 v[234:235], v[152:153]
	v_mov_b64_e32 v[232:233], v[150:151]
	;; [unrolled: 1-line block ×6, first 2 shown]
	v_mov_b32_e32 v60, v38
	v_mov_b32_e32 v142, v164
	;; [unrolled: 1-line block ×11, first 2 shown]
	scratch_load_dwordx4 v[192:195], off, off offset:1796 ; 16-byte Folded Reload
	scratch_load_dwordx4 v[196:199], off, off offset:1812 ; 16-byte Folded Reload
	;; [unrolled: 1-line block ×8, first 2 shown]
	s_waitcnt vmcnt(6)
	v_mov_b32_e32 v7, v199
	scratch_load_dwordx4 v[192:195], off, off offset:2180 ; 16-byte Folded Reload
	scratch_load_dwordx4 v[196:199], off, off offset:2196 ; 16-byte Folded Reload
	;; [unrolled: 1-line block ×8, first 2 shown]
	s_waitcnt vmcnt(4)
	v_mov_b32_e32 v14, v206
	scratch_store_dwordx4 off, v[0:3], off offset:132 ; 16-byte Folded Spill
	s_nop 0
	scratch_store_dwordx4 off, v[4:7], off offset:148 ; 16-byte Folded Spill
	scratch_store_dwordx4 off, v[8:11], off offset:164 ; 16-byte Folded Spill
	;; [unrolled: 1-line block ×7, first 2 shown]
	scratch_load_dwordx4 v[192:195], off, off offset:772 ; 16-byte Folded Reload
	scratch_load_dwordx4 v[196:199], off, off offset:788 ; 16-byte Folded Reload
	;; [unrolled: 1-line block ×8, first 2 shown]
	s_nop 0
	scratch_store_dwordx4 off, v[82:85], off offset:2696 ; 16-byte Folded Spill
	s_nop 0
	scratch_store_dwordx4 off, v[86:89], off offset:2712 ; 16-byte Folded Spill
	scratch_store_dwordx4 off, v[90:93], off offset:2728 ; 16-byte Folded Spill
	;; [unrolled: 1-line block ×7, first 2 shown]
	v_mov_b32_e32 v144, v18
	s_waitcnt vmcnt(15)
	v_mov_b32_e32 v143, v193
	scratch_load_dwordx4 v[192:195], off, off offset:1796 ; 16-byte Folded Reload
	scratch_load_dwordx4 v[196:199], off, off offset:1812 ; 16-byte Folded Reload
	;; [unrolled: 1-line block ×8, first 2 shown]
	s_nop 0
	scratch_store_dwordx4 off, v[108:111], off offset:2052 ; 16-byte Folded Spill
	s_nop 0
	scratch_store_dwordx4 off, v[112:115], off offset:2068 ; 16-byte Folded Spill
	scratch_store_dwordx4 off, v[116:119], off offset:2084 ; 16-byte Folded Spill
	;; [unrolled: 1-line block ×7, first 2 shown]
	v_mov_b32_e32 v148, v88
	v_mov_b64_e32 v[0:1], v[118:119]
	v_mov_b64_e32 v[2:3], v[120:121]
	;; [unrolled: 1-line block ×5, first 2 shown]
	scratch_store_dwordx4 off, v[0:3], off offset:2824 ; 16-byte Folded Spill
	s_nop 0
	scratch_store_dwordx4 off, v[4:7], off offset:2840 ; 16-byte Folded Spill
	scratch_store_dwordx4 off, v[8:11], off offset:2856 ; 16-byte Folded Spill
	;; [unrolled: 1-line block ×7, first 2 shown]
	s_waitcnt vmcnt(22)
	v_mov_b32_e32 v149, v199
	v_mov_b32_e32 v150, v116
	;; [unrolled: 1-line block ×3, first 2 shown]
	scratch_store_dwordx4 off, v[130:133], off offset:388 ; 16-byte Folded Spill
	s_nop 0
	scratch_store_dwordx4 off, v[134:137], off offset:404 ; 16-byte Folded Spill
	scratch_store_dwordx4 off, v[138:141], off offset:420 ; 16-byte Folded Spill
	;; [unrolled: 1-line block ×8, first 2 shown]
	s_nop 0
	scratch_store_dwordx4 off, v[94:97], off offset:2968 ; 16-byte Folded Spill
	scratch_store_dwordx4 off, v[98:101], off offset:2984 ; 16-byte Folded Spill
	;; [unrolled: 1-line block ×7, first 2 shown]
	scratch_load_dwordx4 v[192:195], off, off offset:2180 ; 16-byte Folded Reload
	scratch_load_dwordx4 v[196:199], off, off offset:2196 ; 16-byte Folded Reload
	;; [unrolled: 1-line block ×8, first 2 shown]
	v_mov_b32_e32 v154, v12
	v_mov_b32_e32 v155, v237
	v_mov_b64_e32 v[122:123], v[164:165]
	v_mov_b64_e32 v[124:125], v[166:167]
	;; [unrolled: 1-line block ×8, first 2 shown]
	v_mov_b32_e32 v94, v76
	v_mov_b32_e32 v76, v122
	;; [unrolled: 1-line block ×4, first 2 shown]
	s_waitcnt vmcnt(4)
	v_mov_b32_e32 v156, v206
	scratch_load_dwordx4 v[192:195], off, off offset:132 ; 16-byte Folded Reload
	scratch_load_dwordx4 v[196:199], off, off offset:148 ; 16-byte Folded Reload
	;; [unrolled: 1-line block ×8, first 2 shown]
	s_waitcnt vmcnt(7)
	v_mov_b32_e32 v194, v164
	s_waitcnt vmcnt(3)
	v_mov_b32_e32 v211, v79
	v_mov_b32_e32 v200, v88
	;; [unrolled: 1-line block ×10, first 2 shown]
	v_mov_b64_e32 v[34:35], v[142:143]
	v_mov_b64_e32 v[36:37], v[144:145]
	;; [unrolled: 1-line block ×14, first 2 shown]
	scratch_load_dwordx4 v[162:165], off, off offset:772 ; 16-byte Folded Reload
	scratch_load_dwordx4 v[166:169], off, off offset:788 ; 16-byte Folded Reload
	;; [unrolled: 1-line block ×8, first 2 shown]
	s_nop 0
	scratch_store_dwordx4 off, v[16:19], s2 ; 16-byte Folded Spill
	s_nop 0
	scratch_store_dwordx4 off, v[20:23], s2 offset:16 ; 16-byte Folded Spill
	scratch_store_dwordx4 off, v[24:27], s2 offset:32 ; 16-byte Folded Spill
	;; [unrolled: 1-line block ×7, first 2 shown]
	s_waitcnt vmcnt(8)
	v_mov_b32_e32 v193, v159
	v_mov_b64_e32 v[248:249], v[148:149]
	v_mov_b64_e32 v[246:247], v[146:147]
	;; [unrolled: 1-line block ×6, first 2 shown]
	v_mov_b32_e32 v195, v163
	scratch_load_dwordx4 v[160:163], off, off offset:1796 ; 16-byte Folded Reload
	scratch_load_dwordx4 v[164:167], off, off offset:1812 ; 16-byte Folded Reload
	;; [unrolled: 1-line block ×8, first 2 shown]
	v_mov_b32_e32 v196, v18
	v_mov_b32_e32 v206, v32
	v_mov_b64_e32 v[118:119], v[30:31]
	v_mov_b64_e32 v[116:117], v[28:29]
	;; [unrolled: 1-line block ×6, first 2 shown]
	v_mov_b32_e32 v120, v32
	s_waitcnt vmcnt(6)
	v_mov_b64_e32 v[10:11], v[160:161]
	v_mov_b64_e32 v[12:13], v[162:163]
	;; [unrolled: 1-line block ×4, first 2 shown]
	scratch_load_dwordx4 v[160:163], off, off offset:388 ; 16-byte Folded Reload
	scratch_load_dwordx4 v[164:167], off, off offset:404 ; 16-byte Folded Reload
	;; [unrolled: 1-line block ×8, first 2 shown]
	v_mov_b64_e32 v[12:13], v[236:237]
	v_mov_b32_e32 v201, v17
	v_mov_b64_e32 v[0:1], v[224:225]
	v_mov_b32_e32 v207, v13
	v_mov_b64_e32 v[2:3], v[226:227]
	v_mov_b64_e32 v[4:5], v[228:229]
	;; [unrolled: 1-line block ×5, first 2 shown]
	s_waitcnt vmcnt(5)
	v_mov_b32_e32 v204, v170
	scratch_load_dwordx4 v[160:163], off, off offset:2180 ; 16-byte Folded Reload
	scratch_load_dwordx4 v[164:167], off, off offset:2196 ; 16-byte Folded Reload
	;; [unrolled: 1-line block ×8, first 2 shown]
	s_waitcnt vmcnt(4)
	v_mov_b32_e32 v208, v174
	scratch_load_dwordx4 v[160:163], off, off offset:132 ; 16-byte Folded Reload
	scratch_load_dwordx4 v[164:167], off, off offset:148 ; 16-byte Folded Reload
	;; [unrolled: 1-line block ×8, first 2 shown]
	s_waitcnt vmcnt(1)
	v_mov_b64_e32 v[184:185], v[210:211]
	v_mov_b64_e32 v[78:79], v[160:161]
	v_mov_b64_e32 v[92:93], v[174:175]
	v_mov_b64_e32 v[80:81], v[162:163]
	v_mov_b64_e32 v[82:83], v[164:165]
	v_mov_b64_e32 v[84:85], v[166:167]
	v_mov_b64_e32 v[86:87], v[168:169]
	v_mov_b64_e32 v[88:89], v[170:171]
	v_mov_b64_e32 v[90:91], v[172:173]
	v_mov_b32_e32 v209, v93
	v_mov_b64_e32 v[168:169], v[194:195]
	v_mov_b64_e32 v[170:171], v[196:197]
	;; [unrolled: 1-line block ×8, first 2 shown]
	scratch_load_dwordx4 v[194:197], off, off offset:772 ; 16-byte Folded Reload
	scratch_load_dwordx4 v[198:201], off, off offset:788 ; 16-byte Folded Reload
	;; [unrolled: 1-line block ×8, first 2 shown]
	v_mov_b32_e32 v78, v18
	v_mov_b32_e32 v83, v17
	;; [unrolled: 1-line block ×10, first 2 shown]
	v_mov_b64_e32 v[164:165], v[48:49]
	v_mov_b64_e32 v[162:163], v[46:47]
	;; [unrolled: 1-line block ×25, first 2 shown]
	s_waitcnt vmcnt(7)
	v_mov_b32_e32 v77, v195
	scratch_load_dwordx4 v[194:197], off, off offset:2696 ; 16-byte Folded Reload
	scratch_load_dwordx4 v[198:201], off, off offset:2712 ; 16-byte Folded Reload
	scratch_load_dwordx4 v[202:205], off, off offset:2728 ; 16-byte Folded Reload
	scratch_load_dwordx4 v[206:209], off, off offset:2744 ; 16-byte Folded Reload
	scratch_load_dwordx4 v[210:213], off, off offset:2760 ; 16-byte Folded Reload
	scratch_load_dwordx4 v[214:217], off, off offset:2776 ; 16-byte Folded Reload
	scratch_load_dwordx4 v[218:221], off, off offset:2792 ; 16-byte Folded Reload
	scratch_load_dwordx4 v[222:225], off, off offset:2808 ; 16-byte Folded Reload
	s_waitcnt vmcnt(6)
	v_mov_b32_e32 v82, v200
	scratch_load_dwordx4 v[194:197], off, off offset:2052 ; 16-byte Folded Reload
	scratch_load_dwordx4 v[198:201], off, off offset:2068 ; 16-byte Folded Reload
	scratch_load_dwordx4 v[202:205], off, off offset:2084 ; 16-byte Folded Reload
	scratch_load_dwordx4 v[206:209], off, off offset:2100 ; 16-byte Folded Reload
	scratch_load_dwordx4 v[210:213], off, off offset:2116 ; 16-byte Folded Reload
	scratch_load_dwordx4 v[214:217], off, off offset:2132 ; 16-byte Folded Reload
	scratch_load_dwordx4 v[218:221], off, off offset:2148 ; 16-byte Folded Reload
	scratch_load_dwordx4 v[222:225], off, off offset:2164 ; 16-byte Folded Reload
	;; [unrolled: 10-line block ×5, first 2 shown]
	s_nop 0
	scratch_store_dwordx4 off, v[0:3], off offset:3340 ; 16-byte Folded Spill
	s_nop 0
	scratch_store_dwordx4 off, v[4:7], off offset:3356 ; 16-byte Folded Spill
	scratch_store_dwordx4 off, v[8:11], off offset:3372 ; 16-byte Folded Spill
	;; [unrolled: 1-line block ×7, first 2 shown]
	scratch_load_dwordx4 v[0:3], off, off offset:2180 ; 16-byte Folded Reload
	s_nop 0
	scratch_load_dwordx4 v[4:7], off, off offset:2196 ; 16-byte Folded Reload
	scratch_load_dwordx4 v[8:11], off, off offset:2212 ; 16-byte Folded Reload
	;; [unrolled: 1-line block ×7, first 2 shown]
	s_waitcnt vmcnt(19)
	v_mov_b32_e32 v213, v75
	s_waitcnt vmcnt(16)
	v_mov_b64_e32 v[236:237], v[136:137]
	v_mov_b64_e32 v[234:235], v[134:135]
	;; [unrolled: 1-line block ×8, first 2 shown]
	v_mov_b32_e32 v206, v120
	v_mov_b32_e32 v194, v222
	s_waitcnt vmcnt(7)
	v_mov_b32_e32 v0, v222
	v_mov_b32_e32 v211, v185
	;; [unrolled: 1-line block ×3, first 2 shown]
	s_waitcnt vmcnt(4)
	v_mov_b32_e32 v90, v14
	scratch_store_dwordx4 off, v[76:79], off offset:3468 ; 16-byte Folded Spill
	s_nop 0
	scratch_store_dwordx4 off, v[80:83], off offset:3484 ; 16-byte Folded Spill
	scratch_store_dwordx4 off, v[84:87], off offset:3500 ; 16-byte Folded Spill
	;; [unrolled: 1-line block ×7, first 2 shown]
	scratch_load_dwordx4 v[16:19], off, off offset:772 ; 16-byte Folded Reload
	scratch_load_dwordx4 v[20:23], off, off offset:788 ; 16-byte Folded Reload
	;; [unrolled: 1-line block ×8, first 2 shown]
	v_mov_b32_e32 v100, v60
	v_mov_b32_e32 v99, v59
	;; [unrolled: 1-line block ×5, first 2 shown]
	v_mov_b64_e32 v[104:105], v[54:55]
	v_mov_b64_e32 v[102:103], v[52:53]
	v_mov_b32_e32 v208, v14
	v_mov_b32_e32 v198, v100
	;; [unrolled: 1-line block ×6, first 2 shown]
	s_waitcnt vmcnt(7)
	v_mov_b32_e32 v195, v17
	scratch_load_dwordx4 v[16:19], off, s2  ; 16-byte Folded Reload
	scratch_load_dwordx4 v[20:23], off, s2 offset:16 ; 16-byte Folded Reload
	scratch_load_dwordx4 v[24:27], off, s2 offset:32 ; 16-byte Folded Reload
	;; [unrolled: 1-line block ×7, first 2 shown]
	s_movk_i32 s2, 0x108c
	scratch_store_dwordx4 off, v[68:71], s2 ; 16-byte Folded Spill
	s_nop 0
	scratch_store_dwordx4 off, v[72:75], s2 offset:16 ; 16-byte Folded Spill
	scratch_store_dwordx4 off, v[76:79], s2 offset:32 ; 16-byte Folded Spill
	;; [unrolled: 1-line block ×7, first 2 shown]
	v_mov_b64_e32 v[82:83], v[108:109]
	v_mov_b64_e32 v[84:85], v[110:111]
	;; [unrolled: 1-line block ×6, first 2 shown]
	v_mov_b32_e32 v94, v120
	s_movk_i32 s2, 0x110c
	v_mov_b64_e32 v[76:77], v[102:103]
	v_mov_b64_e32 v[78:79], v[104:105]
	v_mov_b32_e32 v102, v160
	v_mov_b32_e32 v103, v179
	;; [unrolled: 1-line block ×4, first 2 shown]
	v_mov_b64_e32 v[66:67], v[76:77]
	v_mov_b64_e32 v[68:69], v[78:79]
	s_waitcnt vmcnt(15)
	v_mov_b32_e32 v196, v18
	scratch_load_dwordx4 v[16:19], off, off offset:2696 ; 16-byte Folded Reload
	scratch_load_dwordx4 v[20:23], off, off offset:2712 ; 16-byte Folded Reload
	;; [unrolled: 1-line block ×24, first 2 shown]
	v_mov_b32_e32 v190, v100
	v_mov_b32_e32 v189, v99
	;; [unrolled: 1-line block ×5, first 2 shown]
	s_waitcnt vmcnt(23)
	v_mov_b32_e32 v17, v179
	v_mov_b32_e32 v5, v73
	;; [unrolled: 1-line block ×6, first 2 shown]
	s_waitcnt vmcnt(22)
	v_mov_b32_e32 v200, v22
	s_waitcnt vmcnt(14)
	v_mov_b32_e32 v201, v31
	v_mov_b32_e32 v6, v22
	s_waitcnt vmcnt(5)
	v_mov_b32_e32 v202, v42
	scratch_load_dwordx4 v[32:35], off, off offset:2824 ; 16-byte Folded Reload
	scratch_load_dwordx4 v[36:39], off, off offset:2840 ; 16-byte Folded Reload
	;; [unrolled: 1-line block ×8, first 2 shown]
	v_mov_b32_e32 v7, v31
	s_waitcnt vmcnt(5)
	v_mov_b32_e32 v203, v41
	scratch_load_dwordx4 v[32:35], off, off offset:388 ; 16-byte Folded Reload
	scratch_load_dwordx4 v[36:39], off, off offset:404 ; 16-byte Folded Reload
	scratch_load_dwordx4 v[40:43], off, off offset:420 ; 16-byte Folded Reload
	scratch_load_dwordx4 v[44:47], off, off offset:436 ; 16-byte Folded Reload
	scratch_load_dwordx4 v[48:51], off, off offset:452 ; 16-byte Folded Reload
	scratch_load_dwordx4 v[52:55], off, off offset:468 ; 16-byte Folded Reload
	scratch_load_dwordx4 v[56:59], off, off offset:484 ; 16-byte Folded Reload
	scratch_load_dwordx4 v[60:63], off, off offset:500 ; 16-byte Folded Reload
	s_waitcnt vmcnt(5)
	v_mov_b32_e32 v204, v42
	scratch_load_dwordx4 v[32:35], off, off offset:2952 ; 16-byte Folded Reload
	scratch_load_dwordx4 v[36:39], off, off offset:2968 ; 16-byte Folded Reload
	scratch_load_dwordx4 v[40:43], off, off offset:2984 ; 16-byte Folded Reload
	scratch_load_dwordx4 v[44:47], off, off offset:3000 ; 16-byte Folded Reload
	scratch_load_dwordx4 v[48:51], off, off offset:3016 ; 16-byte Folded Reload
	scratch_load_dwordx4 v[52:55], off, off offset:3032 ; 16-byte Folded Reload
	scratch_load_dwordx4 v[56:59], off, off offset:3048 ; 16-byte Folded Reload
	scratch_load_dwordx4 v[60:63], off, off offset:3064 ; 16-byte Folded Reload
	s_waitcnt vmcnt(5)
	v_mov_b32_e32 v205, v43
	scratch_load_dwordx4 v[32:35], off, off offset:3340 ; 16-byte Folded Reload
	scratch_load_dwordx4 v[36:39], off, off offset:3356 ; 16-byte Folded Reload
	scratch_load_dwordx4 v[40:43], off, off offset:3372 ; 16-byte Folded Reload
	scratch_load_dwordx4 v[44:47], off, off offset:3388 ; 16-byte Folded Reload
	scratch_load_dwordx4 v[48:51], off, off offset:3404 ; 16-byte Folded Reload
	scratch_load_dwordx4 v[52:55], off, off offset:3420 ; 16-byte Folded Reload
	scratch_load_dwordx4 v[56:59], off, off offset:3436 ; 16-byte Folded Reload
	scratch_load_dwordx4 v[60:63], off, off offset:3452 ; 16-byte Folded Reload
	scratch_load_dwordx4 v[108:111], off, off offset:132 ; 16-byte Folded Reload
	scratch_load_dwordx4 v[112:115], off, off offset:148 ; 16-byte Folded Reload
	;; [unrolled: 1-line block ×8, first 2 shown]
	s_waitcnt vmcnt(12)
	v_mov_b32_e32 v207, v45
	scratch_load_dwordx4 v[32:35], off, off offset:3468 ; 16-byte Folded Reload
	scratch_load_dwordx4 v[36:39], off, off offset:3484 ; 16-byte Folded Reload
	;; [unrolled: 1-line block ×8, first 2 shown]
	s_waitcnt vmcnt(12)
	v_mov_b32_e32 v209, v123
	scratch_load_dwordx4 v[108:111], off, off offset:260 ; 16-byte Folded Reload
	scratch_load_dwordx4 v[112:115], off, off offset:276 ; 16-byte Folded Reload
	;; [unrolled: 1-line block ×8, first 2 shown]
	s_nop 0
	scratch_store_dwordx4 off, v[222:225], off offset:4 ; 16-byte Folded Spill
	s_nop 0
	scratch_store_dwordx4 off, v[226:229], off offset:20 ; 16-byte Folded Spill
	scratch_store_dwordx4 off, v[230:233], off offset:36 ; 16-byte Folded Spill
	;; [unrolled: 1-line block ×7, first 2 shown]
	v_mov_b64_e32 v[224:225], v[92:93]
	v_mov_b64_e32 v[222:223], v[90:91]
	;; [unrolled: 1-line block ×6, first 2 shown]
	v_mov_b32_e32 v226, v94
	v_mov_b32_e32 v98, v226
	;; [unrolled: 1-line block ×4, first 2 shown]
	s_waitcnt vmcnt(19)
	v_mov_b32_e32 v212, v50
	scratch_load_dwordx4 v[32:35], off, off offset:772 ; 16-byte Folded Reload
	scratch_load_dwordx4 v[36:39], off, off offset:788 ; 16-byte Folded Reload
	;; [unrolled: 1-line block ×8, first 2 shown]
	s_waitcnt vmcnt(18)
	v_mov_b32_e32 v20, v128
	v_mov_b32_e32 v106, v20
	s_waitcnt vmcnt(7)
	v_mov_b32_e32 v1, v33
	scratch_load_dwordx4 v[32:35], off, s2  ; 16-byte Folded Reload
	scratch_load_dwordx4 v[36:39], off, s2 offset:16 ; 16-byte Folded Reload
	scratch_load_dwordx4 v[40:43], off, s2 offset:32 ; 16-byte Folded Reload
	;; [unrolled: 1-line block ×7, first 2 shown]
	s_waitcnt vmcnt(7)
	v_mov_b32_e32 v2, v34
	scratch_load_dwordx4 v[22:25], off, off offset:2052 ; 16-byte Folded Reload
	scratch_load_dwordx4 v[26:29], off, off offset:2068 ; 16-byte Folded Reload
	;; [unrolled: 1-line block ×8, first 2 shown]
	s_waitcnt vmcnt(5)
	v_mov_b32_e32 v8, v30
	scratch_load_dwordx4 v[24:27], off, off offset:2824 ; 16-byte Folded Reload
	scratch_load_dwordx4 v[28:31], off, off offset:2840 ; 16-byte Folded Reload
	;; [unrolled: 1-line block ×16, first 2 shown]
	s_waitcnt vmcnt(13)
	v_mov_b32_e32 v9, v33
	s_waitcnt vmcnt(5)
	v_mov_b32_e32 v22, v34
	v_mov_b32_e32 v23, v35
	;; [unrolled: 1-line block ×11, first 2 shown]
	scratch_load_dwordx4 v[34:37], off, off offset:2952 ; 16-byte Folded Reload
	scratch_load_dwordx4 v[38:41], off, off offset:2968 ; 16-byte Folded Reload
	;; [unrolled: 1-line block ×16, first 2 shown]
	v_mov_b32_e32 v10, v32
	v_mov_b32_e32 v95, v33
	;; [unrolled: 1-line block ×3, first 2 shown]
	s_waitcnt vmcnt(13)
	v_mov_b32_e32 v11, v45
	v_mov_b32_e32 v97, v45
	s_waitcnt vmcnt(4)
	v_mov_b32_e32 v13, v121
	scratch_load_dwordx4 v[108:111], off, off offset:2180 ; 16-byte Folded Reload
	scratch_load_dwordx4 v[112:115], off, off offset:2196 ; 16-byte Folded Reload
	scratch_load_dwordx4 v[116:119], off, off offset:2212 ; 16-byte Folded Reload
	scratch_load_dwordx4 v[120:123], off, off offset:2228 ; 16-byte Folded Reload
	scratch_load_dwordx4 v[124:127], off, off offset:2244 ; 16-byte Folded Reload
	scratch_load_dwordx4 v[128:131], off, off offset:2260 ; 16-byte Folded Reload
	scratch_load_dwordx4 v[132:135], off, off offset:2276 ; 16-byte Folded Reload
	scratch_load_dwordx4 v[136:139], off, off offset:2292 ; 16-byte Folded Reload
	s_waitcnt vmcnt(4)
	v_mov_b32_e32 v14, v122
	scratch_load_dwordx4 v[108:111], off, off offset:132 ; 16-byte Folded Reload
	scratch_load_dwordx4 v[112:115], off, off offset:148 ; 16-byte Folded Reload
	scratch_load_dwordx4 v[116:119], off, off offset:164 ; 16-byte Folded Reload
	scratch_load_dwordx4 v[120:123], off, off offset:180 ; 16-byte Folded Reload
	scratch_load_dwordx4 v[124:127], off, off offset:196 ; 16-byte Folded Reload
	scratch_load_dwordx4 v[128:131], off, off offset:212 ; 16-byte Folded Reload
	scratch_load_dwordx4 v[132:135], off, off offset:228 ; 16-byte Folded Reload
	scratch_load_dwordx4 v[136:139], off, off offset:244 ; 16-byte Folded Reload
	;; [unrolled: 10-line block ×5, first 2 shown]
	s_waitcnt vmcnt(7)
	v_mov_b32_e32 v87, v109
	scratch_load_dwordx4 v[108:111], off, s2 ; 16-byte Folded Reload
	scratch_load_dwordx4 v[112:115], off, s2 offset:16 ; 16-byte Folded Reload
	scratch_load_dwordx4 v[116:119], off, s2 offset:32 ; 16-byte Folded Reload
	;; [unrolled: 1-line block ×7, first 2 shown]
	s_movk_i32 s2, 0x108c
	s_waitcnt vmcnt(7)
	v_mov_b32_e32 v88, v110
	scratch_load_dwordx4 v[108:111], off, s2 ; 16-byte Folded Reload
	scratch_load_dwordx4 v[112:115], off, s2 offset:16 ; 16-byte Folded Reload
	scratch_load_dwordx4 v[116:119], off, s2 offset:32 ; 16-byte Folded Reload
	;; [unrolled: 1-line block ×7, first 2 shown]
	s_movk_i32 s2, 0x110c
	s_waitcnt vmcnt(6)
	v_mov_b32_e32 v91, v113
	scratch_load_dwordx4 v[108:111], off, off offset:2696 ; 16-byte Folded Reload
	scratch_load_dwordx4 v[112:115], off, off offset:2712 ; 16-byte Folded Reload
	scratch_load_dwordx4 v[116:119], off, off offset:2728 ; 16-byte Folded Reload
	scratch_load_dwordx4 v[120:123], off, off offset:2744 ; 16-byte Folded Reload
	scratch_load_dwordx4 v[124:127], off, off offset:2760 ; 16-byte Folded Reload
	scratch_load_dwordx4 v[128:131], off, off offset:2776 ; 16-byte Folded Reload
	scratch_load_dwordx4 v[132:135], off, off offset:2792 ; 16-byte Folded Reload
	scratch_load_dwordx4 v[136:139], off, off offset:2808 ; 16-byte Folded Reload
	s_waitcnt vmcnt(6)
	v_mov_b32_e32 v92, v114
	scratch_load_dwordx4 v[108:111], off, off offset:1796 ; 16-byte Folded Reload
	scratch_load_dwordx4 v[112:115], off, off offset:1812 ; 16-byte Folded Reload
	scratch_load_dwordx4 v[116:119], off, off offset:1828 ; 16-byte Folded Reload
	scratch_load_dwordx4 v[120:123], off, off offset:1844 ; 16-byte Folded Reload
	scratch_load_dwordx4 v[124:127], off, off offset:1860 ; 16-byte Folded Reload
	scratch_load_dwordx4 v[128:131], off, off offset:1876 ; 16-byte Folded Reload
	scratch_load_dwordx4 v[132:135], off, off offset:1892 ; 16-byte Folded Reload
	scratch_load_dwordx4 v[136:139], off, off offset:1908 ; 16-byte Folded Reload
	;; [unrolled: 10-line block ×3, first 2 shown]
	s_nop 0
	scratch_store_dwordx4 off, v[214:217], off offset:3084 ; 16-byte Folded Spill
	s_nop 0
	scratch_store_dwordx4 off, v[218:221], off offset:3100 ; 16-byte Folded Spill
	scratch_store_dwordx4 off, v[222:225], off offset:3116 ; 16-byte Folded Spill
	;; [unrolled: 1-line block ×7, first 2 shown]
	scratch_load_dwordx4 v[22:25], off, off offset:3340 ; 16-byte Folded Reload
	scratch_load_dwordx4 v[26:29], off, off offset:3356 ; 16-byte Folded Reload
	;; [unrolled: 1-line block ×8, first 2 shown]
	s_waitcnt vmcnt(21)
	v_mov_b32_e32 v94, v116
	s_waitcnt vmcnt(4)
	v_mov_b64_e32 v[142:143], v[34:35]
	scratch_load_dwordx4 v[22:25], off, off offset:2180 ; 16-byte Folded Reload
	scratch_load_dwordx4 v[26:29], off, off offset:2196 ; 16-byte Folded Reload
	;; [unrolled: 1-line block ×16, first 2 shown]
	s_nop 0
	scratch_store_dwordx4 off, v[144:147], off offset:2308 ; 16-byte Folded Spill
	s_nop 0
	scratch_store_dwordx4 off, v[148:151], off offset:2324 ; 16-byte Folded Spill
	scratch_store_dwordx4 off, v[152:155], off offset:2340 ; 16-byte Folded Spill
	;; [unrolled: 1-line block ×8, first 2 shown]
	s_nop 0
	scratch_store_dwordx4 off, v[166:169], off offset:1940 ; 16-byte Folded Spill
	scratch_store_dwordx4 off, v[170:173], off offset:1956 ; 16-byte Folded Spill
	;; [unrolled: 1-line block ×7, first 2 shown]
	s_waitcnt vmcnt(28)
	v_mov_b32_e32 v100, v36
	s_waitcnt vmcnt(20)
	v_mov_b32_e32 v101, v229
	scratch_load_dwordx4 v[144:147], off, off offset:3468 ; 16-byte Folded Reload
	scratch_load_dwordx4 v[148:151], off, off offset:3484 ; 16-byte Folded Reload
	;; [unrolled: 1-line block ×24, first 2 shown]
	v_mov_b32_e32 v99, v143
	s_waitcnt vmcnt(12)
	v_mov_b32_e32 v227, v143
	s_waitcnt vmcnt(10)
	v_mov_b32_e32 v234, v20
	v_mov_b32_e32 v217, v79
	;; [unrolled: 1-line block ×5, first 2 shown]
	s_waitcnt vmcnt(7)
	v_mov_b32_e32 v214, v22
	scratch_load_dwordx4 v[22:25], off, off offset:772 ; 16-byte Folded Reload
	scratch_load_dwordx4 v[26:29], off, off offset:788 ; 16-byte Folded Reload
	;; [unrolled: 1-line block ×8, first 2 shown]
	v_mov_b32_e32 v104, v162
	v_mov_b32_e32 v232, v162
	s_waitcnt vmcnt(7)
	v_mov_b32_e32 v215, v23
	scratch_load_dwordx4 v[22:25], off, s2  ; 16-byte Folded Reload
	scratch_load_dwordx4 v[26:29], off, s2 offset:16 ; 16-byte Folded Reload
	scratch_load_dwordx4 v[30:33], off, s2 offset:32 ; 16-byte Folded Reload
	;; [unrolled: 1-line block ×7, first 2 shown]
	s_movk_i32 s2, 0x108c
	s_waitcnt vmcnt(7)
	v_mov_b32_e32 v216, v24
	scratch_load_dwordx4 v[22:25], off, s2  ; 16-byte Folded Reload
	scratch_load_dwordx4 v[26:29], off, s2 offset:16 ; 16-byte Folded Reload
	scratch_load_dwordx4 v[30:33], off, s2 offset:32 ; 16-byte Folded Reload
	;; [unrolled: 1-line block ×7, first 2 shown]
	s_movk_i32 s2, 0x110c
	s_waitcnt vmcnt(6)
	v_mov_b32_e32 v219, v27
	scratch_load_dwordx4 v[22:25], off, off offset:2696 ; 16-byte Folded Reload
	scratch_load_dwordx4 v[26:29], off, off offset:2712 ; 16-byte Folded Reload
	scratch_load_dwordx4 v[30:33], off, off offset:2728 ; 16-byte Folded Reload
	scratch_load_dwordx4 v[34:37], off, off offset:2744 ; 16-byte Folded Reload
	scratch_load_dwordx4 v[38:41], off, off offset:2760 ; 16-byte Folded Reload
	scratch_load_dwordx4 v[42:45], off, off offset:2776 ; 16-byte Folded Reload
	scratch_load_dwordx4 v[46:49], off, off offset:2792 ; 16-byte Folded Reload
	scratch_load_dwordx4 v[50:53], off, off offset:2808 ; 16-byte Folded Reload
	s_waitcnt vmcnt(6)
	v_mov_b32_e32 v220, v28
	scratch_load_dwordx4 v[22:25], off, off offset:1796 ; 16-byte Folded Reload
	scratch_load_dwordx4 v[26:29], off, off offset:1812 ; 16-byte Folded Reload
	scratch_load_dwordx4 v[30:33], off, off offset:1828 ; 16-byte Folded Reload
	scratch_load_dwordx4 v[34:37], off, off offset:1844 ; 16-byte Folded Reload
	scratch_load_dwordx4 v[38:41], off, off offset:1860 ; 16-byte Folded Reload
	scratch_load_dwordx4 v[42:45], off, off offset:1876 ; 16-byte Folded Reload
	scratch_load_dwordx4 v[46:49], off, off offset:1892 ; 16-byte Folded Reload
	scratch_load_dwordx4 v[50:53], off, off offset:1908 ; 16-byte Folded Reload
	;; [unrolled: 10-line block ×8, first 2 shown]
	scratch_load_dwordx4 v[108:111], off, off offset:132 ; 16-byte Folded Reload
	scratch_load_dwordx4 v[112:115], off, off offset:148 ; 16-byte Folded Reload
	;; [unrolled: 1-line block ×8, first 2 shown]
	s_waitcnt vmcnt(12)
	v_mov_b32_e32 v228, v36
	scratch_load_dwordx4 v[22:25], off, off offset:2308 ; 16-byte Folded Reload
	scratch_load_dwordx4 v[26:29], off, off offset:2324 ; 16-byte Folded Reload
	;; [unrolled: 1-line block ×8, first 2 shown]
	s_waitcnt vmcnt(12)
	v_mov_b32_e32 v229, v123
	s_waitcnt vmcnt(3)
	v_mov_b32_e32 v230, v38
	scratch_load_dwordx4 v[22:25], off, off offset:1924 ; 16-byte Folded Reload
	scratch_load_dwordx4 v[26:29], off, off offset:1940 ; 16-byte Folded Reload
	;; [unrolled: 1-line block ×8, first 2 shown]
	s_waitcnt vmcnt(3)
	v_mov_b32_e32 v231, v39
	scratch_load_dwordx4 v[22:25], off, s2  ; 16-byte Folded Reload
	scratch_load_dwordx4 v[26:29], off, s2 offset:16 ; 16-byte Folded Reload
	scratch_load_dwordx4 v[30:33], off, s2 offset:32 ; 16-byte Folded Reload
	;; [unrolled: 1-line block ×7, first 2 shown]
	scratch_load_dwordx4 v[142:145], off, off offset:644 ; 16-byte Folded Reload
	scratch_load_dwordx4 v[146:149], off, off offset:660 ; 16-byte Folded Reload
	;; [unrolled: 1-line block ×8, first 2 shown]
	s_movk_i32 s2, 0x108c
	s_waitcnt vmcnt(4)
	v_mov_b32_e32 v157, v75
	s_waitcnt vmcnt(3)
	v_mov_b32_e32 v159, v107
	;; [unrolled: 2-line block ×3, first 2 shown]
	v_mov_b32_e32 v161, v75
	v_mov_b32_e32 v163, v107
	;; [unrolled: 1-line block ×6, first 2 shown]
	scratch_store_dwordx4 off, v[0:3], off offset:260 ; 16-byte Folded Spill
	s_nop 0
	scratch_store_dwordx4 off, v[4:7], off offset:276 ; 16-byte Folded Spill
	scratch_store_dwordx4 off, v[8:11], off offset:292 ; 16-byte Folded Spill
	;; [unrolled: 1-line block ×7, first 2 shown]
	scratch_load_dwordx4 v[0:3], off, off offset:4 ; 16-byte Folded Reload
	s_nop 0
	scratch_load_dwordx4 v[4:7], off, off offset:20 ; 16-byte Folded Reload
	scratch_load_dwordx4 v[8:11], off, off offset:36 ; 16-byte Folded Reload
	;; [unrolled: 1-line block ×15, first 2 shown]
	s_waitcnt vmcnt(7)
	v_mov_b32_e32 v110, v62
	v_mov_b32_e32 v111, v69
	;; [unrolled: 1-line block ×3, first 2 shown]
	s_waitcnt vmcnt(2)
	v_mov_b32_e32 v130, v236
	v_mov_b64_e32 v[46:47], v[14:15]
	v_mov_b64_e32 v[44:45], v[12:13]
	;; [unrolled: 1-line block ×14, first 2 shown]
	scratch_load_dwordx4 v[0:3], off, off offset:772 ; 16-byte Folded Reload
	scratch_load_dwordx4 v[4:7], off, off offset:788 ; 16-byte Folded Reload
	;; [unrolled: 1-line block ×8, first 2 shown]
	s_nop 0
	scratch_store_dwordx4 off, v[186:189], off offset:3852 ; 16-byte Folded Spill
	s_nop 0
	scratch_store_dwordx4 off, v[190:193], off offset:3868 ; 16-byte Folded Spill
	scratch_store_dwordx4 off, v[194:197], off offset:3884 ; 16-byte Folded Spill
	;; [unrolled: 1-line block ×7, first 2 shown]
	v_mov_b32_e32 v108, v32
	v_mov_b32_e32 v187, v75
	v_mov_b32_e32 v189, v107
	v_mov_b32_e32 v191, v131
	v_mov_b32_e32 v192, v166
	v_mov_b32_e32 v165, v131
	s_waitcnt vmcnt(15)
	v_mov_b32_e32 v109, v1
	scratch_load_dwordx4 v[0:3], off, s2    ; 16-byte Folded Reload
	scratch_load_dwordx4 v[4:7], off, s2 offset:16 ; 16-byte Folded Reload
	scratch_load_dwordx4 v[8:11], off, s2 offset:32 ; 16-byte Folded Reload
	;; [unrolled: 1-line block ×7, first 2 shown]
	v_mov_b64_e32 v[140:141], v[110:111]
	v_mov_b64_e32 v[138:139], v[108:109]
	v_mov_b32_e32 v142, v190
	v_mov_b32_e32 v75, v193
	s_waitcnt vmcnt(6)
	v_mov_b64_e32 v[80:81], v[4:5]
	v_mov_b64_e32 v[78:79], v[2:3]
	v_mov_b64_e32 v[76:77], v[0:1]
	scratch_load_dwordx4 v[0:3], off, off offset:2696 ; 16-byte Folded Reload
	scratch_load_dwordx4 v[4:7], off, off offset:2712 ; 16-byte Folded Reload
	scratch_load_dwordx4 v[8:11], off, off offset:2728 ; 16-byte Folded Reload
	scratch_load_dwordx4 v[12:15], off, off offset:2744 ; 16-byte Folded Reload
	scratch_load_dwordx4 v[16:19], off, off offset:2760 ; 16-byte Folded Reload
	scratch_load_dwordx4 v[20:23], off, off offset:2776 ; 16-byte Folded Reload
	scratch_load_dwordx4 v[24:27], off, off offset:2792 ; 16-byte Folded Reload
	scratch_load_dwordx4 v[28:31], off, off offset:2808 ; 16-byte Folded Reload
	v_mov_b32_e32 v143, v81
	s_waitcnt vmcnt(6)
	v_mov_b32_e32 v144, v6
	scratch_load_dwordx4 v[0:3], off, off offset:1796 ; 16-byte Folded Reload
	scratch_load_dwordx4 v[4:7], off, off offset:1812 ; 16-byte Folded Reload
	scratch_load_dwordx4 v[8:11], off, off offset:1828 ; 16-byte Folded Reload
	scratch_load_dwordx4 v[12:15], off, off offset:1844 ; 16-byte Folded Reload
	scratch_load_dwordx4 v[16:19], off, off offset:1860 ; 16-byte Folded Reload
	scratch_load_dwordx4 v[20:23], off, off offset:1876 ; 16-byte Folded Reload
	scratch_load_dwordx4 v[24:27], off, off offset:1892 ; 16-byte Folded Reload
	scratch_load_dwordx4 v[28:31], off, off offset:1908 ; 16-byte Folded Reload
	s_waitcnt vmcnt(6)
	v_mov_b32_e32 v145, v7
	scratch_load_dwordx4 v[0:3], off, off offset:2052 ; 16-byte Folded Reload
	scratch_load_dwordx4 v[4:7], off, off offset:2068 ; 16-byte Folded Reload
	scratch_load_dwordx4 v[8:11], off, off offset:2084 ; 16-byte Folded Reload
	scratch_load_dwordx4 v[12:15], off, off offset:2100 ; 16-byte Folded Reload
	scratch_load_dwordx4 v[16:19], off, off offset:2116 ; 16-byte Folded Reload
	scratch_load_dwordx4 v[20:23], off, off offset:2132 ; 16-byte Folded Reload
	scratch_load_dwordx4 v[24:27], off, off offset:2148 ; 16-byte Folded Reload
	scratch_load_dwordx4 v[28:31], off, off offset:2164 ; 16-byte Folded Reload
	;; [unrolled: 10-line block ×10, first 2 shown]
	v_mov_b64_e32 v[108:109], v[138:139]
	v_mov_b64_e32 v[110:111], v[140:141]
	;; [unrolled: 1-line block ×8, first 2 shown]
	v_mov_b32_e32 v142, v32
	v_mov_b32_e32 v146, v190
	v_mov_b32_e32 v190, v236
	v_mov_b32_e32 v144, v62
	v_mov_b32_e32 v145, v69
	v_mov_b32_e32 v147, v81
	s_waitcnt vmcnt(3)
	v_mov_b32_e32 v154, v16
	scratch_load_dwordx4 v[0:3], off, off offset:1924 ; 16-byte Folded Reload
	scratch_load_dwordx4 v[4:7], off, off offset:1940 ; 16-byte Folded Reload
	scratch_load_dwordx4 v[8:11], off, off offset:1956 ; 16-byte Folded Reload
	scratch_load_dwordx4 v[12:15], off, off offset:1972 ; 16-byte Folded Reload
	scratch_load_dwordx4 v[16:19], off, off offset:1988 ; 16-byte Folded Reload
	scratch_load_dwordx4 v[20:23], off, off offset:2004 ; 16-byte Folded Reload
	scratch_load_dwordx4 v[24:27], off, off offset:2020 ; 16-byte Folded Reload
	scratch_load_dwordx4 v[28:31], off, off offset:2036 ; 16-byte Folded Reload
	s_waitcnt vmcnt(3)
	v_mov_b32_e32 v155, v17
	scratch_load_dwordx4 v[0:3], off, off offset:3468 ; 16-byte Folded Reload
	scratch_load_dwordx4 v[4:7], off, off offset:3484 ; 16-byte Folded Reload
	scratch_load_dwordx4 v[8:11], off, off offset:3500 ; 16-byte Folded Reload
	scratch_load_dwordx4 v[12:15], off, off offset:3516 ; 16-byte Folded Reload
	scratch_load_dwordx4 v[16:19], off, off offset:3532 ; 16-byte Folded Reload
	scratch_load_dwordx4 v[20:23], off, off offset:3548 ; 16-byte Folded Reload
	scratch_load_dwordx4 v[24:27], off, off offset:3564 ; 16-byte Folded Reload
	scratch_load_dwordx4 v[28:31], off, off offset:3580 ; 16-byte Folded Reload
	;; [unrolled: 10-line block ×4, first 2 shown]
	v_mov_b64_e32 v[124:125], v[154:155]
	v_mov_b64_e32 v[126:127], v[156:157]
	;; [unrolled: 1-line block ×3, first 2 shown]
	s_waitcnt vmcnt(7)
	v_mov_b32_e32 v143, v1
	scratch_load_dwordx4 v[0:3], off, off offset:2696 ; 16-byte Folded Reload
	scratch_load_dwordx4 v[4:7], off, off offset:2712 ; 16-byte Folded Reload
	scratch_load_dwordx4 v[8:11], off, off offset:2728 ; 16-byte Folded Reload
	scratch_load_dwordx4 v[12:15], off, off offset:2744 ; 16-byte Folded Reload
	scratch_load_dwordx4 v[16:19], off, off offset:2760 ; 16-byte Folded Reload
	scratch_load_dwordx4 v[20:23], off, off offset:2776 ; 16-byte Folded Reload
	scratch_load_dwordx4 v[24:27], off, off offset:2792 ; 16-byte Folded Reload
	scratch_load_dwordx4 v[28:31], off, off offset:2808 ; 16-byte Folded Reload
	s_waitcnt vmcnt(6)
	v_mov_b32_e32 v148, v6
	scratch_load_dwordx4 v[0:3], off, off offset:1796 ; 16-byte Folded Reload
	scratch_load_dwordx4 v[4:7], off, off offset:1812 ; 16-byte Folded Reload
	scratch_load_dwordx4 v[8:11], off, off offset:1828 ; 16-byte Folded Reload
	scratch_load_dwordx4 v[12:15], off, off offset:1844 ; 16-byte Folded Reload
	scratch_load_dwordx4 v[16:19], off, off offset:1860 ; 16-byte Folded Reload
	scratch_load_dwordx4 v[20:23], off, off offset:1876 ; 16-byte Folded Reload
	scratch_load_dwordx4 v[24:27], off, off offset:1892 ; 16-byte Folded Reload
	scratch_load_dwordx4 v[28:31], off, off offset:1908 ; 16-byte Folded Reload
	;; [unrolled: 10-line block ×9, first 2 shown]
	s_waitcnt vmcnt(5)
	v_mov_b64_e32 v[42:43], v[10:11]
	s_waitcnt vmcnt(4)
	v_mov_b32_e32 v46, v14
	v_mov_b64_e32 v[40:41], v[8:9]
	v_mov_b64_e32 v[38:39], v[6:7]
	;; [unrolled: 1-line block ×5, first 2 shown]
	v_mov_b32_e32 v45, v13
	v_mov_b32_e32 v44, v12
	scratch_load_dwordx4 v[0:3], off, off offset:132 ; 16-byte Folded Reload
	scratch_load_dwordx4 v[4:7], off, off offset:148 ; 16-byte Folded Reload
	;; [unrolled: 1-line block ×8, first 2 shown]
	v_mov_b32_e32 v182, v46
	v_mov_b32_e32 v156, v46
	;; [unrolled: 1-line block ×5, first 2 shown]
	v_mov_b64_e32 v[48:49], v[42:43]
	v_mov_b64_e32 v[46:47], v[40:41]
	;; [unrolled: 1-line block ×6, first 2 shown]
	v_mov_b32_e32 v84, v52
	s_waitcnt vmcnt(4)
	v_mov_b32_e32 v157, v15
	scratch_load_dwordx4 v[0:3], off, off offset:2308 ; 16-byte Folded Reload
	scratch_load_dwordx4 v[4:7], off, off offset:2324 ; 16-byte Folded Reload
	scratch_load_dwordx4 v[8:11], off, off offset:2340 ; 16-byte Folded Reload
	scratch_load_dwordx4 v[12:15], off, off offset:2356 ; 16-byte Folded Reload
	scratch_load_dwordx4 v[16:19], off, off offset:2372 ; 16-byte Folded Reload
	scratch_load_dwordx4 v[20:23], off, off offset:2388 ; 16-byte Folded Reload
	scratch_load_dwordx4 v[24:27], off, off offset:2404 ; 16-byte Folded Reload
	scratch_load_dwordx4 v[28:31], off, off offset:2420 ; 16-byte Folded Reload
	s_waitcnt vmcnt(3)
	v_mov_b32_e32 v158, v16
	scratch_load_dwordx4 v[0:3], off, off offset:1924 ; 16-byte Folded Reload
	scratch_load_dwordx4 v[4:7], off, off offset:1940 ; 16-byte Folded Reload
	scratch_load_dwordx4 v[8:11], off, off offset:1956 ; 16-byte Folded Reload
	scratch_load_dwordx4 v[12:15], off, off offset:1972 ; 16-byte Folded Reload
	scratch_load_dwordx4 v[16:19], off, off offset:1988 ; 16-byte Folded Reload
	scratch_load_dwordx4 v[20:23], off, off offset:2004 ; 16-byte Folded Reload
	scratch_load_dwordx4 v[24:27], off, off offset:2020 ; 16-byte Folded Reload
	scratch_load_dwordx4 v[28:31], off, off offset:2036 ; 16-byte Folded Reload
	;; [unrolled: 10-line block ×7, first 2 shown]
	s_waitcnt vmcnt(6)
	v_mov_b32_e32 v172, v4
	scratch_load_dwordx4 v[0:3], off, s2    ; 16-byte Folded Reload
	scratch_load_dwordx4 v[4:7], off, s2 offset:16 ; 16-byte Folded Reload
	scratch_load_dwordx4 v[8:11], off, s2 offset:32 ; 16-byte Folded Reload
	;; [unrolled: 1-line block ×7, first 2 shown]
	v_cmp_neq_f32_e64 s[2:3], 0, v74
	s_waitcnt vmcnt(6)
	v_mov_b32_e32 v173, v5
	scratch_load_dwordx4 v[0:3], off, off offset:2696 ; 16-byte Folded Reload
	scratch_load_dwordx4 v[4:7], off, off offset:2712 ; 16-byte Folded Reload
	scratch_load_dwordx4 v[8:11], off, off offset:2728 ; 16-byte Folded Reload
	scratch_load_dwordx4 v[12:15], off, off offset:2744 ; 16-byte Folded Reload
	scratch_load_dwordx4 v[16:19], off, off offset:2760 ; 16-byte Folded Reload
	scratch_load_dwordx4 v[20:23], off, off offset:2776 ; 16-byte Folded Reload
	scratch_load_dwordx4 v[24:27], off, off offset:2792 ; 16-byte Folded Reload
	scratch_load_dwordx4 v[28:31], off, off offset:2808 ; 16-byte Folded Reload
	s_waitcnt vmcnt(6)
	v_mov_b32_e32 v174, v6
	scratch_load_dwordx4 v[0:3], off, off offset:1796 ; 16-byte Folded Reload
	scratch_load_dwordx4 v[4:7], off, off offset:1812 ; 16-byte Folded Reload
	scratch_load_dwordx4 v[8:11], off, off offset:1828 ; 16-byte Folded Reload
	scratch_load_dwordx4 v[12:15], off, off offset:1844 ; 16-byte Folded Reload
	scratch_load_dwordx4 v[16:19], off, off offset:1860 ; 16-byte Folded Reload
	scratch_load_dwordx4 v[20:23], off, off offset:1876 ; 16-byte Folded Reload
	scratch_load_dwordx4 v[24:27], off, off offset:1892 ; 16-byte Folded Reload
	scratch_load_dwordx4 v[28:31], off, off offset:1908 ; 16-byte Folded Reload
	s_waitcnt vmcnt(6)
	v_mov_b32_e32 v175, v7
	scratch_load_dwordx4 v[0:3], off, off offset:2052 ; 16-byte Folded Reload
	scratch_load_dwordx4 v[4:7], off, off offset:2068 ; 16-byte Folded Reload
	scratch_load_dwordx4 v[8:11], off, off offset:2084 ; 16-byte Folded Reload
	scratch_load_dwordx4 v[12:15], off, off offset:2100 ; 16-byte Folded Reload
	scratch_load_dwordx4 v[16:19], off, off offset:2116 ; 16-byte Folded Reload
	scratch_load_dwordx4 v[20:23], off, off offset:2132 ; 16-byte Folded Reload
	scratch_load_dwordx4 v[24:27], off, off offset:2148 ; 16-byte Folded Reload
	scratch_load_dwordx4 v[28:31], off, off offset:2164 ; 16-byte Folded Reload
	s_waitcnt vmcnt(5)
	v_mov_b32_e32 v176, v8
	scratch_load_dwordx4 v[0:3], off, off offset:2824 ; 16-byte Folded Reload
	scratch_load_dwordx4 v[4:7], off, off offset:2840 ; 16-byte Folded Reload
	scratch_load_dwordx4 v[8:11], off, off offset:2856 ; 16-byte Folded Reload
	scratch_load_dwordx4 v[12:15], off, off offset:2872 ; 16-byte Folded Reload
	scratch_load_dwordx4 v[16:19], off, off offset:2888 ; 16-byte Folded Reload
	scratch_load_dwordx4 v[20:23], off, off offset:2904 ; 16-byte Folded Reload
	scratch_load_dwordx4 v[24:27], off, off offset:2920 ; 16-byte Folded Reload
	scratch_load_dwordx4 v[28:31], off, off offset:2936 ; 16-byte Folded Reload
	s_waitcnt vmcnt(5)
	v_mov_b32_e32 v177, v9
	scratch_load_dwordx4 v[0:3], off, off offset:388 ; 16-byte Folded Reload
	scratch_load_dwordx4 v[4:7], off, off offset:404 ; 16-byte Folded Reload
	scratch_load_dwordx4 v[8:11], off, off offset:420 ; 16-byte Folded Reload
	scratch_load_dwordx4 v[12:15], off, off offset:436 ; 16-byte Folded Reload
	scratch_load_dwordx4 v[16:19], off, off offset:452 ; 16-byte Folded Reload
	scratch_load_dwordx4 v[20:23], off, off offset:468 ; 16-byte Folded Reload
	scratch_load_dwordx4 v[24:27], off, off offset:484 ; 16-byte Folded Reload
	scratch_load_dwordx4 v[28:31], off, off offset:500 ; 16-byte Folded Reload
	s_waitcnt vmcnt(5)
	v_mov_b32_e32 v178, v10
	scratch_load_dwordx4 v[0:3], off, off offset:2952 ; 16-byte Folded Reload
	scratch_load_dwordx4 v[4:7], off, off offset:2968 ; 16-byte Folded Reload
	scratch_load_dwordx4 v[8:11], off, off offset:2984 ; 16-byte Folded Reload
	scratch_load_dwordx4 v[12:15], off, off offset:3000 ; 16-byte Folded Reload
	scratch_load_dwordx4 v[16:19], off, off offset:3016 ; 16-byte Folded Reload
	scratch_load_dwordx4 v[20:23], off, off offset:3032 ; 16-byte Folded Reload
	scratch_load_dwordx4 v[24:27], off, off offset:3048 ; 16-byte Folded Reload
	scratch_load_dwordx4 v[28:31], off, off offset:3064 ; 16-byte Folded Reload
	s_waitcnt vmcnt(5)
	v_mov_b32_e32 v179, v11
	scratch_load_dwordx4 v[0:3], off, off offset:3084 ; 16-byte Folded Reload
	scratch_load_dwordx4 v[4:7], off, off offset:3100 ; 16-byte Folded Reload
	scratch_load_dwordx4 v[8:11], off, off offset:3116 ; 16-byte Folded Reload
	scratch_load_dwordx4 v[12:15], off, off offset:3132 ; 16-byte Folded Reload
	scratch_load_dwordx4 v[16:19], off, off offset:3148 ; 16-byte Folded Reload
	scratch_load_dwordx4 v[20:23], off, off offset:3164 ; 16-byte Folded Reload
	scratch_load_dwordx4 v[24:27], off, off offset:3180 ; 16-byte Folded Reload
	scratch_load_dwordx4 v[28:31], off, off offset:3196 ; 16-byte Folded Reload
	s_waitcnt vmcnt(4)
	v_mov_b32_e32 v180, v12
	scratch_load_dwordx4 v[0:3], off, off offset:3340 ; 16-byte Folded Reload
	scratch_load_dwordx4 v[4:7], off, off offset:3356 ; 16-byte Folded Reload
	scratch_load_dwordx4 v[8:11], off, off offset:3372 ; 16-byte Folded Reload
	scratch_load_dwordx4 v[12:15], off, off offset:3388 ; 16-byte Folded Reload
	scratch_load_dwordx4 v[16:19], off, off offset:3404 ; 16-byte Folded Reload
	scratch_load_dwordx4 v[20:23], off, off offset:3420 ; 16-byte Folded Reload
	scratch_load_dwordx4 v[24:27], off, off offset:3436 ; 16-byte Folded Reload
	scratch_load_dwordx4 v[28:31], off, off offset:3452 ; 16-byte Folded Reload
	s_waitcnt vmcnt(4)
	v_mov_b32_e32 v181, v13
	scratch_load_dwordx4 v[0:3], off, off offset:132 ; 16-byte Folded Reload
	scratch_load_dwordx4 v[4:7], off, off offset:148 ; 16-byte Folded Reload
	scratch_load_dwordx4 v[8:11], off, off offset:164 ; 16-byte Folded Reload
	scratch_load_dwordx4 v[12:15], off, off offset:180 ; 16-byte Folded Reload
	scratch_load_dwordx4 v[16:19], off, off offset:196 ; 16-byte Folded Reload
	scratch_load_dwordx4 v[20:23], off, off offset:212 ; 16-byte Folded Reload
	scratch_load_dwordx4 v[24:27], off, off offset:228 ; 16-byte Folded Reload
	scratch_load_dwordx4 v[28:31], off, off offset:244 ; 16-byte Folded Reload
	s_waitcnt vmcnt(4)
	v_mov_b32_e32 v183, v15
	scratch_load_dwordx4 v[0:3], off, off offset:2308 ; 16-byte Folded Reload
	scratch_load_dwordx4 v[4:7], off, off offset:2324 ; 16-byte Folded Reload
	scratch_load_dwordx4 v[8:11], off, off offset:2340 ; 16-byte Folded Reload
	scratch_load_dwordx4 v[12:15], off, off offset:2356 ; 16-byte Folded Reload
	scratch_load_dwordx4 v[16:19], off, off offset:2372 ; 16-byte Folded Reload
	scratch_load_dwordx4 v[20:23], off, off offset:2388 ; 16-byte Folded Reload
	scratch_load_dwordx4 v[24:27], off, off offset:2404 ; 16-byte Folded Reload
	scratch_load_dwordx4 v[28:31], off, off offset:2420 ; 16-byte Folded Reload
	s_waitcnt vmcnt(3)
	v_mov_b32_e32 v184, v16
	scratch_load_dwordx4 v[0:3], off, off offset:1924 ; 16-byte Folded Reload
	scratch_load_dwordx4 v[4:7], off, off offset:1940 ; 16-byte Folded Reload
	scratch_load_dwordx4 v[8:11], off, off offset:1956 ; 16-byte Folded Reload
	scratch_load_dwordx4 v[12:15], off, off offset:1972 ; 16-byte Folded Reload
	scratch_load_dwordx4 v[16:19], off, off offset:1988 ; 16-byte Folded Reload
	scratch_load_dwordx4 v[20:23], off, off offset:2004 ; 16-byte Folded Reload
	scratch_load_dwordx4 v[24:27], off, off offset:2020 ; 16-byte Folded Reload
	scratch_load_dwordx4 v[28:31], off, off offset:2036 ; 16-byte Folded Reload
	s_waitcnt vmcnt(3)
	v_mov_b32_e32 v185, v17
	scratch_load_dwordx4 v[0:3], off, off offset:3468 ; 16-byte Folded Reload
	scratch_load_dwordx4 v[4:7], off, off offset:3484 ; 16-byte Folded Reload
	scratch_load_dwordx4 v[8:11], off, off offset:3500 ; 16-byte Folded Reload
	scratch_load_dwordx4 v[12:15], off, off offset:3516 ; 16-byte Folded Reload
	scratch_load_dwordx4 v[16:19], off, off offset:3532 ; 16-byte Folded Reload
	scratch_load_dwordx4 v[20:23], off, off offset:3548 ; 16-byte Folded Reload
	scratch_load_dwordx4 v[24:27], off, off offset:3564 ; 16-byte Folded Reload
	scratch_load_dwordx4 v[28:31], off, off offset:3580 ; 16-byte Folded Reload
	s_waitcnt vmcnt(3)
	v_mov_b32_e32 v186, v18
	scratch_load_dwordx4 v[0:3], off, off offset:260 ; 16-byte Folded Reload
	scratch_load_dwordx4 v[4:7], off, off offset:276 ; 16-byte Folded Reload
	scratch_load_dwordx4 v[8:11], off, off offset:292 ; 16-byte Folded Reload
	scratch_load_dwordx4 v[12:15], off, off offset:308 ; 16-byte Folded Reload
	scratch_load_dwordx4 v[16:19], off, off offset:324 ; 16-byte Folded Reload
	scratch_load_dwordx4 v[20:23], off, off offset:340 ; 16-byte Folded Reload
	scratch_load_dwordx4 v[24:27], off, off offset:356 ; 16-byte Folded Reload
	scratch_load_dwordx4 v[28:31], off, off offset:372 ; 16-byte Folded Reload
	s_barrier
	s_waitcnt vmcnt(2)
	v_mov_b32_e32 v22, v236
	v_mov_b32_e32 v188, v20
	scratch_store_dwordx4 off, v[168:171], off offset:900 ; 16-byte Folded Spill
	s_nop 0
	scratch_store_dwordx4 off, v[172:175], off offset:916 ; 16-byte Folded Spill
	scratch_store_dwordx4 off, v[176:179], off offset:932 ; 16-byte Folded Spill
	scratch_store_dwordx4 off, v[180:183], off offset:948 ; 16-byte Folded Spill
	scratch_store_dwordx4 off, v[184:187], off offset:964 ; 16-byte Folded Spill
	scratch_store_dwordx4 off, v[188:191], off offset:980 ; 16-byte Folded Spill
	scratch_store_dwordx4 off, v[192:195], off offset:996 ; 16-byte Folded Spill
	scratch_store_dwordx4 off, v[196:199], off offset:1012 ; 16-byte Folded Spill
	v_mov_b32_e32 v176, v166
	scratch_store_dwordx4 off, v[142:145], off offset:644 ; 16-byte Folded Spill
	s_nop 0
	scratch_store_dwordx4 off, v[146:149], off offset:660 ; 16-byte Folded Spill
	scratch_store_dwordx4 off, v[150:153], off offset:676 ; 16-byte Folded Spill
	scratch_store_dwordx4 off, v[154:157], off offset:692 ; 16-byte Folded Spill
	scratch_store_dwordx4 off, v[158:161], off offset:708 ; 16-byte Folded Spill
	scratch_store_dwordx4 off, v[162:165], off offset:724 ; 16-byte Folded Spill
	scratch_store_dwordx4 off, v[166:169], off offset:740 ; 16-byte Folded Spill
	scratch_store_dwordx4 off, v[170:173], off offset:756 ; 16-byte Folded Spill
	;; [unrolled: 10-line block ×3, first 2 shown]
	scratch_store_dwordx4 off, v[0:3], off offset:516 ; 16-byte Folded Spill
	s_nop 0
	scratch_store_dwordx4 off, v[4:7], off offset:532 ; 16-byte Folded Spill
	scratch_store_dwordx4 off, v[8:11], off offset:548 ; 16-byte Folded Spill
	;; [unrolled: 1-line block ×5, first 2 shown]
	s_waitcnt vmcnt(31)
	scratch_store_dwordx4 off, v[24:27], off offset:612 ; 16-byte Folded Spill
	s_waitcnt vmcnt(31)
	scratch_store_dwordx4 off, v[28:31], off offset:628 ; 16-byte Folded Spill
	scratch_store_dwordx4 off, v[214:217], s18 ; 16-byte Folded Spill
	s_nop 0
	scratch_store_dwordx4 off, v[218:221], s18 offset:16 ; 16-byte Folded Spill
	scratch_store_dwordx4 off, v[222:225], s18 offset:32 ; 16-byte Folded Spill
	;; [unrolled: 1-line block ×7, first 2 shown]
	v_mov_b32_e32 v173, v107
	scratch_store_dwordx4 off, v[86:89], off offset:1284 ; 16-byte Folded Spill
	s_nop 0
	scratch_store_dwordx4 off, v[90:93], off offset:1300 ; 16-byte Folded Spill
	scratch_store_dwordx4 off, v[94:97], off offset:1316 ; 16-byte Folded Spill
	;; [unrolled: 1-line block ×7, first 2 shown]
	v_mov_b64_e32 v[132:133], v[14:15]
	v_mov_b32_e32 v138, v20
	v_mov_b64_e32 v[130:131], v[12:13]
	v_mov_b64_e32 v[128:129], v[10:11]
	;; [unrolled: 1-line block ×7, first 2 shown]
	v_mov_b32_e32 v137, v19
	v_mov_b32_e32 v136, v18
	;; [unrolled: 1-line block ×4, first 2 shown]
	scratch_load_dwordx4 v[0:3], off, off offset:4 ; 16-byte Folded Reload
	scratch_load_dwordx4 v[4:7], off, off offset:20 ; 16-byte Folded Reload
	;; [unrolled: 1-line block ×8, first 2 shown]
	v_mov_b32_e32 v88, v62
	v_mov_b32_e32 v87, v61
	v_mov_b32_e32 v86, v60
	s_movk_i32 s18, 0x100c
	s_waitcnt vmcnt(4)
	v_mov_b64_e32 v[154:155], v[14:15]
	v_mov_b64_e32 v[148:149], v[8:9]
	;; [unrolled: 1-line block ×3, first 2 shown]
	s_waitcnt vmcnt(1)
	v_mov_b64_e32 v[166:167], v[26:27]
	v_mov_b64_e32 v[144:145], v[4:5]
	;; [unrolled: 1-line block ×9, first 2 shown]
	v_mov_b32_e32 v19, v213
	v_mov_b64_e32 v[152:153], v[12:13]
	v_mov_b64_e32 v[150:151], v[10:11]
	scratch_store_dwordx4 off, v[118:121], off offset:1156 ; 16-byte Folded Spill
	s_nop 0
	scratch_store_dwordx4 off, v[122:125], off offset:1172 ; 16-byte Folded Spill
	scratch_store_dwordx4 off, v[126:129], off offset:1188 ; 16-byte Folded Spill
	scratch_store_dwordx4 off, v[130:133], off offset:1204 ; 16-byte Folded Spill
	scratch_store_dwordx4 off, v[134:137], off offset:1220 ; 16-byte Folded Spill
	scratch_store_dwordx4 off, v[138:141], off offset:1236 ; 16-byte Folded Spill
	scratch_store_dwordx4 off, v[142:145], off offset:1252 ; 16-byte Folded Spill
	scratch_store_dwordx4 off, v[146:149], off offset:1268 ; 16-byte Folded Spill
	scratch_store_dwordx4 off, v[0:3], off offset:1412 ; 16-byte Folded Spill
	s_nop 0
	scratch_store_dwordx4 off, v[4:7], off offset:1428 ; 16-byte Folded Spill
	scratch_store_dwordx4 off, v[8:11], off offset:1444 ; 16-byte Folded Spill
	scratch_store_dwordx4 off, v[12:15], off offset:1460 ; 16-byte Folded Spill
	scratch_store_dwordx4 off, v[16:19], off offset:1476 ; 16-byte Folded Spill
	scratch_store_dwordx4 off, v[20:23], off offset:1492 ; 16-byte Folded Spill
	scratch_store_dwordx4 off, v[24:27], off offset:1508 ; 16-byte Folded Spill
	s_waitcnt vmcnt(15)
	scratch_store_dwordx4 off, v[28:31], off offset:1524 ; 16-byte Folded Spill
	scratch_store_dwordx4 off, v[194:197], off offset:1668 ; 16-byte Folded Spill
	s_nop 0
	scratch_store_dwordx4 off, v[198:201], off offset:1684 ; 16-byte Folded Spill
	scratch_store_dwordx4 off, v[202:205], off offset:1700 ; 16-byte Folded Spill
	;; [unrolled: 1-line block ×7, first 2 shown]
	scratch_load_dwordx4 v[0:3], off, off offset:3468 ; 16-byte Folded Reload
	scratch_load_dwordx4 v[4:7], off, off offset:3484 ; 16-byte Folded Reload
	;; [unrolled: 1-line block ×8, first 2 shown]
	s_waitcnt vmcnt(3)
	v_mov_b32_e32 v76, v18
	scratch_store_dwordx4 off, v[0:3], off offset:1540 ; 16-byte Folded Spill
	s_nop 0
	scratch_store_dwordx4 off, v[4:7], off offset:1556 ; 16-byte Folded Spill
	scratch_store_dwordx4 off, v[8:11], off offset:1572 ; 16-byte Folded Spill
	;; [unrolled: 1-line block ×4, first 2 shown]
	s_waitcnt vmcnt(7)
	scratch_store_dwordx4 off, v[20:23], off offset:1620 ; 16-byte Folded Spill
	s_waitcnt vmcnt(7)
	scratch_store_dwordx4 off, v[24:27], off offset:1636 ; 16-byte Folded Spill
	;; [unrolled: 2-line block ×3, first 2 shown]
	scratch_load_dwordx4 v[0:3], off, off offset:1924 ; 16-byte Folded Reload
	s_nop 0
	scratch_load_dwordx4 v[4:7], off, off offset:1940 ; 16-byte Folded Reload
	scratch_load_dwordx4 v[8:11], off, off offset:1956 ; 16-byte Folded Reload
	;; [unrolled: 1-line block ×7, first 2 shown]
	s_waitcnt vmcnt(0)
	v_mov_b64_e32 v[34:35], v[14:15]
	v_mov_b64_e32 v[32:33], v[12:13]
	;; [unrolled: 1-line block ×9, first 2 shown]
	v_mov_b32_e32 v83, v37
	scratch_store_dwordx4 off, v[20:23], off offset:1924 ; 16-byte Folded Spill
	s_nop 0
	scratch_store_dwordx4 off, v[24:27], off offset:1940 ; 16-byte Folded Spill
	scratch_store_dwordx4 off, v[28:31], off offset:1956 ; 16-byte Folded Spill
	scratch_store_dwordx4 off, v[32:35], off offset:1972 ; 16-byte Folded Spill
	scratch_store_dwordx4 off, v[36:39], off offset:1988 ; 16-byte Folded Spill
	scratch_store_dwordx4 off, v[40:43], off offset:2004 ; 16-byte Folded Spill
	scratch_store_dwordx4 off, v[44:47], off offset:2020 ; 16-byte Folded Spill
	scratch_store_dwordx4 off, v[48:51], off offset:2036 ; 16-byte Folded Spill
	scratch_load_dwordx4 v[92:95], off, off offset:2308 ; 16-byte Folded Reload
	scratch_load_dwordx4 v[96:99], off, off offset:2324 ; 16-byte Folded Reload
	;; [unrolled: 1-line block ×16, first 2 shown]
	s_waitcnt vmcnt(0)
	v_mov_b64_e32 v[34:35], v[14:15]
	v_mov_b64_e32 v[32:33], v[12:13]
	;; [unrolled: 1-line block ×8, first 2 shown]
	v_mov_b32_e32 v85, v35
	scratch_store_dwordx4 off, v[20:23], off offset:2564 ; 16-byte Folded Spill
	s_nop 0
	scratch_store_dwordx4 off, v[24:27], off offset:2580 ; 16-byte Folded Spill
	scratch_store_dwordx4 off, v[28:31], off offset:2596 ; 16-byte Folded Spill
	;; [unrolled: 1-line block ×8, first 2 shown]
	s_nop 0
	scratch_store_dwordx4 off, v[42:45], off offset:2324 ; 16-byte Folded Spill
	scratch_store_dwordx4 off, v[46:49], off offset:2340 ; 16-byte Folded Spill
	scratch_store_dwordx4 off, v[50:53], off offset:2356 ; 16-byte Folded Spill
	scratch_store_dwordx4 off, v[54:57], off offset:2372 ; 16-byte Folded Spill
	scratch_store_dwordx4 off, v[58:61], off offset:2388 ; 16-byte Folded Spill
	scratch_store_dwordx4 off, v[62:65], off offset:2404 ; 16-byte Folded Spill
	scratch_store_dwordx4 off, v[66:69], off offset:2420 ; 16-byte Folded Spill
	scratch_load_dwordx4 v[0:3], off, off offset:3340 ; 16-byte Folded Reload
	scratch_load_dwordx4 v[4:7], off, off offset:3356 ; 16-byte Folded Reload
	;; [unrolled: 1-line block ×8, first 2 shown]
	v_mov_b32_e32 v172, v108
	s_waitcnt vmcnt(1)
	v_mov_b64_e32 v[24:25], v[10:11]
	v_mov_b64_e32 v[22:23], v[8:9]
	;; [unrolled: 1-line block ×7, first 2 shown]
	v_mov_b32_e32 v111, v27
	scratch_store_dwordx4 off, v[14:17], off offset:3212 ; 16-byte Folded Spill
	s_nop 0
	scratch_store_dwordx4 off, v[18:21], off offset:3228 ; 16-byte Folded Spill
	scratch_store_dwordx4 off, v[22:25], off offset:3244 ; 16-byte Folded Spill
	s_waitcnt vmcnt(3)
	scratch_store_dwordx4 off, v[26:29], off offset:3260 ; 16-byte Folded Spill
	scratch_store_dwordx4 off, v[30:33], off offset:3276 ; 16-byte Folded Spill
	;; [unrolled: 1-line block ×5, first 2 shown]
	scratch_load_dwordx4 v[14:17], off, off offset:3084 ; 16-byte Folded Reload
	s_nop 0
	scratch_load_dwordx4 v[18:21], off, off offset:3100 ; 16-byte Folded Reload
	scratch_load_dwordx4 v[22:25], off, off offset:3116 ; 16-byte Folded Reload
	;; [unrolled: 1-line block ×7, first 2 shown]
	s_waitcnt vmcnt(5)
	v_mov_b64_e32 v[0:1], v[14:15]
	v_mov_b64_e32 v[2:3], v[16:17]
	;; [unrolled: 1-line block ×6, first 2 shown]
	s_waitcnt vmcnt(4)
	v_mov_b32_e32 v12, v26
	scratch_store_dwordx4 off, v[0:3], off offset:3084 ; 16-byte Folded Spill
	s_nop 0
	scratch_store_dwordx4 off, v[4:7], off offset:3100 ; 16-byte Folded Spill
	scratch_store_dwordx4 off, v[8:11], off offset:3116 ; 16-byte Folded Spill
	;; [unrolled: 1-line block ×6, first 2 shown]
	s_waitcnt vmcnt(10)
	scratch_store_dwordx4 off, v[28:31], off offset:3196 ; 16-byte Folded Spill
	scratch_load_dwordx4 v[14:17], off, off offset:2952 ; 16-byte Folded Reload
	s_nop 0
	scratch_load_dwordx4 v[18:21], off, off offset:2968 ; 16-byte Folded Reload
	scratch_load_dwordx4 v[22:25], off, off offset:2984 ; 16-byte Folded Reload
	;; [unrolled: 1-line block ×7, first 2 shown]
	s_waitcnt vmcnt(5)
	v_mov_b32_e32 v11, v25
	scratch_store_dwordx4 off, v[14:17], off offset:3596 ; 16-byte Folded Spill
	s_nop 0
	scratch_store_dwordx4 off, v[18:21], off offset:3612 ; 16-byte Folded Spill
	scratch_store_dwordx4 off, v[22:25], off offset:3628 ; 16-byte Folded Spill
	s_waitcnt vmcnt(7)
	scratch_store_dwordx4 off, v[26:29], off offset:3644 ; 16-byte Folded Spill
	s_waitcnt vmcnt(7)
	;; [unrolled: 2-line block ×5, first 2 shown]
	scratch_store_dwordx4 off, v[42:45], off offset:3708 ; 16-byte Folded Spill
	scratch_load_dwordx4 v[14:17], off, off offset:388 ; 16-byte Folded Reload
	s_nop 0
	scratch_load_dwordx4 v[18:21], off, off offset:404 ; 16-byte Folded Reload
	scratch_load_dwordx4 v[22:25], off, off offset:420 ; 16-byte Folded Reload
	;; [unrolled: 1-line block ×7, first 2 shown]
	s_waitcnt vmcnt(5)
	v_mov_b32_e32 v0, v14
	v_mov_b32_e32 v1, v15
	;; [unrolled: 1-line block ×11, first 2 shown]
	scratch_store_dwordx4 off, v[0:3], off offset:3724 ; 16-byte Folded Spill
	s_nop 0
	scratch_store_dwordx4 off, v[4:7], off offset:3740 ; 16-byte Folded Spill
	scratch_store_dwordx4 off, v[8:11], off offset:3756 ; 16-byte Folded Spill
	;; [unrolled: 1-line block ×5, first 2 shown]
	s_waitcnt vmcnt(10)
	scratch_store_dwordx4 off, v[24:27], off offset:3820 ; 16-byte Folded Spill
	s_waitcnt vmcnt(10)
	scratch_store_dwordx4 off, v[28:31], off offset:3836 ; 16-byte Folded Spill
	scratch_load_dwordx4 v[26:29], off, off offset:2824 ; 16-byte Folded Reload
	s_nop 0
	scratch_load_dwordx4 v[30:33], off, off offset:2840 ; 16-byte Folded Reload
	scratch_load_dwordx4 v[34:37], off, off offset:2856 ; 16-byte Folded Reload
	;; [unrolled: 1-line block ×7, first 2 shown]
	s_waitcnt vmcnt(5)
	v_mov_b64_e32 v[0:1], v[26:27]
	v_mov_b64_e32 v[2:3], v[28:29]
	;; [unrolled: 1-line block ×5, first 2 shown]
	v_mov_b32_e32 v77, v9
	scratch_store_dwordx4 off, v[0:3], s18  ; 16-byte Folded Spill
	s_nop 0
	scratch_store_dwordx4 off, v[4:7], s18 offset:16 ; 16-byte Folded Spill
	scratch_store_dwordx4 off, v[8:11], s18 offset:32 ; 16-byte Folded Spill
	;; [unrolled: 1-line block ×7, first 2 shown]
	scratch_load_dwordx4 v[178:181], off, off offset:2052 ; 16-byte Folded Reload
	scratch_load_dwordx4 v[182:185], off, off offset:2068 ; 16-byte Folded Reload
	;; [unrolled: 1-line block ×8, first 2 shown]
	s_movk_i32 s18, 0x1194
	s_waitcnt vmcnt(5)
	v_mov_b32_e32 v0, v178
	v_mov_b32_e32 v1, v179
	;; [unrolled: 1-line block ×10, first 2 shown]
	scratch_store_dwordx4 off, v[0:3], off offset:3980 ; 16-byte Folded Spill
	s_nop 0
	scratch_store_dwordx4 off, v[4:7], off offset:3996 ; 16-byte Folded Spill
	scratch_store_dwordx4 off, v[8:11], off offset:4012 ; 16-byte Folded Spill
	;; [unrolled: 1-line block ×7, first 2 shown]
	scratch_load_dwordx4 v[26:29], off, off offset:1796 ; 16-byte Folded Reload
	s_nop 0
	scratch_load_dwordx4 v[30:33], off, off offset:1812 ; 16-byte Folded Reload
	scratch_load_dwordx4 v[34:37], off, off offset:1828 ; 16-byte Folded Reload
	;; [unrolled: 1-line block ×7, first 2 shown]
	v_mov_b64_e32 v[180:181], v[68:69]
	v_mov_b64_e32 v[178:179], v[66:67]
	v_mov_b32_e32 v89, v181
	s_waitcnt vmcnt(6)
	v_mov_b64_e32 v[0:1], v[26:27]
	v_mov_b64_e32 v[2:3], v[28:29]
	;; [unrolled: 1-line block ×4, first 2 shown]
	v_mov_b32_e32 v79, v7
	scratch_store_dwordx4 off, v[0:3], s18  ; 16-byte Folded Spill
	s_nop 0
	scratch_store_dwordx4 off, v[4:7], s18 offset:16 ; 16-byte Folded Spill
	scratch_store_dwordx4 off, v[8:11], s18 offset:32 ; 16-byte Folded Spill
	;; [unrolled: 1-line block ×7, first 2 shown]
	scratch_load_dwordx4 v[26:29], off, off offset:2696 ; 16-byte Folded Reload
	s_nop 0
	scratch_load_dwordx4 v[30:33], off, off offset:2712 ; 16-byte Folded Reload
	scratch_load_dwordx4 v[34:37], off, off offset:2728 ; 16-byte Folded Reload
	;; [unrolled: 1-line block ×7, first 2 shown]
	s_movk_i32 s18, 0x1214
	s_waitcnt vmcnt(6)
	v_mov_b32_e32 v0, v26
	v_mov_b32_e32 v1, v27
	;; [unrolled: 1-line block ×8, first 2 shown]
	scratch_store_dwordx4 off, v[0:3], s18  ; 16-byte Folded Spill
	s_nop 0
	scratch_store_dwordx4 off, v[4:7], s18 offset:16 ; 16-byte Folded Spill
	scratch_store_dwordx4 off, v[8:11], s18 offset:32 ; 16-byte Folded Spill
	;; [unrolled: 1-line block ×7, first 2 shown]
	s_movk_i32 s18, 0x108c
	scratch_load_dwordx4 v[26:29], off, s18 ; 16-byte Folded Reload
	scratch_load_dwordx4 v[30:33], off, s18 offset:16 ; 16-byte Folded Reload
	scratch_load_dwordx4 v[34:37], off, s18 offset:32 ; 16-byte Folded Reload
	;; [unrolled: 1-line block ×7, first 2 shown]
	s_movk_i32 s18, 0x1294
	s_waitcnt vmcnt(6)
	v_mov_b64_e32 v[0:1], v[26:27]
	v_mov_b64_e32 v[2:3], v[28:29]
	;; [unrolled: 1-line block ×3, first 2 shown]
	v_mov_b32_e32 v109, v5
	scratch_store_dwordx4 off, v[0:3], s18  ; 16-byte Folded Spill
	s_nop 0
	scratch_store_dwordx4 off, v[4:7], s18 offset:16 ; 16-byte Folded Spill
	scratch_store_dwordx4 off, v[8:11], s18 offset:32 ; 16-byte Folded Spill
	;; [unrolled: 1-line block ×7, first 2 shown]
	scratch_load_dwordx4 v[32:35], off, off offset:3852 ; 16-byte Folded Reload
	scratch_load_dwordx4 v[36:39], off, off offset:3868 ; 16-byte Folded Reload
	;; [unrolled: 1-line block ×8, first 2 shown]
	s_movk_i32 s18, 0x1394
	scratch_store_dwordx4 off, v[86:89], s18 ; 16-byte Folded Spill
	s_nop 0
	scratch_store_dwordx4 off, v[90:93], s18 offset:16 ; 16-byte Folded Spill
	scratch_store_dwordx4 off, v[94:97], s18 offset:32 ; 16-byte Folded Spill
	;; [unrolled: 1-line block ×7, first 2 shown]
	s_and_saveexec_b64 s[18:19], vcc
	s_cbranch_execz .LBB54_31
; %bb.30:
	scratch_load_dwordx4 v[28:31], off, off offset:3852 ; 16-byte Folded Reload
	scratch_load_dwordx4 v[32:35], off, off offset:3868 ; 16-byte Folded Reload
	;; [unrolled: 1-line block ×8, first 2 shown]
	v_div_scale_f32 v1, s[20:21], v74, v74, 1.0
	v_rcp_f32_e32 v2, v1
	v_mov_b32_e32 v73, v109
	v_mov_b32_e32 v68, v110
	;; [unrolled: 1-line block ×3, first 2 shown]
	v_fma_f32 v3, -v1, v2, 1.0
	v_fmac_f32_e32 v2, v3, v2
	v_div_scale_f32 v3, vcc, 1.0, v74, 1.0
	v_mul_f32_e32 v4, v3, v2
	v_fma_f32 v5, -v1, v4, v3
	v_fmac_f32_e32 v4, v5, v2
	v_fma_f32 v1, -v1, v4, v3
	v_div_fmas_f32 v1, v1, v2, v4
	v_div_fixup_f32 v1, v1, v74, 1.0
	v_cndmask_b32_e64 v1, v74, v1, s[2:3]
	s_waitcnt vmcnt(7)
	v_mov_b32_e32 v30, v78
	v_mov_b32_e32 v31, v77
	v_mov_b32_e32 v13, v111
	v_mov_b32_e32 v14, v84
	v_mov_b32_e32 v15, v85
	v_mov_b32_e32 v16, v172
	v_mov_b32_e32 v17, v83
	v_mov_b32_e32 v18, v76
	s_movk_i32 s20, 0x1394
	v_mov_b32_e32 v21, v173
	v_mov_b32_e32 v23, v177
	;; [unrolled: 1-line block ×5, first 2 shown]
	s_waitcnt vmcnt(6)
	v_mov_b32_e32 v72, v32
	scratch_load_dwordx4 v[32:35], off, off offset:388 ; 16-byte Folded Reload
	scratch_load_dwordx4 v[36:39], off, off offset:404 ; 16-byte Folded Reload
	scratch_load_dwordx4 v[40:43], off, off offset:420 ; 16-byte Folded Reload
	scratch_load_dwordx4 v[44:47], off, off offset:436 ; 16-byte Folded Reload
	scratch_load_dwordx4 v[48:51], off, off offset:452 ; 16-byte Folded Reload
	scratch_load_dwordx4 v[52:55], off, off offset:468 ; 16-byte Folded Reload
	scratch_load_dwordx4 v[56:59], off, off offset:484 ; 16-byte Folded Reload
	scratch_load_dwordx4 v[60:63], off, off offset:500 ; 16-byte Folded Reload
	s_waitcnt vmcnt(5)
	v_mov_b32_e32 v10, v42
	scratch_load_dwordx4 v[32:35], off, off offset:1412 ; 16-byte Folded Reload
	scratch_load_dwordx4 v[36:39], off, off offset:1428 ; 16-byte Folded Reload
	scratch_load_dwordx4 v[40:43], off, off offset:1444 ; 16-byte Folded Reload
	scratch_load_dwordx4 v[44:47], off, off offset:1460 ; 16-byte Folded Reload
	scratch_load_dwordx4 v[48:51], off, off offset:1476 ; 16-byte Folded Reload
	scratch_load_dwordx4 v[52:55], off, off offset:1492 ; 16-byte Folded Reload
	scratch_load_dwordx4 v[56:59], off, off offset:1508 ; 16-byte Folded Reload
	scratch_load_dwordx4 v[60:63], off, off offset:1524 ; 16-byte Folded Reload
	;; [unrolled: 10-line block ×5, first 2 shown]
	ds_read2_b32 v[2:3], v254 offset0:2 offset1:3
	ds_read2_b32 v[4:5], v254 offset0:4 offset1:5
	;; [unrolled: 1-line block ×4, first 2 shown]
	s_waitcnt vmcnt(7)
	v_mul_f32_e32 v26, v33, v1
	s_waitcnt lgkmcnt(3)
	v_pk_fma_f32 v[88:89], v[26:27], v[2:3], v[88:89] op_sel_hi:[0,1,1] neg_lo:[1,0,0] neg_hi:[1,0,0]
	s_waitcnt lgkmcnt(2)
	v_pk_fma_f32 v[72:73], v[26:27], v[4:5], v[72:73] op_sel_hi:[0,1,1] neg_lo:[1,0,0] neg_hi:[1,0,0]
	;; [unrolled: 2-line block ×4, first 2 shown]
	ds_read2_b32 v[2:3], v254 offset0:10 offset1:11
	ds_read2_b32 v[4:5], v254 offset0:12 offset1:13
	;; [unrolled: 1-line block ×4, first 2 shown]
	v_mov_b32_e32 v141, v26
	s_waitcnt lgkmcnt(3)
	v_pk_fma_f32 v[10:11], v[26:27], v[2:3], v[10:11] op_sel_hi:[0,1,1] neg_lo:[1,0,0] neg_hi:[1,0,0]
	s_waitcnt lgkmcnt(2)
	v_pk_fma_f32 v[12:13], v[26:27], v[4:5], v[12:13] op_sel_hi:[0,1,1] neg_lo:[1,0,0] neg_hi:[1,0,0]
	;; [unrolled: 2-line block ×4, first 2 shown]
	ds_read2_b32 v[2:3], v254 offset0:18 offset1:19
	ds_read2_b32 v[4:5], v254 offset0:20 offset1:21
	;; [unrolled: 1-line block ×4, first 2 shown]
	scratch_load_dwordx4 v[32:35], off, off offset:2436 ; 16-byte Folded Reload
	scratch_load_dwordx4 v[36:39], off, off offset:2452 ; 16-byte Folded Reload
	;; [unrolled: 1-line block ×8, first 2 shown]
	s_waitcnt lgkmcnt(3)
	v_pk_fma_f32 v[18:19], v[26:27], v[2:3], v[18:19] op_sel_hi:[0,1,1] neg_lo:[1,0,0] neg_hi:[1,0,0]
	ds_read2_b32 v[2:3], v254 offset0:26 offset1:27
	scratch_store_dwordx4 off, v[140:143], off offset:772 ; 16-byte Folded Spill
	s_nop 0
	scratch_store_dwordx4 off, v[144:147], off offset:788 ; 16-byte Folded Spill
	scratch_store_dwordx4 off, v[148:151], off offset:804 ; 16-byte Folded Spill
	;; [unrolled: 1-line block ×7, first 2 shown]
	v_mov_b32_e32 v142, v88
	s_waitcnt lgkmcnt(3)
	v_pk_fma_f32 v[20:21], v[26:27], v[4:5], v[20:21] op_sel_hi:[0,1,1] neg_lo:[1,0,0] neg_hi:[1,0,0]
	s_waitcnt lgkmcnt(2)
	v_pk_fma_f32 v[22:23], v[26:27], v[6:7], v[22:23] op_sel_hi:[0,1,1] neg_lo:[1,0,0] neg_hi:[1,0,0]
	;; [unrolled: 2-line block ×3, first 2 shown]
	scratch_store_dwordx4 off, v[140:143], s20 ; 16-byte Folded Spill
	s_nop 0
	scratch_store_dwordx4 off, v[144:147], s20 offset:16 ; 16-byte Folded Spill
	scratch_store_dwordx4 off, v[148:151], s20 offset:32 ; 16-byte Folded Spill
	;; [unrolled: 1-line block ×7, first 2 shown]
	v_mov_b32_e32 v143, v89
	s_movk_i32 s20, 0x1294
	s_waitcnt vmcnt(17)
	v_mov_b32_e32 v81, v59
	s_waitcnt lgkmcnt(0)
	v_pk_fma_f32 v[80:81], v[26:27], v[2:3], v[80:81] op_sel_hi:[0,1,1] neg_lo:[1,0,0] neg_hi:[1,0,0]
	v_mov_b64_e32 v[208:209], v[170:171]
	v_mov_b64_e32 v[206:207], v[168:169]
	;; [unrolled: 1-line block ×16, first 2 shown]
	v_mov_b32_e32 v144, v72
	s_waitcnt vmcnt(16)
	v_mov_b64_e32 v[32:33], v[140:141]
	v_mov_b64_e32 v[34:35], v[142:143]
	;; [unrolled: 1-line block ×16, first 2 shown]
	v_mov_b32_e32 v145, v73
	scratch_store_dwordx4 off, v[140:143], s20 ; 16-byte Folded Spill
	s_nop 0
	scratch_store_dwordx4 off, v[144:147], s20 offset:16 ; 16-byte Folded Spill
	scratch_store_dwordx4 off, v[148:151], s20 offset:32 ; 16-byte Folded Spill
	scratch_store_dwordx4 off, v[152:155], s20 offset:48 ; 16-byte Folded Spill
	scratch_store_dwordx4 off, v[156:159], s20 offset:64 ; 16-byte Folded Spill
	scratch_store_dwordx4 off, v[160:163], s20 offset:80 ; 16-byte Folded Spill
	scratch_store_dwordx4 off, v[164:167], s20 offset:96 ; 16-byte Folded Spill
	scratch_store_dwordx4 off, v[168:171], s20 offset:112 ; 16-byte Folded Spill
	v_mov_b32_e32 v146, v68
	s_movk_i32 s20, 0x1214
	scratch_store_dwordx4 off, v[140:143], s20 ; 16-byte Folded Spill
	s_nop 0
	scratch_store_dwordx4 off, v[144:147], s20 offset:16 ; 16-byte Folded Spill
	scratch_store_dwordx4 off, v[148:151], s20 offset:32 ; 16-byte Folded Spill
	scratch_store_dwordx4 off, v[152:155], s20 offset:48 ; 16-byte Folded Spill
	scratch_store_dwordx4 off, v[156:159], s20 offset:64 ; 16-byte Folded Spill
	scratch_store_dwordx4 off, v[160:163], s20 offset:80 ; 16-byte Folded Spill
	scratch_store_dwordx4 off, v[164:167], s20 offset:96 ; 16-byte Folded Spill
	scratch_store_dwordx4 off, v[168:171], s20 offset:112 ; 16-byte Folded Spill
	v_mov_b32_e32 v147, v69
	s_movk_i32 s20, 0x1194
	scratch_store_dwordx4 off, v[140:143], s20 ; 16-byte Folded Spill
	s_nop 0
	scratch_store_dwordx4 off, v[144:147], s20 offset:16 ; 16-byte Folded Spill
	scratch_store_dwordx4 off, v[148:151], s20 offset:32 ; 16-byte Folded Spill
	scratch_store_dwordx4 off, v[152:155], s20 offset:48 ; 16-byte Folded Spill
	scratch_store_dwordx4 off, v[156:159], s20 offset:64 ; 16-byte Folded Spill
	scratch_store_dwordx4 off, v[160:163], s20 offset:80 ; 16-byte Folded Spill
	scratch_store_dwordx4 off, v[164:167], s20 offset:96 ; 16-byte Folded Spill
	scratch_store_dwordx4 off, v[168:171], s20 offset:112 ; 16-byte Folded Spill
	v_mov_b32_e32 v148, v30
	s_movk_i32 s20, 0x100c
	scratch_store_dwordx4 off, v[140:143], off offset:3980 ; 16-byte Folded Spill
	s_nop 0
	scratch_store_dwordx4 off, v[144:147], off offset:3996 ; 16-byte Folded Spill
	scratch_store_dwordx4 off, v[148:151], off offset:4012 ; 16-byte Folded Spill
	;; [unrolled: 1-line block ×7, first 2 shown]
	v_mov_b32_e32 v149, v31
	scratch_store_dwordx4 off, v[140:143], s20 ; 16-byte Folded Spill
	s_nop 0
	scratch_store_dwordx4 off, v[144:147], s20 offset:16 ; 16-byte Folded Spill
	scratch_store_dwordx4 off, v[148:151], s20 offset:32 ; 16-byte Folded Spill
	;; [unrolled: 1-line block ×7, first 2 shown]
	v_mov_b32_e32 v150, v10
	s_movk_i32 s20, 0x1314
	scratch_store_dwordx4 off, v[140:143], off offset:3724 ; 16-byte Folded Spill
	s_nop 0
	scratch_store_dwordx4 off, v[144:147], off offset:3740 ; 16-byte Folded Spill
	scratch_store_dwordx4 off, v[148:151], off offset:3756 ; 16-byte Folded Spill
	scratch_store_dwordx4 off, v[152:155], off offset:3772 ; 16-byte Folded Spill
	scratch_store_dwordx4 off, v[156:159], off offset:3788 ; 16-byte Folded Spill
	scratch_store_dwordx4 off, v[160:163], off offset:3804 ; 16-byte Folded Spill
	scratch_store_dwordx4 off, v[164:167], off offset:3820 ; 16-byte Folded Spill
	scratch_store_dwordx4 off, v[168:171], off offset:3836 ; 16-byte Folded Spill
	v_mov_b32_e32 v151, v11
	scratch_store_dwordx4 off, v[140:143], off offset:3596 ; 16-byte Folded Spill
	s_nop 0
	scratch_store_dwordx4 off, v[144:147], off offset:3612 ; 16-byte Folded Spill
	scratch_store_dwordx4 off, v[148:151], off offset:3628 ; 16-byte Folded Spill
	scratch_store_dwordx4 off, v[152:155], off offset:3644 ; 16-byte Folded Spill
	scratch_store_dwordx4 off, v[156:159], off offset:3660 ; 16-byte Folded Spill
	scratch_store_dwordx4 off, v[160:163], off offset:3676 ; 16-byte Folded Spill
	scratch_store_dwordx4 off, v[164:167], off offset:3692 ; 16-byte Folded Spill
	scratch_store_dwordx4 off, v[168:171], off offset:3708 ; 16-byte Folded Spill
	v_mov_b32_e32 v152, v12
	;; [unrolled: 10-line block ×6, first 2 shown]
	v_mov_b64_e32 v[92:93], v[140:141]
	v_mov_b64_e32 v[94:95], v[142:143]
	;; [unrolled: 1-line block ×16, first 2 shown]
	v_mov_b32_e32 v157, v17
	scratch_store_dwordx4 off, v[140:143], off offset:1924 ; 16-byte Folded Spill
	s_nop 0
	scratch_store_dwordx4 off, v[144:147], off offset:1940 ; 16-byte Folded Spill
	scratch_store_dwordx4 off, v[148:151], off offset:1956 ; 16-byte Folded Spill
	scratch_store_dwordx4 off, v[152:155], off offset:1972 ; 16-byte Folded Spill
	scratch_store_dwordx4 off, v[156:159], off offset:1988 ; 16-byte Folded Spill
	scratch_store_dwordx4 off, v[160:163], off offset:2004 ; 16-byte Folded Spill
	scratch_store_dwordx4 off, v[164:167], off offset:2020 ; 16-byte Folded Spill
	scratch_store_dwordx4 off, v[168:171], off offset:2036 ; 16-byte Folded Spill
	v_mov_b32_e32 v158, v18
	scratch_store_dwordx4 off, v[140:143], off offset:1540 ; 16-byte Folded Spill
	s_nop 0
	scratch_store_dwordx4 off, v[144:147], off offset:1556 ; 16-byte Folded Spill
	scratch_store_dwordx4 off, v[148:151], off offset:1572 ; 16-byte Folded Spill
	scratch_store_dwordx4 off, v[152:155], off offset:1588 ; 16-byte Folded Spill
	scratch_store_dwordx4 off, v[156:159], off offset:1604 ; 16-byte Folded Spill
	scratch_store_dwordx4 off, v[160:163], off offset:1620 ; 16-byte Folded Spill
	scratch_store_dwordx4 off, v[164:167], off offset:1636 ; 16-byte Folded Spill
	scratch_store_dwordx4 off, v[168:171], off offset:1652 ; 16-byte Folded Spill
	;; [unrolled: 10-line block ×5, first 2 shown]
	v_mov_b32_e32 v162, v22
	scratch_store_dwordx4 off, v[140:143], s20 ; 16-byte Folded Spill
	s_nop 0
	scratch_store_dwordx4 off, v[144:147], s20 offset:16 ; 16-byte Folded Spill
	scratch_store_dwordx4 off, v[148:151], s20 offset:32 ; 16-byte Folded Spill
	;; [unrolled: 1-line block ×7, first 2 shown]
	v_mov_b32_e32 v163, v23
	scratch_store_dwordx4 off, v[140:143], off offset:1028 ; 16-byte Folded Spill
	s_nop 0
	scratch_store_dwordx4 off, v[144:147], off offset:1044 ; 16-byte Folded Spill
	scratch_store_dwordx4 off, v[148:151], off offset:1060 ; 16-byte Folded Spill
	scratch_store_dwordx4 off, v[152:155], off offset:1076 ; 16-byte Folded Spill
	scratch_store_dwordx4 off, v[156:159], off offset:1092 ; 16-byte Folded Spill
	scratch_store_dwordx4 off, v[160:163], off offset:1108 ; 16-byte Folded Spill
	scratch_store_dwordx4 off, v[164:167], off offset:1124 ; 16-byte Folded Spill
	scratch_store_dwordx4 off, v[168:171], off offset:1140 ; 16-byte Folded Spill
	s_nop 0
	v_mov_b32_e32 v164, v64
	scratch_store_dwordx4 off, v[140:143], off offset:644 ; 16-byte Folded Spill
	s_nop 0
	scratch_store_dwordx4 off, v[144:147], off offset:660 ; 16-byte Folded Spill
	scratch_store_dwordx4 off, v[148:151], off offset:676 ; 16-byte Folded Spill
	scratch_store_dwordx4 off, v[152:155], off offset:692 ; 16-byte Folded Spill
	scratch_store_dwordx4 off, v[156:159], off offset:708 ; 16-byte Folded Spill
	scratch_store_dwordx4 off, v[160:163], off offset:724 ; 16-byte Folded Spill
	scratch_store_dwordx4 off, v[164:167], off offset:740 ; 16-byte Folded Spill
	scratch_store_dwordx4 off, v[168:171], off offset:756 ; 16-byte Folded Spill
	s_nop 0
	v_mov_b32_e32 v165, v65
	scratch_store_dwordx4 off, v[140:143], off offset:900 ; 16-byte Folded Spill
	s_nop 0
	scratch_store_dwordx4 off, v[144:147], off offset:916 ; 16-byte Folded Spill
	scratch_store_dwordx4 off, v[148:151], off offset:932 ; 16-byte Folded Spill
	scratch_store_dwordx4 off, v[152:155], off offset:948 ; 16-byte Folded Spill
	scratch_store_dwordx4 off, v[156:159], off offset:964 ; 16-byte Folded Spill
	scratch_store_dwordx4 off, v[160:163], off offset:980 ; 16-byte Folded Spill
	scratch_store_dwordx4 off, v[164:167], off offset:996 ; 16-byte Folded Spill
	scratch_store_dwordx4 off, v[168:171], off offset:1012 ; 16-byte Folded Spill
	s_nop 0
	v_mov_b32_e32 v166, v80
	v_mov_b32_e32 v167, v81
	scratch_store_dwordx4 off, v[54:57], off offset:2436 ; 16-byte Folded Spill
	s_nop 0
	scratch_store_dwordx4 off, v[58:61], off offset:2452 ; 16-byte Folded Spill
	scratch_store_dwordx4 off, v[62:65], off offset:2468 ; 16-byte Folded Spill
	scratch_store_dwordx4 off, v[66:69], off offset:2484 ; 16-byte Folded Spill
	scratch_store_dwordx4 off, v[70:73], off offset:2500 ; 16-byte Folded Spill
	scratch_store_dwordx4 off, v[74:77], off offset:2516 ; 16-byte Folded Spill
	scratch_store_dwordx4 off, v[78:81], off offset:2532 ; 16-byte Folded Spill
	scratch_store_dwordx4 off, v[82:85], off offset:2548 ; 16-byte Folded Spill
	v_mov_b32_e32 v253, v80
	scratch_store_dwordx4 off, v[68:71], off offset:3852 ; 16-byte Folded Spill
	s_nop 0
	scratch_store_dwordx4 off, v[72:75], off offset:3868 ; 16-byte Folded Spill
	scratch_store_dwordx4 off, v[76:79], off offset:3884 ; 16-byte Folded Spill
	;; [unrolled: 1-line block ×7, first 2 shown]
	v_mov_b32_e32 v78, v30
	v_mov_b32_e32 v77, v31
	scratch_store_dwordx4 off, v[0:3], off offset:388 ; 16-byte Folded Spill
	s_nop 0
	scratch_store_dwordx4 off, v[4:7], off offset:404 ; 16-byte Folded Spill
	scratch_store_dwordx4 off, v[8:11], off offset:420 ; 16-byte Folded Spill
	;; [unrolled: 1-line block ×7, first 2 shown]
	v_mov_b32_e32 v176, v64
	v_mov_b32_e32 v75, v65
	;; [unrolled: 1-line block ×11, first 2 shown]
	scratch_store_dwordx4 off, v[0:3], off offset:1412 ; 16-byte Folded Spill
	s_nop 0
	scratch_store_dwordx4 off, v[4:7], off offset:1428 ; 16-byte Folded Spill
	scratch_store_dwordx4 off, v[8:11], off offset:1444 ; 16-byte Folded Spill
	;; [unrolled: 1-line block ×8, first 2 shown]
	s_nop 0
	scratch_store_dwordx4 off, v[4:7], off offset:276 ; 16-byte Folded Spill
	scratch_store_dwordx4 off, v[8:11], off offset:292 ; 16-byte Folded Spill
	;; [unrolled: 1-line block ×7, first 2 shown]
	v_mov_b32_e32 v173, v21
	scratch_store_dwordx4 off, v[0:3], off offset:516 ; 16-byte Folded Spill
	s_nop 0
	scratch_store_dwordx4 off, v[4:7], off offset:532 ; 16-byte Folded Spill
	scratch_store_dwordx4 off, v[8:11], off offset:548 ; 16-byte Folded Spill
	;; [unrolled: 1-line block ×7, first 2 shown]
	v_mov_b32_e32 v177, v23
.LBB54_31:
	s_or_b64 exec, exec, s[18:19]
	v_lshl_add_u32 v28, v255, 2, v254
	s_waitcnt vmcnt(15)
	scratch_store_dwordx4 off, v[32:35], off offset:2052 ; 16-byte Folded Spill
	s_waitcnt vmcnt(15)
	scratch_store_dwordx4 off, v[36:39], off offset:2068 ; 16-byte Folded Spill
	;; [unrolled: 2-line block ×8, first 2 shown]
	s_barrier
	ds_write_b32 v28, v88
	s_waitcnt lgkmcnt(0)
	s_barrier
	ds_read_b32 v31, v254 offset:8
	v_mov_b32_e32 v80, v12
	v_mov_b32_e32 v2, v88
	s_cmp_lt_i32 s22, 4
	v_mov_b32_e32 v28, 2
	s_cbranch_scc1 .LBB54_34
; %bb.32:
	s_movk_i32 s19, 0x1314
	scratch_load_dword v0, off, off offset:2692 ; 4-byte Folded Reload
	scratch_load_dwordx4 v[220:223], off, s19 ; 16-byte Folded Reload
	scratch_load_dwordx4 v[224:227], off, s19 offset:16 ; 16-byte Folded Reload
	scratch_load_dwordx4 v[228:231], off, s19 offset:32 ; 16-byte Folded Reload
	;; [unrolled: 1-line block ×7, first 2 shown]
	v_mov_b32_e32 v28, 2
	s_mov_b32 s18, 3
	s_waitcnt vmcnt(8)
	v_add3_u32 v29, v0, 0, 12
.LBB54_33:                              ; =>This Inner Loop Header: Depth=1
	ds_read_b32 v56, v29
	v_add_u32_e32 v29, 4, v29
	s_waitcnt lgkmcnt(0)
	v_cmp_lt_f32_e64 vcc, |v31|, |v56|
	s_nop 1
	v_cndmask_b32_e32 v31, v31, v56, vcc
	v_mov_b32_e32 v56, s18
	s_add_i32 s18, s18, 1
	v_cndmask_b32_e32 v28, v28, v56, vcc
	s_cmp_lg_u32 s22, s18
	s_cbranch_scc1 .LBB54_33
	s_branch .LBB54_35
.LBB54_34:
	s_movk_i32 s18, 0x1314
	scratch_load_dwordx4 v[220:223], off, s18 ; 16-byte Folded Reload
	scratch_load_dwordx4 v[224:227], off, s18 offset:16 ; 16-byte Folded Reload
	scratch_load_dwordx4 v[228:231], off, s18 offset:32 ; 16-byte Folded Reload
	;; [unrolled: 1-line block ×7, first 2 shown]
.LBB54_35:
	v_cndmask_b32_e64 v29, 2, 1, s[0:1]
	v_cndmask_b32_e64 v56, 0, 1, s[0:1]
	;; [unrolled: 1-line block ×3, first 2 shown]
	s_waitcnt lgkmcnt(0)
	v_cmp_eq_f32_e32 vcc, 0, v31
	scratch_store_dwordx4 off, v[92:95], off offset:1796 ; 16-byte Folded Spill
	s_nop 0
	scratch_store_dwordx4 off, v[96:99], off offset:1812 ; 16-byte Folded Spill
	scratch_store_dwordx4 off, v[100:103], off offset:1828 ; 16-byte Folded Spill
	;; [unrolled: 1-line block ×7, first 2 shown]
	scratch_store_dword off, v0, off offset:132 ; 4-byte Folded Spill
	s_and_saveexec_b64 s[0:1], vcc
	s_xor_b64 s[0:1], exec, s[0:1]
	s_cbranch_execz .LBB54_37
; %bb.36:
	scratch_load_dword v0, off, off offset:132 ; 4-byte Folded Reload
	s_waitcnt vmcnt(0)
	v_cmp_ne_u32_e32 vcc, 0, v0
	s_nop 1
	v_cndmask_b32_e32 v0, 3, v0, vcc
	scratch_store_dword off, v0, off offset:132 ; 4-byte Folded Spill
.LBB54_37:
	s_andn2_saveexec_b64 s[0:1], s[0:1]
	s_cbranch_execz .LBB54_39
; %bb.38:
	v_div_scale_f32 v29, s[2:3], v31, v31, 1.0
	v_rcp_f32_e32 v56, v29
	v_div_scale_f32 v57, vcc, 1.0, v31, 1.0
	v_fma_f32 v58, -v29, v56, 1.0
	v_fmac_f32_e32 v56, v58, v56
	v_mul_f32_e32 v58, v57, v56
	v_fma_f32 v59, -v29, v58, v57
	v_fmac_f32_e32 v58, v59, v56
	v_fma_f32 v29, -v29, v58, v57
	v_div_fmas_f32 v29, v29, v56, v58
	v_div_fixup_f32 v31, v29, v31, 1.0
.LBB54_39:
	s_or_b64 exec, exec, s[0:1]
	v_cmp_ne_u32_e32 vcc, v255, v28
	s_mov_b64 s[0:1], exec
	s_and_b64 s[2:3], s[0:1], vcc
	s_xor_b64 s[0:1], s[2:3], s[0:1]
	v_mov_b32_e32 v37, v75
	s_mov_b64 exec, s[2:3]
	s_cbranch_execz .LBB54_45
; %bb.40:
	v_cmp_eq_u32_e32 vcc, 2, v255
	s_and_saveexec_b64 s[2:3], vcc
	s_cbranch_execz .LBB54_44
; %bb.41:
	v_cmp_ne_u32_e32 vcc, 2, v28
	s_xor_b64 s[18:19], s[16:17], -1
	s_and_b64 s[20:21], s[18:19], vcc
	s_and_saveexec_b64 s[18:19], s[20:21]
	s_cbranch_execz .LBB54_43
; %bb.42:
	s_movk_i32 s20, 0x118c
	scratch_load_dwordx2 v[60:61], off, s20 ; 8-byte Folded Reload
	v_ashrrev_i32_e32 v29, 31, v28
	v_mov_b32_e32 v37, v75
	s_waitcnt vmcnt(0)
	v_lshl_add_u64 v[56:57], v[28:29], 2, v[60:61]
	global_load_dword v29, v[56:57], off
	global_load_dword v58, v[60:61], off offset:8
	s_waitcnt vmcnt(1)
	global_store_dword v[60:61], v29, off offset:8
	s_waitcnt vmcnt(1)
	global_store_dword v[56:57], v58, off
.LBB54_43:
	s_or_b64 exec, exec, s[18:19]
	v_mov_b32_e32 v29, v28
	v_mov_b32_e32 v255, v28
	scratch_store_dword off, v29, off offset:3080 ; 4-byte Folded Spill
.LBB54_44:
	s_or_b64 exec, exec, s[2:3]
.LBB54_45:
	s_andn2_saveexec_b64 s[0:1], s[0:1]
	s_cbranch_execz .LBB54_47
; %bb.46:
	ds_write2_b32 v254, v143, v144 offset0:3 offset1:4
	ds_write2_b32 v254, v145, v146 offset0:5 offset1:6
	;; [unrolled: 1-line block ×12, first 2 shown]
	scratch_load_dwordx4 v[38:41], off, off offset:2436 ; 16-byte Folded Reload
	scratch_load_dwordx4 v[42:45], off, off offset:2452 ; 16-byte Folded Reload
	;; [unrolled: 1-line block ×8, first 2 shown]
	v_mov_b32_e32 v255, 2
	s_waitcnt vmcnt(1)
	ds_write_b32 v254, v65 offset:108
.LBB54_47:
	s_or_b64 exec, exec, s[0:1]
	v_cmp_lt_i32_e32 vcc, 2, v255
	s_waitcnt lgkmcnt(0)
	s_barrier
	s_and_saveexec_b64 s[0:1], vcc
	s_cbranch_execz .LBB54_49
; %bb.48:
	scratch_load_dwordx4 v[188:191], off, off offset:772 ; 16-byte Folded Reload
	scratch_load_dwordx4 v[192:195], off, off offset:788 ; 16-byte Folded Reload
	;; [unrolled: 1-line block ×8, first 2 shown]
	ds_read2_b32 v[0:1], v254 offset0:3 offset1:4
	s_waitcnt vmcnt(7)
	v_mul_f32_e32 v190, v2, v31
	ds_read2_b32 v[30:31], v254 offset0:5 offset1:6
	ds_read2_b32 v[32:33], v254 offset0:7 offset1:8
	ds_read2_b32 v[34:35], v254 offset0:9 offset1:10
	v_mov_b32_e32 v2, v143
	v_mov_b32_e32 v3, v144
	s_movk_i32 s2, 0x1294
	v_mov_b32_e32 v222, v190
	v_mov_b32_e32 v142, v190
	s_waitcnt lgkmcnt(3)
	v_pk_fma_f32 v[28:29], v[190:191], v[0:1], v[2:3] op_sel_hi:[0,1,1] neg_lo:[1,0,0] neg_hi:[1,0,0]
	v_mov_b32_e32 v0, v145
	v_mov_b32_e32 v1, v146
	s_waitcnt lgkmcnt(2)
	v_pk_fma_f32 v[30:31], v[190:191], v[30:31], v[0:1] op_sel_hi:[0,1,1] neg_lo:[1,0,0] neg_hi:[1,0,0]
	;; [unrolled: 4-line block ×4, first 2 shown]
	ds_read2_b32 v[0:1], v254 offset0:11 offset1:12
	ds_read2_b32 v[4:5], v254 offset0:13 offset1:14
	;; [unrolled: 1-line block ×4, first 2 shown]
	v_mov_b32_e32 v2, v151
	v_mov_b32_e32 v3, v152
	;; [unrolled: 1-line block ×3, first 2 shown]
	s_waitcnt lgkmcnt(3)
	v_pk_fma_f32 v[60:61], v[190:191], v[0:1], v[2:3] op_sel_hi:[0,1,1] neg_lo:[1,0,0] neg_hi:[1,0,0]
	v_mov_b32_e32 v0, v153
	v_mov_b32_e32 v1, v154
	s_waitcnt lgkmcnt(2)
	v_pk_fma_f32 v[62:63], v[190:191], v[4:5], v[0:1] op_sel_hi:[0,1,1] neg_lo:[1,0,0] neg_hi:[1,0,0]
	v_mov_b32_e32 v0, v155
	v_mov_b32_e32 v1, v156
	;; [unrolled: 4-line block ×3, first 2 shown]
	s_waitcnt lgkmcnt(0)
	v_pk_fma_f32 v[66:67], v[190:191], v[8:9], v[0:1] op_sel_hi:[0,1,1] neg_lo:[1,0,0] neg_hi:[1,0,0]
	ds_read2_b32 v[0:1], v254 offset0:19 offset1:20
	v_mov_b32_e32 v2, v159
	v_mov_b32_e32 v3, v160
	ds_read2_b32 v[4:5], v254 offset0:21 offset1:22
	ds_read2_b32 v[6:7], v254 offset0:23 offset1:24
	;; [unrolled: 1-line block ×3, first 2 shown]
	v_mov_b32_e32 v221, v189
	s_waitcnt lgkmcnt(3)
	v_pk_fma_f32 v[68:69], v[190:191], v[0:1], v[2:3] op_sel_hi:[0,1,1] neg_lo:[1,0,0] neg_hi:[1,0,0]
	ds_read_b32 v2, v254 offset:108
	scratch_load_dwordx4 v[74:77], off, off offset:2436 ; 16-byte Folded Reload
	scratch_load_dwordx4 v[78:81], off, off offset:2452 ; 16-byte Folded Reload
	;; [unrolled: 1-line block ×8, first 2 shown]
	v_mov_b32_e32 v0, v161
	v_mov_b32_e32 v1, v162
	s_waitcnt lgkmcnt(3)
	v_pk_fma_f32 v[70:71], v[190:191], v[4:5], v[0:1] op_sel_hi:[0,1,1] neg_lo:[1,0,0] neg_hi:[1,0,0]
	v_mov_b32_e32 v0, v163
	v_mov_b32_e32 v1, v164
	s_waitcnt lgkmcnt(2)
	v_pk_fma_f32 v[72:73], v[190:191], v[6:7], v[0:1] op_sel_hi:[0,1,1] neg_lo:[1,0,0] neg_hi:[1,0,0]
	;; [unrolled: 4-line block ×3, first 2 shown]
	v_mov_b32_e32 v0, v188
	v_mov_b32_e32 v1, v189
	;; [unrolled: 1-line block ×49, first 2 shown]
	s_waitcnt vmcnt(1) lgkmcnt(0)
	v_fma_f32 v167, -v190, v2, v101
	v_mov_b32_e32 v2, v190
	scratch_store_dwordx4 off, v[0:3], off offset:2052 ; 16-byte Folded Spill
	s_nop 0
	scratch_store_dwordx4 off, v[4:7], off offset:2068 ; 16-byte Folded Spill
	scratch_store_dwordx4 off, v[8:11], off offset:2084 ; 16-byte Folded Spill
	;; [unrolled: 1-line block ×7, first 2 shown]
	s_waitcnt vmcnt(8)
	v_mov_b64_e32 v[74:75], v[188:189]
	v_mov_b64_e32 v[88:89], v[202:203]
	;; [unrolled: 1-line block ×17, first 2 shown]
	v_mov_b32_e32 v79, v56
	v_mov_b32_e32 v78, v57
	;; [unrolled: 1-line block ×7, first 2 shown]
	scratch_store_dwordx4 off, v[0:3], s2   ; 16-byte Folded Spill
	s_nop 0
	scratch_store_dwordx4 off, v[4:7], s2 offset:16 ; 16-byte Folded Spill
	scratch_store_dwordx4 off, v[8:11], s2 offset:32 ; 16-byte Folded Spill
	;; [unrolled: 1-line block ×7, first 2 shown]
	s_movk_i32 s2, 0x1214
	v_mov_b32_e32 v6, v31
	scratch_store_dwordx4 off, v[0:3], s2   ; 16-byte Folded Spill
	s_nop 0
	scratch_store_dwordx4 off, v[4:7], s2 offset:16 ; 16-byte Folded Spill
	scratch_store_dwordx4 off, v[8:11], s2 offset:32 ; 16-byte Folded Spill
	;; [unrolled: 1-line block ×7, first 2 shown]
	v_mov_b32_e32 v7, v56
	s_movk_i32 s2, 0x1194
	scratch_store_dwordx4 off, v[0:3], s2   ; 16-byte Folded Spill
	s_nop 0
	scratch_store_dwordx4 off, v[4:7], s2 offset:16 ; 16-byte Folded Spill
	scratch_store_dwordx4 off, v[8:11], s2 offset:32 ; 16-byte Folded Spill
	;; [unrolled: 1-line block ×7, first 2 shown]
	v_mov_b32_e32 v8, v57
	s_movk_i32 s2, 0x100c
	scratch_store_dwordx4 off, v[0:3], off offset:3980 ; 16-byte Folded Spill
	s_nop 0
	scratch_store_dwordx4 off, v[4:7], off offset:3996 ; 16-byte Folded Spill
	scratch_store_dwordx4 off, v[8:11], off offset:4012 ; 16-byte Folded Spill
	;; [unrolled: 1-line block ×7, first 2 shown]
	v_mov_b32_e32 v9, v58
	scratch_store_dwordx4 off, v[0:3], s2   ; 16-byte Folded Spill
	s_nop 0
	scratch_store_dwordx4 off, v[4:7], s2 offset:16 ; 16-byte Folded Spill
	scratch_store_dwordx4 off, v[8:11], s2 offset:32 ; 16-byte Folded Spill
	;; [unrolled: 1-line block ×7, first 2 shown]
	v_mov_b32_e32 v10, v59
	s_movk_i32 s2, 0x1394
	scratch_store_dwordx4 off, v[0:3], off offset:3724 ; 16-byte Folded Spill
	s_nop 0
	scratch_store_dwordx4 off, v[4:7], off offset:3740 ; 16-byte Folded Spill
	scratch_store_dwordx4 off, v[8:11], off offset:3756 ; 16-byte Folded Spill
	scratch_store_dwordx4 off, v[12:15], off offset:3772 ; 16-byte Folded Spill
	scratch_store_dwordx4 off, v[16:19], off offset:3788 ; 16-byte Folded Spill
	scratch_store_dwordx4 off, v[20:23], off offset:3804 ; 16-byte Folded Spill
	scratch_store_dwordx4 off, v[24:27], off offset:3820 ; 16-byte Folded Spill
	scratch_store_dwordx4 off, v[28:31], off offset:3836 ; 16-byte Folded Spill
	v_mov_b32_e32 v11, v60
	scratch_store_dwordx4 off, v[0:3], off offset:3596 ; 16-byte Folded Spill
	s_nop 0
	scratch_store_dwordx4 off, v[4:7], off offset:3612 ; 16-byte Folded Spill
	scratch_store_dwordx4 off, v[8:11], off offset:3628 ; 16-byte Folded Spill
	scratch_store_dwordx4 off, v[12:15], off offset:3644 ; 16-byte Folded Spill
	scratch_store_dwordx4 off, v[16:19], off offset:3660 ; 16-byte Folded Spill
	scratch_store_dwordx4 off, v[20:23], off offset:3676 ; 16-byte Folded Spill
	scratch_store_dwordx4 off, v[24:27], off offset:3692 ; 16-byte Folded Spill
	scratch_store_dwordx4 off, v[28:31], off offset:3708 ; 16-byte Folded Spill
	v_mov_b32_e32 v12, v61
	;; [unrolled: 10-line block ×12, first 2 shown]
	v_mov_b32_e32 v23, v72
	v_mov_b32_e32 v223, v28
	;; [unrolled: 1-line block ×5, first 2 shown]
	scratch_store_dwordx4 off, v[0:3], off offset:1028 ; 16-byte Folded Spill
	s_nop 0
	scratch_store_dwordx4 off, v[4:7], off offset:1044 ; 16-byte Folded Spill
	scratch_store_dwordx4 off, v[8:11], off offset:1060 ; 16-byte Folded Spill
	;; [unrolled: 1-line block ×7, first 2 shown]
	s_nop 0
	v_mov_b32_e32 v24, v73
	scratch_store_dwordx4 off, v[0:3], off offset:644 ; 16-byte Folded Spill
	s_nop 0
	scratch_store_dwordx4 off, v[4:7], off offset:660 ; 16-byte Folded Spill
	scratch_store_dwordx4 off, v[8:11], off offset:676 ; 16-byte Folded Spill
	;; [unrolled: 1-line block ×7, first 2 shown]
	s_nop 0
	v_mov_b32_e32 v25, v252
	scratch_store_dwordx4 off, v[0:3], off offset:900 ; 16-byte Folded Spill
	s_nop 0
	scratch_store_dwordx4 off, v[4:7], off offset:916 ; 16-byte Folded Spill
	scratch_store_dwordx4 off, v[8:11], off offset:932 ; 16-byte Folded Spill
	;; [unrolled: 1-line block ×7, first 2 shown]
	scratch_store_dwordx4 off, v[188:191], s2 ; 16-byte Folded Spill
	s_nop 0
	scratch_store_dwordx4 off, v[192:195], s2 offset:16 ; 16-byte Folded Spill
	scratch_store_dwordx4 off, v[196:199], s2 offset:32 ; 16-byte Folded Spill
	;; [unrolled: 1-line block ×7, first 2 shown]
	v_mov_b64_e32 v[178:179], v[74:75]
	v_mov_b32_e32 v77, v58
	v_mov_b32_e32 v76, v67
	;; [unrolled: 1-line block ×7, first 2 shown]
	scratch_store_dwordx4 off, v[0:3], off offset:3852 ; 16-byte Folded Spill
	s_nop 0
	scratch_store_dwordx4 off, v[4:7], off offset:3868 ; 16-byte Folded Spill
	scratch_store_dwordx4 off, v[8:11], off offset:3884 ; 16-byte Folded Spill
	;; [unrolled: 1-line block ×7, first 2 shown]
	v_mov_b32_e32 v109, v30
	v_mov_b32_e32 v110, v31
	scratch_store_dwordx4 off, v[0:3], off offset:388 ; 16-byte Folded Spill
	s_nop 0
	scratch_store_dwordx4 off, v[4:7], off offset:404 ; 16-byte Folded Spill
	scratch_store_dwordx4 off, v[8:11], off offset:420 ; 16-byte Folded Spill
	scratch_store_dwordx4 off, v[12:15], off offset:436 ; 16-byte Folded Spill
	scratch_store_dwordx4 off, v[16:19], off offset:452 ; 16-byte Folded Spill
	scratch_store_dwordx4 off, v[20:23], off offset:468 ; 16-byte Folded Spill
	scratch_store_dwordx4 off, v[24:27], off offset:484 ; 16-byte Folded Spill
	scratch_store_dwordx4 off, v[28:31], off offset:500 ; 16-byte Folded Spill
	scratch_store_dwordx4 off, v[0:3], off offset:1412 ; 16-byte Folded Spill
	s_nop 0
	scratch_store_dwordx4 off, v[4:7], off offset:1428 ; 16-byte Folded Spill
	scratch_store_dwordx4 off, v[8:11], off offset:1444 ; 16-byte Folded Spill
	scratch_store_dwordx4 off, v[12:15], off offset:1460 ; 16-byte Folded Spill
	scratch_store_dwordx4 off, v[16:19], off offset:1476 ; 16-byte Folded Spill
	scratch_store_dwordx4 off, v[20:23], off offset:1492 ; 16-byte Folded Spill
	scratch_store_dwordx4 off, v[24:27], off offset:1508 ; 16-byte Folded Spill
	scratch_store_dwordx4 off, v[28:31], off offset:1524 ; 16-byte Folded Spill
	;; [unrolled: 9-line block ×4, first 2 shown]
	s_nop 0
	v_mov_b32_e32 v27, v167
	scratch_store_dwordx4 off, v[0:3], off offset:2436 ; 16-byte Folded Spill
	s_nop 0
	scratch_store_dwordx4 off, v[4:7], off offset:2452 ; 16-byte Folded Spill
	scratch_store_dwordx4 off, v[8:11], off offset:2468 ; 16-byte Folded Spill
	;; [unrolled: 1-line block ×7, first 2 shown]
.LBB54_49:
	s_or_b64 exec, exec, s[0:1]
	s_nop 0
	v_lshl_add_u32 v28, v255, 2, v254
	s_waitcnt vmcnt(63) expcnt(7) lgkmcnt(15)
	s_barrier
	ds_write_b32 v28, v89
	s_waitcnt lgkmcnt(0)
	s_barrier
	ds_read_b32 v30, v254 offset:12
	s_cmp_lt_i32 s22, 5
	v_mov_b32_e32 v28, 3
	s_cbranch_scc1 .LBB54_52
; %bb.50:
	scratch_load_dword v0, off, off offset:2692 ; 4-byte Folded Reload
	v_mov_b32_e32 v28, 3
	s_mov_b32 s0, 4
	s_waitcnt vmcnt(0)
	v_add3_u32 v29, v0, 0, 16
.LBB54_51:                              ; =>This Inner Loop Header: Depth=1
	ds_read_b32 v31, v29
	v_add_u32_e32 v29, 4, v29
	s_waitcnt lgkmcnt(0)
	v_cmp_lt_f32_e64 vcc, |v30|, |v31|
	s_nop 1
	v_cndmask_b32_e32 v30, v30, v31, vcc
	v_mov_b32_e32 v31, s0
	s_add_i32 s0, s0, 1
	v_cndmask_b32_e32 v28, v28, v31, vcc
	s_cmp_lg_u32 s22, s0
	s_cbranch_scc1 .LBB54_51
.LBB54_52:
	s_waitcnt lgkmcnt(0)
	v_cmp_eq_f32_e32 vcc, 0, v30
	s_and_saveexec_b64 s[0:1], vcc
	s_xor_b64 s[0:1], exec, s[0:1]
	s_cbranch_execz .LBB54_54
; %bb.53:
	scratch_load_dword v0, off, off offset:132 ; 4-byte Folded Reload
	s_waitcnt vmcnt(0)
	v_cmp_ne_u32_e32 vcc, 0, v0
	s_nop 1
	v_cndmask_b32_e32 v0, 4, v0, vcc
	scratch_store_dword off, v0, off offset:132 ; 4-byte Folded Spill
.LBB54_54:
	s_andn2_saveexec_b64 s[0:1], s[0:1]
	s_cbranch_execz .LBB54_56
; %bb.55:
	v_div_scale_f32 v29, s[2:3], v30, v30, 1.0
	v_rcp_f32_e32 v31, v29
	v_div_scale_f32 v56, vcc, 1.0, v30, 1.0
	v_fma_f32 v57, -v29, v31, 1.0
	v_fmac_f32_e32 v31, v57, v31
	v_mul_f32_e32 v57, v56, v31
	v_fma_f32 v58, -v29, v57, v56
	v_fmac_f32_e32 v57, v58, v31
	v_fma_f32 v29, -v29, v57, v56
	v_div_fmas_f32 v29, v29, v31, v57
	v_div_fixup_f32 v30, v29, v30, 1.0
.LBB54_56:
	s_or_b64 exec, exec, s[0:1]
	v_cmp_ne_u32_e32 vcc, v255, v28
	s_and_saveexec_b64 s[0:1], vcc
	s_xor_b64 s[0:1], exec, s[0:1]
	s_cbranch_execz .LBB54_62
; %bb.57:
	v_cmp_eq_u32_e32 vcc, 3, v255
	s_and_saveexec_b64 s[2:3], vcc
	s_cbranch_execz .LBB54_61
; %bb.58:
	v_cmp_ne_u32_e32 vcc, 3, v28
	s_xor_b64 s[18:19], s[16:17], -1
	s_and_b64 s[20:21], s[18:19], vcc
	s_and_saveexec_b64 s[18:19], s[20:21]
	s_cbranch_execz .LBB54_60
; %bb.59:
	s_movk_i32 s20, 0x118c
	scratch_load_dwordx2 v[58:59], off, s20 ; 8-byte Folded Reload
	v_ashrrev_i32_e32 v29, 31, v28
	s_waitcnt vmcnt(0)
	v_lshl_add_u64 v[56:57], v[28:29], 2, v[58:59]
	global_load_dword v29, v[56:57], off
	global_load_dword v31, v[58:59], off offset:12
	s_waitcnt vmcnt(1)
	global_store_dword v[58:59], v29, off offset:12
	s_waitcnt vmcnt(1)
	global_store_dword v[56:57], v31, off
.LBB54_60:
	s_or_b64 exec, exec, s[18:19]
	v_mov_b32_e32 v29, v28
	v_mov_b32_e32 v255, v28
	scratch_store_dword off, v29, off offset:3080 ; 4-byte Folded Spill
.LBB54_61:
	s_or_b64 exec, exec, s[2:3]
.LBB54_62:
	s_andn2_saveexec_b64 s[0:1], s[0:1]
	s_cbranch_execz .LBB54_64
; %bb.63:
	v_mov_b32_e32 v255, 3
	ds_write2_b32 v254, v144, v145 offset0:4 offset1:5
	ds_write2_b32 v254, v146, v147 offset0:6 offset1:7
	;; [unrolled: 1-line block ×12, first 2 shown]
.LBB54_64:
	s_or_b64 exec, exec, s[0:1]
	v_cmp_lt_i32_e32 vcc, 3, v255
	s_waitcnt lgkmcnt(0)
	s_barrier
	s_and_saveexec_b64 s[0:1], vcc
	s_cbranch_execz .LBB54_66
; %bb.65:
	v_mul_f32_e32 v0, v89, v30
	ds_read2_b32 v[30:31], v254 offset0:4 offset1:5
	ds_read2_b32 v[32:33], v254 offset0:6 offset1:7
	;; [unrolled: 1-line block ×5, first 2 shown]
	s_movk_i32 s2, 0x1394
	s_waitcnt lgkmcnt(4)
	v_pk_fma_f32 v[210:211], v[0:1], v[30:31], v[144:145] op_sel_hi:[0,1,1] neg_lo:[1,0,0] neg_hi:[1,0,0]
	s_waitcnt lgkmcnt(3)
	v_pk_fma_f32 v[82:83], v[0:1], v[32:33], v[146:147] op_sel_hi:[0,1,1] neg_lo:[1,0,0] neg_hi:[1,0,0]
	;; [unrolled: 2-line block ×3, first 2 shown]
	ds_read2_b32 v[4:5], v254 offset0:24 offset1:25
	s_waitcnt lgkmcnt(2)
	v_pk_fma_f32 v[166:167], v[0:1], v[28:29], v[166:167] op_sel_hi:[0,1,1] neg_lo:[1,0,0] neg_hi:[1,0,0]
	scratch_load_dwordx4 v[6:9], off, s2    ; 16-byte Folded Reload
	scratch_load_dwordx4 v[10:13], off, s2 offset:16 ; 16-byte Folded Reload
	scratch_load_dwordx4 v[14:17], off, s2 offset:32 ; 16-byte Folded Reload
	;; [unrolled: 1-line block ×7, first 2 shown]
	s_nop 0
	scratch_store_dwordx4 off, v[140:143], off offset:4 ; 16-byte Folded Spill
	s_nop 0
	scratch_store_dwordx4 off, v[144:147], off offset:20 ; 16-byte Folded Spill
	scratch_store_dwordx4 off, v[148:151], off offset:36 ; 16-byte Folded Spill
	;; [unrolled: 1-line block ×7, first 2 shown]
	s_waitcnt vmcnt(15)
	v_mov_b32_e32 v9, v0
	s_waitcnt vmcnt(14)
	v_mov_b32_e32 v10, v210
	v_mov_b32_e32 v11, v211
	s_movk_i32 s2, 0x1294
	v_mov_b32_e32 v107, v0
	v_mov_b32_e32 v108, v210
	;; [unrolled: 1-line block ×23, first 2 shown]
	scratch_store_dwordx4 off, v[6:9], s2   ; 16-byte Folded Spill
	s_nop 0
	scratch_store_dwordx4 off, v[10:13], s2 offset:16 ; 16-byte Folded Spill
	s_waitcnt vmcnt(15)
	scratch_store_dwordx4 off, v[14:17], s2 offset:32 ; 16-byte Folded Spill
	s_waitcnt vmcnt(15)
	;; [unrolled: 2-line block ×6, first 2 shown]
	scratch_store_dwordx4 off, v[34:37], s2 offset:112 ; 16-byte Folded Spill
	v_mov_b32_e32 v12, v82
	v_mov_b32_e32 v13, v83
	s_movk_i32 s2, 0x1194
	s_waitcnt lgkmcnt(1)
	v_pk_fma_f32 v[230:231], v[0:1], v[2:3], v[150:151] op_sel_hi:[0,1,1] neg_lo:[1,0,0] neg_hi:[1,0,0]
	v_mov_b32_e32 v104, v146
	v_mov_b32_e32 v105, v147
	v_mov_b32_e32 v106, v148
	v_mov_b32_e32 v206, v146
	v_mov_b32_e32 v207, v147
	v_mov_b32_e32 v208, v148
	v_mov_b32_e32 v76, v146
	v_mov_b32_e32 v77, v147
	v_mov_b32_e32 v78, v148
	v_mov_b32_e32 v220, v146
	v_mov_b32_e32 v221, v147
	v_mov_b32_e32 v222, v148
	v_mov_b32_e32 v86, v146
	v_mov_b32_e32 v87, v147
	v_mov_b32_e32 v88, v148
	v_mov_b32_e32 v96, v230
	v_mov_b32_e32 v97, v231
	scratch_store_dwordx4 off, v[6:9], s2   ; 16-byte Folded Spill
	s_nop 0
	scratch_store_dwordx4 off, v[10:13], s2 offset:16 ; 16-byte Folded Spill
	scratch_store_dwordx4 off, v[14:17], s2 offset:32 ; 16-byte Folded Spill
	;; [unrolled: 1-line block ×7, first 2 shown]
	v_mov_b64_e32 v[14:15], v[38:39]
	s_movk_i32 s2, 0x100c
	v_mov_b64_e32 v[30:31], v[14:15]
	v_mov_b64_e32 v[28:29], v[12:13]
	;; [unrolled: 1-line block ×5, first 2 shown]
	scratch_store_dwordx4 off, v[6:9], s2   ; 16-byte Folded Spill
	s_nop 0
	scratch_store_dwordx4 off, v[10:13], s2 offset:16 ; 16-byte Folded Spill
	scratch_store_dwordx4 off, v[14:17], s2 offset:32 ; 16-byte Folded Spill
	;; [unrolled: 1-line block ×7, first 2 shown]
	v_mov_b32_e32 v16, v230
	v_mov_b32_e32 v17, v231
	s_movk_i32 s2, 0x1214
	v_mov_b32_e32 v228, v30
	v_mov_b32_e32 v229, v31
	scratch_store_dwordx4 off, v[6:9], off offset:3596 ; 16-byte Folded Spill
	s_nop 0
	scratch_store_dwordx4 off, v[10:13], off offset:3612 ; 16-byte Folded Spill
	scratch_store_dwordx4 off, v[14:17], off offset:3628 ; 16-byte Folded Spill
	;; [unrolled: 1-line block ×7, first 2 shown]
	ds_read2_b32 v[2:3], v254 offset0:12 offset1:13
	ds_read2_b32 v[6:7], v254 offset0:14 offset1:15
	;; [unrolled: 1-line block ×4, first 2 shown]
	scratch_load_dwordx4 v[32:35], off, off offset:4 ; 16-byte Folded Reload
	scratch_load_dwordx4 v[36:39], off, off offset:20 ; 16-byte Folded Reload
	;; [unrolled: 1-line block ×8, first 2 shown]
	s_waitcnt vmcnt(5)
	v_mov_b32_e32 v42, v230
	v_mov_b32_e32 v43, v231
	v_mov_b32_e32 v32, v146
	v_mov_b32_e32 v33, v147
	v_mov_b32_e32 v34, v148
	v_mov_b32_e32 v35, v0
	v_mov_b32_e32 v36, v210
	v_mov_b32_e32 v37, v211
	v_mov_b32_e32 v38, v82
	v_mov_b32_e32 v39, v83
	v_mov_b32_e32 v12, v146
	v_mov_b32_e32 v13, v147
	v_mov_b32_e32 v14, v148
	v_mov_b32_e32 v15, v0
	v_mov_b32_e32 v16, v210
	v_mov_b32_e32 v17, v211
	v_mov_b32_e32 v18, v82
	v_mov_b32_e32 v19, v83
	s_waitcnt vmcnt(0)
	v_mov_b64_e32 v[66:67], v[30:31]
	v_mov_b32_e32 v40, v30
	v_mov_b32_e32 v41, v31
	v_mov_b32_e32 v20, v30
	v_mov_b32_e32 v21, v31
	s_waitcnt lgkmcnt(3)
	v_pk_fma_f32 v[44:45], v[0:1], v[2:3], v[44:45] op_sel_hi:[0,1,1] neg_lo:[1,0,0] neg_hi:[1,0,0]
	v_mov_b64_e32 v[56:57], v[44:45]
	v_mov_b64_e32 v[54:55], v[42:43]
	;; [unrolled: 1-line block ×6, first 2 shown]
	v_mov_b32_e32 v22, v230
	v_mov_b32_e32 v23, v231
	;; [unrolled: 1-line block ×4, first 2 shown]
	v_mov_b64_e32 v[52:53], v[40:41]
	v_mov_b64_e32 v[50:51], v[38:39]
	;; [unrolled: 1-line block ×5, first 2 shown]
	scratch_store_dwordx4 off, v[12:15], off offset:3212 ; 16-byte Folded Spill
	s_nop 0
	scratch_store_dwordx4 off, v[16:19], off offset:3228 ; 16-byte Folded Spill
	scratch_store_dwordx4 off, v[20:23], off offset:3244 ; 16-byte Folded Spill
	;; [unrolled: 1-line block ×7, first 2 shown]
	scratch_load_dwordx4 v[12:15], off, off offset:4 ; 16-byte Folded Reload
	s_nop 0
	scratch_load_dwordx4 v[16:19], off, off offset:20 ; 16-byte Folded Reload
	scratch_load_dwordx4 v[20:23], off, off offset:36 ; 16-byte Folded Reload
	;; [unrolled: 1-line block ×7, first 2 shown]
	s_waitcnt vmcnt(7)
	v_mov_b32_e32 v12, v146
	v_mov_b32_e32 v13, v147
	v_mov_b32_e32 v14, v148
	v_mov_b32_e32 v15, v0
	s_waitcnt vmcnt(6)
	v_mov_b32_e32 v16, v210
	v_mov_b32_e32 v17, v211
	v_mov_b32_e32 v18, v82
	v_mov_b32_e32 v19, v83
	s_waitcnt vmcnt(5)
	v_mov_b32_e32 v20, v66
	v_mov_b32_e32 v21, v67
	v_mov_b32_e32 v22, v230
	v_mov_b32_e32 v23, v231
	s_waitcnt vmcnt(4)
	v_mov_b32_e32 v24, v56
	v_mov_b32_e32 v25, v57
	s_waitcnt vmcnt(3)
	v_mov_b32_e32 v28, v146
	v_mov_b32_e32 v29, v147
	v_mov_b32_e32 v30, v148
	v_mov_b32_e32 v31, v0
	s_waitcnt vmcnt(2)
	v_mov_b32_e32 v32, v210
	v_mov_b32_e32 v33, v211
	;; [unrolled: 5-line block ×4, first 2 shown]
	v_mov_b32_e32 v94, v66
	v_mov_b32_e32 v95, v67
	s_waitcnt lgkmcnt(2)
	v_pk_fma_f32 v[26:27], v[0:1], v[6:7], v[26:27] op_sel_hi:[0,1,1] neg_lo:[1,0,0] neg_hi:[1,0,0]
	v_mov_b64_e32 v[128:129], v[26:27]
	v_mov_b32_e32 v42, v128
	v_mov_b32_e32 v43, v129
	scratch_store_dwordx4 off, v[28:31], off offset:2564 ; 16-byte Folded Spill
	s_nop 0
	scratch_store_dwordx4 off, v[32:35], off offset:2580 ; 16-byte Folded Spill
	scratch_store_dwordx4 off, v[36:39], off offset:2596 ; 16-byte Folded Spill
	;; [unrolled: 1-line block ×7, first 2 shown]
	v_mov_b64_e32 v[126:127], v[24:25]
	v_mov_b64_e32 v[124:125], v[22:23]
	;; [unrolled: 1-line block ×7, first 2 shown]
	scratch_load_dwordx4 v[12:15], off, off offset:4 ; 16-byte Folded Reload
	scratch_load_dwordx4 v[16:19], off, off offset:20 ; 16-byte Folded Reload
	;; [unrolled: 1-line block ×8, first 2 shown]
	s_waitcnt vmcnt(3)
	v_mov_b32_e32 v30, v148
	v_mov_b32_e32 v31, v0
	s_waitcnt vmcnt(2)
	v_mov_b32_e32 v32, v210
	v_mov_b32_e32 v33, v211
	v_mov_b32_e32 v34, v82
	v_mov_b32_e32 v35, v83
	s_waitcnt vmcnt(1)
	v_mov_b32_e32 v36, v66
	v_mov_b32_e32 v37, v67
	;; [unrolled: 5-line block ×3, first 2 shown]
	v_mov_b64_e32 v[192:193], v[128:129]
	v_mov_b32_e32 v100, v128
	v_mov_b32_e32 v101, v129
	v_mov_b64_e32 v[190:191], v[126:127]
	v_mov_b64_e32 v[188:189], v[124:125]
	;; [unrolled: 1-line block ×7, first 2 shown]
	v_mov_b32_e32 v70, v192
	v_mov_b32_e32 v71, v193
	v_mov_b64_e32 v[12:13], v[44:45]
	v_mov_b64_e32 v[24:25], v[56:57]
	;; [unrolled: 1-line block ×8, first 2 shown]
	v_mov_b32_e32 v40, v24
	v_mov_b32_e32 v41, v25
	;; [unrolled: 1-line block ×4, first 2 shown]
	s_waitcnt lgkmcnt(1)
	v_pk_fma_f32 v[102:103], v[0:1], v[8:9], v[28:29] op_sel_hi:[0,1,1] neg_lo:[1,0,0] neg_hi:[1,0,0]
	v_mov_b32_e32 v28, v146
	v_mov_b32_e32 v29, v147
	;; [unrolled: 1-line block ×4, first 2 shown]
	v_mov_b64_e32 v[174:175], v[64:65]
	v_mov_b64_e32 v[172:173], v[62:63]
	v_mov_b64_e32 v[170:171], v[60:61]
	v_mov_b64_e32 v[168:169], v[58:59]
	scratch_store_dwordx4 off, v[28:31], off offset:1924 ; 16-byte Folded Spill
	s_nop 0
	scratch_store_dwordx4 off, v[32:35], off offset:1940 ; 16-byte Folded Spill
	scratch_store_dwordx4 off, v[36:39], off offset:1956 ; 16-byte Folded Spill
	;; [unrolled: 1-line block ×7, first 2 shown]
	scratch_load_dwordx4 v[26:29], off, off offset:4 ; 16-byte Folded Reload
	s_nop 0
	scratch_load_dwordx4 v[30:33], off, off offset:20 ; 16-byte Folded Reload
	scratch_load_dwordx4 v[34:37], off, off offset:36 ; 16-byte Folded Reload
	;; [unrolled: 1-line block ×7, first 2 shown]
	s_waitcnt vmcnt(0)
	v_mov_b32_e32 v56, v146
	v_mov_b32_e32 v57, v147
	;; [unrolled: 1-line block ×20, first 2 shown]
	v_mov_b64_e32 v[166:167], v[24:25]
	v_mov_b64_e32 v[164:165], v[22:23]
	v_mov_b32_e32 v68, v24
	v_mov_b32_e32 v69, v25
	v_mov_b64_e32 v[162:163], v[20:21]
	v_mov_b64_e32 v[160:161], v[18:19]
	;; [unrolled: 1-line block ×5, first 2 shown]
	v_mov_b32_e32 v112, v176
	v_mov_b32_e32 v113, v177
	;; [unrolled: 1-line block ×16, first 2 shown]
	s_waitcnt lgkmcnt(0)
	v_pk_fma_f32 v[74:75], v[0:1], v[10:11], v[44:45] op_sel_hi:[0,1,1] neg_lo:[1,0,0] neg_hi:[1,0,0]
	v_mov_b32_e32 v44, v102
	v_mov_b32_e32 v45, v103
	v_mov_b32_e32 v46, v74
	v_mov_b32_e32 v47, v75
	scratch_store_dwordx4 off, v[28:31], off offset:1668 ; 16-byte Folded Spill
	s_nop 0
	scratch_store_dwordx4 off, v[32:35], off offset:1684 ; 16-byte Folded Spill
	scratch_store_dwordx4 off, v[36:39], off offset:1700 ; 16-byte Folded Spill
	;; [unrolled: 1-line block ×7, first 2 shown]
	ds_read2_b32 v[2:3], v254 offset0:20 offset1:21
	ds_read2_b32 v[6:7], v254 offset0:22 offset1:23
	scratch_load_dwordx4 v[114:117], off, off offset:4 ; 16-byte Folded Reload
	scratch_load_dwordx4 v[118:121], off, off offset:20 ; 16-byte Folded Reload
	;; [unrolled: 1-line block ×8, first 2 shown]
	v_mov_b32_e32 v40, v166
	v_mov_b32_e32 v41, v167
	s_waitcnt vmcnt(7)
	v_mov_b32_e32 v116, v24
	v_mov_b32_e32 v117, v25
	v_mov_b32_e32 v114, v230
	v_mov_b32_e32 v115, v231
	s_waitcnt vmcnt(6)
	v_mov_b32_e32 v118, v192
	v_mov_b32_e32 v119, v193
	;; [unrolled: 5-line block ×3, first 2 shown]
	v_mov_b32_e32 v200, v74
	v_mov_b32_e32 v201, v75
	s_waitcnt vmcnt(2) lgkmcnt(1)
	v_pk_fma_f32 v[124:125], v[0:1], v[2:3], v[134:135] op_sel_hi:[0,1,1] neg_lo:[1,0,0] neg_hi:[1,0,0]
	s_waitcnt vmcnt(1)
	v_mov_b64_e32 v[126:127], v[178:179]
	v_mov_b64_e32 v[140:141], v[192:193]
	v_mov_b32_e32 v42, v140
	v_mov_b32_e32 v43, v141
	;; [unrolled: 1-line block ×4, first 2 shown]
	scratch_store_dwordx4 off, v[28:31], off offset:1284 ; 16-byte Folded Spill
	s_nop 0
	scratch_store_dwordx4 off, v[32:35], off offset:1300 ; 16-byte Folded Spill
	scratch_store_dwordx4 off, v[36:39], off offset:1316 ; 16-byte Folded Spill
	;; [unrolled: 1-line block ×7, first 2 shown]
	scratch_load_dwordx4 v[8:11], off, off offset:4 ; 16-byte Folded Reload
	s_nop 0
	scratch_load_dwordx4 v[12:15], off, off offset:20 ; 16-byte Folded Reload
	scratch_load_dwordx4 v[16:19], off, off offset:36 ; 16-byte Folded Reload
	;; [unrolled: 1-line block ×7, first 2 shown]
	v_mov_b64_e32 v[128:129], v[180:181]
	v_mov_b64_e32 v[130:131], v[182:183]
	;; [unrolled: 1-line block ×6, first 2 shown]
	s_waitcnt vmcnt(7)
	v_mov_b32_e32 v8, v148
	v_mov_b32_e32 v9, v0
	v_mov_b32_e32 v10, v210
	v_mov_b32_e32 v11, v211
	s_waitcnt vmcnt(6)
	v_mov_b32_e32 v12, v82
	v_mov_b32_e32 v13, v83
	v_mov_b32_e32 v14, v176
	v_mov_b32_e32 v15, v177
	;; [unrolled: 5-line block ×3, first 2 shown]
	s_waitcnt vmcnt(4)
	v_mov_b32_e32 v22, v102
	v_mov_b32_e32 v23, v103
	s_waitcnt vmcnt(3)
	v_mov_b32_e32 v24, v74
	v_mov_b32_e32 v25, v75
	;; [unrolled: 1-line block ×20, first 2 shown]
	s_waitcnt vmcnt(2) lgkmcnt(0)
	v_pk_fma_f32 v[204:205], v[0:1], v[6:7], v[30:31] op_sel_hi:[0,1,1] neg_lo:[1,0,0] neg_hi:[1,0,0]
	s_waitcnt vmcnt(0)
	v_mov_b64_e32 v[30:31], v[126:127]
	v_mov_b64_e32 v[44:45], v[140:141]
	;; [unrolled: 1-line block ×5, first 2 shown]
	v_mov_b32_e32 v6, v146
	v_mov_b32_e32 v7, v147
	;; [unrolled: 1-line block ×6, first 2 shown]
	v_mov_b64_e32 v[38:39], v[134:135]
	v_mov_b64_e32 v[40:41], v[136:137]
	;; [unrolled: 1-line block ×3, first 2 shown]
	scratch_store_dwordx4 off, v[104:107], off offset:1156 ; 16-byte Folded Spill
	s_nop 0
	scratch_store_dwordx4 off, v[108:111], off offset:1172 ; 16-byte Folded Spill
	scratch_store_dwordx4 off, v[112:115], off offset:1188 ; 16-byte Folded Spill
	;; [unrolled: 1-line block ×8, first 2 shown]
	s_nop 0
	scratch_store_dwordx4 off, v[10:13], off offset:1044 ; 16-byte Folded Spill
	scratch_store_dwordx4 off, v[14:17], off offset:1060 ; 16-byte Folded Spill
	;; [unrolled: 1-line block ×7, first 2 shown]
	v_mov_b32_e32 v196, v44
	v_mov_b32_e32 v197, v45
	scratch_load_dwordx4 v[114:117], off, off offset:4 ; 16-byte Folded Reload
	scratch_load_dwordx4 v[118:121], off, off offset:20 ; 16-byte Folded Reload
	;; [unrolled: 1-line block ×8, first 2 shown]
	s_waitcnt vmcnt(7)
	v_mov_b32_e32 v114, v146
	v_mov_b32_e32 v115, v147
	v_mov_b32_e32 v116, v148
	v_mov_b32_e32 v117, v0
	s_waitcnt vmcnt(6)
	v_mov_b32_e32 v118, v210
	v_mov_b32_e32 v119, v211
	v_mov_b32_e32 v120, v82
	v_mov_b32_e32 v121, v83
	;; [unrolled: 5-line block ×3, first 2 shown]
	s_waitcnt vmcnt(4)
	v_mov_b32_e32 v126, v166
	v_mov_b32_e32 v127, v167
	s_waitcnt vmcnt(3)
	v_mov_b32_e32 v130, v102
	v_mov_b32_e32 v131, v103
	;; [unrolled: 1-line block ×4, first 2 shown]
	s_waitcnt vmcnt(2)
	v_mov_b32_e32 v136, v204
	v_mov_b32_e32 v137, v205
	v_mov_b64_e32 v[8:9], v[168:169]
	v_mov_b64_e32 v[10:11], v[170:171]
	;; [unrolled: 1-line block ×19, first 2 shown]
	v_mov_b32_e32 v6, v82
	v_mov_b32_e32 v7, v83
	v_mov_b64_e32 v[18:19], v[30:31]
	v_mov_b64_e32 v[20:21], v[32:33]
	;; [unrolled: 1-line block ×8, first 2 shown]
	scratch_store_dwordx4 off, v[18:21], off offset:2308 ; 16-byte Folded Spill
	s_nop 0
	scratch_store_dwordx4 off, v[22:25], off offset:2324 ; 16-byte Folded Spill
	scratch_store_dwordx4 off, v[26:29], off offset:2340 ; 16-byte Folded Spill
	scratch_store_dwordx4 off, v[30:33], off offset:2356 ; 16-byte Folded Spill
	scratch_store_dwordx4 off, v[34:37], off offset:2372 ; 16-byte Folded Spill
	scratch_store_dwordx4 off, v[38:41], off offset:2388 ; 16-byte Folded Spill
	scratch_store_dwordx4 off, v[42:45], off offset:2404 ; 16-byte Folded Spill
	scratch_store_dwordx4 off, v[46:49], off offset:2420 ; 16-byte Folded Spill
	s_waitcnt vmcnt(9)
	v_pk_fma_f32 v[138:139], v[0:1], v[4:5], v[138:139] op_sel_hi:[0,1,1] neg_lo:[1,0,0] neg_hi:[1,0,0]
	v_mov_b32_e32 v1, v147
	v_mov_b32_e32 v4, v210
	v_mov_b32_e32 v5, v211
	v_mov_b32_e32 v128, v32
	v_mov_b32_e32 v129, v33
	scratch_load_dwordx4 v[18:21], off, off offset:1156 ; 16-byte Folded Reload
	scratch_load_dwordx4 v[22:25], off, off offset:1172 ; 16-byte Folded Reload
	;; [unrolled: 1-line block ×8, first 2 shown]
	s_waitcnt vmcnt(2)
	v_mov_b32_e32 v134, v38
	v_mov_b32_e32 v135, v39
	scratch_store_dwordx4 off, v[114:117], off offset:644 ; 16-byte Folded Spill
	s_nop 0
	scratch_store_dwordx4 off, v[118:121], off offset:660 ; 16-byte Folded Spill
	scratch_store_dwordx4 off, v[122:125], off offset:676 ; 16-byte Folded Spill
	;; [unrolled: 1-line block ×7, first 2 shown]
	scratch_load_dwordx4 v[114:117], off, off offset:4 ; 16-byte Folded Reload
	s_nop 0
	scratch_load_dwordx4 v[118:121], off, off offset:20 ; 16-byte Folded Reload
	scratch_load_dwordx4 v[122:125], off, off offset:36 ; 16-byte Folded Reload
	;; [unrolled: 1-line block ×7, first 2 shown]
	v_mov_b64_e32 v[40:41], v[38:39]
	v_mov_b64_e32 v[38:39], v[36:37]
	;; [unrolled: 1-line block ×11, first 2 shown]
	s_waitcnt vmcnt(7)
	v_mov_b32_e32 v117, v0
	scratch_store_dwordx4 off, v[114:117], off offset:4 ; 16-byte Folded Spill
	s_waitcnt vmcnt(7)
	scratch_store_dwordx4 off, v[118:121], off offset:20 ; 16-byte Folded Spill
	s_waitcnt vmcnt(7)
	;; [unrolled: 2-line block ×7, first 2 shown]
	scratch_store_dwordx4 off, v[142:145], off offset:116 ; 16-byte Folded Spill
	scratch_store_dwordx4 off, v[8:11], off offset:3980 ; 16-byte Folded Spill
	s_nop 0
	scratch_store_dwordx4 off, v[12:15], off offset:3996 ; 16-byte Folded Spill
	scratch_store_dwordx4 off, v[16:19], off offset:4012 ; 16-byte Folded Spill
	scratch_store_dwordx4 off, v[20:23], off offset:4028 ; 16-byte Folded Spill
	scratch_store_dwordx4 off, v[24:27], off offset:4044 ; 16-byte Folded Spill
	scratch_store_dwordx4 off, v[28:31], off offset:4060 ; 16-byte Folded Spill
	scratch_store_dwordx4 off, v[32:35], off offset:4076 ; 16-byte Folded Spill
	scratch_store_dwordx4 off, v[36:39], off offset:4092 ; 16-byte Folded Spill
	scratch_load_dwordx4 v[104:107], off, off offset:2308 ; 16-byte Folded Reload
	scratch_load_dwordx4 v[108:111], off, off offset:2324 ; 16-byte Folded Reload
	;; [unrolled: 1-line block ×8, first 2 shown]
	v_mov_b32_e32 v12, v172
	v_mov_b32_e32 v13, v173
	;; [unrolled: 1-line block ×7, first 2 shown]
	v_mov_b64_e32 v[42:43], v[40:41]
	v_mov_b64_e32 v[40:41], v[38:39]
	;; [unrolled: 1-line block ×4, first 2 shown]
	s_waitcnt vmcnt(4)
	v_mov_b64_e32 v[178:179], v[118:119]
	v_mov_b64_e32 v[176:177], v[116:117]
	;; [unrolled: 1-line block ×8, first 2 shown]
	scratch_load_dwordx4 v[114:117], off, off offset:644 ; 16-byte Folded Reload
	scratch_load_dwordx4 v[118:121], off, off offset:660 ; 16-byte Folded Reload
	scratch_load_dwordx4 v[122:125], off, off offset:676 ; 16-byte Folded Reload
	scratch_load_dwordx4 v[126:129], off, off offset:692 ; 16-byte Folded Reload
	scratch_load_dwordx4 v[130:133], off, off offset:708 ; 16-byte Folded Reload
	scratch_load_dwordx4 v[134:137], off, off offset:724 ; 16-byte Folded Reload
	scratch_load_dwordx4 v[138:141], off, off offset:740 ; 16-byte Folded Reload
	scratch_load_dwordx4 v[142:145], off, off offset:756 ; 16-byte Folded Reload
	v_mov_b64_e32 v[34:35], v[32:33]
	v_mov_b64_e32 v[32:33], v[30:31]
	;; [unrolled: 1-line block ×7, first 2 shown]
	v_mov_b32_e32 v8, v16
	v_mov_b32_e32 v9, v17
	;; [unrolled: 1-line block ×15, first 2 shown]
	s_waitcnt vmcnt(1)
	v_mov_b32_e32 v24, v138
	v_mov_b32_e32 v25, v139
	scratch_store_dwordx4 off, v[0:3], off offset:900 ; 16-byte Folded Spill
	s_nop 0
	scratch_store_dwordx4 off, v[4:7], off offset:916 ; 16-byte Folded Spill
	scratch_store_dwordx4 off, v[8:11], off offset:932 ; 16-byte Folded Spill
	;; [unrolled: 1-line block ×7, first 2 shown]
	scratch_load_dwordx4 v[114:117], off, off offset:4 ; 16-byte Folded Reload
	scratch_load_dwordx4 v[118:121], off, off offset:20 ; 16-byte Folded Reload
	;; [unrolled: 1-line block ×8, first 2 shown]
	s_waitcnt vmcnt(7)
	v_mov_b32_e32 v114, v146
	scratch_store_dwordx4 off, v[114:117], off offset:4 ; 16-byte Folded Spill
	s_waitcnt vmcnt(7)
	scratch_store_dwordx4 off, v[118:121], off offset:20 ; 16-byte Folded Spill
	s_waitcnt vmcnt(7)
	scratch_store_dwordx4 off, v[122:125], off offset:36 ; 16-byte Folded Spill
	s_waitcnt vmcnt(7)
	scratch_store_dwordx4 off, v[126:129], off offset:52 ; 16-byte Folded Spill
	s_waitcnt vmcnt(7)
	scratch_store_dwordx4 off, v[130:133], off offset:68 ; 16-byte Folded Spill
	s_waitcnt vmcnt(7)
	scratch_store_dwordx4 off, v[134:137], off offset:84 ; 16-byte Folded Spill
	s_waitcnt vmcnt(7)
	scratch_store_dwordx4 off, v[138:141], off offset:100 ; 16-byte Folded Spill
	s_waitcnt vmcnt(7)
	scratch_store_dwordx4 off, v[142:145], off offset:116 ; 16-byte Folded Spill
	scratch_load_dwordx4 v[114:117], off, off offset:4 ; 16-byte Folded Reload
	s_nop 0
	scratch_load_dwordx4 v[118:121], off, off offset:20 ; 16-byte Folded Reload
	scratch_load_dwordx4 v[122:125], off, off offset:36 ; 16-byte Folded Reload
	scratch_load_dwordx4 v[126:129], off, off offset:52 ; 16-byte Folded Reload
	scratch_load_dwordx4 v[130:133], off, off offset:68 ; 16-byte Folded Reload
	scratch_load_dwordx4 v[134:137], off, off offset:84 ; 16-byte Folded Reload
	scratch_load_dwordx4 v[138:141], off, off offset:100 ; 16-byte Folded Reload
	scratch_load_dwordx4 v[142:145], off, off offset:116 ; 16-byte Folded Reload
	s_waitcnt vmcnt(7)
	v_mov_b32_e32 v115, v147
	scratch_store_dwordx4 off, v[114:117], off offset:4 ; 16-byte Folded Spill
	s_waitcnt vmcnt(7)
	scratch_store_dwordx4 off, v[118:121], off offset:20 ; 16-byte Folded Spill
	s_waitcnt vmcnt(7)
	scratch_store_dwordx4 off, v[122:125], off offset:36 ; 16-byte Folded Spill
	s_waitcnt vmcnt(7)
	scratch_store_dwordx4 off, v[126:129], off offset:52 ; 16-byte Folded Spill
	s_waitcnt vmcnt(7)
	scratch_store_dwordx4 off, v[130:133], off offset:68 ; 16-byte Folded Spill
	s_waitcnt vmcnt(7)
	scratch_store_dwordx4 off, v[134:137], off offset:84 ; 16-byte Folded Spill
	s_waitcnt vmcnt(7)
	scratch_store_dwordx4 off, v[138:141], off offset:100 ; 16-byte Folded Spill
	s_waitcnt vmcnt(7)
	scratch_store_dwordx4 off, v[142:145], off offset:116 ; 16-byte Folded Spill
	scratch_load_dwordx4 v[114:117], off, off offset:4 ; 16-byte Folded Reload
	s_nop 0
	scratch_load_dwordx4 v[118:121], off, off offset:20 ; 16-byte Folded Reload
	scratch_load_dwordx4 v[122:125], off, off offset:36 ; 16-byte Folded Reload
	scratch_load_dwordx4 v[126:129], off, off offset:52 ; 16-byte Folded Reload
	scratch_load_dwordx4 v[130:133], off, off offset:68 ; 16-byte Folded Reload
	scratch_load_dwordx4 v[134:137], off, off offset:84 ; 16-byte Folded Reload
	scratch_load_dwordx4 v[138:141], off, off offset:100 ; 16-byte Folded Reload
	scratch_load_dwordx4 v[142:145], off, off offset:116 ; 16-byte Folded Reload
	;; [unrolled: 26-line block ×3, first 2 shown]
	s_waitcnt vmcnt(6)
	v_mov_b32_e32 v118, v210
	scratch_store_dwordx4 off, v[114:117], off offset:4 ; 16-byte Folded Spill
	s_nop 0
	scratch_store_dwordx4 off, v[118:121], off offset:20 ; 16-byte Folded Spill
	s_waitcnt vmcnt(7)
	scratch_store_dwordx4 off, v[122:125], off offset:36 ; 16-byte Folded Spill
	s_waitcnt vmcnt(7)
	scratch_store_dwordx4 off, v[126:129], off offset:52 ; 16-byte Folded Spill
	s_waitcnt vmcnt(7)
	scratch_store_dwordx4 off, v[130:133], off offset:68 ; 16-byte Folded Spill
	s_waitcnt vmcnt(7)
	scratch_store_dwordx4 off, v[134:137], off offset:84 ; 16-byte Folded Spill
	s_waitcnt vmcnt(7)
	scratch_store_dwordx4 off, v[138:141], off offset:100 ; 16-byte Folded Spill
	s_waitcnt vmcnt(7)
	scratch_store_dwordx4 off, v[142:145], off offset:116 ; 16-byte Folded Spill
	scratch_load_dwordx4 v[114:117], off, off offset:4 ; 16-byte Folded Reload
	s_nop 0
	scratch_load_dwordx4 v[118:121], off, off offset:20 ; 16-byte Folded Reload
	scratch_load_dwordx4 v[122:125], off, off offset:36 ; 16-byte Folded Reload
	scratch_load_dwordx4 v[126:129], off, off offset:52 ; 16-byte Folded Reload
	scratch_load_dwordx4 v[130:133], off, off offset:68 ; 16-byte Folded Reload
	scratch_load_dwordx4 v[134:137], off, off offset:84 ; 16-byte Folded Reload
	scratch_load_dwordx4 v[138:141], off, off offset:100 ; 16-byte Folded Reload
	scratch_load_dwordx4 v[142:145], off, off offset:116 ; 16-byte Folded Reload
	s_waitcnt vmcnt(6)
	v_mov_b32_e32 v119, v211
	scratch_store_dwordx4 off, v[114:117], off offset:4 ; 16-byte Folded Spill
	s_nop 0
	scratch_store_dwordx4 off, v[118:121], off offset:20 ; 16-byte Folded Spill
	s_waitcnt vmcnt(7)
	scratch_store_dwordx4 off, v[122:125], off offset:36 ; 16-byte Folded Spill
	s_waitcnt vmcnt(7)
	scratch_store_dwordx4 off, v[126:129], off offset:52 ; 16-byte Folded Spill
	s_waitcnt vmcnt(7)
	scratch_store_dwordx4 off, v[130:133], off offset:68 ; 16-byte Folded Spill
	s_waitcnt vmcnt(7)
	scratch_store_dwordx4 off, v[134:137], off offset:84 ; 16-byte Folded Spill
	s_waitcnt vmcnt(7)
	scratch_store_dwordx4 off, v[138:141], off offset:100 ; 16-byte Folded Spill
	s_waitcnt vmcnt(7)
	scratch_store_dwordx4 off, v[142:145], off offset:116 ; 16-byte Folded Spill
	scratch_load_dwordx4 v[114:117], off, off offset:4 ; 16-byte Folded Reload
	s_nop 0
	scratch_load_dwordx4 v[118:121], off, off offset:20 ; 16-byte Folded Reload
	scratch_load_dwordx4 v[122:125], off, off offset:36 ; 16-byte Folded Reload
	scratch_load_dwordx4 v[126:129], off, off offset:52 ; 16-byte Folded Reload
	scratch_load_dwordx4 v[130:133], off, off offset:68 ; 16-byte Folded Reload
	scratch_load_dwordx4 v[134:137], off, off offset:84 ; 16-byte Folded Reload
	scratch_load_dwordx4 v[138:141], off, off offset:100 ; 16-byte Folded Reload
	scratch_load_dwordx4 v[142:145], off, off offset:116 ; 16-byte Folded Reload
	;; [unrolled: 26-line block ×4, first 2 shown]
	scratch_load_dwordx4 v[14:17], off, off offset:3980 ; 16-byte Folded Reload
	scratch_load_dwordx4 v[18:21], off, off offset:3996 ; 16-byte Folded Reload
	;; [unrolled: 1-line block ×8, first 2 shown]
	s_waitcnt vmcnt(5)
	v_mov_b32_e32 v122, v22
	scratch_store_dwordx4 off, v[114:117], off offset:4 ; 16-byte Folded Spill
	s_nop 0
	scratch_store_dwordx4 off, v[118:121], off offset:20 ; 16-byte Folded Spill
	scratch_store_dwordx4 off, v[122:125], off offset:36 ; 16-byte Folded Spill
	;; [unrolled: 1-line block ×7, first 2 shown]
	scratch_load_dwordx4 v[114:117], off, off offset:4 ; 16-byte Folded Reload
	s_nop 0
	scratch_load_dwordx4 v[118:121], off, off offset:20 ; 16-byte Folded Reload
	scratch_load_dwordx4 v[122:125], off, off offset:36 ; 16-byte Folded Reload
	;; [unrolled: 1-line block ×7, first 2 shown]
	s_waitcnt vmcnt(5)
	v_mov_b32_e32 v123, v23
	v_mov_b64_e32 v[48:49], v[22:23]
	v_mov_b64_e32 v[46:47], v[20:21]
	scratch_store_dwordx4 off, v[114:117], off offset:4 ; 16-byte Folded Spill
	s_nop 0
	scratch_store_dwordx4 off, v[118:121], off offset:20 ; 16-byte Folded Spill
	scratch_store_dwordx4 off, v[122:125], off offset:36 ; 16-byte Folded Spill
	s_waitcnt vmcnt(7)
	scratch_store_dwordx4 off, v[126:129], off offset:52 ; 16-byte Folded Spill
	s_waitcnt vmcnt(7)
	scratch_store_dwordx4 off, v[130:133], off offset:68 ; 16-byte Folded Spill
	s_waitcnt vmcnt(7)
	scratch_store_dwordx4 off, v[134:137], off offset:84 ; 16-byte Folded Spill
	s_waitcnt vmcnt(7)
	scratch_store_dwordx4 off, v[138:141], off offset:100 ; 16-byte Folded Spill
	s_waitcnt vmcnt(7)
	scratch_store_dwordx4 off, v[142:145], off offset:116 ; 16-byte Folded Spill
	scratch_load_dwordx4 v[114:117], off, off offset:4 ; 16-byte Folded Reload
	s_nop 0
	scratch_load_dwordx4 v[118:121], off, off offset:20 ; 16-byte Folded Reload
	scratch_load_dwordx4 v[122:125], off, off offset:36 ; 16-byte Folded Reload
	;; [unrolled: 1-line block ×7, first 2 shown]
	s_waitcnt vmcnt(5)
	v_mov_b32_e32 v124, v230
	v_mov_b64_e32 v[44:45], v[18:19]
	v_mov_b64_e32 v[42:43], v[16:17]
	scratch_store_dwordx4 off, v[114:117], off offset:4 ; 16-byte Folded Spill
	s_nop 0
	scratch_store_dwordx4 off, v[118:121], off offset:20 ; 16-byte Folded Spill
	scratch_store_dwordx4 off, v[122:125], off offset:36 ; 16-byte Folded Spill
	s_waitcnt vmcnt(7)
	scratch_store_dwordx4 off, v[126:129], off offset:52 ; 16-byte Folded Spill
	s_waitcnt vmcnt(7)
	;; [unrolled: 2-line block ×5, first 2 shown]
	scratch_store_dwordx4 off, v[142:145], off offset:116 ; 16-byte Folded Spill
	scratch_load_dwordx4 v[114:117], off, off offset:4 ; 16-byte Folded Reload
	s_nop 0
	scratch_load_dwordx4 v[118:121], off, off offset:20 ; 16-byte Folded Reload
	scratch_load_dwordx4 v[122:125], off, off offset:36 ; 16-byte Folded Reload
	;; [unrolled: 1-line block ×7, first 2 shown]
	s_waitcnt vmcnt(5)
	v_mov_b32_e32 v125, v231
	v_mov_b64_e32 v[40:41], v[14:15]
	scratch_store_dwordx4 off, v[114:117], off offset:4 ; 16-byte Folded Spill
	s_nop 0
	scratch_store_dwordx4 off, v[118:121], off offset:20 ; 16-byte Folded Spill
	scratch_store_dwordx4 off, v[122:125], off offset:36 ; 16-byte Folded Spill
	s_waitcnt vmcnt(7)
	scratch_store_dwordx4 off, v[126:129], off offset:52 ; 16-byte Folded Spill
	s_waitcnt vmcnt(7)
	;; [unrolled: 2-line block ×5, first 2 shown]
	scratch_store_dwordx4 off, v[142:145], off offset:116 ; 16-byte Folded Spill
	scratch_load_dwordx4 v[114:117], off, off offset:4 ; 16-byte Folded Reload
	s_nop 0
	scratch_load_dwordx4 v[118:121], off, off offset:20 ; 16-byte Folded Reload
	scratch_load_dwordx4 v[122:125], off, off offset:36 ; 16-byte Folded Reload
	;; [unrolled: 1-line block ×7, first 2 shown]
	s_waitcnt vmcnt(4)
	v_mov_b32_e32 v126, v162
	scratch_store_dwordx4 off, v[114:117], off offset:4 ; 16-byte Folded Spill
	s_nop 0
	scratch_store_dwordx4 off, v[118:121], off offset:20 ; 16-byte Folded Spill
	scratch_store_dwordx4 off, v[122:125], off offset:36 ; 16-byte Folded Spill
	;; [unrolled: 1-line block ×3, first 2 shown]
	s_waitcnt vmcnt(7)
	scratch_store_dwordx4 off, v[130:133], off offset:68 ; 16-byte Folded Spill
	s_waitcnt vmcnt(7)
	scratch_store_dwordx4 off, v[134:137], off offset:84 ; 16-byte Folded Spill
	;; [unrolled: 2-line block ×4, first 2 shown]
	scratch_load_dwordx4 v[114:117], off, off offset:4 ; 16-byte Folded Reload
	s_nop 0
	scratch_load_dwordx4 v[118:121], off, off offset:20 ; 16-byte Folded Reload
	scratch_load_dwordx4 v[122:125], off, off offset:36 ; 16-byte Folded Reload
	;; [unrolled: 1-line block ×7, first 2 shown]
	s_waitcnt vmcnt(4)
	v_mov_b32_e32 v127, v163
	scratch_store_dwordx4 off, v[114:117], off offset:4 ; 16-byte Folded Spill
	s_nop 0
	scratch_store_dwordx4 off, v[118:121], off offset:20 ; 16-byte Folded Spill
	scratch_store_dwordx4 off, v[122:125], off offset:36 ; 16-byte Folded Spill
	scratch_store_dwordx4 off, v[126:129], off offset:52 ; 16-byte Folded Spill
	s_waitcnt vmcnt(7)
	scratch_store_dwordx4 off, v[130:133], off offset:68 ; 16-byte Folded Spill
	s_waitcnt vmcnt(7)
	scratch_store_dwordx4 off, v[134:137], off offset:84 ; 16-byte Folded Spill
	;; [unrolled: 2-line block ×4, first 2 shown]
	scratch_store_dwordx4 off, v[150:153], off offset:3084 ; 16-byte Folded Spill
	s_nop 0
	scratch_store_dwordx4 off, v[154:157], off offset:3100 ; 16-byte Folded Spill
	scratch_store_dwordx4 off, v[158:161], off offset:3116 ; 16-byte Folded Spill
	;; [unrolled: 1-line block ×7, first 2 shown]
	scratch_load_dwordx4 v[114:117], off, off offset:4 ; 16-byte Folded Reload
	scratch_load_dwordx4 v[118:121], off, off offset:20 ; 16-byte Folded Reload
	;; [unrolled: 1-line block ×8, first 2 shown]
	v_mov_b64_e32 v[0:1], v[164:165]
	v_mov_b64_e32 v[14:15], v[178:179]
	s_waitcnt vmcnt(4)
	v_mov_b32_e32 v128, v14
	scratch_store_dwordx4 off, v[114:117], off offset:4 ; 16-byte Folded Spill
	s_nop 0
	scratch_store_dwordx4 off, v[118:121], off offset:20 ; 16-byte Folded Spill
	scratch_store_dwordx4 off, v[122:125], off offset:36 ; 16-byte Folded Spill
	;; [unrolled: 1-line block ×3, first 2 shown]
	s_waitcnt vmcnt(7)
	scratch_store_dwordx4 off, v[130:133], off offset:68 ; 16-byte Folded Spill
	s_waitcnt vmcnt(7)
	scratch_store_dwordx4 off, v[134:137], off offset:84 ; 16-byte Folded Spill
	;; [unrolled: 2-line block ×4, first 2 shown]
	scratch_load_dwordx4 v[114:117], off, off offset:4 ; 16-byte Folded Reload
	s_nop 0
	scratch_load_dwordx4 v[118:121], off, off offset:20 ; 16-byte Folded Reload
	scratch_load_dwordx4 v[122:125], off, off offset:36 ; 16-byte Folded Reload
	;; [unrolled: 1-line block ×7, first 2 shown]
	s_waitcnt vmcnt(4)
	v_mov_b32_e32 v129, v15
	v_mov_b64_e32 v[2:3], v[166:167]
	v_mov_b64_e32 v[4:5], v[168:169]
	scratch_store_dwordx4 off, v[114:117], off offset:4 ; 16-byte Folded Spill
	s_nop 0
	scratch_store_dwordx4 off, v[118:121], off offset:20 ; 16-byte Folded Spill
	scratch_store_dwordx4 off, v[122:125], off offset:36 ; 16-byte Folded Spill
	;; [unrolled: 1-line block ×3, first 2 shown]
	s_waitcnt vmcnt(7)
	scratch_store_dwordx4 off, v[130:133], off offset:68 ; 16-byte Folded Spill
	s_waitcnt vmcnt(7)
	scratch_store_dwordx4 off, v[134:137], off offset:84 ; 16-byte Folded Spill
	s_waitcnt vmcnt(7)
	scratch_store_dwordx4 off, v[138:141], off offset:100 ; 16-byte Folded Spill
	s_waitcnt vmcnt(7)
	scratch_store_dwordx4 off, v[142:145], off offset:116 ; 16-byte Folded Spill
	scratch_load_dwordx4 v[114:117], off, off offset:4 ; 16-byte Folded Reload
	s_nop 0
	scratch_load_dwordx4 v[118:121], off, off offset:20 ; 16-byte Folded Reload
	scratch_load_dwordx4 v[122:125], off, off offset:36 ; 16-byte Folded Reload
	;; [unrolled: 1-line block ×7, first 2 shown]
	s_waitcnt vmcnt(3)
	v_mov_b32_e32 v130, v102
	v_mov_b64_e32 v[6:7], v[170:171]
	v_mov_b64_e32 v[8:9], v[172:173]
	scratch_store_dwordx4 off, v[114:117], off offset:4 ; 16-byte Folded Spill
	s_nop 0
	scratch_store_dwordx4 off, v[118:121], off offset:20 ; 16-byte Folded Spill
	scratch_store_dwordx4 off, v[122:125], off offset:36 ; 16-byte Folded Spill
	;; [unrolled: 1-line block ×4, first 2 shown]
	s_waitcnt vmcnt(7)
	scratch_store_dwordx4 off, v[134:137], off offset:84 ; 16-byte Folded Spill
	s_waitcnt vmcnt(7)
	scratch_store_dwordx4 off, v[138:141], off offset:100 ; 16-byte Folded Spill
	;; [unrolled: 2-line block ×3, first 2 shown]
	scratch_load_dwordx4 v[114:117], off, off offset:4 ; 16-byte Folded Reload
	s_nop 0
	scratch_load_dwordx4 v[118:121], off, off offset:20 ; 16-byte Folded Reload
	scratch_load_dwordx4 v[122:125], off, off offset:36 ; 16-byte Folded Reload
	scratch_load_dwordx4 v[126:129], off, off offset:52 ; 16-byte Folded Reload
	scratch_load_dwordx4 v[130:133], off, off offset:68 ; 16-byte Folded Reload
	scratch_load_dwordx4 v[134:137], off, off offset:84 ; 16-byte Folded Reload
	scratch_load_dwordx4 v[138:141], off, off offset:100 ; 16-byte Folded Reload
	scratch_load_dwordx4 v[142:145], off, off offset:116 ; 16-byte Folded Reload
	s_waitcnt vmcnt(3)
	v_mov_b32_e32 v131, v103
	v_mov_b64_e32 v[10:11], v[174:175]
	v_mov_b64_e32 v[12:13], v[176:177]
	scratch_store_dwordx4 off, v[114:117], off offset:4 ; 16-byte Folded Spill
	s_nop 0
	scratch_store_dwordx4 off, v[118:121], off offset:20 ; 16-byte Folded Spill
	scratch_store_dwordx4 off, v[122:125], off offset:36 ; 16-byte Folded Spill
	scratch_store_dwordx4 off, v[126:129], off offset:52 ; 16-byte Folded Spill
	scratch_store_dwordx4 off, v[130:133], off offset:68 ; 16-byte Folded Spill
	s_waitcnt vmcnt(7)
	scratch_store_dwordx4 off, v[134:137], off offset:84 ; 16-byte Folded Spill
	s_waitcnt vmcnt(7)
	scratch_store_dwordx4 off, v[138:141], off offset:100 ; 16-byte Folded Spill
	;; [unrolled: 2-line block ×3, first 2 shown]
	scratch_load_dwordx4 v[114:117], off, off offset:4 ; 16-byte Folded Reload
	s_nop 0
	scratch_load_dwordx4 v[118:121], off, off offset:20 ; 16-byte Folded Reload
	scratch_load_dwordx4 v[122:125], off, off offset:36 ; 16-byte Folded Reload
	;; [unrolled: 1-line block ×7, first 2 shown]
	s_waitcnt vmcnt(3)
	v_mov_b32_e32 v132, v74
	scratch_store_dwordx4 off, v[114:117], off offset:4 ; 16-byte Folded Spill
	s_nop 0
	scratch_store_dwordx4 off, v[118:121], off offset:20 ; 16-byte Folded Spill
	scratch_store_dwordx4 off, v[122:125], off offset:36 ; 16-byte Folded Spill
	scratch_store_dwordx4 off, v[126:129], off offset:52 ; 16-byte Folded Spill
	scratch_store_dwordx4 off, v[130:133], off offset:68 ; 16-byte Folded Spill
	s_waitcnt vmcnt(7)
	scratch_store_dwordx4 off, v[134:137], off offset:84 ; 16-byte Folded Spill
	s_waitcnt vmcnt(7)
	scratch_store_dwordx4 off, v[138:141], off offset:100 ; 16-byte Folded Spill
	;; [unrolled: 2-line block ×3, first 2 shown]
	scratch_load_dwordx4 v[114:117], off, off offset:4 ; 16-byte Folded Reload
	s_nop 0
	scratch_load_dwordx4 v[118:121], off, off offset:20 ; 16-byte Folded Reload
	scratch_load_dwordx4 v[122:125], off, off offset:36 ; 16-byte Folded Reload
	;; [unrolled: 1-line block ×7, first 2 shown]
	s_waitcnt vmcnt(3)
	v_mov_b32_e32 v133, v75
	scratch_store_dwordx4 off, v[114:117], off offset:4 ; 16-byte Folded Spill
	s_nop 0
	scratch_store_dwordx4 off, v[118:121], off offset:20 ; 16-byte Folded Spill
	scratch_store_dwordx4 off, v[122:125], off offset:36 ; 16-byte Folded Spill
	;; [unrolled: 1-line block ×4, first 2 shown]
	s_waitcnt vmcnt(7)
	scratch_store_dwordx4 off, v[134:137], off offset:84 ; 16-byte Folded Spill
	s_waitcnt vmcnt(7)
	scratch_store_dwordx4 off, v[138:141], off offset:100 ; 16-byte Folded Spill
	;; [unrolled: 2-line block ×3, first 2 shown]
	scratch_load_dwordx4 v[114:117], off, off offset:4 ; 16-byte Folded Reload
	s_nop 0
	scratch_load_dwordx4 v[118:121], off, off offset:20 ; 16-byte Folded Reload
	scratch_load_dwordx4 v[122:125], off, off offset:36 ; 16-byte Folded Reload
	;; [unrolled: 1-line block ×15, first 2 shown]
	s_waitcnt vmcnt(0)
	v_mov_b64_e32 v[32:33], v[20:21]
	v_mov_b32_e32 v134, v32
	scratch_store_dwordx4 off, v[114:117], off offset:4 ; 16-byte Folded Spill
	s_nop 0
	scratch_store_dwordx4 off, v[118:121], off offset:20 ; 16-byte Folded Spill
	scratch_store_dwordx4 off, v[122:125], off offset:36 ; 16-byte Folded Spill
	;; [unrolled: 1-line block ×7, first 2 shown]
	scratch_load_dwordx4 v[114:117], off, off offset:4 ; 16-byte Folded Reload
	s_nop 0
	scratch_load_dwordx4 v[118:121], off, off offset:20 ; 16-byte Folded Reload
	scratch_load_dwordx4 v[122:125], off, off offset:36 ; 16-byte Folded Reload
	scratch_load_dwordx4 v[126:129], off, off offset:52 ; 16-byte Folded Reload
	scratch_load_dwordx4 v[130:133], off, off offset:68 ; 16-byte Folded Reload
	scratch_load_dwordx4 v[134:137], off, off offset:84 ; 16-byte Folded Reload
	scratch_load_dwordx4 v[138:141], off, off offset:100 ; 16-byte Folded Reload
	scratch_load_dwordx4 v[142:145], off, off offset:116 ; 16-byte Folded Reload
	s_waitcnt vmcnt(2)
	v_mov_b32_e32 v135, v33
	v_mov_b64_e32 v[30:31], v[18:19]
	v_mov_b64_e32 v[28:29], v[16:17]
	scratch_store_dwordx4 off, v[114:117], off offset:4 ; 16-byte Folded Spill
	s_nop 0
	scratch_store_dwordx4 off, v[118:121], off offset:20 ; 16-byte Folded Spill
	scratch_store_dwordx4 off, v[122:125], off offset:36 ; 16-byte Folded Spill
	scratch_store_dwordx4 off, v[126:129], off offset:52 ; 16-byte Folded Spill
	scratch_store_dwordx4 off, v[130:133], off offset:68 ; 16-byte Folded Spill
	scratch_store_dwordx4 off, v[134:137], off offset:84 ; 16-byte Folded Spill
	s_waitcnt vmcnt(7)
	scratch_store_dwordx4 off, v[138:141], off offset:100 ; 16-byte Folded Spill
	s_waitcnt vmcnt(7)
	scratch_store_dwordx4 off, v[142:145], off offset:116 ; 16-byte Folded Spill
	scratch_load_dwordx4 v[114:117], off, off offset:4 ; 16-byte Folded Reload
	s_nop 0
	scratch_load_dwordx4 v[118:121], off, off offset:20 ; 16-byte Folded Reload
	scratch_load_dwordx4 v[122:125], off, off offset:36 ; 16-byte Folded Reload
	scratch_load_dwordx4 v[126:129], off, off offset:52 ; 16-byte Folded Reload
	scratch_load_dwordx4 v[130:133], off, off offset:68 ; 16-byte Folded Reload
	scratch_load_dwordx4 v[134:137], off, off offset:84 ; 16-byte Folded Reload
	scratch_load_dwordx4 v[138:141], off, off offset:100 ; 16-byte Folded Reload
	scratch_load_dwordx4 v[142:145], off, off offset:116 ; 16-byte Folded Reload
	s_waitcnt vmcnt(2)
	v_mov_b32_e32 v136, v204
	v_mov_b64_e32 v[26:27], v[14:15]
	v_mov_b64_e32 v[24:25], v[12:13]
	scratch_store_dwordx4 off, v[114:117], off offset:4 ; 16-byte Folded Spill
	s_nop 0
	scratch_store_dwordx4 off, v[118:121], off offset:20 ; 16-byte Folded Spill
	scratch_store_dwordx4 off, v[122:125], off offset:36 ; 16-byte Folded Spill
	scratch_store_dwordx4 off, v[126:129], off offset:52 ; 16-byte Folded Spill
	scratch_store_dwordx4 off, v[130:133], off offset:68 ; 16-byte Folded Spill
	scratch_store_dwordx4 off, v[134:137], off offset:84 ; 16-byte Folded Spill
	s_waitcnt vmcnt(7)
	scratch_store_dwordx4 off, v[138:141], off offset:100 ; 16-byte Folded Spill
	s_waitcnt vmcnt(7)
	scratch_store_dwordx4 off, v[142:145], off offset:116 ; 16-byte Folded Spill
	scratch_load_dwordx4 v[114:117], off, off offset:4 ; 16-byte Folded Reload
	s_nop 0
	scratch_load_dwordx4 v[118:121], off, off offset:20 ; 16-byte Folded Reload
	scratch_load_dwordx4 v[122:125], off, off offset:36 ; 16-byte Folded Reload
	scratch_load_dwordx4 v[126:129], off, off offset:52 ; 16-byte Folded Reload
	scratch_load_dwordx4 v[130:133], off, off offset:68 ; 16-byte Folded Reload
	scratch_load_dwordx4 v[134:137], off, off offset:84 ; 16-byte Folded Reload
	scratch_load_dwordx4 v[138:141], off, off offset:100 ; 16-byte Folded Reload
	scratch_load_dwordx4 v[142:145], off, off offset:116 ; 16-byte Folded Reload
	s_waitcnt vmcnt(2)
	v_mov_b32_e32 v137, v205
	v_mov_b64_e32 v[22:23], v[10:11]
	v_mov_b64_e32 v[20:21], v[8:9]
	scratch_store_dwordx4 off, v[114:117], off offset:4 ; 16-byte Folded Spill
	s_nop 0
	scratch_store_dwordx4 off, v[118:121], off offset:20 ; 16-byte Folded Spill
	scratch_store_dwordx4 off, v[122:125], off offset:36 ; 16-byte Folded Spill
	scratch_store_dwordx4 off, v[126:129], off offset:52 ; 16-byte Folded Spill
	scratch_store_dwordx4 off, v[130:133], off offset:68 ; 16-byte Folded Spill
	scratch_store_dwordx4 off, v[134:137], off offset:84 ; 16-byte Folded Spill
	s_waitcnt vmcnt(7)
	scratch_store_dwordx4 off, v[138:141], off offset:100 ; 16-byte Folded Spill
	s_waitcnt vmcnt(7)
	scratch_store_dwordx4 off, v[142:145], off offset:116 ; 16-byte Folded Spill
	scratch_load_dwordx4 v[114:117], off, off offset:4 ; 16-byte Folded Reload
	s_nop 0
	scratch_load_dwordx4 v[118:121], off, off offset:20 ; 16-byte Folded Reload
	scratch_load_dwordx4 v[122:125], off, off offset:36 ; 16-byte Folded Reload
	;; [unrolled: 1-line block ×15, first 2 shown]
	v_mov_b64_e32 v[18:19], v[6:7]
	v_mov_b64_e32 v[16:17], v[4:5]
	;; [unrolled: 1-line block ×4, first 2 shown]
	v_mov_b32_e32 v4, v210
	s_waitcnt vmcnt(1)
	v_mov_b32_e32 v138, v174
	scratch_store_dwordx4 off, v[114:117], off offset:4 ; 16-byte Folded Spill
	s_nop 0
	scratch_store_dwordx4 off, v[118:121], off offset:20 ; 16-byte Folded Spill
	scratch_store_dwordx4 off, v[122:125], off offset:36 ; 16-byte Folded Spill
	;; [unrolled: 1-line block ×7, first 2 shown]
	scratch_load_dwordx4 v[114:117], off, off offset:4 ; 16-byte Folded Reload
	s_nop 0
	scratch_load_dwordx4 v[118:121], off, off offset:20 ; 16-byte Folded Reload
	scratch_load_dwordx4 v[122:125], off, off offset:36 ; 16-byte Folded Reload
	;; [unrolled: 1-line block ×7, first 2 shown]
	s_waitcnt vmcnt(1)
	v_mov_b32_e32 v139, v175
	scratch_store_dwordx4 off, v[114:117], off offset:4 ; 16-byte Folded Spill
	s_nop 0
	scratch_store_dwordx4 off, v[118:121], off offset:20 ; 16-byte Folded Spill
	scratch_store_dwordx4 off, v[122:125], off offset:36 ; 16-byte Folded Spill
	;; [unrolled: 1-line block ×6, first 2 shown]
	s_waitcnt vmcnt(7)
	scratch_store_dwordx4 off, v[142:145], off offset:116 ; 16-byte Folded Spill
	scratch_store_dwordx4 off, v[146:149], off offset:772 ; 16-byte Folded Spill
	s_nop 0
	scratch_store_dwordx4 off, v[150:153], off offset:788 ; 16-byte Folded Spill
	scratch_store_dwordx4 off, v[154:157], off offset:804 ; 16-byte Folded Spill
	;; [unrolled: 1-line block ×7, first 2 shown]
	scratch_load_dwordx4 v[114:117], off, off offset:4 ; 16-byte Folded Reload
	scratch_load_dwordx4 v[118:121], off, off offset:20 ; 16-byte Folded Reload
	;; [unrolled: 1-line block ×8, first 2 shown]
	s_nop 0
	scratch_store_dwordx4 off, v[0:3], off offset:3852 ; 16-byte Folded Spill
	s_nop 0
	scratch_store_dwordx4 off, v[4:7], off offset:3868 ; 16-byte Folded Spill
	scratch_store_dwordx4 off, v[8:11], off offset:3884 ; 16-byte Folded Spill
	;; [unrolled: 1-line block ×8, first 2 shown]
	s_nop 0
	scratch_store_dwordx4 off, v[108:111], off offset:2068 ; 16-byte Folded Spill
	s_waitcnt vmcnt(17)
	scratch_store_dwordx4 off, v[112:115], off offset:2084 ; 16-byte Folded Spill
	s_waitcnt vmcnt(17)
	scratch_store_dwordx4 off, v[116:119], off offset:2100 ; 16-byte Folded Spill
	s_waitcnt vmcnt(17)
	scratch_store_dwordx4 off, v[120:123], off offset:2116 ; 16-byte Folded Spill
	s_waitcnt vmcnt(17)
	scratch_store_dwordx4 off, v[124:127], off offset:2132 ; 16-byte Folded Spill
	s_waitcnt vmcnt(17)
	scratch_store_dwordx4 off, v[128:131], off offset:2148 ; 16-byte Folded Spill
	s_waitcnt vmcnt(17)
	scratch_store_dwordx4 off, v[132:135], off offset:2164 ; 16-byte Folded Spill
	v_mov_b64_e32 v[0:1], v[40:41]
	v_mov_b32_e32 v110, v82
	scratch_store_dwordx4 off, v[76:79], s2 ; 16-byte Folded Spill
	s_nop 0
	scratch_store_dwordx4 off, v[80:83], s2 offset:16 ; 16-byte Folded Spill
	scratch_store_dwordx4 off, v[84:87], s2 offset:32 ; 16-byte Folded Spill
	;; [unrolled: 1-line block ×7, first 2 shown]
	v_mov_b64_e32 v[2:3], v[42:43]
	v_mov_b64_e32 v[4:5], v[44:45]
	;; [unrolled: 1-line block ×4, first 2 shown]
	v_mov_b32_e32 v10, v230
	v_mov_b32_e32 v78, v8
	;; [unrolled: 1-line block ×3, first 2 shown]
	scratch_store_dwordx4 off, v[0:3], off offset:388 ; 16-byte Folded Spill
	s_nop 0
	scratch_store_dwordx4 off, v[4:7], off offset:404 ; 16-byte Folded Spill
	scratch_store_dwordx4 off, v[8:11], off offset:420 ; 16-byte Folded Spill
	;; [unrolled: 1-line block ×8, first 2 shown]
	s_nop 0
	scratch_store_dwordx4 off, v[224:227], off offset:3740 ; 16-byte Folded Spill
	scratch_store_dwordx4 off, v[228:231], off offset:3756 ; 16-byte Folded Spill
	;; [unrolled: 1-line block ×7, first 2 shown]
	s_waitcnt vmcnt(41)
	v_mov_b32_e32 v253, v140
	scratch_load_dwordx4 v[140:143], off, off offset:3084 ; 16-byte Folded Reload
	scratch_load_dwordx4 v[144:147], off, off offset:3100 ; 16-byte Folded Reload
	;; [unrolled: 1-line block ×8, first 2 shown]
	v_mov_b64_e32 v[242:243], v[204:205]
	v_mov_b32_e32 v109, v211
	v_mov_b64_e32 v[240:241], v[202:203]
	v_mov_b64_e32 v[238:239], v[200:201]
	;; [unrolled: 1-line block ×3, first 2 shown]
	v_mov_b32_e32 v76, v74
	v_mov_b32_e32 v177, v243
	;; [unrolled: 1-line block ×3, first 2 shown]
	v_mov_b64_e32 v[218:219], v[32:33]
	v_mov_b32_e32 v79, v83
	v_mov_b32_e32 v20, v218
	v_mov_b64_e32 v[216:217], v[30:31]
	v_mov_b64_e32 v[214:215], v[28:29]
	v_mov_b32_e32 v173, v219
	v_mov_b32_e32 v11, v231
	v_mov_b64_e32 v[234:235], v[196:197]
	v_mov_b64_e32 v[232:233], v[194:195]
	;; [unrolled: 1-line block ×8, first 2 shown]
	s_waitcnt vmcnt(4)
	v_mov_b32_e32 v80, v152
	v_mov_b32_e32 v111, v153
	scratch_load_dwordx4 v[140:143], off, off offset:4 ; 16-byte Folded Reload
	scratch_load_dwordx4 v[144:147], off, off offset:20 ; 16-byte Folded Reload
	;; [unrolled: 1-line block ×16, first 2 shown]
	s_nop 0
	scratch_store_dwordx4 off, v[86:89], off offset:1796 ; 16-byte Folded Spill
	s_nop 0
	scratch_store_dwordx4 off, v[90:93], off offset:1812 ; 16-byte Folded Spill
	scratch_store_dwordx4 off, v[94:97], off offset:1828 ; 16-byte Folded Spill
	;; [unrolled: 1-line block ×7, first 2 shown]
	v_mov_b32_e32 v83, v103
	s_waitcnt vmcnt(12)
	v_mov_b32_e32 v84, v196
	v_mov_b32_e32 v85, v197
	scratch_store_dwordx4 off, v[56:59], off offset:1540 ; 16-byte Folded Spill
	s_nop 0
	scratch_store_dwordx4 off, v[60:63], off offset:1556 ; 16-byte Folded Spill
	scratch_store_dwordx4 off, v[64:67], off offset:1572 ; 16-byte Folded Spill
	scratch_store_dwordx4 off, v[68:71], off offset:1588 ; 16-byte Folded Spill
	scratch_store_dwordx4 off, v[72:75], off offset:1604 ; 16-byte Folded Spill
	scratch_store_dwordx4 off, v[76:79], off offset:1620 ; 16-byte Folded Spill
	scratch_store_dwordx4 off, v[80:83], off offset:1636 ; 16-byte Folded Spill
	scratch_store_dwordx4 off, v[84:87], off offset:1652 ; 16-byte Folded Spill
	scratch_store_dwordx4 off, v[56:59], off offset:1412 ; 16-byte Folded Spill
	s_nop 0
	scratch_store_dwordx4 off, v[60:63], off offset:1428 ; 16-byte Folded Spill
	scratch_store_dwordx4 off, v[64:67], off offset:1444 ; 16-byte Folded Spill
	scratch_store_dwordx4 off, v[68:71], off offset:1460 ; 16-byte Folded Spill
	scratch_store_dwordx4 off, v[72:75], off offset:1476 ; 16-byte Folded Spill
	scratch_store_dwordx4 off, v[76:79], off offset:1492 ; 16-byte Folded Spill
	scratch_store_dwordx4 off, v[80:83], off offset:1508 ; 16-byte Folded Spill
	scratch_store_dwordx4 off, v[84:87], off offset:1524 ; 16-byte Folded Spill
	;; [unrolled: 9-line block ×3, first 2 shown]
	v_mov_b32_e32 v22, v242
	scratch_load_dwordx4 v[178:181], off, off offset:772 ; 16-byte Folded Reload
	scratch_load_dwordx4 v[182:185], off, off offset:788 ; 16-byte Folded Reload
	;; [unrolled: 1-line block ×8, first 2 shown]
	s_nop 0
	scratch_store_dwordx4 off, v[0:3], off offset:516 ; 16-byte Folded Spill
	s_nop 0
	scratch_store_dwordx4 off, v[4:7], off offset:532 ; 16-byte Folded Spill
	scratch_store_dwordx4 off, v[8:11], off offset:548 ; 16-byte Folded Spill
	;; [unrolled: 1-line block ×7, first 2 shown]
	scratch_load_dwordx4 v[26:29], off, off offset:644 ; 16-byte Folded Reload
	s_nop 0
	scratch_load_dwordx4 v[30:33], off, off offset:660 ; 16-byte Folded Reload
	scratch_load_dwordx4 v[34:37], off, off offset:676 ; 16-byte Folded Reload
	;; [unrolled: 1-line block ×7, first 2 shown]
	s_waitcnt vmcnt(7)
	v_mov_b32_e32 v27, v167
                                        ; kill: def $vgpr178_vgpr179_vgpr180_vgpr181 killed $vgpr178_vgpr179_vgpr180_vgpr181 def $vgpr199_vgpr200_vgpr201_vgpr202_vgpr203_vgpr204_vgpr205_vgpr206_vgpr207_vgpr208_vgpr209 def $vgpr183_vgpr184_vgpr185_vgpr186_vgpr187_vgpr188_vgpr189_vgpr190_vgpr191_vgpr192_vgpr193_vgpr194_vgpr195_vgpr196_vgpr197_vgpr198
	scratch_store_dwordx4 off, v[0:3], off offset:2436 ; 16-byte Folded Spill
	s_nop 0
	scratch_store_dwordx4 off, v[4:7], off offset:2452 ; 16-byte Folded Spill
	scratch_store_dwordx4 off, v[8:11], off offset:2468 ; 16-byte Folded Spill
	;; [unrolled: 1-line block ×6, first 2 shown]
	s_waitcnt vmcnt(13)
	scratch_store_dwordx4 off, v[28:31], off offset:2548 ; 16-byte Folded Spill
	s_waitcnt vmcnt(9)
	v_mov_b64_e32 v[138:139], v[50:51]
	v_mov_b32_e32 v176, v138
	v_mov_b32_e32 v37, v139
	v_mov_b64_e32 v[136:137], v[48:49]
	v_mov_b64_e32 v[134:135], v[46:47]
	;; [unrolled: 1-line block ×4, first 2 shown]
.LBB54_66:
	s_or_b64 exec, exec, s[0:1]
	s_barrier
	scratch_load_dwordx4 v[38:41], off, off offset:3852 ; 16-byte Folded Reload
	scratch_load_dwordx4 v[42:45], off, off offset:3868 ; 16-byte Folded Reload
	;; [unrolled: 1-line block ×8, first 2 shown]
	v_lshl_add_u32 v28, v255, 2, v254
	s_cmp_lt_i32 s22, 6
	s_waitcnt vmcnt(6)
	ds_write_b32 v28, v42
	s_waitcnt lgkmcnt(0)
	s_barrier
	ds_read_b32 v30, v254 offset:16
	v_mov_b32_e32 v28, 4
	s_cbranch_scc1 .LBB54_69
; %bb.67:
	scratch_load_dword v0, off, off offset:2692 ; 4-byte Folded Reload
	v_mov_b32_e32 v28, 4
	s_mov_b32 s0, 5
	s_waitcnt vmcnt(0)
	v_add3_u32 v29, v0, 0, 20
.LBB54_68:                              ; =>This Inner Loop Header: Depth=1
	ds_read_b32 v31, v29
	v_add_u32_e32 v29, 4, v29
	s_waitcnt lgkmcnt(0)
	v_cmp_lt_f32_e64 vcc, |v30|, |v31|
	s_nop 1
	v_cndmask_b32_e32 v30, v30, v31, vcc
	v_mov_b32_e32 v31, s0
	s_add_i32 s0, s0, 1
	v_cndmask_b32_e32 v28, v28, v31, vcc
	s_cmp_lg_u32 s22, s0
	s_cbranch_scc1 .LBB54_68
.LBB54_69:
	s_waitcnt lgkmcnt(0)
	v_cmp_eq_f32_e32 vcc, 0, v30
	s_and_saveexec_b64 s[0:1], vcc
	s_xor_b64 s[0:1], exec, s[0:1]
	s_cbranch_execz .LBB54_71
; %bb.70:
	scratch_load_dword v0, off, off offset:132 ; 4-byte Folded Reload
	s_waitcnt vmcnt(0)
	v_cmp_ne_u32_e32 vcc, 0, v0
	s_nop 1
	v_cndmask_b32_e32 v0, 5, v0, vcc
	scratch_store_dword off, v0, off offset:132 ; 4-byte Folded Spill
.LBB54_71:
	s_andn2_saveexec_b64 s[0:1], s[0:1]
	s_cbranch_execz .LBB54_73
; %bb.72:
	v_div_scale_f32 v29, s[2:3], v30, v30, 1.0
	v_rcp_f32_e32 v31, v29
	s_waitcnt vmcnt(3)
	v_div_scale_f32 v56, vcc, 1.0, v30, 1.0
	v_fma_f32 v57, -v29, v31, 1.0
	v_fmac_f32_e32 v31, v57, v31
	v_mul_f32_e32 v57, v56, v31
	s_waitcnt vmcnt(2)
	v_fma_f32 v58, -v29, v57, v56
	v_fmac_f32_e32 v57, v58, v31
	v_fma_f32 v29, -v29, v57, v56
	v_div_fmas_f32 v29, v29, v31, v57
	v_div_fixup_f32 v30, v29, v30, 1.0
.LBB54_73:
	s_or_b64 exec, exec, s[0:1]
	v_cmp_ne_u32_e32 vcc, v255, v28
	s_and_saveexec_b64 s[0:1], vcc
	s_xor_b64 s[0:1], exec, s[0:1]
	s_cbranch_execz .LBB54_79
; %bb.74:
	v_cmp_eq_u32_e32 vcc, 4, v255
	s_and_saveexec_b64 s[2:3], vcc
	s_cbranch_execz .LBB54_78
; %bb.75:
	v_cmp_ne_u32_e32 vcc, 4, v28
	s_xor_b64 s[18:19], s[16:17], -1
	s_and_b64 s[20:21], s[18:19], vcc
	s_and_saveexec_b64 s[18:19], s[20:21]
	s_cbranch_execz .LBB54_77
; %bb.76:
	s_movk_i32 s20, 0x118c
	scratch_load_dwordx2 v[58:59], off, s20 ; 8-byte Folded Reload
	v_ashrrev_i32_e32 v29, 31, v28
	s_waitcnt vmcnt(0)
	v_lshl_add_u64 v[56:57], v[28:29], 2, v[58:59]
	global_load_dword v29, v[56:57], off
	global_load_dword v31, v[58:59], off offset:16
	s_waitcnt vmcnt(1)
	global_store_dword v[58:59], v29, off offset:16
	s_waitcnt vmcnt(1)
	global_store_dword v[56:57], v31, off
.LBB54_77:
	s_or_b64 exec, exec, s[18:19]
	v_mov_b32_e32 v29, v28
	v_mov_b32_e32 v255, v28
	scratch_store_dword off, v29, off offset:3080 ; 4-byte Folded Spill
.LBB54_78:
	s_or_b64 exec, exec, s[2:3]
.LBB54_79:
	s_andn2_saveexec_b64 s[0:1], s[0:1]
	s_cbranch_execz .LBB54_81
; %bb.80:
	ds_write2_b32 v254, v145, v146 offset0:5 offset1:6
	ds_write2_b32 v254, v147, v148 offset0:7 offset1:8
	;; [unrolled: 1-line block ×11, first 2 shown]
	scratch_load_dwordx4 v[38:41], off, off offset:2436 ; 16-byte Folded Reload
	scratch_load_dwordx4 v[42:45], off, off offset:2452 ; 16-byte Folded Reload
	;; [unrolled: 1-line block ×8, first 2 shown]
	v_mov_b32_e32 v255, 4
	s_waitcnt vmcnt(1)
	ds_write_b32 v254, v65 offset:108
.LBB54_81:
	s_or_b64 exec, exec, s[0:1]
	v_cmp_lt_i32_e32 vcc, 4, v255
	s_waitcnt lgkmcnt(0)
	s_barrier
	s_and_saveexec_b64 s[0:1], vcc
	s_cbranch_execz .LBB54_83
; %bb.82:
	scratch_load_dwordx4 v[32:35], off, off offset:3852 ; 16-byte Folded Reload
	scratch_load_dwordx4 v[36:39], off, off offset:3868 ; 16-byte Folded Reload
	;; [unrolled: 1-line block ×8, first 2 shown]
	ds_read2_b32 v[0:1], v254 offset0:5 offset1:6
	ds_read2_b32 v[4:5], v254 offset0:7 offset1:8
	s_waitcnt vmcnt(7)
	ds_read2_b32 v[32:33], v254 offset0:9 offset1:10
	ds_read2_b32 v[34:35], v254 offset0:11 offset1:12
	v_mov_b32_e32 v2, v145
	v_mov_b32_e32 v3, v146
	s_movk_i32 s2, 0x1214
	v_mov_b32_e32 v220, v178
	v_mov_b32_e32 v221, v179
	;; [unrolled: 1-line block ×8, first 2 shown]
	s_waitcnt vmcnt(6)
	v_mul_f32_e32 v182, v36, v30
	s_waitcnt lgkmcnt(3)
	v_pk_fma_f32 v[28:29], v[182:183], v[0:1], v[2:3] op_sel_hi:[0,1,1] neg_lo:[1,0,0] neg_hi:[1,0,0]
	v_mov_b32_e32 v0, v147
	v_mov_b32_e32 v1, v148
	s_waitcnt lgkmcnt(2)
	v_pk_fma_f32 v[30:31], v[182:183], v[4:5], v[0:1] op_sel_hi:[0,1,1] neg_lo:[1,0,0] neg_hi:[1,0,0]
	v_mov_b32_e32 v0, v149
	v_mov_b32_e32 v1, v150
	s_waitcnt vmcnt(1) lgkmcnt(1)
	v_pk_fma_f32 v[56:57], v[182:183], v[32:33], v[0:1] op_sel_hi:[0,1,1] neg_lo:[1,0,0] neg_hi:[1,0,0]
	v_mov_b32_e32 v0, v151
	v_mov_b32_e32 v1, v152
	s_waitcnt lgkmcnt(0)
	v_pk_fma_f32 v[58:59], v[182:183], v[34:35], v[0:1] op_sel_hi:[0,1,1] neg_lo:[1,0,0] neg_hi:[1,0,0]
	ds_read2_b32 v[0:1], v254 offset0:13 offset1:14
	ds_read2_b32 v[4:5], v254 offset0:15 offset1:16
	;; [unrolled: 1-line block ×4, first 2 shown]
	v_mov_b32_e32 v2, v153
	v_mov_b32_e32 v3, v154
	;; [unrolled: 1-line block ×3, first 2 shown]
	s_waitcnt vmcnt(0) lgkmcnt(3)
	v_pk_fma_f32 v[60:61], v[182:183], v[0:1], v[2:3] op_sel_hi:[0,1,1] neg_lo:[1,0,0] neg_hi:[1,0,0]
	v_mov_b32_e32 v0, v155
	v_mov_b32_e32 v1, v156
	s_waitcnt lgkmcnt(2)
	v_pk_fma_f32 v[62:63], v[182:183], v[4:5], v[0:1] op_sel_hi:[0,1,1] neg_lo:[1,0,0] neg_hi:[1,0,0]
	v_mov_b32_e32 v0, v157
	v_mov_b32_e32 v1, v158
	s_waitcnt lgkmcnt(1)
	;; [unrolled: 4-line block ×3, first 2 shown]
	v_pk_fma_f32 v[66:67], v[182:183], v[8:9], v[0:1] op_sel_hi:[0,1,1] neg_lo:[1,0,0] neg_hi:[1,0,0]
	ds_read2_b32 v[0:1], v254 offset0:21 offset1:22
	ds_read2_b32 v[4:5], v254 offset0:23 offset1:24
	;; [unrolled: 1-line block ×3, first 2 shown]
	ds_read_b32 v8, v254 offset:108
	scratch_load_dwordx4 v[72:75], off, off offset:2436 ; 16-byte Folded Reload
	scratch_load_dwordx4 v[76:79], off, off offset:2452 ; 16-byte Folded Reload
	;; [unrolled: 1-line block ×8, first 2 shown]
	v_mov_b32_e32 v2, v161
	v_mov_b32_e32 v3, v162
	s_waitcnt lgkmcnt(3)
	v_pk_fma_f32 v[68:69], v[182:183], v[0:1], v[2:3] op_sel_hi:[0,1,1] neg_lo:[1,0,0] neg_hi:[1,0,0]
	v_mov_b32_e32 v0, v163
	v_mov_b32_e32 v1, v164
	s_waitcnt lgkmcnt(2)
	v_pk_fma_f32 v[70:71], v[182:183], v[4:5], v[0:1] op_sel_hi:[0,1,1] neg_lo:[1,0,0] neg_hi:[1,0,0]
	v_mov_b32_e32 v0, v165
	v_mov_b32_e32 v1, v166
	s_waitcnt lgkmcnt(1)
	v_pk_fma_f32 v[252:253], v[182:183], v[6:7], v[0:1] op_sel_hi:[0,1,1] neg_lo:[1,0,0] neg_hi:[1,0,0]
	v_mov_b32_e32 v0, v178
	v_mov_b32_e32 v1, v179
	;; [unrolled: 1-line block ×41, first 2 shown]
	s_waitcnt vmcnt(6)
	v_mov_b32_e32 v77, v56
	s_waitcnt vmcnt(5)
	v_mov_b32_e32 v80, v59
	v_mov_b32_e32 v111, v60
	s_waitcnt vmcnt(4)
	v_mov_b32_e32 v84, v61
	v_mov_b32_e32 v85, v62
	;; [unrolled: 1-line block ×9, first 2 shown]
	s_waitcnt vmcnt(1) lgkmcnt(0)
	v_fma_f32 v167, -v182, v8, v99
	scratch_store_dwordx4 off, v[0:3], s2   ; 16-byte Folded Spill
	s_nop 0
	scratch_store_dwordx4 off, v[4:7], s2 offset:16 ; 16-byte Folded Spill
	scratch_store_dwordx4 off, v[8:11], s2 offset:32 ; 16-byte Folded Spill
	;; [unrolled: 1-line block ×7, first 2 shown]
	s_movk_i32 s2, 0x1194
	v_mov_b32_e32 v7, v30
	scratch_store_dwordx4 off, v[0:3], s2   ; 16-byte Folded Spill
	s_nop 0
	scratch_store_dwordx4 off, v[4:7], s2 offset:16 ; 16-byte Folded Spill
	scratch_store_dwordx4 off, v[8:11], s2 offset:32 ; 16-byte Folded Spill
	;; [unrolled: 1-line block ×7, first 2 shown]
	s_movk_i32 s2, 0x100c
	v_mov_b32_e32 v8, v31
	scratch_store_dwordx4 off, v[0:3], off offset:3980 ; 16-byte Folded Spill
	s_nop 0
	scratch_store_dwordx4 off, v[4:7], off offset:3996 ; 16-byte Folded Spill
	scratch_store_dwordx4 off, v[8:11], off offset:4012 ; 16-byte Folded Spill
	;; [unrolled: 1-line block ×7, first 2 shown]
	v_mov_b32_e32 v9, v56
	scratch_store_dwordx4 off, v[0:3], s2   ; 16-byte Folded Spill
	s_nop 0
	scratch_store_dwordx4 off, v[4:7], s2 offset:16 ; 16-byte Folded Spill
	scratch_store_dwordx4 off, v[8:11], s2 offset:32 ; 16-byte Folded Spill
	;; [unrolled: 1-line block ×7, first 2 shown]
	v_mov_b32_e32 v10, v57
	s_movk_i32 s2, 0x1294
	scratch_store_dwordx4 off, v[0:3], off offset:3724 ; 16-byte Folded Spill
	s_nop 0
	scratch_store_dwordx4 off, v[4:7], off offset:3740 ; 16-byte Folded Spill
	scratch_store_dwordx4 off, v[8:11], off offset:3756 ; 16-byte Folded Spill
	scratch_store_dwordx4 off, v[12:15], off offset:3772 ; 16-byte Folded Spill
	scratch_store_dwordx4 off, v[16:19], off offset:3788 ; 16-byte Folded Spill
	scratch_store_dwordx4 off, v[20:23], off offset:3804 ; 16-byte Folded Spill
	scratch_store_dwordx4 off, v[24:27], off offset:3820 ; 16-byte Folded Spill
	scratch_store_dwordx4 off, v[28:31], off offset:3836 ; 16-byte Folded Spill
	v_mov_b32_e32 v11, v58
	scratch_store_dwordx4 off, v[0:3], off offset:3596 ; 16-byte Folded Spill
	s_nop 0
	scratch_store_dwordx4 off, v[4:7], off offset:3612 ; 16-byte Folded Spill
	scratch_store_dwordx4 off, v[8:11], off offset:3628 ; 16-byte Folded Spill
	scratch_store_dwordx4 off, v[12:15], off offset:3644 ; 16-byte Folded Spill
	scratch_store_dwordx4 off, v[16:19], off offset:3660 ; 16-byte Folded Spill
	scratch_store_dwordx4 off, v[20:23], off offset:3676 ; 16-byte Folded Spill
	scratch_store_dwordx4 off, v[24:27], off offset:3692 ; 16-byte Folded Spill
	scratch_store_dwordx4 off, v[28:31], off offset:3708 ; 16-byte Folded Spill
	v_mov_b32_e32 v12, v59
	;; [unrolled: 10-line block ×12, first 2 shown]
	v_mov_b32_e32 v23, v70
	v_mov_b32_e32 v225, v28
	;; [unrolled: 1-line block ×5, first 2 shown]
	scratch_store_dwordx4 off, v[0:3], off offset:1028 ; 16-byte Folded Spill
	s_nop 0
	scratch_store_dwordx4 off, v[4:7], off offset:1044 ; 16-byte Folded Spill
	scratch_store_dwordx4 off, v[8:11], off offset:1060 ; 16-byte Folded Spill
	;; [unrolled: 1-line block ×7, first 2 shown]
	s_nop 0
	v_mov_b32_e32 v24, v71
	scratch_store_dwordx4 off, v[0:3], off offset:644 ; 16-byte Folded Spill
	s_nop 0
	scratch_store_dwordx4 off, v[4:7], off offset:660 ; 16-byte Folded Spill
	scratch_store_dwordx4 off, v[8:11], off offset:676 ; 16-byte Folded Spill
	scratch_store_dwordx4 off, v[12:15], off offset:692 ; 16-byte Folded Spill
	scratch_store_dwordx4 off, v[16:19], off offset:708 ; 16-byte Folded Spill
	scratch_store_dwordx4 off, v[20:23], off offset:724 ; 16-byte Folded Spill
	scratch_store_dwordx4 off, v[24:27], off offset:740 ; 16-byte Folded Spill
	scratch_store_dwordx4 off, v[28:31], off offset:756 ; 16-byte Folded Spill
	s_nop 0
	v_mov_b32_e32 v25, v252
	scratch_store_dwordx4 off, v[0:3], off offset:900 ; 16-byte Folded Spill
	s_nop 0
	scratch_store_dwordx4 off, v[4:7], off offset:916 ; 16-byte Folded Spill
	scratch_store_dwordx4 off, v[8:11], off offset:932 ; 16-byte Folded Spill
	;; [unrolled: 1-line block ×7, first 2 shown]
	scratch_store_dwordx4 off, v[178:181], s2 ; 16-byte Folded Spill
	s_nop 0
	scratch_store_dwordx4 off, v[182:185], s2 offset:16 ; 16-byte Folded Spill
	scratch_store_dwordx4 off, v[186:189], s2 offset:32 ; 16-byte Folded Spill
	;; [unrolled: 1-line block ×7, first 2 shown]
	scratch_store_dwordx4 off, v[178:181], off offset:2052 ; 16-byte Folded Spill
	s_nop 0
	scratch_store_dwordx4 off, v[182:185], off offset:2068 ; 16-byte Folded Spill
	scratch_store_dwordx4 off, v[186:189], off offset:2084 ; 16-byte Folded Spill
	;; [unrolled: 1-line block ×7, first 2 shown]
	v_mov_b32_e32 v145, v28
	v_mov_b32_e32 v146, v29
	;; [unrolled: 1-line block ×8, first 2 shown]
	scratch_store_dwordx4 off, v[0:3], off offset:388 ; 16-byte Folded Spill
	s_nop 0
	scratch_store_dwordx4 off, v[4:7], off offset:404 ; 16-byte Folded Spill
	scratch_store_dwordx4 off, v[8:11], off offset:420 ; 16-byte Folded Spill
	scratch_store_dwordx4 off, v[12:15], off offset:436 ; 16-byte Folded Spill
	scratch_store_dwordx4 off, v[16:19], off offset:452 ; 16-byte Folded Spill
	scratch_store_dwordx4 off, v[20:23], off offset:468 ; 16-byte Folded Spill
	scratch_store_dwordx4 off, v[24:27], off offset:484 ; 16-byte Folded Spill
	scratch_store_dwordx4 off, v[28:31], off offset:500 ; 16-byte Folded Spill
	scratch_store_dwordx4 off, v[0:3], off offset:1412 ; 16-byte Folded Spill
	s_nop 0
	scratch_store_dwordx4 off, v[4:7], off offset:1428 ; 16-byte Folded Spill
	scratch_store_dwordx4 off, v[8:11], off offset:1444 ; 16-byte Folded Spill
	scratch_store_dwordx4 off, v[12:15], off offset:1460 ; 16-byte Folded Spill
	scratch_store_dwordx4 off, v[16:19], off offset:1476 ; 16-byte Folded Spill
	scratch_store_dwordx4 off, v[20:23], off offset:1492 ; 16-byte Folded Spill
	scratch_store_dwordx4 off, v[24:27], off offset:1508 ; 16-byte Folded Spill
	scratch_store_dwordx4 off, v[28:31], off offset:1524 ; 16-byte Folded Spill
	;; [unrolled: 9-line block ×4, first 2 shown]
	s_nop 0
	v_mov_b32_e32 v27, v167
	scratch_store_dwordx4 off, v[0:3], off offset:2436 ; 16-byte Folded Spill
	s_nop 0
	scratch_store_dwordx4 off, v[4:7], off offset:2452 ; 16-byte Folded Spill
	scratch_store_dwordx4 off, v[8:11], off offset:2468 ; 16-byte Folded Spill
	;; [unrolled: 1-line block ×7, first 2 shown]
.LBB54_83:
	s_or_b64 exec, exec, s[0:1]
	s_nop 0
	v_lshl_add_u32 v28, v255, 2, v254
	s_waitcnt vmcnt(63) expcnt(7) lgkmcnt(15)
	s_barrier
	ds_write_b32 v28, v109
	s_waitcnt lgkmcnt(0)
	s_barrier
	ds_read_b32 v30, v254 offset:20
	s_cmp_lt_i32 s22, 7
	v_mov_b32_e32 v28, 5
	s_cbranch_scc1 .LBB54_477
; %bb.84:
	scratch_load_dword v0, off, off offset:2692 ; 4-byte Folded Reload
	scratch_load_dwordx4 v[38:41], off, off offset:2436 ; 16-byte Folded Reload
	scratch_load_dwordx4 v[42:45], off, off offset:2452 ; 16-byte Folded Reload
	;; [unrolled: 1-line block ×8, first 2 shown]
	v_mov_b32_e32 v28, 5
	s_mov_b32 s0, 6
	s_waitcnt vmcnt(1)
	v_mov_b32_e32 v81, v65
	v_add3_u32 v29, v0, 0, 24
.LBB54_85:                              ; =>This Inner Loop Header: Depth=1
	ds_read_b32 v31, v29
	v_add_u32_e32 v29, 4, v29
	s_waitcnt lgkmcnt(0)
	v_cmp_lt_f32_e64 vcc, |v30|, |v31|
	s_nop 1
	v_cndmask_b32_e32 v30, v30, v31, vcc
	v_mov_b32_e32 v31, s0
	s_add_i32 s0, s0, 1
	v_cndmask_b32_e32 v28, v28, v31, vcc
	s_cmp_lg_u32 s22, s0
	s_cbranch_scc1 .LBB54_85
; %bb.86:
	v_cmp_eq_f32_e32 vcc, 0, v30
	s_and_saveexec_b64 s[0:1], vcc
	s_xor_b64 s[0:1], exec, s[0:1]
	s_cbranch_execz .LBB54_88
.LBB54_87:
	scratch_load_dword v0, off, off offset:132 ; 4-byte Folded Reload
	s_waitcnt vmcnt(0)
	v_cmp_ne_u32_e32 vcc, 0, v0
	s_nop 1
	v_cndmask_b32_e32 v0, 6, v0, vcc
	scratch_store_dword off, v0, off offset:132 ; 4-byte Folded Spill
.LBB54_88:
	s_andn2_saveexec_b64 s[0:1], s[0:1]
	s_cbranch_execz .LBB54_90
; %bb.89:
	v_div_scale_f32 v29, s[2:3], v30, v30, 1.0
	v_rcp_f32_e32 v31, v29
	v_div_scale_f32 v56, vcc, 1.0, v30, 1.0
	v_fma_f32 v57, -v29, v31, 1.0
	v_fmac_f32_e32 v31, v57, v31
	v_mul_f32_e32 v57, v56, v31
	v_fma_f32 v58, -v29, v57, v56
	v_fmac_f32_e32 v57, v58, v31
	v_fma_f32 v29, -v29, v57, v56
	v_div_fmas_f32 v29, v29, v31, v57
	v_div_fixup_f32 v30, v29, v30, 1.0
.LBB54_90:
	s_or_b64 exec, exec, s[0:1]
	v_cmp_ne_u32_e32 vcc, v255, v28
	s_and_saveexec_b64 s[0:1], vcc
	s_xor_b64 s[0:1], exec, s[0:1]
	s_cbranch_execz .LBB54_96
; %bb.91:
	v_cmp_eq_u32_e32 vcc, 5, v255
	s_and_saveexec_b64 s[2:3], vcc
	s_cbranch_execz .LBB54_95
; %bb.92:
	v_cmp_ne_u32_e32 vcc, 5, v28
	s_xor_b64 s[18:19], s[16:17], -1
	s_and_b64 s[20:21], s[18:19], vcc
	s_and_saveexec_b64 s[18:19], s[20:21]
	s_cbranch_execz .LBB54_94
; %bb.93:
	s_movk_i32 s20, 0x118c
	scratch_load_dwordx2 v[58:59], off, s20 ; 8-byte Folded Reload
	v_ashrrev_i32_e32 v29, 31, v28
	s_waitcnt vmcnt(0)
	v_lshl_add_u64 v[56:57], v[28:29], 2, v[58:59]
	global_load_dword v29, v[56:57], off
	global_load_dword v31, v[58:59], off offset:20
	s_waitcnt vmcnt(1)
	global_store_dword v[58:59], v29, off offset:20
	s_waitcnt vmcnt(1)
	global_store_dword v[56:57], v31, off
.LBB54_94:
	s_or_b64 exec, exec, s[18:19]
	v_mov_b32_e32 v29, v28
	v_mov_b32_e32 v255, v28
	scratch_store_dword off, v29, off offset:3080 ; 4-byte Folded Spill
.LBB54_95:
	s_or_b64 exec, exec, s[2:3]
.LBB54_96:
	s_andn2_saveexec_b64 s[0:1], s[0:1]
	s_cbranch_execz .LBB54_98
; %bb.97:
	v_mov_b32_e32 v255, 5
	ds_write2_b32 v254, v146, v147 offset0:6 offset1:7
	ds_write2_b32 v254, v148, v149 offset0:8 offset1:9
	;; [unrolled: 1-line block ×11, first 2 shown]
.LBB54_98:
	s_or_b64 exec, exec, s[0:1]
	v_cmp_lt_i32_e32 vcc, 5, v255
	s_waitcnt lgkmcnt(0)
	s_barrier
	s_and_saveexec_b64 s[0:1], vcc
	s_cbranch_execz .LBB54_100
; %bb.99:
	v_mul_f32_e32 v0, v109, v30
	ds_read2_b32 v[28:29], v254 offset0:6 offset1:7
	ds_read2_b32 v[30:31], v254 offset0:8 offset1:9
	;; [unrolled: 1-line block ×5, first 2 shown]
	s_waitcnt lgkmcnt(4)
	v_pk_fma_f32 v[82:83], v[0:1], v[28:29], v[146:147] op_sel_hi:[0,1,1] neg_lo:[1,0,0] neg_hi:[1,0,0]
	s_waitcnt lgkmcnt(3)
	v_pk_fma_f32 v[228:229], v[0:1], v[30:31], v[148:149] op_sel_hi:[0,1,1] neg_lo:[1,0,0] neg_hi:[1,0,0]
	;; [unrolled: 2-line block ×3, first 2 shown]
	ds_read2_b32 v[6:7], v254 offset0:24 offset1:25
	scratch_load_dwordx4 v[8:11], off, off offset:2052 ; 16-byte Folded Reload
	scratch_load_dwordx4 v[12:15], off, off offset:2068 ; 16-byte Folded Reload
	;; [unrolled: 1-line block ×8, first 2 shown]
	s_waitcnt vmcnt(6)
	v_mov_b32_e32 v13, v0
	v_mov_b32_e32 v14, v82
	;; [unrolled: 1-line block ×3, first 2 shown]
	s_movk_i32 s2, 0x1194
	s_waitcnt lgkmcnt(2)
	v_pk_fma_f32 v[166:167], v[0:1], v[4:5], v[166:167] op_sel_hi:[0,1,1] neg_lo:[1,0,0] neg_hi:[1,0,0]
	v_mov_b64_e32 v[180:181], v[166:167]
	v_mov_b64_e32 v[178:179], v[164:165]
	;; [unrolled: 1-line block ×8, first 2 shown]
	s_waitcnt lgkmcnt(1)
	v_pk_fma_f32 v[152:153], v[0:1], v[2:3], v[166:167] op_sel_hi:[0,1,1] neg_lo:[1,0,0] neg_hi:[1,0,0]
	s_waitcnt lgkmcnt(0)
	v_pk_fma_f32 v[138:139], v[0:1], v[6:7], v[178:179] op_sel_hi:[0,1,1] neg_lo:[1,0,0] neg_hi:[1,0,0]
	v_mov_b32_e32 v109, v0
	v_mov_b32_e32 v81, v0
	;; [unrolled: 1-line block ×60, first 2 shown]
	scratch_store_dwordx4 off, v[8:11], s2  ; 16-byte Folded Spill
	s_nop 0
	scratch_store_dwordx4 off, v[12:15], s2 offset:16 ; 16-byte Folded Spill
	s_waitcnt vmcnt(7)
	scratch_store_dwordx4 off, v[16:19], s2 offset:32 ; 16-byte Folded Spill
	s_waitcnt vmcnt(7)
	;; [unrolled: 2-line block ×6, first 2 shown]
	scratch_store_dwordx4 off, v[36:39], s2 offset:112 ; 16-byte Folded Spill
	v_mov_b32_e32 v16, v228
	v_mov_b32_e32 v17, v229
	s_movk_i32 s2, 0x100c
	v_mov_b32_e32 v114, v104
	v_mov_b32_e32 v115, v105
	;; [unrolled: 1-line block ×41, first 2 shown]
	scratch_store_dwordx4 off, v[8:11], s2  ; 16-byte Folded Spill
	s_nop 0
	scratch_store_dwordx4 off, v[12:15], s2 offset:16 ; 16-byte Folded Spill
	scratch_store_dwordx4 off, v[16:19], s2 offset:32 ; 16-byte Folded Spill
	;; [unrolled: 1-line block ×7, first 2 shown]
	v_mov_b64_e32 v[18:19], v[40:41]
	v_mov_b32_e32 v40, v152
	v_mov_b32_e32 v41, v153
	s_movk_i32 s2, 0x1294
	v_mov_b64_e32 v[54:55], v[18:19]
	v_mov_b64_e32 v[52:53], v[16:17]
	;; [unrolled: 1-line block ×6, first 2 shown]
	scratch_store_dwordx4 off, v[8:11], off offset:3596 ; 16-byte Folded Spill
	s_nop 0
	scratch_store_dwordx4 off, v[12:15], off offset:3612 ; 16-byte Folded Spill
	scratch_store_dwordx4 off, v[16:19], off offset:3628 ; 16-byte Folded Spill
	;; [unrolled: 1-line block ×7, first 2 shown]
	v_mov_b32_e32 v20, v152
	v_mov_b32_e32 v21, v153
	;; [unrolled: 1-line block ×6, first 2 shown]
	scratch_store_dwordx4 off, v[8:11], off offset:3212 ; 16-byte Folded Spill
	s_nop 0
	scratch_store_dwordx4 off, v[12:15], off offset:3228 ; 16-byte Folded Spill
	scratch_store_dwordx4 off, v[16:19], off offset:3244 ; 16-byte Folded Spill
	;; [unrolled: 1-line block ×7, first 2 shown]
	ds_read2_b32 v[2:3], v254 offset0:14 offset1:15
	ds_read2_b32 v[4:5], v254 offset0:16 offset1:17
	;; [unrolled: 1-line block ×4, first 2 shown]
	v_mov_b32_e32 v28, v104
	s_waitcnt lgkmcnt(3)
	v_pk_fma_f32 v[196:197], v[0:1], v[2:3], v[168:169] op_sel_hi:[0,1,1] neg_lo:[1,0,0] neg_hi:[1,0,0]
	v_mov_b32_e32 v29, v105
	v_mov_b32_e32 v30, v106
	;; [unrolled: 1-line block ×13, first 2 shown]
	scratch_store_dwordx4 off, v[28:31], off offset:2564 ; 16-byte Folded Spill
	s_nop 0
	scratch_store_dwordx4 off, v[32:35], off offset:2580 ; 16-byte Folded Spill
	scratch_store_dwordx4 off, v[36:39], off offset:2596 ; 16-byte Folded Spill
	;; [unrolled: 1-line block ×7, first 2 shown]
	s_waitcnt lgkmcnt(2)
	v_pk_fma_f32 v[102:103], v[0:1], v[4:5], v[170:171] op_sel_hi:[0,1,1] neg_lo:[1,0,0] neg_hi:[1,0,0]
	s_waitcnt lgkmcnt(1)
	v_pk_fma_f32 v[74:75], v[0:1], v[8:9], v[172:173] op_sel_hi:[0,1,1] neg_lo:[1,0,0] neg_hi:[1,0,0]
	;; [unrolled: 2-line block ×3, first 2 shown]
	v_mov_b32_e32 v8, v104
	v_mov_b32_e32 v9, v105
	;; [unrolled: 1-line block ×30, first 2 shown]
	v_mov_b64_e32 v[12:13], v[44:45]
	v_mov_b64_e32 v[22:23], v[54:55]
	;; [unrolled: 1-line block ×6, first 2 shown]
	v_mov_b32_e32 v38, v22
	v_mov_b32_e32 v39, v23
	;; [unrolled: 1-line block ×6, first 2 shown]
	scratch_store_dwordx4 off, v[28:31], off offset:1924 ; 16-byte Folded Spill
	s_nop 0
	scratch_store_dwordx4 off, v[32:35], off offset:1940 ; 16-byte Folded Spill
	scratch_store_dwordx4 off, v[36:39], off offset:1956 ; 16-byte Folded Spill
	;; [unrolled: 1-line block ×7, first 2 shown]
	v_mov_b32_e32 v44, v102
	v_mov_b32_e32 v46, v74
	;; [unrolled: 1-line block ×7, first 2 shown]
	v_mov_b64_e32 v[174:175], v[22:23]
	v_mov_b32_e32 v66, v22
	v_mov_b32_e32 v67, v23
	;; [unrolled: 1-line block ×4, first 2 shown]
	v_mov_b64_e32 v[172:173], v[20:21]
	v_mov_b64_e32 v[170:171], v[18:19]
	;; [unrolled: 1-line block ×5, first 2 shown]
	v_mov_b32_e32 v12, v108
	v_mov_b32_e32 v13, v0
	;; [unrolled: 1-line block ×14, first 2 shown]
	scratch_store_dwordx4 off, v[28:31], off offset:1668 ; 16-byte Folded Spill
	s_nop 0
	scratch_store_dwordx4 off, v[32:35], off offset:1684 ; 16-byte Folded Spill
	scratch_store_dwordx4 off, v[36:39], off offset:1700 ; 16-byte Folded Spill
	;; [unrolled: 1-line block ×7, first 2 shown]
	v_mov_b32_e32 v38, v174
	v_mov_b32_e32 v39, v175
	v_mov_b32_e32 v44, v102
	v_mov_b32_e32 v45, v103
	v_mov_b32_e32 v46, v74
	v_mov_b32_e32 v48, v218
	v_mov_b32_e32 v49, v219
	scratch_store_dwordx4 off, v[28:31], off offset:1284 ; 16-byte Folded Spill
	s_nop 0
	scratch_store_dwordx4 off, v[32:35], off offset:1300 ; 16-byte Folded Spill
	scratch_store_dwordx4 off, v[36:39], off offset:1316 ; 16-byte Folded Spill
	;; [unrolled: 1-line block ×7, first 2 shown]
	ds_read2_b32 v[2:3], v254 offset0:22 offset1:23
	v_mov_b32_e32 v32, v104
	v_mov_b32_e32 v33, v105
	;; [unrolled: 1-line block ×4, first 2 shown]
	s_waitcnt lgkmcnt(0)
	v_pk_fma_f32 v[54:55], v[0:1], v[2:3], v[176:177] op_sel_hi:[0,1,1] neg_lo:[1,0,0] neg_hi:[1,0,0]
	v_mov_b32_e32 v36, v108
	v_mov_b32_e32 v37, v0
	;; [unrolled: 1-line block ×8, first 2 shown]
	scratch_store_dwordx4 off, v[8:11], off offset:1028 ; 16-byte Folded Spill
	s_nop 0
	scratch_store_dwordx4 off, v[12:15], off offset:1044 ; 16-byte Folded Spill
	scratch_store_dwordx4 off, v[16:19], off offset:1060 ; 16-byte Folded Spill
	;; [unrolled: 1-line block ×7, first 2 shown]
	v_mov_b32_e32 v0, v104
	v_mov_b32_e32 v1, v105
	;; [unrolled: 1-line block ×36, first 2 shown]
	scratch_store_dwordx4 off, v[0:3], off offset:900 ; 16-byte Folded Spill
	s_nop 0
	scratch_store_dwordx4 off, v[4:7], off offset:916 ; 16-byte Folded Spill
	scratch_store_dwordx4 off, v[8:11], off offset:932 ; 16-byte Folded Spill
	;; [unrolled: 1-line block ×7, first 2 shown]
	scratch_store_dwordx4 off, v[104:107], s2 ; 16-byte Folded Spill
	s_nop 0
	scratch_store_dwordx4 off, v[108:111], s2 offset:16 ; 16-byte Folded Spill
	scratch_store_dwordx4 off, v[112:115], s2 offset:32 ; 16-byte Folded Spill
	;; [unrolled: 1-line block ×7, first 2 shown]
	v_mov_b64_e32 v[0:1], v[164:165]
	s_movk_i32 s2, 0x1214
	v_mov_b64_e32 v[2:3], v[166:167]
	v_mov_b64_e32 v[4:5], v[168:169]
	;; [unrolled: 1-line block ×5, first 2 shown]
	v_mov_b32_e32 v170, v102
	v_mov_b32_e32 v171, v103
	;; [unrolled: 1-line block ×18, first 2 shown]
	scratch_store_dwordx4 off, v[76:79], s2 ; 16-byte Folded Spill
	s_nop 0
	scratch_store_dwordx4 off, v[80:83], s2 offset:16 ; 16-byte Folded Spill
	scratch_store_dwordx4 off, v[84:87], s2 offset:32 ; 16-byte Folded Spill
	;; [unrolled: 1-line block ×7, first 2 shown]
	v_mov_b32_e32 v78, v228
	scratch_store_dwordx4 off, v[220:223], off offset:3980 ; 16-byte Folded Spill
	s_nop 0
	scratch_store_dwordx4 off, v[224:227], off offset:3996 ; 16-byte Folded Spill
	scratch_store_dwordx4 off, v[228:231], off offset:4012 ; 16-byte Folded Spill
	scratch_store_dwordx4 off, v[232:235], off offset:4028 ; 16-byte Folded Spill
	scratch_store_dwordx4 off, v[236:239], off offset:4044 ; 16-byte Folded Spill
	scratch_store_dwordx4 off, v[240:243], off offset:4060 ; 16-byte Folded Spill
	scratch_store_dwordx4 off, v[244:247], off offset:4076 ; 16-byte Folded Spill
	scratch_store_dwordx4 off, v[248:251], off offset:4092 ; 16-byte Folded Spill
	v_mov_b32_e32 v80, v152
	v_mov_b32_e32 v84, v196
	;; [unrolled: 1-line block ×3, first 2 shown]
	v_mov_b64_e32 v[242:243], v[54:55]
	v_mov_b64_e32 v[240:241], v[52:53]
	;; [unrolled: 1-line block ×4, first 2 shown]
	v_mov_b32_e32 v79, v83
	v_mov_b32_e32 v77, v229
	v_mov_b64_e32 v[234:235], v[46:47]
	v_mov_b64_e32 v[232:233], v[44:45]
	;; [unrolled: 1-line block ×8, first 2 shown]
	scratch_store_dwordx4 off, v[2:5], off offset:388 ; 16-byte Folded Spill
	s_nop 0
	scratch_store_dwordx4 off, v[6:9], off offset:404 ; 16-byte Folded Spill
	scratch_store_dwordx4 off, v[10:13], off offset:420 ; 16-byte Folded Spill
	scratch_store_dwordx4 off, v[14:17], off offset:436 ; 16-byte Folded Spill
	scratch_store_dwordx4 off, v[18:21], off offset:452 ; 16-byte Folded Spill
	scratch_store_dwordx4 off, v[22:25], off offset:468 ; 16-byte Folded Spill
	scratch_store_dwordx4 off, v[26:29], off offset:484 ; 16-byte Folded Spill
	scratch_store_dwordx4 off, v[30:33], off offset:500 ; 16-byte Folded Spill
	scratch_store_dwordx4 off, v[0:3], off offset:3724 ; 16-byte Folded Spill
	s_nop 0
	scratch_store_dwordx4 off, v[4:7], off offset:3740 ; 16-byte Folded Spill
	scratch_store_dwordx4 off, v[8:11], off offset:3756 ; 16-byte Folded Spill
	scratch_store_dwordx4 off, v[12:15], off offset:3772 ; 16-byte Folded Spill
	scratch_store_dwordx4 off, v[16:19], off offset:3788 ; 16-byte Folded Spill
	scratch_store_dwordx4 off, v[20:23], off offset:3804 ; 16-byte Folded Spill
	scratch_store_dwordx4 off, v[24:27], off offset:3820 ; 16-byte Folded Spill
	scratch_store_dwordx4 off, v[28:31], off offset:3836 ; 16-byte Folded Spill
	scratch_store_dwordx4 off, v[140:143], off offset:3084 ; 16-byte Folded Spill
	s_nop 0
	scratch_store_dwordx4 off, v[144:147], off offset:3100 ; 16-byte Folded Spill
	scratch_store_dwordx4 off, v[148:151], off offset:3116 ; 16-byte Folded Spill
	scratch_store_dwordx4 off, v[152:155], off offset:3132 ; 16-byte Folded Spill
	scratch_store_dwordx4 off, v[156:159], off offset:3148 ; 16-byte Folded Spill
	scratch_store_dwordx4 off, v[160:163], off offset:3164 ; 16-byte Folded Spill
	scratch_store_dwordx4 off, v[164:167], off offset:3180 ; 16-byte Folded Spill
	scratch_store_dwordx4 off, v[168:171], off offset:3196 ; 16-byte Folded Spill
	scratch_store_dwordx4 off, v[182:185], off offset:2308 ; 16-byte Folded Spill
	s_nop 0
	scratch_store_dwordx4 off, v[186:189], off offset:2324 ; 16-byte Folded Spill
	scratch_store_dwordx4 off, v[190:193], off offset:2340 ; 16-byte Folded Spill
	scratch_store_dwordx4 off, v[194:197], off offset:2356 ; 16-byte Folded Spill
	scratch_store_dwordx4 off, v[198:201], off offset:2372 ; 16-byte Folded Spill
	scratch_store_dwordx4 off, v[202:205], off offset:2388 ; 16-byte Folded Spill
	scratch_store_dwordx4 off, v[206:209], off offset:2404 ; 16-byte Folded Spill
	scratch_store_dwordx4 off, v[210:213], off offset:2420 ; 16-byte Folded Spill
	v_mov_b32_e32 v111, v153
	v_mov_b64_e32 v[140:141], v[154:155]
	v_mov_b64_e32 v[142:143], v[156:157]
	;; [unrolled: 1-line block ×14, first 2 shown]
	v_mov_b32_e32 v172, v102
	scratch_store_dwordx4 off, v[86:89], off offset:1796 ; 16-byte Folded Spill
	s_nop 0
	scratch_store_dwordx4 off, v[90:93], off offset:1812 ; 16-byte Folded Spill
	scratch_store_dwordx4 off, v[94:97], off offset:1828 ; 16-byte Folded Spill
	;; [unrolled: 1-line block ×7, first 2 shown]
	v_mov_b32_e32 v85, v197
	v_mov_b32_e32 v176, v138
	;; [unrolled: 1-line block ×4, first 2 shown]
	scratch_store_dwordx4 off, v[56:59], off offset:1540 ; 16-byte Folded Spill
	s_nop 0
	scratch_store_dwordx4 off, v[60:63], off offset:1556 ; 16-byte Folded Spill
	scratch_store_dwordx4 off, v[64:67], off offset:1572 ; 16-byte Folded Spill
	scratch_store_dwordx4 off, v[68:71], off offset:1588 ; 16-byte Folded Spill
	scratch_store_dwordx4 off, v[72:75], off offset:1604 ; 16-byte Folded Spill
	scratch_store_dwordx4 off, v[76:79], off offset:1620 ; 16-byte Folded Spill
	scratch_store_dwordx4 off, v[80:83], off offset:1636 ; 16-byte Folded Spill
	scratch_store_dwordx4 off, v[84:87], off offset:1652 ; 16-byte Folded Spill
	scratch_store_dwordx4 off, v[56:59], off offset:1412 ; 16-byte Folded Spill
	s_nop 0
	scratch_store_dwordx4 off, v[60:63], off offset:1428 ; 16-byte Folded Spill
	scratch_store_dwordx4 off, v[64:67], off offset:1444 ; 16-byte Folded Spill
	scratch_store_dwordx4 off, v[68:71], off offset:1460 ; 16-byte Folded Spill
	scratch_store_dwordx4 off, v[72:75], off offset:1476 ; 16-byte Folded Spill
	scratch_store_dwordx4 off, v[76:79], off offset:1492 ; 16-byte Folded Spill
	scratch_store_dwordx4 off, v[80:83], off offset:1508 ; 16-byte Folded Spill
	scratch_store_dwordx4 off, v[84:87], off offset:1524 ; 16-byte Folded Spill
	;; [unrolled: 9-line block ×4, first 2 shown]
	v_mov_b32_e32 v22, v242
	v_mov_b32_e32 v81, v167
	scratch_store_dwordx4 off, v[0:3], off offset:516 ; 16-byte Folded Spill
	s_nop 0
	scratch_store_dwordx4 off, v[4:7], off offset:532 ; 16-byte Folded Spill
	scratch_store_dwordx4 off, v[8:11], off offset:548 ; 16-byte Folded Spill
	;; [unrolled: 1-line block ×8, first 2 shown]
	s_nop 0
	scratch_store_dwordx4 off, v[118:121], off offset:660 ; 16-byte Folded Spill
	scratch_store_dwordx4 off, v[122:125], off offset:676 ; 16-byte Folded Spill
	;; [unrolled: 1-line block ×7, first 2 shown]
	v_mov_b32_e32 v173, v219
	v_mov_b32_e32 v37, v139
.LBB54_100:
	s_or_b64 exec, exec, s[0:1]
	v_lshl_add_u32 v28, v255, 2, v254
	s_waitcnt vmcnt(63) expcnt(7) lgkmcnt(15)
	s_barrier
	ds_write_b32 v28, v110
	s_waitcnt lgkmcnt(0)
	s_barrier
	ds_read_b32 v30, v254 offset:24
	s_cmp_lt_i32 s22, 8
	v_mov_b32_e32 v28, 6
	s_cbranch_scc1 .LBB54_103
; %bb.101:
	scratch_load_dword v0, off, off offset:2692 ; 4-byte Folded Reload
	v_mov_b32_e32 v28, 6
	s_mov_b32 s0, 7
	s_waitcnt vmcnt(0)
	v_add3_u32 v29, v0, 0, 28
.LBB54_102:                             ; =>This Inner Loop Header: Depth=1
	ds_read_b32 v31, v29
	v_add_u32_e32 v29, 4, v29
	s_waitcnt lgkmcnt(0)
	v_cmp_lt_f32_e64 vcc, |v30|, |v31|
	s_nop 1
	v_cndmask_b32_e32 v30, v30, v31, vcc
	v_mov_b32_e32 v31, s0
	s_add_i32 s0, s0, 1
	v_cndmask_b32_e32 v28, v28, v31, vcc
	s_cmp_lg_u32 s22, s0
	s_cbranch_scc1 .LBB54_102
.LBB54_103:
	s_waitcnt lgkmcnt(0)
	v_cmp_eq_f32_e32 vcc, 0, v30
	s_and_saveexec_b64 s[0:1], vcc
	s_xor_b64 s[0:1], exec, s[0:1]
	s_cbranch_execz .LBB54_105
; %bb.104:
	scratch_load_dword v0, off, off offset:132 ; 4-byte Folded Reload
	s_waitcnt vmcnt(0)
	v_cmp_ne_u32_e32 vcc, 0, v0
	s_nop 1
	v_cndmask_b32_e32 v0, 7, v0, vcc
	scratch_store_dword off, v0, off offset:132 ; 4-byte Folded Spill
.LBB54_105:
	s_andn2_saveexec_b64 s[0:1], s[0:1]
	s_cbranch_execz .LBB54_107
; %bb.106:
	v_div_scale_f32 v29, s[2:3], v30, v30, 1.0
	v_rcp_f32_e32 v31, v29
	v_div_scale_f32 v56, vcc, 1.0, v30, 1.0
	v_fma_f32 v57, -v29, v31, 1.0
	v_fmac_f32_e32 v31, v57, v31
	v_mul_f32_e32 v57, v56, v31
	v_fma_f32 v58, -v29, v57, v56
	v_fmac_f32_e32 v57, v58, v31
	v_fma_f32 v29, -v29, v57, v56
	v_div_fmas_f32 v29, v29, v31, v57
	v_div_fixup_f32 v30, v29, v30, 1.0
.LBB54_107:
	s_or_b64 exec, exec, s[0:1]
	v_cmp_ne_u32_e32 vcc, v255, v28
	s_and_saveexec_b64 s[0:1], vcc
	s_xor_b64 s[0:1], exec, s[0:1]
	s_cbranch_execz .LBB54_113
; %bb.108:
	v_cmp_eq_u32_e32 vcc, 6, v255
	s_and_saveexec_b64 s[2:3], vcc
	s_cbranch_execz .LBB54_112
; %bb.109:
	v_cmp_ne_u32_e32 vcc, 6, v28
	s_xor_b64 s[18:19], s[16:17], -1
	s_and_b64 s[20:21], s[18:19], vcc
	s_and_saveexec_b64 s[18:19], s[20:21]
	s_cbranch_execz .LBB54_111
; %bb.110:
	s_movk_i32 s20, 0x118c
	scratch_load_dwordx2 v[58:59], off, s20 ; 8-byte Folded Reload
	v_ashrrev_i32_e32 v29, 31, v28
	s_waitcnt vmcnt(0)
	v_lshl_add_u64 v[56:57], v[28:29], 2, v[58:59]
	global_load_dword v29, v[56:57], off
	global_load_dword v31, v[58:59], off offset:24
	s_waitcnt vmcnt(1)
	global_store_dword v[58:59], v29, off offset:24
	s_waitcnt vmcnt(1)
	global_store_dword v[56:57], v31, off
.LBB54_111:
	s_or_b64 exec, exec, s[18:19]
	v_mov_b32_e32 v29, v28
	v_mov_b32_e32 v255, v28
	scratch_store_dword off, v29, off offset:3080 ; 4-byte Folded Spill
.LBB54_112:
	s_or_b64 exec, exec, s[2:3]
.LBB54_113:
	s_andn2_saveexec_b64 s[0:1], s[0:1]
	s_cbranch_execz .LBB54_115
; %bb.114:
	v_mov_b32_e32 v255, 6
	ds_write2_b32 v254, v147, v148 offset0:7 offset1:8
	ds_write2_b32 v254, v149, v150 offset0:9 offset1:10
	ds_write2_b32 v254, v151, v152 offset0:11 offset1:12
	ds_write2_b32 v254, v153, v154 offset0:13 offset1:14
	ds_write2_b32 v254, v155, v156 offset0:15 offset1:16
	ds_write2_b32 v254, v157, v158 offset0:17 offset1:18
	ds_write2_b32 v254, v159, v160 offset0:19 offset1:20
	ds_write2_b32 v254, v161, v162 offset0:21 offset1:22
	ds_write2_b32 v254, v163, v164 offset0:23 offset1:24
	ds_write2_b32 v254, v165, v166 offset0:25 offset1:26
	ds_write_b32 v254, v81 offset:108
.LBB54_115:
	s_or_b64 exec, exec, s[0:1]
	v_cmp_lt_i32_e32 vcc, 6, v255
	s_waitcnt lgkmcnt(0)
	s_barrier
	s_and_saveexec_b64 s[0:1], vcc
	s_cbranch_execz .LBB54_117
; %bb.116:
	s_movk_i32 s2, 0x1294
	scratch_load_dwordx4 v[34:37], off, s2  ; 16-byte Folded Reload
	scratch_load_dwordx4 v[38:41], off, s2 offset:16 ; 16-byte Folded Reload
	scratch_load_dwordx4 v[42:45], off, s2 offset:32 ; 16-byte Folded Reload
	;; [unrolled: 1-line block ×7, first 2 shown]
	ds_read2_b32 v[0:1], v254 offset0:7 offset1:8
	ds_read2_b32 v[4:5], v254 offset0:9 offset1:10
	;; [unrolled: 1-line block ×4, first 2 shown]
	s_waitcnt vmcnt(6)
	v_mul_f32_e32 v40, v110, v30
	v_mov_b32_e32 v2, v147
	v_mov_b32_e32 v3, v148
	s_movk_i32 s2, 0x100c
	v_mov_b32_e32 v226, v40
	v_mov_b32_e32 v146, v40
	;; [unrolled: 1-line block ×3, first 2 shown]
	s_waitcnt lgkmcnt(3)
	v_pk_fma_f32 v[28:29], v[40:41], v[0:1], v[2:3] op_sel_hi:[0,1,1] neg_lo:[1,0,0] neg_hi:[1,0,0]
	v_mov_b32_e32 v0, v149
	v_mov_b32_e32 v1, v150
	s_waitcnt lgkmcnt(2)
	v_pk_fma_f32 v[30:31], v[40:41], v[4:5], v[0:1] op_sel_hi:[0,1,1] neg_lo:[1,0,0] neg_hi:[1,0,0]
	v_mov_b32_e32 v0, v151
	v_mov_b32_e32 v1, v152
	s_waitcnt vmcnt(2) lgkmcnt(1)
	v_pk_fma_f32 v[56:57], v[40:41], v[6:7], v[0:1] op_sel_hi:[0,1,1] neg_lo:[1,0,0] neg_hi:[1,0,0]
	v_mov_b32_e32 v0, v153
	v_mov_b32_e32 v1, v154
	s_waitcnt vmcnt(1) lgkmcnt(0)
	v_pk_fma_f32 v[58:59], v[40:41], v[32:33], v[0:1] op_sel_hi:[0,1,1] neg_lo:[1,0,0] neg_hi:[1,0,0]
	ds_read2_b32 v[0:1], v254 offset0:15 offset1:16
	ds_read2_b32 v[4:5], v254 offset0:17 offset1:18
	;; [unrolled: 1-line block ×4, first 2 shown]
	v_mov_b32_e32 v2, v155
	v_mov_b32_e32 v3, v156
	;; [unrolled: 1-line block ×3, first 2 shown]
	s_waitcnt lgkmcnt(3)
	v_pk_fma_f32 v[60:61], v[40:41], v[0:1], v[2:3] op_sel_hi:[0,1,1] neg_lo:[1,0,0] neg_hi:[1,0,0]
	v_mov_b32_e32 v0, v157
	v_mov_b32_e32 v1, v158
	s_waitcnt vmcnt(0) lgkmcnt(2)
	v_pk_fma_f32 v[62:63], v[40:41], v[4:5], v[0:1] op_sel_hi:[0,1,1] neg_lo:[1,0,0] neg_hi:[1,0,0]
	v_mov_b32_e32 v0, v159
	v_mov_b32_e32 v1, v160
	s_waitcnt lgkmcnt(1)
	v_pk_fma_f32 v[64:65], v[40:41], v[6:7], v[0:1] op_sel_hi:[0,1,1] neg_lo:[1,0,0] neg_hi:[1,0,0]
	v_mov_b32_e32 v0, v161
	v_mov_b32_e32 v1, v162
	s_waitcnt lgkmcnt(0)
	v_pk_fma_f32 v[66:67], v[40:41], v[8:9], v[0:1] op_sel_hi:[0,1,1] neg_lo:[1,0,0] neg_hi:[1,0,0]
	ds_read2_b32 v[0:1], v254 offset0:23 offset1:24
	ds_read2_b32 v[4:5], v254 offset0:25 offset1:26
	ds_read_b32 v6, v254 offset:108
	v_mov_b32_e32 v2, v163
	v_mov_b32_e32 v3, v164
	;; [unrolled: 1-line block ×3, first 2 shown]
	s_waitcnt lgkmcnt(2)
	v_pk_fma_f32 v[68:69], v[40:41], v[0:1], v[2:3] op_sel_hi:[0,1,1] neg_lo:[1,0,0] neg_hi:[1,0,0]
	v_mov_b32_e32 v0, v165
	v_mov_b32_e32 v1, v166
	s_waitcnt lgkmcnt(1)
	v_pk_fma_f32 v[252:253], v[40:41], v[4:5], v[0:1] op_sel_hi:[0,1,1] neg_lo:[1,0,0] neg_hi:[1,0,0]
	s_waitcnt lgkmcnt(0)
	v_fma_f32 v167, -v40, v6, v81
	v_mov_b32_e32 v0, v34
	v_mov_b32_e32 v1, v35
	;; [unrolled: 1-line block ×9, first 2 shown]
	scratch_store_dwordx4 off, v[0:3], off offset:3980 ; 16-byte Folded Spill
	s_nop 0
	scratch_store_dwordx4 off, v[4:7], off offset:3996 ; 16-byte Folded Spill
	scratch_store_dwordx4 off, v[8:11], off offset:4012 ; 16-byte Folded Spill
	;; [unrolled: 1-line block ×7, first 2 shown]
	v_mov_b32_e32 v222, v36
	v_mov_b32_e32 v223, v37
	;; [unrolled: 1-line block ×43, first 2 shown]
	scratch_store_dwordx4 off, v[0:3], s2   ; 16-byte Folded Spill
	s_nop 0
	scratch_store_dwordx4 off, v[4:7], s2 offset:16 ; 16-byte Folded Spill
	scratch_store_dwordx4 off, v[8:11], s2 offset:32 ; 16-byte Folded Spill
	;; [unrolled: 1-line block ×7, first 2 shown]
	s_movk_i32 s2, 0x1194
	v_mov_b32_e32 v10, v31
	scratch_store_dwordx4 off, v[0:3], off offset:3724 ; 16-byte Folded Spill
	s_nop 0
	scratch_store_dwordx4 off, v[4:7], off offset:3740 ; 16-byte Folded Spill
	scratch_store_dwordx4 off, v[8:11], off offset:3756 ; 16-byte Folded Spill
	scratch_store_dwordx4 off, v[12:15], off offset:3772 ; 16-byte Folded Spill
	scratch_store_dwordx4 off, v[16:19], off offset:3788 ; 16-byte Folded Spill
	scratch_store_dwordx4 off, v[20:23], off offset:3804 ; 16-byte Folded Spill
	scratch_store_dwordx4 off, v[24:27], off offset:3820 ; 16-byte Folded Spill
	scratch_store_dwordx4 off, v[28:31], off offset:3836 ; 16-byte Folded Spill
	v_mov_b32_e32 v11, v56
	scratch_store_dwordx4 off, v[0:3], off offset:3596 ; 16-byte Folded Spill
	s_nop 0
	scratch_store_dwordx4 off, v[4:7], off offset:3612 ; 16-byte Folded Spill
	scratch_store_dwordx4 off, v[8:11], off offset:3628 ; 16-byte Folded Spill
	scratch_store_dwordx4 off, v[12:15], off offset:3644 ; 16-byte Folded Spill
	scratch_store_dwordx4 off, v[16:19], off offset:3660 ; 16-byte Folded Spill
	scratch_store_dwordx4 off, v[20:23], off offset:3676 ; 16-byte Folded Spill
	scratch_store_dwordx4 off, v[24:27], off offset:3692 ; 16-byte Folded Spill
	scratch_store_dwordx4 off, v[28:31], off offset:3708 ; 16-byte Folded Spill
	;; [unrolled: 10-line block ×12, first 2 shown]
	v_mov_b32_e32 v22, v67
	v_mov_b32_e32 v23, v68
	v_mov_b32_e32 v227, v28
	v_mov_b32_e32 v228, v29
	v_mov_b32_e32 v229, v30
	v_mov_b32_e32 v230, v31
	scratch_store_dwordx4 off, v[0:3], off offset:1028 ; 16-byte Folded Spill
	s_nop 0
	scratch_store_dwordx4 off, v[4:7], off offset:1044 ; 16-byte Folded Spill
	scratch_store_dwordx4 off, v[8:11], off offset:1060 ; 16-byte Folded Spill
	;; [unrolled: 1-line block ×7, first 2 shown]
	s_nop 0
	v_mov_b32_e32 v24, v69
	scratch_store_dwordx4 off, v[0:3], off offset:644 ; 16-byte Folded Spill
	s_nop 0
	scratch_store_dwordx4 off, v[4:7], off offset:660 ; 16-byte Folded Spill
	scratch_store_dwordx4 off, v[8:11], off offset:676 ; 16-byte Folded Spill
	;; [unrolled: 1-line block ×7, first 2 shown]
	s_nop 0
	v_mov_b32_e32 v25, v252
	scratch_store_dwordx4 off, v[0:3], off offset:900 ; 16-byte Folded Spill
	s_nop 0
	scratch_store_dwordx4 off, v[4:7], off offset:916 ; 16-byte Folded Spill
	scratch_store_dwordx4 off, v[8:11], off offset:932 ; 16-byte Folded Spill
	;; [unrolled: 1-line block ×7, first 2 shown]
	scratch_store_dwordx4 off, v[34:37], s2 ; 16-byte Folded Spill
	s_nop 0
	scratch_store_dwordx4 off, v[38:41], s2 offset:16 ; 16-byte Folded Spill
	scratch_store_dwordx4 off, v[42:45], s2 offset:32 ; 16-byte Folded Spill
	;; [unrolled: 1-line block ×7, first 2 shown]
	s_movk_i32 s2, 0x1214
	scratch_store_dwordx4 off, v[34:37], s2 ; 16-byte Folded Spill
	s_nop 0
	scratch_store_dwordx4 off, v[38:41], s2 offset:16 ; 16-byte Folded Spill
	scratch_store_dwordx4 off, v[42:45], s2 offset:32 ; 16-byte Folded Spill
	;; [unrolled: 1-line block ×7, first 2 shown]
	v_mov_b32_e32 v147, v28
	v_mov_b32_e32 v148, v29
	;; [unrolled: 1-line block ×7, first 2 shown]
	scratch_store_dwordx4 off, v[0:3], off offset:388 ; 16-byte Folded Spill
	s_nop 0
	scratch_store_dwordx4 off, v[4:7], off offset:404 ; 16-byte Folded Spill
	scratch_store_dwordx4 off, v[8:11], off offset:420 ; 16-byte Folded Spill
	;; [unrolled: 1-line block ×7, first 2 shown]
	v_mov_b32_e32 v37, v252
	scratch_store_dwordx4 off, v[0:3], off offset:1412 ; 16-byte Folded Spill
	s_nop 0
	scratch_store_dwordx4 off, v[4:7], off offset:1428 ; 16-byte Folded Spill
	scratch_store_dwordx4 off, v[8:11], off offset:1444 ; 16-byte Folded Spill
	;; [unrolled: 1-line block ×8, first 2 shown]
	s_nop 0
	scratch_store_dwordx4 off, v[4:7], off offset:276 ; 16-byte Folded Spill
	scratch_store_dwordx4 off, v[8:11], off offset:292 ; 16-byte Folded Spill
	;; [unrolled: 1-line block ×7, first 2 shown]
	v_mov_b32_e32 v80, v57
	v_mov_b32_e32 v111, v58
	;; [unrolled: 1-line block ×7, first 2 shown]
	scratch_store_dwordx4 off, v[0:3], off offset:516 ; 16-byte Folded Spill
	s_nop 0
	scratch_store_dwordx4 off, v[4:7], off offset:532 ; 16-byte Folded Spill
	scratch_store_dwordx4 off, v[8:11], off offset:548 ; 16-byte Folded Spill
	;; [unrolled: 1-line block ×7, first 2 shown]
.LBB54_117:
	s_or_b64 exec, exec, s[0:1]
	s_nop 0
	v_lshl_add_u32 v28, v255, 2, v254
	s_waitcnt vmcnt(63) expcnt(7) lgkmcnt(15)
	s_barrier
	ds_write_b32 v28, v79
	s_waitcnt lgkmcnt(0)
	s_barrier
	ds_read_b32 v30, v254 offset:28
	s_cmp_lt_i32 s22, 9
	v_mov_b32_e32 v28, 7
	s_cbranch_scc1 .LBB54_120
; %bb.118:
	scratch_load_dword v0, off, off offset:2692 ; 4-byte Folded Reload
	v_mov_b32_e32 v28, 7
	s_mov_b32 s0, 8
	s_waitcnt vmcnt(0)
	v_add3_u32 v29, v0, 0, 32
.LBB54_119:                             ; =>This Inner Loop Header: Depth=1
	ds_read_b32 v31, v29
	v_add_u32_e32 v29, 4, v29
	s_waitcnt lgkmcnt(0)
	v_cmp_lt_f32_e64 vcc, |v30|, |v31|
	s_nop 1
	v_cndmask_b32_e32 v30, v30, v31, vcc
	v_mov_b32_e32 v31, s0
	s_add_i32 s0, s0, 1
	v_cndmask_b32_e32 v28, v28, v31, vcc
	s_cmp_lg_u32 s22, s0
	s_cbranch_scc1 .LBB54_119
.LBB54_120:
	s_waitcnt lgkmcnt(0)
	v_cmp_eq_f32_e32 vcc, 0, v30
	s_and_saveexec_b64 s[0:1], vcc
	s_xor_b64 s[0:1], exec, s[0:1]
	s_cbranch_execz .LBB54_122
; %bb.121:
	scratch_load_dword v0, off, off offset:132 ; 4-byte Folded Reload
	s_waitcnt vmcnt(0)
	v_cmp_ne_u32_e32 vcc, 0, v0
	s_nop 1
	v_cndmask_b32_e32 v0, 8, v0, vcc
	scratch_store_dword off, v0, off offset:132 ; 4-byte Folded Spill
.LBB54_122:
	s_andn2_saveexec_b64 s[0:1], s[0:1]
	s_cbranch_execz .LBB54_124
; %bb.123:
	v_div_scale_f32 v29, s[2:3], v30, v30, 1.0
	v_rcp_f32_e32 v31, v29
	v_div_scale_f32 v56, vcc, 1.0, v30, 1.0
	v_fma_f32 v57, -v29, v31, 1.0
	v_fmac_f32_e32 v31, v57, v31
	v_mul_f32_e32 v57, v56, v31
	v_fma_f32 v58, -v29, v57, v56
	v_fmac_f32_e32 v57, v58, v31
	v_fma_f32 v29, -v29, v57, v56
	v_div_fmas_f32 v29, v29, v31, v57
	v_div_fixup_f32 v30, v29, v30, 1.0
.LBB54_124:
	s_or_b64 exec, exec, s[0:1]
	v_cmp_ne_u32_e32 vcc, v255, v28
	s_and_saveexec_b64 s[0:1], vcc
	s_xor_b64 s[0:1], exec, s[0:1]
	s_cbranch_execz .LBB54_130
; %bb.125:
	v_cmp_eq_u32_e32 vcc, 7, v255
	s_and_saveexec_b64 s[2:3], vcc
	s_cbranch_execz .LBB54_129
; %bb.126:
	v_cmp_ne_u32_e32 vcc, 7, v28
	s_xor_b64 s[18:19], s[16:17], -1
	s_and_b64 s[20:21], s[18:19], vcc
	s_and_saveexec_b64 s[18:19], s[20:21]
	s_cbranch_execz .LBB54_128
; %bb.127:
	s_movk_i32 s20, 0x118c
	scratch_load_dwordx2 v[58:59], off, s20 ; 8-byte Folded Reload
	v_ashrrev_i32_e32 v29, 31, v28
	s_waitcnt vmcnt(0)
	v_lshl_add_u64 v[56:57], v[28:29], 2, v[58:59]
	global_load_dword v29, v[56:57], off
	global_load_dword v31, v[58:59], off offset:28
	s_waitcnt vmcnt(1)
	global_store_dword v[58:59], v29, off offset:28
	s_waitcnt vmcnt(1)
	global_store_dword v[56:57], v31, off
.LBB54_128:
	s_or_b64 exec, exec, s[18:19]
	v_mov_b32_e32 v29, v28
	v_mov_b32_e32 v255, v28
	scratch_store_dword off, v29, off offset:3080 ; 4-byte Folded Spill
.LBB54_129:
	s_or_b64 exec, exec, s[2:3]
.LBB54_130:
	s_andn2_saveexec_b64 s[0:1], s[0:1]
	s_cbranch_execz .LBB54_132
; %bb.131:
	v_mov_b32_e32 v255, 7
	ds_write2_b32 v254, v148, v149 offset0:8 offset1:9
	ds_write2_b32 v254, v150, v151 offset0:10 offset1:11
	;; [unrolled: 1-line block ×10, first 2 shown]
.LBB54_132:
	s_or_b64 exec, exec, s[0:1]
	v_cmp_lt_i32_e32 vcc, 7, v255
	s_waitcnt lgkmcnt(0)
	s_barrier
	s_and_saveexec_b64 s[0:1], vcc
	s_cbranch_execz .LBB54_134
; %bb.133:
	v_mul_f32_e32 v0, v79, v30
	ds_read2_b32 v[6:7], v254 offset0:8 offset1:9
	ds_read2_b32 v[28:29], v254 offset0:10 offset1:11
	;; [unrolled: 1-line block ×5, first 2 shown]
	v_mov_b64_e32 v[180:181], v[166:167]
	v_mov_b64_e32 v[178:179], v[164:165]
	;; [unrolled: 1-line block ×8, first 2 shown]
	s_movk_i32 s2, 0x1214
	s_waitcnt lgkmcnt(4)
	v_pk_fma_f32 v[42:43], v[0:1], v[6:7], v[148:149] op_sel_hi:[0,1,1] neg_lo:[1,0,0] neg_hi:[1,0,0]
	s_waitcnt lgkmcnt(3)
	v_pk_fma_f32 v[150:151], v[0:1], v[28:29], v[150:151] op_sel_hi:[0,1,1] neg_lo:[1,0,0] neg_hi:[1,0,0]
	;; [unrolled: 2-line block ×3, first 2 shown]
	ds_read2_b32 v[6:7], v254 offset0:24 offset1:25
	scratch_load_dwordx4 v[8:11], off, s2   ; 16-byte Folded Reload
	scratch_load_dwordx4 v[12:15], off, s2 offset:16 ; 16-byte Folded Reload
	scratch_load_dwordx4 v[16:19], off, s2 offset:32 ; 16-byte Folded Reload
	;; [unrolled: 1-line block ×7, first 2 shown]
	s_waitcnt vmcnt(5)
	v_mov_b64_e32 v[16:17], v[42:43]
	v_mov_b32_e32 v15, v0
	s_movk_i32 s2, 0x100c
	s_waitcnt lgkmcnt(1)
	v_pk_fma_f32 v[196:197], v[0:1], v[2:3], v[168:169] op_sel_hi:[0,1,1] neg_lo:[1,0,0] neg_hi:[1,0,0]
	v_mov_b32_e32 v40, v232
	v_mov_b32_e32 v41, v233
	;; [unrolled: 1-line block ×4, first 2 shown]
	v_pk_fma_f32 v[180:181], v[0:1], v[4:5], v[180:181] op_sel_hi:[0,1,1] neg_lo:[1,0,0] neg_hi:[1,0,0]
	s_waitcnt lgkmcnt(0)
	v_pk_fma_f32 v[138:139], v[0:1], v[6:7], v[178:179] op_sel_hi:[0,1,1] neg_lo:[1,0,0] neg_hi:[1,0,0]
	v_mov_b32_e32 v83, v0
	v_mov_b32_e32 v147, v0
	;; [unrolled: 1-line block ×41, first 2 shown]
	v_mov_b64_e32 v[66:67], v[16:17]
	v_mov_b32_e32 v81, v13
	v_mov_b32_e32 v80, v12
	;; [unrolled: 1-line block ×6, first 2 shown]
	v_mov_b64_e32 v[64:65], v[14:15]
	v_mov_b64_e32 v[62:63], v[12:13]
	;; [unrolled: 1-line block ×4, first 2 shown]
	scratch_store_dwordx4 off, v[8:11], s2  ; 16-byte Folded Spill
	s_nop 0
	scratch_store_dwordx4 off, v[12:15], s2 offset:16 ; 16-byte Folded Spill
	scratch_store_dwordx4 off, v[16:19], s2 offset:32 ; 16-byte Folded Spill
	s_waitcnt vmcnt(7)
	scratch_store_dwordx4 off, v[20:23], s2 offset:48 ; 16-byte Folded Spill
	s_waitcnt vmcnt(7)
	;; [unrolled: 2-line block ×5, first 2 shown]
	scratch_store_dwordx4 off, v[36:39], s2 offset:112 ; 16-byte Folded Spill
	v_mov_b32_e32 v18, v150
	v_mov_b32_e32 v19, v151
	;; [unrolled: 1-line block ×21, first 2 shown]
	s_movk_i32 s2, 0x1194
	v_mov_b32_e32 v140, v76
	v_mov_b32_e32 v141, v77
	;; [unrolled: 1-line block ×32, first 2 shown]
	scratch_store_dwordx4 off, v[8:11], off offset:3596 ; 16-byte Folded Spill
	s_nop 0
	scratch_store_dwordx4 off, v[12:15], off offset:3612 ; 16-byte Folded Spill
	scratch_store_dwordx4 off, v[16:19], off offset:3628 ; 16-byte Folded Spill
	scratch_store_dwordx4 off, v[20:23], off offset:3644 ; 16-byte Folded Spill
	scratch_store_dwordx4 off, v[24:27], off offset:3660 ; 16-byte Folded Spill
	scratch_store_dwordx4 off, v[28:31], off offset:3676 ; 16-byte Folded Spill
	scratch_store_dwordx4 off, v[32:35], off offset:3692 ; 16-byte Folded Spill
	scratch_store_dwordx4 off, v[36:39], off offset:3708 ; 16-byte Folded Spill
	v_mov_b32_e32 v20, v232
	v_mov_b32_e32 v21, v233
	;; [unrolled: 1-line block ×9, first 2 shown]
	scratch_store_dwordx4 off, v[8:11], off offset:3212 ; 16-byte Folded Spill
	s_nop 0
	scratch_store_dwordx4 off, v[12:15], off offset:3228 ; 16-byte Folded Spill
	scratch_store_dwordx4 off, v[16:19], off offset:3244 ; 16-byte Folded Spill
	;; [unrolled: 1-line block ×7, first 2 shown]
	v_mov_b32_e32 v28, v76
	v_mov_b32_e32 v29, v77
	;; [unrolled: 1-line block ×12, first 2 shown]
	scratch_store_dwordx4 off, v[28:31], off offset:2564 ; 16-byte Folded Spill
	s_nop 0
	scratch_store_dwordx4 off, v[32:35], off offset:2580 ; 16-byte Folded Spill
	scratch_store_dwordx4 off, v[36:39], off offset:2596 ; 16-byte Folded Spill
	scratch_store_dwordx4 off, v[40:43], off offset:2612 ; 16-byte Folded Spill
	scratch_store_dwordx4 off, v[44:47], off offset:2628 ; 16-byte Folded Spill
	scratch_store_dwordx4 off, v[48:51], off offset:2644 ; 16-byte Folded Spill
	scratch_store_dwordx4 off, v[52:55], off offset:2660 ; 16-byte Folded Spill
	scratch_store_dwordx4 off, v[56:59], off offset:2676 ; 16-byte Folded Spill
	ds_read2_b32 v[2:3], v254 offset0:16 offset1:17
	ds_read2_b32 v[4:5], v254 offset0:18 offset1:19
	;; [unrolled: 1-line block ×4, first 2 shown]
	v_mov_b32_e32 v12, v80
	s_waitcnt lgkmcnt(3)
	v_pk_fma_f32 v[102:103], v[0:1], v[2:3], v[170:171] op_sel_hi:[0,1,1] neg_lo:[1,0,0] neg_hi:[1,0,0]
	v_mov_b32_e32 v44, v102
	v_mov_b32_e32 v45, v103
	s_waitcnt lgkmcnt(2)
	v_pk_fma_f32 v[74:75], v[0:1], v[4:5], v[172:173] op_sel_hi:[0,1,1] neg_lo:[1,0,0] neg_hi:[1,0,0]
	s_waitcnt lgkmcnt(1)
	v_pk_fma_f32 v[218:219], v[0:1], v[8:9], v[174:175] op_sel_hi:[0,1,1] neg_lo:[1,0,0] neg_hi:[1,0,0]
	v_mov_b32_e32 v8, v76
	v_mov_b32_e32 v9, v77
	;; [unrolled: 1-line block ×30, first 2 shown]
	v_mov_b64_e32 v[170:171], v[66:67]
	v_mov_b64_e32 v[168:169], v[64:65]
	;; [unrolled: 1-line block ×5, first 2 shown]
	scratch_store_dwordx4 off, v[28:31], off offset:1924 ; 16-byte Folded Spill
	s_nop 0
	scratch_store_dwordx4 off, v[32:35], off offset:1940 ; 16-byte Folded Spill
	scratch_store_dwordx4 off, v[36:39], off offset:1956 ; 16-byte Folded Spill
	;; [unrolled: 1-line block ×7, first 2 shown]
	v_mov_b32_e32 v36, v170
	v_mov_b32_e32 v37, v171
	;; [unrolled: 1-line block ×22, first 2 shown]
	scratch_store_dwordx4 off, v[28:31], off offset:1668 ; 16-byte Folded Spill
	s_nop 0
	scratch_store_dwordx4 off, v[32:35], off offset:1684 ; 16-byte Folded Spill
	scratch_store_dwordx4 off, v[36:39], off offset:1700 ; 16-byte Folded Spill
	;; [unrolled: 1-line block ×7, first 2 shown]
	v_mov_b32_e32 v48, v218
	v_mov_b32_e32 v49, v219
	scratch_store_dwordx4 off, v[28:31], off offset:1284 ; 16-byte Folded Spill
	s_nop 0
	scratch_store_dwordx4 off, v[32:35], off offset:1300 ; 16-byte Folded Spill
	scratch_store_dwordx4 off, v[36:39], off offset:1316 ; 16-byte Folded Spill
	;; [unrolled: 1-line block ×7, first 2 shown]
	s_waitcnt lgkmcnt(0)
	v_pk_fma_f32 v[54:55], v[0:1], v[10:11], v[176:177] op_sel_hi:[0,1,1] neg_lo:[1,0,0] neg_hi:[1,0,0]
	v_mov_b32_e32 v32, v76
	v_mov_b32_e32 v33, v77
	;; [unrolled: 1-line block ×14, first 2 shown]
	scratch_store_dwordx4 off, v[8:11], off offset:1028 ; 16-byte Folded Spill
	s_nop 0
	scratch_store_dwordx4 off, v[12:15], off offset:1044 ; 16-byte Folded Spill
	scratch_store_dwordx4 off, v[16:19], off offset:1060 ; 16-byte Folded Spill
	;; [unrolled: 1-line block ×7, first 2 shown]
	v_mov_b32_e32 v0, v76
	v_mov_b32_e32 v1, v77
	;; [unrolled: 1-line block ×26, first 2 shown]
	scratch_store_dwordx4 off, v[0:3], off offset:900 ; 16-byte Folded Spill
	s_nop 0
	scratch_store_dwordx4 off, v[4:7], off offset:916 ; 16-byte Folded Spill
	scratch_store_dwordx4 off, v[8:11], off offset:932 ; 16-byte Folded Spill
	;; [unrolled: 1-line block ×7, first 2 shown]
	v_mov_b64_e32 v[0:1], v[162:163]
	v_mov_b64_e32 v[2:3], v[164:165]
	;; [unrolled: 1-line block ×5, first 2 shown]
	v_mov_b32_e32 v166, v232
	v_mov_b32_e32 v167, v233
	scratch_store_dwordx4 off, v[220:223], off offset:3084 ; 16-byte Folded Spill
	s_nop 0
	scratch_store_dwordx4 off, v[224:227], off offset:3100 ; 16-byte Folded Spill
	scratch_store_dwordx4 off, v[228:231], off offset:3116 ; 16-byte Folded Spill
	;; [unrolled: 1-line block ×7, first 2 shown]
	v_mov_b32_e32 v228, v8
	v_mov_b32_e32 v227, v7
	;; [unrolled: 1-line block ×19, first 2 shown]
	scratch_store_dwordx4 off, v[76:79], s2 ; 16-byte Folded Spill
	s_nop 0
	scratch_store_dwordx4 off, v[80:83], s2 offset:16 ; 16-byte Folded Spill
	scratch_store_dwordx4 off, v[84:87], s2 offset:32 ; 16-byte Folded Spill
	;; [unrolled: 1-line block ×7, first 2 shown]
	scratch_store_dwordx4 off, v[220:223], off offset:3980 ; 16-byte Folded Spill
	s_nop 0
	scratch_store_dwordx4 off, v[224:227], off offset:3996 ; 16-byte Folded Spill
	scratch_store_dwordx4 off, v[228:231], off offset:4012 ; 16-byte Folded Spill
	scratch_store_dwordx4 off, v[232:235], off offset:4028 ; 16-byte Folded Spill
	scratch_store_dwordx4 off, v[236:239], off offset:4044 ; 16-byte Folded Spill
	scratch_store_dwordx4 off, v[240:243], off offset:4060 ; 16-byte Folded Spill
	scratch_store_dwordx4 off, v[244:247], off offset:4076 ; 16-byte Folded Spill
	scratch_store_dwordx4 off, v[248:251], off offset:4092 ; 16-byte Folded Spill
	v_mov_b32_e32 v42, v150
	v_mov_b32_e32 v43, v151
	;; [unrolled: 1-line block ×4, first 2 shown]
	v_mov_b64_e32 v[234:235], v[46:47]
	scratch_store_dwordx4 off, v[0:3], off offset:388 ; 16-byte Folded Spill
	s_nop 0
	scratch_store_dwordx4 off, v[4:7], off offset:404 ; 16-byte Folded Spill
	scratch_store_dwordx4 off, v[8:11], off offset:420 ; 16-byte Folded Spill
	;; [unrolled: 1-line block ×8, first 2 shown]
	s_nop 0
	scratch_store_dwordx4 off, v[144:147], off offset:3740 ; 16-byte Folded Spill
	scratch_store_dwordx4 off, v[148:151], off offset:3756 ; 16-byte Folded Spill
	;; [unrolled: 1-line block ×7, first 2 shown]
	v_mov_b64_e32 v[232:233], v[44:45]
	v_mov_b64_e32 v[230:231], v[42:43]
	;; [unrolled: 1-line block ×7, first 2 shown]
	scratch_load_dwordx4 v[12:15], off, off offset:3084 ; 16-byte Folded Reload
	scratch_load_dwordx4 v[16:19], off, off offset:3100 ; 16-byte Folded Reload
	;; [unrolled: 1-line block ×8, first 2 shown]
	v_mov_b32_e32 v176, v54
	v_mov_b32_e32 v177, v55
	;; [unrolled: 1-line block ×3, first 2 shown]
	scratch_store_dwordx4 off, v[182:185], off offset:2308 ; 16-byte Folded Spill
	s_nop 0
	scratch_store_dwordx4 off, v[186:189], off offset:2324 ; 16-byte Folded Spill
	scratch_store_dwordx4 off, v[190:193], off offset:2340 ; 16-byte Folded Spill
	;; [unrolled: 1-line block ×7, first 2 shown]
	v_mov_b32_e32 v76, v74
	s_waitcnt vmcnt(13)
	v_mov_b32_e32 v20, v218
	v_mov_b32_e32 v50, v74
	;; [unrolled: 1-line block ×5, first 2 shown]
	v_mov_b64_e32 v[242:243], v[54:55]
	v_mov_b32_e32 v136, v54
	v_mov_b32_e32 v137, v55
	v_mov_b64_e32 v[240:241], v[52:53]
	v_mov_b64_e32 v[238:239], v[50:51]
	;; [unrolled: 1-line block ×14, first 2 shown]
	s_waitcnt vmcnt(12)
	v_mov_b32_e32 v111, v25
	v_mov_b64_e32 v[162:163], v[176:177]
	v_mov_b64_e32 v[164:165], v[178:179]
	;; [unrolled: 1-line block ×3, first 2 shown]
	v_mov_b32_e32 v172, v102
	scratch_store_dwordx4 off, v[86:89], off offset:1796 ; 16-byte Folded Spill
	s_nop 0
	scratch_store_dwordx4 off, v[90:93], off offset:1812 ; 16-byte Folded Spill
	scratch_store_dwordx4 off, v[94:97], off offset:1828 ; 16-byte Folded Spill
	;; [unrolled: 1-line block ×7, first 2 shown]
	v_mov_b32_e32 v80, v24
	v_mov_b32_e32 v85, v197
	;; [unrolled: 1-line block ×5, first 2 shown]
	scratch_store_dwordx4 off, v[56:59], off offset:1540 ; 16-byte Folded Spill
	s_nop 0
	scratch_store_dwordx4 off, v[60:63], off offset:1556 ; 16-byte Folded Spill
	scratch_store_dwordx4 off, v[64:67], off offset:1572 ; 16-byte Folded Spill
	scratch_store_dwordx4 off, v[68:71], off offset:1588 ; 16-byte Folded Spill
	scratch_store_dwordx4 off, v[72:75], off offset:1604 ; 16-byte Folded Spill
	scratch_store_dwordx4 off, v[76:79], off offset:1620 ; 16-byte Folded Spill
	scratch_store_dwordx4 off, v[80:83], off offset:1636 ; 16-byte Folded Spill
	scratch_store_dwordx4 off, v[84:87], off offset:1652 ; 16-byte Folded Spill
	scratch_store_dwordx4 off, v[56:59], off offset:1412 ; 16-byte Folded Spill
	s_nop 0
	scratch_store_dwordx4 off, v[60:63], off offset:1428 ; 16-byte Folded Spill
	scratch_store_dwordx4 off, v[64:67], off offset:1444 ; 16-byte Folded Spill
	scratch_store_dwordx4 off, v[68:71], off offset:1460 ; 16-byte Folded Spill
	scratch_store_dwordx4 off, v[72:75], off offset:1476 ; 16-byte Folded Spill
	scratch_store_dwordx4 off, v[76:79], off offset:1492 ; 16-byte Folded Spill
	scratch_store_dwordx4 off, v[80:83], off offset:1508 ; 16-byte Folded Spill
	scratch_store_dwordx4 off, v[84:87], off offset:1524 ; 16-byte Folded Spill
	scratch_store_dwordx4 off, v[0:3], off offset:260 ; 16-byte Folded Spill
	s_nop 0
	scratch_store_dwordx4 off, v[4:7], off offset:276 ; 16-byte Folded Spill
	scratch_store_dwordx4 off, v[8:11], off offset:292 ; 16-byte Folded Spill
	;; [unrolled: 1-line block ×6, first 2 shown]
	s_waitcnt vmcnt(42)
	scratch_store_dwordx4 off, v[28:31], off offset:372 ; 16-byte Folded Spill
	scratch_store_dwordx4 off, v[198:201], off offset:1156 ; 16-byte Folded Spill
	s_nop 0
	scratch_store_dwordx4 off, v[202:205], off offset:1172 ; 16-byte Folded Spill
	scratch_store_dwordx4 off, v[206:209], off offset:1188 ; 16-byte Folded Spill
	;; [unrolled: 1-line block ×7, first 2 shown]
	v_mov_b32_e32 v22, v242
	scratch_store_dwordx4 off, v[0:3], off offset:516 ; 16-byte Folded Spill
	s_nop 0
	scratch_store_dwordx4 off, v[4:7], off offset:532 ; 16-byte Folded Spill
	scratch_store_dwordx4 off, v[8:11], off offset:548 ; 16-byte Folded Spill
	;; [unrolled: 1-line block ×8, first 2 shown]
	s_nop 0
	scratch_store_dwordx4 off, v[118:121], off offset:660 ; 16-byte Folded Spill
	scratch_store_dwordx4 off, v[122:125], off offset:676 ; 16-byte Folded Spill
	scratch_store_dwordx4 off, v[126:129], off offset:692 ; 16-byte Folded Spill
	scratch_store_dwordx4 off, v[130:133], off offset:708 ; 16-byte Folded Spill
	scratch_store_dwordx4 off, v[134:137], off offset:724 ; 16-byte Folded Spill
	scratch_store_dwordx4 off, v[138:141], off offset:740 ; 16-byte Folded Spill
	scratch_store_dwordx4 off, v[142:145], off offset:756 ; 16-byte Folded Spill
	v_mov_b32_e32 v81, v167
	v_mov_b32_e32 v173, v219
	s_waitcnt vmcnt(62)
	v_mov_b32_e32 v37, v139
.LBB54_134:
	s_or_b64 exec, exec, s[0:1]
	v_lshl_add_u32 v28, v255, 2, v254
	s_barrier
	ds_write_b32 v28, v78
	s_waitcnt lgkmcnt(0)
	s_barrier
	ds_read_b32 v30, v254 offset:32
	s_cmp_lt_i32 s22, 10
	v_mov_b32_e32 v28, 8
	s_cbranch_scc1 .LBB54_137
; %bb.135:
	scratch_load_dword v0, off, off offset:2692 ; 4-byte Folded Reload
	v_mov_b32_e32 v28, 8
	s_mov_b32 s0, 9
	s_waitcnt vmcnt(0)
	v_add3_u32 v29, v0, 0, 36
.LBB54_136:                             ; =>This Inner Loop Header: Depth=1
	ds_read_b32 v31, v29
	v_add_u32_e32 v29, 4, v29
	s_waitcnt lgkmcnt(0)
	v_cmp_lt_f32_e64 vcc, |v30|, |v31|
	s_nop 1
	v_cndmask_b32_e32 v30, v30, v31, vcc
	v_mov_b32_e32 v31, s0
	s_add_i32 s0, s0, 1
	v_cndmask_b32_e32 v28, v28, v31, vcc
	s_cmp_lg_u32 s22, s0
	s_cbranch_scc1 .LBB54_136
.LBB54_137:
	s_waitcnt lgkmcnt(0)
	v_cmp_eq_f32_e32 vcc, 0, v30
	s_and_saveexec_b64 s[0:1], vcc
	s_xor_b64 s[0:1], exec, s[0:1]
	s_cbranch_execz .LBB54_139
; %bb.138:
	scratch_load_dword v0, off, off offset:132 ; 4-byte Folded Reload
	s_waitcnt vmcnt(0)
	v_cmp_ne_u32_e32 vcc, 0, v0
	s_nop 1
	v_cndmask_b32_e32 v0, 9, v0, vcc
	scratch_store_dword off, v0, off offset:132 ; 4-byte Folded Spill
.LBB54_139:
	s_andn2_saveexec_b64 s[0:1], s[0:1]
	s_cbranch_execz .LBB54_141
; %bb.140:
	v_div_scale_f32 v29, s[2:3], v30, v30, 1.0
	v_rcp_f32_e32 v31, v29
	v_div_scale_f32 v56, vcc, 1.0, v30, 1.0
	v_fma_f32 v57, -v29, v31, 1.0
	v_fmac_f32_e32 v31, v57, v31
	v_mul_f32_e32 v57, v56, v31
	v_fma_f32 v58, -v29, v57, v56
	v_fmac_f32_e32 v57, v58, v31
	v_fma_f32 v29, -v29, v57, v56
	v_div_fmas_f32 v29, v29, v31, v57
	v_div_fixup_f32 v30, v29, v30, 1.0
.LBB54_141:
	s_or_b64 exec, exec, s[0:1]
	v_cmp_ne_u32_e32 vcc, v255, v28
	s_and_saveexec_b64 s[0:1], vcc
	s_xor_b64 s[0:1], exec, s[0:1]
	s_cbranch_execz .LBB54_147
; %bb.142:
	v_cmp_eq_u32_e32 vcc, 8, v255
	s_and_saveexec_b64 s[2:3], vcc
	s_cbranch_execz .LBB54_146
; %bb.143:
	v_cmp_ne_u32_e32 vcc, 8, v28
	s_xor_b64 s[18:19], s[16:17], -1
	s_and_b64 s[20:21], s[18:19], vcc
	s_and_saveexec_b64 s[18:19], s[20:21]
	s_cbranch_execz .LBB54_145
; %bb.144:
	s_movk_i32 s20, 0x118c
	scratch_load_dwordx2 v[58:59], off, s20 ; 8-byte Folded Reload
	v_ashrrev_i32_e32 v29, 31, v28
	s_waitcnt vmcnt(0)
	v_lshl_add_u64 v[56:57], v[28:29], 2, v[58:59]
	global_load_dword v29, v[56:57], off
	global_load_dword v31, v[58:59], off offset:32
	s_waitcnt vmcnt(1)
	global_store_dword v[58:59], v29, off offset:32
	s_waitcnt vmcnt(1)
	global_store_dword v[56:57], v31, off
.LBB54_145:
	s_or_b64 exec, exec, s[18:19]
	v_mov_b32_e32 v29, v28
	v_mov_b32_e32 v255, v28
	scratch_store_dword off, v29, off offset:3080 ; 4-byte Folded Spill
.LBB54_146:
	s_or_b64 exec, exec, s[2:3]
.LBB54_147:
	s_andn2_saveexec_b64 s[0:1], s[0:1]
	s_cbranch_execz .LBB54_149
; %bb.148:
	v_mov_b32_e32 v255, 8
	ds_write2_b32 v254, v149, v150 offset0:9 offset1:10
	ds_write2_b32 v254, v151, v152 offset0:11 offset1:12
	;; [unrolled: 1-line block ×9, first 2 shown]
	ds_write_b32 v254, v81 offset:108
.LBB54_149:
	s_or_b64 exec, exec, s[0:1]
	v_cmp_lt_i32_e32 vcc, 8, v255
	s_waitcnt lgkmcnt(0)
	s_barrier
	s_and_saveexec_b64 s[0:1], vcc
	s_cbranch_execz .LBB54_151
; %bb.150:
	s_movk_i32 s2, 0x1194
	scratch_load_dwordx4 v[32:35], off, s2  ; 16-byte Folded Reload
	scratch_load_dwordx4 v[36:39], off, s2 offset:16 ; 16-byte Folded Reload
	scratch_load_dwordx4 v[40:43], off, s2 offset:32 ; 16-byte Folded Reload
	;; [unrolled: 1-line block ×7, first 2 shown]
	ds_read2_b32 v[0:1], v254 offset0:9 offset1:10
	ds_read2_b32 v[4:5], v254 offset0:11 offset1:12
	;; [unrolled: 1-line block ×4, first 2 shown]
	s_waitcnt vmcnt(5)
	v_mul_f32_e32 v40, v78, v30
	v_mov_b32_e32 v2, v149
	v_mov_b32_e32 v3, v150
	s_movk_i32 s2, 0x100c
	v_mov_b32_e32 v228, v40
	v_mov_b32_e32 v148, v40
	;; [unrolled: 1-line block ×4, first 2 shown]
	s_waitcnt lgkmcnt(3)
	v_pk_fma_f32 v[28:29], v[40:41], v[0:1], v[2:3] op_sel_hi:[0,1,1] neg_lo:[1,0,0] neg_hi:[1,0,0]
	v_mov_b32_e32 v0, v151
	v_mov_b32_e32 v1, v152
	s_waitcnt lgkmcnt(2)
	v_pk_fma_f32 v[30:31], v[40:41], v[4:5], v[0:1] op_sel_hi:[0,1,1] neg_lo:[1,0,0] neg_hi:[1,0,0]
	v_mov_b32_e32 v0, v153
	v_mov_b32_e32 v1, v154
	s_waitcnt vmcnt(1) lgkmcnt(1)
	v_pk_fma_f32 v[56:57], v[40:41], v[6:7], v[0:1] op_sel_hi:[0,1,1] neg_lo:[1,0,0] neg_hi:[1,0,0]
	v_mov_b32_e32 v0, v155
	v_mov_b32_e32 v1, v156
	s_waitcnt lgkmcnt(0)
	v_pk_fma_f32 v[58:59], v[40:41], v[8:9], v[0:1] op_sel_hi:[0,1,1] neg_lo:[1,0,0] neg_hi:[1,0,0]
	ds_read2_b32 v[0:1], v254 offset0:17 offset1:18
	ds_read2_b32 v[4:5], v254 offset0:19 offset1:20
	ds_read2_b32 v[6:7], v254 offset0:21 offset1:22
	ds_read2_b32 v[8:9], v254 offset0:23 offset1:24
	v_mov_b32_e32 v2, v157
	v_mov_b32_e32 v3, v158
	;; [unrolled: 1-line block ×3, first 2 shown]
	s_waitcnt vmcnt(0) lgkmcnt(3)
	v_pk_fma_f32 v[60:61], v[40:41], v[0:1], v[2:3] op_sel_hi:[0,1,1] neg_lo:[1,0,0] neg_hi:[1,0,0]
	v_mov_b32_e32 v0, v159
	v_mov_b32_e32 v1, v160
	s_waitcnt lgkmcnt(2)
	v_pk_fma_f32 v[62:63], v[40:41], v[4:5], v[0:1] op_sel_hi:[0,1,1] neg_lo:[1,0,0] neg_hi:[1,0,0]
	ds_read2_b32 v[2:3], v254 offset0:25 offset1:26
	ds_read_b32 v4, v254 offset:108
	v_mov_b32_e32 v0, v161
	v_mov_b32_e32 v1, v162
	s_waitcnt lgkmcnt(3)
	v_pk_fma_f32 v[64:65], v[40:41], v[6:7], v[0:1] op_sel_hi:[0,1,1] neg_lo:[1,0,0] neg_hi:[1,0,0]
	v_mov_b32_e32 v0, v163
	v_mov_b32_e32 v1, v164
	s_waitcnt lgkmcnt(2)
	v_pk_fma_f32 v[66:67], v[40:41], v[8:9], v[0:1] op_sel_hi:[0,1,1] neg_lo:[1,0,0] neg_hi:[1,0,0]
	;; [unrolled: 4-line block ×3, first 2 shown]
	s_waitcnt lgkmcnt(0)
	v_fma_f32 v167, -v40, v4, v81
	v_mov_b32_e32 v0, v32
	v_mov_b32_e32 v1, v33
	;; [unrolled: 1-line block ×11, first 2 shown]
	scratch_store_dwordx4 off, v[0:3], off offset:3724 ; 16-byte Folded Spill
	s_nop 0
	scratch_store_dwordx4 off, v[4:7], off offset:3740 ; 16-byte Folded Spill
	scratch_store_dwordx4 off, v[8:11], off offset:3756 ; 16-byte Folded Spill
	;; [unrolled: 1-line block ×7, first 2 shown]
	v_mov_b32_e32 v222, v34
	v_mov_b32_e32 v223, v35
	;; [unrolled: 1-line block ×43, first 2 shown]
	scratch_store_dwordx4 off, v[0:3], off offset:3596 ; 16-byte Folded Spill
	s_nop 0
	scratch_store_dwordx4 off, v[4:7], off offset:3612 ; 16-byte Folded Spill
	scratch_store_dwordx4 off, v[8:11], off offset:3628 ; 16-byte Folded Spill
	scratch_store_dwordx4 off, v[12:15], off offset:3644 ; 16-byte Folded Spill
	scratch_store_dwordx4 off, v[16:19], off offset:3660 ; 16-byte Folded Spill
	scratch_store_dwordx4 off, v[20:23], off offset:3676 ; 16-byte Folded Spill
	scratch_store_dwordx4 off, v[24:27], off offset:3692 ; 16-byte Folded Spill
	scratch_store_dwordx4 off, v[28:31], off offset:3708 ; 16-byte Folded Spill
	v_mov_b32_e32 v12, v31
	scratch_store_dwordx4 off, v[0:3], off offset:3084 ; 16-byte Folded Spill
	s_nop 0
	scratch_store_dwordx4 off, v[4:7], off offset:3100 ; 16-byte Folded Spill
	scratch_store_dwordx4 off, v[8:11], off offset:3116 ; 16-byte Folded Spill
	scratch_store_dwordx4 off, v[12:15], off offset:3132 ; 16-byte Folded Spill
	scratch_store_dwordx4 off, v[16:19], off offset:3148 ; 16-byte Folded Spill
	scratch_store_dwordx4 off, v[20:23], off offset:3164 ; 16-byte Folded Spill
	scratch_store_dwordx4 off, v[24:27], off offset:3180 ; 16-byte Folded Spill
	scratch_store_dwordx4 off, v[28:31], off offset:3196 ; 16-byte Folded Spill
	v_mov_b32_e32 v13, v56
	;; [unrolled: 10-line block ×11, first 2 shown]
	v_mov_b32_e32 v23, v66
	v_mov_b32_e32 v229, v28
	;; [unrolled: 1-line block ×5, first 2 shown]
	scratch_store_dwordx4 off, v[0:3], off offset:1028 ; 16-byte Folded Spill
	s_nop 0
	scratch_store_dwordx4 off, v[4:7], off offset:1044 ; 16-byte Folded Spill
	scratch_store_dwordx4 off, v[8:11], off offset:1060 ; 16-byte Folded Spill
	;; [unrolled: 1-line block ×7, first 2 shown]
	s_nop 0
	v_mov_b32_e32 v24, v67
	scratch_store_dwordx4 off, v[0:3], off offset:644 ; 16-byte Folded Spill
	s_nop 0
	scratch_store_dwordx4 off, v[4:7], off offset:660 ; 16-byte Folded Spill
	scratch_store_dwordx4 off, v[8:11], off offset:676 ; 16-byte Folded Spill
	;; [unrolled: 1-line block ×7, first 2 shown]
	s_nop 0
	v_mov_b32_e32 v25, v252
	scratch_store_dwordx4 off, v[0:3], off offset:900 ; 16-byte Folded Spill
	s_nop 0
	scratch_store_dwordx4 off, v[4:7], off offset:916 ; 16-byte Folded Spill
	scratch_store_dwordx4 off, v[8:11], off offset:932 ; 16-byte Folded Spill
	;; [unrolled: 1-line block ×7, first 2 shown]
	scratch_store_dwordx4 off, v[32:35], s2 ; 16-byte Folded Spill
	s_nop 0
	scratch_store_dwordx4 off, v[36:39], s2 offset:16 ; 16-byte Folded Spill
	scratch_store_dwordx4 off, v[40:43], s2 offset:32 ; 16-byte Folded Spill
	scratch_store_dwordx4 off, v[44:47], s2 offset:48 ; 16-byte Folded Spill
	scratch_store_dwordx4 off, v[48:51], s2 offset:64 ; 16-byte Folded Spill
	scratch_store_dwordx4 off, v[52:55], s2 offset:80 ; 16-byte Folded Spill
	scratch_store_dwordx4 off, v[56:59], s2 offset:96 ; 16-byte Folded Spill
	scratch_store_dwordx4 off, v[60:63], s2 offset:112 ; 16-byte Folded Spill
	scratch_store_dwordx4 off, v[32:35], off offset:3980 ; 16-byte Folded Spill
	s_nop 0
	scratch_store_dwordx4 off, v[36:39], off offset:3996 ; 16-byte Folded Spill
	scratch_store_dwordx4 off, v[40:43], off offset:4012 ; 16-byte Folded Spill
	;; [unrolled: 1-line block ×7, first 2 shown]
	v_mov_b32_e32 v37, v252
	v_mov_b32_e32 v149, v28
	;; [unrolled: 1-line block ×6, first 2 shown]
	scratch_store_dwordx4 off, v[0:3], off offset:388 ; 16-byte Folded Spill
	s_nop 0
	scratch_store_dwordx4 off, v[4:7], off offset:404 ; 16-byte Folded Spill
	scratch_store_dwordx4 off, v[8:11], off offset:420 ; 16-byte Folded Spill
	;; [unrolled: 1-line block ×7, first 2 shown]
	v_mov_b32_e32 v111, v56
	v_mov_b32_e32 v84, v57
	;; [unrolled: 1-line block ×7, first 2 shown]
	scratch_store_dwordx4 off, v[0:3], off offset:1412 ; 16-byte Folded Spill
	s_nop 0
	scratch_store_dwordx4 off, v[4:7], off offset:1428 ; 16-byte Folded Spill
	scratch_store_dwordx4 off, v[8:11], off offset:1444 ; 16-byte Folded Spill
	scratch_store_dwordx4 off, v[12:15], off offset:1460 ; 16-byte Folded Spill
	scratch_store_dwordx4 off, v[16:19], off offset:1476 ; 16-byte Folded Spill
	scratch_store_dwordx4 off, v[20:23], off offset:1492 ; 16-byte Folded Spill
	scratch_store_dwordx4 off, v[24:27], off offset:1508 ; 16-byte Folded Spill
	scratch_store_dwordx4 off, v[28:31], off offset:1524 ; 16-byte Folded Spill
	scratch_store_dwordx4 off, v[0:3], off offset:260 ; 16-byte Folded Spill
	s_nop 0
	scratch_store_dwordx4 off, v[4:7], off offset:276 ; 16-byte Folded Spill
	scratch_store_dwordx4 off, v[8:11], off offset:292 ; 16-byte Folded Spill
	scratch_store_dwordx4 off, v[12:15], off offset:308 ; 16-byte Folded Spill
	scratch_store_dwordx4 off, v[16:19], off offset:324 ; 16-byte Folded Spill
	scratch_store_dwordx4 off, v[20:23], off offset:340 ; 16-byte Folded Spill
	scratch_store_dwordx4 off, v[24:27], off offset:356 ; 16-byte Folded Spill
	scratch_store_dwordx4 off, v[28:31], off offset:372 ; 16-byte Folded Spill
	;; [unrolled: 9-line block ×3, first 2 shown]
.LBB54_151:
	s_or_b64 exec, exec, s[0:1]
	s_nop 0
	v_lshl_add_u32 v28, v255, 2, v254
	s_waitcnt vmcnt(63) expcnt(7) lgkmcnt(15)
	s_barrier
	ds_write_b32 v28, v77
	s_waitcnt lgkmcnt(0)
	s_barrier
	ds_read_b32 v30, v254 offset:36
	s_cmp_lt_i32 s22, 11
	v_mov_b32_e32 v28, 9
	s_cbranch_scc1 .LBB54_154
; %bb.152:
	scratch_load_dword v0, off, off offset:2692 ; 4-byte Folded Reload
	v_mov_b32_e32 v28, 9
	s_mov_b32 s0, 10
	s_waitcnt vmcnt(0)
	v_add3_u32 v29, v0, 0, 40
.LBB54_153:                             ; =>This Inner Loop Header: Depth=1
	ds_read_b32 v31, v29
	v_add_u32_e32 v29, 4, v29
	s_waitcnt lgkmcnt(0)
	v_cmp_lt_f32_e64 vcc, |v30|, |v31|
	s_nop 1
	v_cndmask_b32_e32 v30, v30, v31, vcc
	v_mov_b32_e32 v31, s0
	s_add_i32 s0, s0, 1
	v_cndmask_b32_e32 v28, v28, v31, vcc
	s_cmp_lg_u32 s22, s0
	s_cbranch_scc1 .LBB54_153
.LBB54_154:
	s_waitcnt lgkmcnt(0)
	v_cmp_eq_f32_e32 vcc, 0, v30
	s_and_saveexec_b64 s[0:1], vcc
	s_xor_b64 s[0:1], exec, s[0:1]
	s_cbranch_execz .LBB54_156
; %bb.155:
	scratch_load_dword v0, off, off offset:132 ; 4-byte Folded Reload
	s_waitcnt vmcnt(0)
	v_cmp_ne_u32_e32 vcc, 0, v0
	s_nop 1
	v_cndmask_b32_e32 v0, 10, v0, vcc
	scratch_store_dword off, v0, off offset:132 ; 4-byte Folded Spill
.LBB54_156:
	s_andn2_saveexec_b64 s[0:1], s[0:1]
	s_cbranch_execz .LBB54_158
; %bb.157:
	v_div_scale_f32 v29, s[2:3], v30, v30, 1.0
	v_rcp_f32_e32 v31, v29
	v_div_scale_f32 v56, vcc, 1.0, v30, 1.0
	v_fma_f32 v57, -v29, v31, 1.0
	v_fmac_f32_e32 v31, v57, v31
	v_mul_f32_e32 v57, v56, v31
	v_fma_f32 v58, -v29, v57, v56
	v_fmac_f32_e32 v57, v58, v31
	v_fma_f32 v29, -v29, v57, v56
	v_div_fmas_f32 v29, v29, v31, v57
	v_div_fixup_f32 v30, v29, v30, 1.0
.LBB54_158:
	s_or_b64 exec, exec, s[0:1]
	v_cmp_ne_u32_e32 vcc, v255, v28
	s_and_saveexec_b64 s[0:1], vcc
	s_xor_b64 s[0:1], exec, s[0:1]
	s_cbranch_execz .LBB54_164
; %bb.159:
	v_cmp_eq_u32_e32 vcc, 9, v255
	s_and_saveexec_b64 s[2:3], vcc
	s_cbranch_execz .LBB54_163
; %bb.160:
	v_cmp_ne_u32_e32 vcc, 9, v28
	s_xor_b64 s[18:19], s[16:17], -1
	s_and_b64 s[20:21], s[18:19], vcc
	s_and_saveexec_b64 s[18:19], s[20:21]
	s_cbranch_execz .LBB54_162
; %bb.161:
	s_movk_i32 s20, 0x118c
	scratch_load_dwordx2 v[58:59], off, s20 ; 8-byte Folded Reload
	v_ashrrev_i32_e32 v29, 31, v28
	s_waitcnt vmcnt(0)
	v_lshl_add_u64 v[56:57], v[28:29], 2, v[58:59]
	global_load_dword v29, v[56:57], off
	global_load_dword v31, v[58:59], off offset:36
	s_waitcnt vmcnt(1)
	global_store_dword v[58:59], v29, off offset:36
	s_waitcnt vmcnt(1)
	global_store_dword v[56:57], v31, off
.LBB54_162:
	s_or_b64 exec, exec, s[18:19]
	v_mov_b32_e32 v29, v28
	v_mov_b32_e32 v255, v28
	scratch_store_dword off, v29, off offset:3080 ; 4-byte Folded Spill
.LBB54_163:
	s_or_b64 exec, exec, s[2:3]
.LBB54_164:
	s_or_saveexec_b64 s[0:1], s[0:1]
	v_mov_b32_e32 v12, v80
	s_xor_b64 exec, exec, s[0:1]
	s_cbranch_execz .LBB54_166
; %bb.165:
	v_mov_b32_e32 v255, 9
	ds_write2_b32 v254, v150, v151 offset0:10 offset1:11
	ds_write2_b32 v254, v152, v153 offset0:12 offset1:13
	;; [unrolled: 1-line block ×9, first 2 shown]
.LBB54_166:
	s_or_b64 exec, exec, s[0:1]
	v_cmp_lt_i32_e32 vcc, 9, v255
	s_waitcnt lgkmcnt(0)
	s_barrier
	s_and_saveexec_b64 s[0:1], vcc
	s_cbranch_execz .LBB54_168
; %bb.167:
	v_mul_f32_e32 v0, v77, v30
	ds_read2_b32 v[2:3], v254 offset0:10 offset1:11
	ds_read2_b32 v[4:5], v254 offset0:12 offset1:13
	;; [unrolled: 1-line block ×5, first 2 shown]
	scratch_load_dwordx4 v[30:33], off, off offset:3980 ; 16-byte Folded Reload
	scratch_load_dwordx4 v[34:37], off, off offset:3996 ; 16-byte Folded Reload
	;; [unrolled: 1-line block ×8, first 2 shown]
	v_mov_b64_e32 v[180:181], v[166:167]
	s_waitcnt lgkmcnt(4)
	v_pk_fma_f32 v[96:97], v[0:1], v[2:3], v[150:151] op_sel_hi:[0,1,1] neg_lo:[1,0,0] neg_hi:[1,0,0]
	v_mov_b64_e32 v[178:179], v[164:165]
	v_mov_b64_e32 v[176:177], v[162:163]
	;; [unrolled: 1-line block ×7, first 2 shown]
	s_waitcnt lgkmcnt(3)
	v_pk_fma_f32 v[152:153], v[0:1], v[4:5], v[166:167] op_sel_hi:[0,1,1] neg_lo:[1,0,0] neg_hi:[1,0,0]
	s_waitcnt lgkmcnt(2)
	v_pk_fma_f32 v[196:197], v[0:1], v[6:7], v[168:169] op_sel_hi:[0,1,1] neg_lo:[1,0,0] neg_hi:[1,0,0]
	;; [unrolled: 2-line block ×3, first 2 shown]
	v_mov_b32_e32 v11, v0
	v_mov_b32_e32 v12, v96
	;; [unrolled: 1-line block ×3, first 2 shown]
	s_waitcnt vmcnt(5)
	v_mov_b32_e32 v39, v0
	v_mov_b32_e32 v40, v96
	;; [unrolled: 1-line block ×3, first 2 shown]
	s_waitcnt vmcnt(4)
	v_mov_b32_e32 v42, v152
	v_mov_b32_e32 v43, v153
	v_mov_b32_e32 v44, v196
	v_mov_b32_e32 v45, v197
	v_mov_b32_e32 v65, v0
	v_mov_b32_e32 v95, v0
	v_mov_b32_e32 v149, v0
	v_mov_b32_e32 v191, v0
	v_mov_b32_e32 v75, v0
	v_mov_b32_e32 v76, v96
	v_mov_b32_e32 v77, v97
	v_mov_b32_e32 v78, v152
	v_mov_b32_e32 v79, v153
	v_mov_b32_e32 v80, v196
	v_mov_b32_e32 v81, v197
	v_mov_b32_e32 v207, v0
	v_mov_b32_e32 v229, v0
	v_mov_b32_e32 v123, v0
	v_mov_b32_e32 v163, v0
	s_movk_i32 s2, 0x100c
	v_mov_b32_e32 v150, v96
	v_mov_b32_e32 v151, v97
	;; [unrolled: 1-line block ×31, first 2 shown]
	s_waitcnt vmcnt(0)
	v_mov_b32_e32 v64, v38
	v_mov_b32_e32 v63, v37
	;; [unrolled: 1-line block ×18, first 2 shown]
	scratch_store_dwordx4 off, v[2:5], off offset:3596 ; 16-byte Folded Spill
	s_nop 0
	scratch_store_dwordx4 off, v[6:9], off offset:3612 ; 16-byte Folded Spill
	scratch_store_dwordx4 off, v[10:13], off offset:3628 ; 16-byte Folded Spill
	;; [unrolled: 1-line block ×5, first 2 shown]
	s_waitcnt lgkmcnt(0)
	scratch_store_dwordx4 off, v[26:29], off offset:3692 ; 16-byte Folded Spill
	scratch_store_dwordx4 off, v[30:33], off offset:3708 ; 16-byte Folded Spill
	v_mov_b32_e32 v14, v152
	v_mov_b32_e32 v15, v153
	v_mov_b32_e32 v86, v56
	v_mov_b32_e32 v87, v57
	v_mov_b32_e32 v88, v58
	v_mov_b32_e32 v89, v59
	v_mov_b32_e32 v90, v60
	v_mov_b32_e32 v91, v61
	v_mov_b32_e32 v140, v56
	v_mov_b32_e32 v141, v57
	v_mov_b32_e32 v142, v58
	v_mov_b32_e32 v143, v59
	v_mov_b32_e32 v144, v60
	v_mov_b32_e32 v145, v61
	v_mov_b32_e32 v182, v56
	v_mov_b32_e32 v183, v57
	v_mov_b32_e32 v184, v58
	v_mov_b32_e32 v185, v59
	v_mov_b32_e32 v186, v60
	v_mov_b32_e32 v187, v61
	v_mov_b32_e32 v72, v62
	v_mov_b32_e32 v73, v63
	v_mov_b32_e32 v74, v64
	v_mov_b32_e32 v92, v62
	v_mov_b32_e32 v93, v63
	v_mov_b32_e32 v94, v64
	v_mov_b32_e32 v146, v62
	v_mov_b32_e32 v147, v63
	v_mov_b32_e32 v148, v64
	v_mov_b32_e32 v188, v62
	v_mov_b32_e32 v189, v63
	v_mov_b32_e32 v190, v64
	v_mov_b32_e32 v204, v62
	v_mov_b32_e32 v205, v63
	v_mov_b32_e32 v206, v64
	v_mov_b32_e32 v226, v62
	v_mov_b32_e32 v227, v63
	v_mov_b32_e32 v228, v64
	v_mov_b32_e32 v120, v62
	v_mov_b32_e32 v121, v63
	v_mov_b32_e32 v122, v64
	v_mov_b32_e32 v160, v62
	v_mov_b32_e32 v161, v63
	v_mov_b32_e32 v162, v64
	scratch_store_dwordx4 off, v[2:5], off offset:3212 ; 16-byte Folded Spill
	s_nop 0
	scratch_store_dwordx4 off, v[6:9], off offset:3228 ; 16-byte Folded Spill
	scratch_store_dwordx4 off, v[10:13], off offset:3244 ; 16-byte Folded Spill
	;; [unrolled: 1-line block ×7, first 2 shown]
	v_mov_b32_e32 v16, v62
	v_mov_b32_e32 v17, v63
	;; [unrolled: 1-line block ×10, first 2 shown]
	scratch_store_dwordx4 off, v[30:33], off offset:2564 ; 16-byte Folded Spill
	s_nop 0
	scratch_store_dwordx4 off, v[34:37], off offset:2580 ; 16-byte Folded Spill
	scratch_store_dwordx4 off, v[38:41], off offset:2596 ; 16-byte Folded Spill
	;; [unrolled: 1-line block ×7, first 2 shown]
	v_pk_fma_f32 v[82:83], v[0:1], v[28:29], v[170:171] op_sel_hi:[0,1,1] neg_lo:[1,0,0] neg_hi:[1,0,0]
	v_mov_b32_e32 v34, v62
	v_mov_b32_e32 v35, v63
	;; [unrolled: 1-line block ×30, first 2 shown]
	scratch_store_dwordx4 off, v[28:31], off offset:1924 ; 16-byte Folded Spill
	s_nop 0
	scratch_store_dwordx4 off, v[32:35], off offset:1940 ; 16-byte Folded Spill
	scratch_store_dwordx4 off, v[36:39], off offset:1956 ; 16-byte Folded Spill
	scratch_store_dwordx4 off, v[40:43], off offset:1972 ; 16-byte Folded Spill
	scratch_store_dwordx4 off, v[44:47], off offset:1988 ; 16-byte Folded Spill
	scratch_store_dwordx4 off, v[48:51], off offset:2004 ; 16-byte Folded Spill
	scratch_store_dwordx4 off, v[52:55], off offset:2020 ; 16-byte Folded Spill
	scratch_store_dwordx4 off, v[56:59], off offset:2036 ; 16-byte Folded Spill
	ds_read2_b32 v[2:3], v254 offset0:18 offset1:19
	ds_read2_b32 v[4:5], v254 offset0:20 offset1:21
	;; [unrolled: 1-line block ×4, first 2 shown]
	v_mov_b32_e32 v14, v60
	s_waitcnt lgkmcnt(3)
	v_pk_fma_f32 v[28:29], v[0:1], v[2:3], v[172:173] op_sel_hi:[0,1,1] neg_lo:[1,0,0] neg_hi:[1,0,0]
	v_mov_b64_e32 v[172:173], v[28:29]
	v_mov_b64_e32 v[170:171], v[26:27]
	v_mov_b32_e32 v46, v172
	v_mov_b32_e32 v47, v173
	s_waitcnt lgkmcnt(2)
	v_pk_fma_f32 v[218:219], v[0:1], v[4:5], v[174:175] op_sel_hi:[0,1,1] neg_lo:[1,0,0] neg_hi:[1,0,0]
	s_waitcnt lgkmcnt(1)
	v_pk_fma_f32 v[242:243], v[0:1], v[6:7], v[176:177] op_sel_hi:[0,1,1] neg_lo:[1,0,0] neg_hi:[1,0,0]
	v_mov_b32_e32 v15, v61
	s_waitcnt lgkmcnt(0)
	v_pk_fma_f32 v[138:139], v[0:1], v[8:9], v[178:179] op_sel_hi:[0,1,1] neg_lo:[1,0,0] neg_hi:[1,0,0]
	v_mov_b32_e32 v70, v60
	v_mov_b32_e32 v71, v61
	;; [unrolled: 1-line block ×40, first 2 shown]
	scratch_store_dwordx4 off, v[28:31], off offset:1668 ; 16-byte Folded Spill
	s_nop 0
	scratch_store_dwordx4 off, v[32:35], off offset:1684 ; 16-byte Folded Spill
	scratch_store_dwordx4 off, v[36:39], off offset:1700 ; 16-byte Folded Spill
	;; [unrolled: 1-line block ×7, first 2 shown]
	v_mov_b32_e32 v48, v218
	v_mov_b32_e32 v49, v219
	;; [unrolled: 1-line block ×6, first 2 shown]
	scratch_store_dwordx4 off, v[28:31], off offset:1284 ; 16-byte Folded Spill
	s_nop 0
	scratch_store_dwordx4 off, v[32:35], off offset:1300 ; 16-byte Folded Spill
	scratch_store_dwordx4 off, v[36:39], off offset:1316 ; 16-byte Folded Spill
	;; [unrolled: 1-line block ×7, first 2 shown]
	v_mov_b32_e32 v28, v172
	v_mov_b32_e32 v29, v173
	;; [unrolled: 1-line block ×6, first 2 shown]
	v_mov_b64_e32 v[42:43], v[170:171]
	v_mov_b64_e32 v[44:45], v[172:173]
	v_mov_b32_e32 v170, v82
	v_mov_b32_e32 v171, v83
	;; [unrolled: 1-line block ×4, first 2 shown]
	scratch_store_dwordx4 off, v[10:13], off offset:1028 ; 16-byte Folded Spill
	s_nop 0
	scratch_store_dwordx4 off, v[14:17], off offset:1044 ; 16-byte Folded Spill
	scratch_store_dwordx4 off, v[18:21], off offset:1060 ; 16-byte Folded Spill
	;; [unrolled: 1-line block ×7, first 2 shown]
	v_mov_b32_e32 v0, v56
	v_mov_b32_e32 v1, v57
	;; [unrolled: 1-line block ×16, first 2 shown]
	v_mov_b64_e32 v[40:41], v[24:25]
	v_mov_b64_e32 v[38:39], v[22:23]
	v_mov_b64_e32 v[36:37], v[20:21]
	v_mov_b64_e32 v[34:35], v[18:19]
	v_mov_b64_e32 v[32:33], v[16:17]
	v_mov_b64_e32 v[30:31], v[14:15]
	v_mov_b64_e32 v[28:29], v[12:13]
	v_mov_b64_e32 v[26:27], v[10:11]
	v_mov_b32_e32 v10, v96
	v_mov_b32_e32 v11, v97
	;; [unrolled: 1-line block ×16, first 2 shown]
	scratch_store_dwordx4 off, v[0:3], off offset:900 ; 16-byte Folded Spill
	s_nop 0
	scratch_store_dwordx4 off, v[4:7], off offset:916 ; 16-byte Folded Spill
	scratch_store_dwordx4 off, v[8:11], off offset:932 ; 16-byte Folded Spill
	;; [unrolled: 1-line block ×7, first 2 shown]
	scratch_store_dwordx4 off, v[56:59], s2 ; 16-byte Folded Spill
	s_nop 0
	scratch_store_dwordx4 off, v[60:63], s2 offset:16 ; 16-byte Folded Spill
	scratch_store_dwordx4 off, v[64:67], s2 offset:32 ; 16-byte Folded Spill
	;; [unrolled: 1-line block ×7, first 2 shown]
	scratch_store_dwordx4 off, v[0:3], off offset:388 ; 16-byte Folded Spill
	s_nop 0
	scratch_store_dwordx4 off, v[4:7], off offset:404 ; 16-byte Folded Spill
	scratch_store_dwordx4 off, v[8:11], off offset:420 ; 16-byte Folded Spill
	scratch_store_dwordx4 off, v[12:15], off offset:436 ; 16-byte Folded Spill
	scratch_store_dwordx4 off, v[16:19], off offset:452 ; 16-byte Folded Spill
	scratch_store_dwordx4 off, v[20:23], off offset:468 ; 16-byte Folded Spill
	scratch_store_dwordx4 off, v[24:27], off offset:484 ; 16-byte Folded Spill
	scratch_store_dwordx4 off, v[28:31], off offset:500 ; 16-byte Folded Spill
	scratch_store_dwordx4 off, v[86:89], off offset:3724 ; 16-byte Folded Spill
	s_nop 0
	scratch_store_dwordx4 off, v[90:93], off offset:3740 ; 16-byte Folded Spill
	scratch_store_dwordx4 off, v[94:97], off offset:3756 ; 16-byte Folded Spill
	scratch_store_dwordx4 off, v[98:101], off offset:3772 ; 16-byte Folded Spill
	scratch_store_dwordx4 off, v[102:105], off offset:3788 ; 16-byte Folded Spill
	scratch_store_dwordx4 off, v[106:109], off offset:3804 ; 16-byte Folded Spill
	scratch_store_dwordx4 off, v[110:113], off offset:3820 ; 16-byte Folded Spill
	scratch_store_dwordx4 off, v[114:117], off offset:3836 ; 16-byte Folded Spill
	;; [unrolled: 9-line block ×3, first 2 shown]
	v_mov_b64_e32 v[100:101], v[80:81]
	v_mov_b32_e32 v84, v196
	scratch_store_dwordx4 off, v[182:185], off offset:2308 ; 16-byte Folded Spill
	s_nop 0
	scratch_store_dwordx4 off, v[186:189], off offset:2324 ; 16-byte Folded Spill
	scratch_store_dwordx4 off, v[190:193], off offset:2340 ; 16-byte Folded Spill
	;; [unrolled: 1-line block ×7, first 2 shown]
	v_mov_b64_e32 v[98:99], v[78:79]
	v_mov_b64_e32 v[96:97], v[76:77]
	v_mov_b64_e32 v[94:95], v[74:75]
	v_mov_b64_e32 v[92:93], v[72:73]
	v_mov_b64_e32 v[90:91], v[70:71]
	v_mov_b64_e32 v[88:89], v[68:69]
	v_mov_b64_e32 v[86:87], v[66:67]
	v_mov_b32_e32 v102, v82
	v_mov_b64_e32 v[74:75], v[44:45]
	v_mov_b64_e32 v[72:73], v[42:43]
	v_mov_b32_e32 v76, v74
	v_mov_b64_e32 v[70:71], v[40:41]
	v_mov_b64_e32 v[68:69], v[38:39]
	;; [unrolled: 1-line block ×8, first 2 shown]
	v_mov_b32_e32 v111, v153
	scratch_store_dwordx4 off, v[86:89], off offset:1796 ; 16-byte Folded Spill
	s_nop 0
	scratch_store_dwordx4 off, v[90:93], off offset:1812 ; 16-byte Folded Spill
	scratch_store_dwordx4 off, v[94:97], off offset:1828 ; 16-byte Folded Spill
	;; [unrolled: 1-line block ×7, first 2 shown]
	v_mov_b64_e32 v[140:141], v[154:155]
	v_mov_b64_e32 v[142:143], v[156:157]
	;; [unrolled: 1-line block ×9, first 2 shown]
	v_mov_b32_e32 v85, v197
	v_mov_b64_e32 v[158:159], v[172:173]
	v_mov_b64_e32 v[160:161], v[174:175]
	;; [unrolled: 1-line block ×5, first 2 shown]
	v_mov_b32_e32 v172, v82
	scratch_store_dwordx4 off, v[56:59], off offset:1540 ; 16-byte Folded Spill
	s_nop 0
	scratch_store_dwordx4 off, v[60:63], off offset:1556 ; 16-byte Folded Spill
	scratch_store_dwordx4 off, v[64:67], off offset:1572 ; 16-byte Folded Spill
	;; [unrolled: 1-line block ×7, first 2 shown]
	v_mov_b32_e32 v176, v138
	v_mov_b32_e32 v81, v167
	;; [unrolled: 1-line block ×3, first 2 shown]
	scratch_store_dwordx4 off, v[0:3], off offset:1412 ; 16-byte Folded Spill
	s_nop 0
	scratch_store_dwordx4 off, v[4:7], off offset:1428 ; 16-byte Folded Spill
	scratch_store_dwordx4 off, v[8:11], off offset:1444 ; 16-byte Folded Spill
	scratch_store_dwordx4 off, v[12:15], off offset:1460 ; 16-byte Folded Spill
	scratch_store_dwordx4 off, v[16:19], off offset:1476 ; 16-byte Folded Spill
	scratch_store_dwordx4 off, v[20:23], off offset:1492 ; 16-byte Folded Spill
	scratch_store_dwordx4 off, v[24:27], off offset:1508 ; 16-byte Folded Spill
	scratch_store_dwordx4 off, v[28:31], off offset:1524 ; 16-byte Folded Spill
	scratch_store_dwordx4 off, v[0:3], off offset:260 ; 16-byte Folded Spill
	s_nop 0
	scratch_store_dwordx4 off, v[4:7], off offset:276 ; 16-byte Folded Spill
	scratch_store_dwordx4 off, v[8:11], off offset:292 ; 16-byte Folded Spill
	scratch_store_dwordx4 off, v[12:15], off offset:308 ; 16-byte Folded Spill
	scratch_store_dwordx4 off, v[16:19], off offset:324 ; 16-byte Folded Spill
	scratch_store_dwordx4 off, v[20:23], off offset:340 ; 16-byte Folded Spill
	scratch_store_dwordx4 off, v[24:27], off offset:356 ; 16-byte Folded Spill
	scratch_store_dwordx4 off, v[28:31], off offset:372 ; 16-byte Folded Spill
	;; [unrolled: 9-line block ×5, first 2 shown]
	v_mov_b32_e32 v173, v219
	v_mov_b32_e32 v37, v139
.LBB54_168:
	s_or_b64 exec, exec, s[0:1]
	s_waitcnt vmcnt(63) expcnt(7) lgkmcnt(15)
	s_barrier
	scratch_load_dwordx4 v[38:41], off, off offset:388 ; 16-byte Folded Reload
	scratch_load_dwordx4 v[42:45], off, off offset:404 ; 16-byte Folded Reload
	;; [unrolled: 1-line block ×8, first 2 shown]
	v_lshl_add_u32 v28, v255, 2, v254
	s_cmp_lt_i32 s22, 12
	s_waitcnt vmcnt(5)
	ds_write_b32 v28, v48
	s_waitcnt lgkmcnt(0)
	s_barrier
	ds_read_b32 v30, v254 offset:40
	v_mov_b32_e32 v28, 10
	s_cbranch_scc1 .LBB54_171
; %bb.169:
	scratch_load_dword v0, off, off offset:2692 ; 4-byte Folded Reload
	v_mov_b32_e32 v28, 10
	s_mov_b32 s0, 11
	s_waitcnt vmcnt(0)
	v_add3_u32 v29, v0, 0, 44
.LBB54_170:                             ; =>This Inner Loop Header: Depth=1
	ds_read_b32 v31, v29
	v_add_u32_e32 v29, 4, v29
	s_waitcnt lgkmcnt(0)
	v_cmp_lt_f32_e64 vcc, |v30|, |v31|
	s_nop 1
	v_cndmask_b32_e32 v30, v30, v31, vcc
	v_mov_b32_e32 v31, s0
	s_add_i32 s0, s0, 1
	v_cndmask_b32_e32 v28, v28, v31, vcc
	s_cmp_lg_u32 s22, s0
	s_cbranch_scc1 .LBB54_170
.LBB54_171:
	s_waitcnt lgkmcnt(0)
	v_cmp_eq_f32_e32 vcc, 0, v30
	s_and_saveexec_b64 s[0:1], vcc
	s_xor_b64 s[0:1], exec, s[0:1]
	s_cbranch_execz .LBB54_173
; %bb.172:
	scratch_load_dword v0, off, off offset:132 ; 4-byte Folded Reload
	s_waitcnt vmcnt(0)
	v_cmp_ne_u32_e32 vcc, 0, v0
	s_nop 1
	v_cndmask_b32_e32 v0, 11, v0, vcc
	scratch_store_dword off, v0, off offset:132 ; 4-byte Folded Spill
.LBB54_173:
	s_andn2_saveexec_b64 s[0:1], s[0:1]
	s_cbranch_execz .LBB54_175
; %bb.174:
	v_div_scale_f32 v29, s[2:3], v30, v30, 1.0
	v_rcp_f32_e32 v31, v29
	s_waitcnt vmcnt(3)
	v_div_scale_f32 v56, vcc, 1.0, v30, 1.0
	v_fma_f32 v57, -v29, v31, 1.0
	v_fmac_f32_e32 v31, v57, v31
	v_mul_f32_e32 v57, v56, v31
	s_waitcnt vmcnt(2)
	v_fma_f32 v58, -v29, v57, v56
	v_fmac_f32_e32 v57, v58, v31
	v_fma_f32 v29, -v29, v57, v56
	v_div_fmas_f32 v29, v29, v31, v57
	v_div_fixup_f32 v30, v29, v30, 1.0
.LBB54_175:
	s_or_b64 exec, exec, s[0:1]
	v_cmp_ne_u32_e32 vcc, v255, v28
	s_and_saveexec_b64 s[0:1], vcc
	s_xor_b64 s[0:1], exec, s[0:1]
	s_cbranch_execz .LBB54_181
; %bb.176:
	v_cmp_eq_u32_e32 vcc, 10, v255
	s_and_saveexec_b64 s[2:3], vcc
	s_cbranch_execz .LBB54_180
; %bb.177:
	v_cmp_ne_u32_e32 vcc, 10, v28
	s_xor_b64 s[18:19], s[16:17], -1
	s_and_b64 s[20:21], s[18:19], vcc
	s_and_saveexec_b64 s[18:19], s[20:21]
	s_cbranch_execz .LBB54_179
; %bb.178:
	s_movk_i32 s20, 0x118c
	scratch_load_dwordx2 v[58:59], off, s20 ; 8-byte Folded Reload
	v_ashrrev_i32_e32 v29, 31, v28
	s_waitcnt vmcnt(0)
	v_lshl_add_u64 v[56:57], v[28:29], 2, v[58:59]
	global_load_dword v29, v[56:57], off
	global_load_dword v31, v[58:59], off offset:40
	s_waitcnt vmcnt(1)
	global_store_dword v[58:59], v29, off offset:40
	s_waitcnt vmcnt(1)
	global_store_dword v[56:57], v31, off
.LBB54_179:
	s_or_b64 exec, exec, s[18:19]
	v_mov_b32_e32 v29, v28
	v_mov_b32_e32 v255, v28
	scratch_store_dword off, v29, off offset:3080 ; 4-byte Folded Spill
.LBB54_180:
	s_or_b64 exec, exec, s[2:3]
.LBB54_181:
	s_andn2_saveexec_b64 s[0:1], s[0:1]
	s_cbranch_execz .LBB54_183
; %bb.182:
	v_mov_b32_e32 v255, 10
	ds_write2_b32 v254, v151, v152 offset0:11 offset1:12
	ds_write2_b32 v254, v153, v154 offset0:13 offset1:14
	;; [unrolled: 1-line block ×8, first 2 shown]
	ds_write_b32 v254, v81 offset:108
.LBB54_183:
	s_or_b64 exec, exec, s[0:1]
	v_cmp_lt_i32_e32 vcc, 10, v255
	s_waitcnt lgkmcnt(0)
	s_barrier
	s_and_saveexec_b64 s[0:1], vcc
	s_cbranch_execz .LBB54_185
; %bb.184:
	s_movk_i32 s2, 0x100c
	scratch_load_dwordx4 v[32:35], off, s2  ; 16-byte Folded Reload
	scratch_load_dwordx4 v[36:39], off, s2 offset:16 ; 16-byte Folded Reload
	scratch_load_dwordx4 v[40:43], off, s2 offset:32 ; 16-byte Folded Reload
	;; [unrolled: 1-line block ×7, first 2 shown]
	scratch_load_dwordx4 v[42:45], off, off offset:388 ; 16-byte Folded Reload
	scratch_load_dwordx4 v[46:49], off, off offset:404 ; 16-byte Folded Reload
	;; [unrolled: 1-line block ×8, first 2 shown]
	ds_read2_b32 v[0:1], v254 offset0:11 offset1:12
	ds_read2_b32 v[4:5], v254 offset0:13 offset1:14
	;; [unrolled: 1-line block ×4, first 2 shown]
	v_mov_b32_e32 v2, v151
	v_mov_b32_e32 v3, v152
	s_waitcnt vmcnt(15)
	v_mov_b32_e32 v220, v32
	v_mov_b32_e32 v221, v33
	;; [unrolled: 1-line block ×3, first 2 shown]
	s_waitcnt vmcnt(5)
	v_mul_f32_e32 v42, v52, v30
	s_waitcnt lgkmcnt(3)
	v_pk_fma_f32 v[28:29], v[42:43], v[0:1], v[2:3] op_sel_hi:[0,1,1] neg_lo:[1,0,0] neg_hi:[1,0,0]
	v_mov_b32_e32 v0, v153
	v_mov_b32_e32 v1, v154
	s_waitcnt lgkmcnt(2)
	v_pk_fma_f32 v[30:31], v[42:43], v[4:5], v[0:1] op_sel_hi:[0,1,1] neg_lo:[1,0,0] neg_hi:[1,0,0]
	v_mov_b32_e32 v0, v155
	v_mov_b32_e32 v1, v156
	s_waitcnt vmcnt(4) lgkmcnt(1)
	v_pk_fma_f32 v[56:57], v[42:43], v[6:7], v[0:1] op_sel_hi:[0,1,1] neg_lo:[1,0,0] neg_hi:[1,0,0]
	v_mov_b32_e32 v0, v157
	v_mov_b32_e32 v1, v158
	s_waitcnt vmcnt(3) lgkmcnt(0)
	v_pk_fma_f32 v[58:59], v[42:43], v[8:9], v[0:1] op_sel_hi:[0,1,1] neg_lo:[1,0,0] neg_hi:[1,0,0]
	ds_read2_b32 v[0:1], v254 offset0:19 offset1:20
	v_mov_b32_e32 v2, v159
	v_mov_b32_e32 v3, v160
	ds_read2_b32 v[4:5], v254 offset0:21 offset1:22
	ds_read2_b32 v[6:7], v254 offset0:23 offset1:24
	;; [unrolled: 1-line block ×3, first 2 shown]
	v_mov_b32_e32 v10, v42
	s_waitcnt lgkmcnt(3)
	v_pk_fma_f32 v[60:61], v[42:43], v[0:1], v[2:3] op_sel_hi:[0,1,1] neg_lo:[1,0,0] neg_hi:[1,0,0]
	ds_read_b32 v2, v254 offset:108
	v_mov_b32_e32 v0, v161
	v_mov_b32_e32 v1, v162
	s_waitcnt vmcnt(2) lgkmcnt(3)
	v_pk_fma_f32 v[62:63], v[42:43], v[4:5], v[0:1] op_sel_hi:[0,1,1] neg_lo:[1,0,0] neg_hi:[1,0,0]
	v_mov_b32_e32 v0, v163
	v_mov_b32_e32 v1, v164
	s_waitcnt lgkmcnt(2)
	v_pk_fma_f32 v[64:65], v[42:43], v[6:7], v[0:1] op_sel_hi:[0,1,1] neg_lo:[1,0,0] neg_hi:[1,0,0]
	v_mov_b32_e32 v0, v165
	v_mov_b32_e32 v1, v166
	s_waitcnt lgkmcnt(1)
	v_pk_fma_f32 v[252:253], v[42:43], v[8:9], v[0:1] op_sel_hi:[0,1,1] neg_lo:[1,0,0] neg_hi:[1,0,0]
	s_waitcnt lgkmcnt(0)
	v_fma_f32 v167, -v42, v2, v81
	v_mov_b32_e32 v0, v32
	v_mov_b32_e32 v1, v33
	;; [unrolled: 1-line block ×13, first 2 shown]
	scratch_store_dwordx4 off, v[0:3], off offset:3084 ; 16-byte Folded Spill
	s_nop 0
	scratch_store_dwordx4 off, v[4:7], off offset:3100 ; 16-byte Folded Spill
	scratch_store_dwordx4 off, v[8:11], off offset:3116 ; 16-byte Folded Spill
	;; [unrolled: 1-line block ×7, first 2 shown]
	v_mov_b32_e32 v223, v35
	v_mov_b32_e32 v224, v36
	;; [unrolled: 1-line block ×43, first 2 shown]
	scratch_store_dwordx4 off, v[0:3], off offset:3212 ; 16-byte Folded Spill
	s_nop 0
	scratch_store_dwordx4 off, v[4:7], off offset:3228 ; 16-byte Folded Spill
	scratch_store_dwordx4 off, v[8:11], off offset:3244 ; 16-byte Folded Spill
	scratch_store_dwordx4 off, v[12:15], off offset:3260 ; 16-byte Folded Spill
	scratch_store_dwordx4 off, v[16:19], off offset:3276 ; 16-byte Folded Spill
	scratch_store_dwordx4 off, v[20:23], off offset:3292 ; 16-byte Folded Spill
	scratch_store_dwordx4 off, v[24:27], off offset:3308 ; 16-byte Folded Spill
	scratch_store_dwordx4 off, v[28:31], off offset:3324 ; 16-byte Folded Spill
	v_mov_b32_e32 v14, v31
	scratch_store_dwordx4 off, v[0:3], off offset:2308 ; 16-byte Folded Spill
	s_nop 0
	scratch_store_dwordx4 off, v[4:7], off offset:2324 ; 16-byte Folded Spill
	scratch_store_dwordx4 off, v[8:11], off offset:2340 ; 16-byte Folded Spill
	scratch_store_dwordx4 off, v[12:15], off offset:2356 ; 16-byte Folded Spill
	scratch_store_dwordx4 off, v[16:19], off offset:2372 ; 16-byte Folded Spill
	scratch_store_dwordx4 off, v[20:23], off offset:2388 ; 16-byte Folded Spill
	scratch_store_dwordx4 off, v[24:27], off offset:2404 ; 16-byte Folded Spill
	scratch_store_dwordx4 off, v[28:31], off offset:2420 ; 16-byte Folded Spill
	v_mov_b32_e32 v15, v56
	;; [unrolled: 10-line block ×9, first 2 shown]
	v_mov_b32_e32 v23, v64
	v_mov_b32_e32 v231, v28
	;; [unrolled: 1-line block ×5, first 2 shown]
	scratch_store_dwordx4 off, v[0:3], off offset:1028 ; 16-byte Folded Spill
	s_nop 0
	scratch_store_dwordx4 off, v[4:7], off offset:1044 ; 16-byte Folded Spill
	scratch_store_dwordx4 off, v[8:11], off offset:1060 ; 16-byte Folded Spill
	;; [unrolled: 1-line block ×7, first 2 shown]
	s_nop 0
	v_mov_b32_e32 v24, v65
	scratch_store_dwordx4 off, v[0:3], off offset:644 ; 16-byte Folded Spill
	s_nop 0
	scratch_store_dwordx4 off, v[4:7], off offset:660 ; 16-byte Folded Spill
	scratch_store_dwordx4 off, v[8:11], off offset:676 ; 16-byte Folded Spill
	;; [unrolled: 1-line block ×7, first 2 shown]
	s_nop 0
	v_mov_b32_e32 v25, v252
	scratch_store_dwordx4 off, v[0:3], off offset:900 ; 16-byte Folded Spill
	s_nop 0
	scratch_store_dwordx4 off, v[4:7], off offset:916 ; 16-byte Folded Spill
	scratch_store_dwordx4 off, v[8:11], off offset:932 ; 16-byte Folded Spill
	scratch_store_dwordx4 off, v[12:15], off offset:948 ; 16-byte Folded Spill
	scratch_store_dwordx4 off, v[16:19], off offset:964 ; 16-byte Folded Spill
	scratch_store_dwordx4 off, v[20:23], off offset:980 ; 16-byte Folded Spill
	scratch_store_dwordx4 off, v[24:27], off offset:996 ; 16-byte Folded Spill
	scratch_store_dwordx4 off, v[28:31], off offset:1012 ; 16-byte Folded Spill
	scratch_store_dwordx4 off, v[32:35], off offset:3596 ; 16-byte Folded Spill
	s_nop 0
	scratch_store_dwordx4 off, v[36:39], off offset:3612 ; 16-byte Folded Spill
	scratch_store_dwordx4 off, v[40:43], off offset:3628 ; 16-byte Folded Spill
	scratch_store_dwordx4 off, v[44:47], off offset:3644 ; 16-byte Folded Spill
	scratch_store_dwordx4 off, v[48:51], off offset:3660 ; 16-byte Folded Spill
	scratch_store_dwordx4 off, v[52:55], off offset:3676 ; 16-byte Folded Spill
	scratch_store_dwordx4 off, v[56:59], off offset:3692 ; 16-byte Folded Spill
	scratch_store_dwordx4 off, v[60:63], off offset:3708 ; 16-byte Folded Spill
	;; [unrolled: 9-line block ×3, first 2 shown]
	v_mov_b32_e32 v37, v252
	v_mov_b32_e32 v151, v28
	;; [unrolled: 1-line block ×7, first 2 shown]
	scratch_store_dwordx4 off, v[0:3], off offset:1412 ; 16-byte Folded Spill
	s_nop 0
	scratch_store_dwordx4 off, v[4:7], off offset:1428 ; 16-byte Folded Spill
	scratch_store_dwordx4 off, v[8:11], off offset:1444 ; 16-byte Folded Spill
	scratch_store_dwordx4 off, v[12:15], off offset:1460 ; 16-byte Folded Spill
	scratch_store_dwordx4 off, v[16:19], off offset:1476 ; 16-byte Folded Spill
	scratch_store_dwordx4 off, v[20:23], off offset:1492 ; 16-byte Folded Spill
	scratch_store_dwordx4 off, v[24:27], off offset:1508 ; 16-byte Folded Spill
	scratch_store_dwordx4 off, v[28:31], off offset:1524 ; 16-byte Folded Spill
	scratch_store_dwordx4 off, v[0:3], off offset:260 ; 16-byte Folded Spill
	s_nop 0
	scratch_store_dwordx4 off, v[4:7], off offset:276 ; 16-byte Folded Spill
	scratch_store_dwordx4 off, v[8:11], off offset:292 ; 16-byte Folded Spill
	;; [unrolled: 1-line block ×7, first 2 shown]
	v_mov_b32_e32 v85, v56
	v_mov_b32_e32 v172, v57
	;; [unrolled: 1-line block ×5, first 2 shown]
	scratch_store_dwordx4 off, v[0:3], off offset:516 ; 16-byte Folded Spill
	s_nop 0
	scratch_store_dwordx4 off, v[4:7], off offset:532 ; 16-byte Folded Spill
	scratch_store_dwordx4 off, v[8:11], off offset:548 ; 16-byte Folded Spill
	;; [unrolled: 1-line block ×7, first 2 shown]
.LBB54_185:
	s_or_b64 exec, exec, s[0:1]
	s_nop 0
	v_lshl_add_u32 v28, v255, 2, v254
	s_waitcnt vmcnt(63) expcnt(7) lgkmcnt(15)
	s_barrier
	ds_write_b32 v28, v11
	s_waitcnt lgkmcnt(0)
	s_barrier
	ds_read_b32 v30, v254 offset:44
	s_cmp_lt_i32 s22, 13
	v_mov_b32_e32 v28, 11
	s_cbranch_scc1 .LBB54_188
; %bb.186:
	scratch_load_dword v0, off, off offset:2692 ; 4-byte Folded Reload
	v_mov_b32_e32 v28, 11
	s_mov_b32 s0, 12
	s_waitcnt vmcnt(0)
	v_add3_u32 v29, v0, 0, 48
.LBB54_187:                             ; =>This Inner Loop Header: Depth=1
	ds_read_b32 v31, v29
	v_add_u32_e32 v29, 4, v29
	s_waitcnt lgkmcnt(0)
	v_cmp_lt_f32_e64 vcc, |v30|, |v31|
	s_nop 1
	v_cndmask_b32_e32 v30, v30, v31, vcc
	v_mov_b32_e32 v31, s0
	s_add_i32 s0, s0, 1
	v_cndmask_b32_e32 v28, v28, v31, vcc
	s_cmp_lg_u32 s22, s0
	s_cbranch_scc1 .LBB54_187
.LBB54_188:
	s_waitcnt lgkmcnt(0)
	v_cmp_eq_f32_e32 vcc, 0, v30
	s_and_saveexec_b64 s[0:1], vcc
	s_xor_b64 s[0:1], exec, s[0:1]
	s_cbranch_execz .LBB54_190
; %bb.189:
	scratch_load_dword v0, off, off offset:132 ; 4-byte Folded Reload
	s_waitcnt vmcnt(0)
	v_cmp_ne_u32_e32 vcc, 0, v0
	s_nop 1
	v_cndmask_b32_e32 v0, 12, v0, vcc
	scratch_store_dword off, v0, off offset:132 ; 4-byte Folded Spill
.LBB54_190:
	s_andn2_saveexec_b64 s[0:1], s[0:1]
	s_cbranch_execz .LBB54_192
; %bb.191:
	v_div_scale_f32 v29, s[2:3], v30, v30, 1.0
	v_rcp_f32_e32 v31, v29
	s_waitcnt vmcnt(3)
	v_div_scale_f32 v56, vcc, 1.0, v30, 1.0
	v_fma_f32 v57, -v29, v31, 1.0
	v_fmac_f32_e32 v31, v57, v31
	v_mul_f32_e32 v57, v56, v31
	s_waitcnt vmcnt(2)
	v_fma_f32 v58, -v29, v57, v56
	v_fmac_f32_e32 v57, v58, v31
	v_fma_f32 v29, -v29, v57, v56
	v_div_fmas_f32 v29, v29, v31, v57
	v_div_fixup_f32 v30, v29, v30, 1.0
.LBB54_192:
	s_or_b64 exec, exec, s[0:1]
	v_cmp_ne_u32_e32 vcc, v255, v28
	s_and_saveexec_b64 s[0:1], vcc
	s_xor_b64 s[0:1], exec, s[0:1]
	s_cbranch_execz .LBB54_198
; %bb.193:
	v_cmp_eq_u32_e32 vcc, 11, v255
	s_and_saveexec_b64 s[2:3], vcc
	s_cbranch_execz .LBB54_197
; %bb.194:
	v_cmp_ne_u32_e32 vcc, 11, v28
	s_xor_b64 s[18:19], s[16:17], -1
	s_and_b64 s[20:21], s[18:19], vcc
	s_and_saveexec_b64 s[18:19], s[20:21]
	s_cbranch_execz .LBB54_196
; %bb.195:
	s_movk_i32 s20, 0x118c
	scratch_load_dwordx2 v[58:59], off, s20 ; 8-byte Folded Reload
	v_ashrrev_i32_e32 v29, 31, v28
	s_waitcnt vmcnt(0)
	v_lshl_add_u64 v[56:57], v[28:29], 2, v[58:59]
	global_load_dword v29, v[56:57], off
	global_load_dword v31, v[58:59], off offset:44
	s_waitcnt vmcnt(1)
	global_store_dword v[58:59], v29, off offset:44
	s_waitcnt vmcnt(1)
	global_store_dword v[56:57], v31, off
.LBB54_196:
	s_or_b64 exec, exec, s[18:19]
	v_mov_b32_e32 v29, v28
	v_mov_b32_e32 v255, v28
	scratch_store_dword off, v29, off offset:3080 ; 4-byte Folded Spill
.LBB54_197:
	s_or_b64 exec, exec, s[2:3]
.LBB54_198:
	s_or_saveexec_b64 s[0:1], s[0:1]
	v_mov_b64_e32 v[114:115], v[220:221]
	v_mov_b32_e32 v130, v236
	v_mov_b64_e32 v[116:117], v[222:223]
	v_mov_b64_e32 v[118:119], v[224:225]
	;; [unrolled: 1-line block ×7, first 2 shown]
	v_mov_b32_e32 v131, v237
	v_mov_b32_e32 v132, v238
	v_mov_b32_e32 v133, v239
	v_mov_b32_e32 v134, v240
	v_mov_b32_e32 v135, v241
	v_mov_b32_e32 v136, v242
	s_xor_b64 exec, exec, s[0:1]
	s_cbranch_execz .LBB54_200
; %bb.199:
	v_mov_b32_e32 v255, 11
	ds_write2_b32 v254, v152, v153 offset0:12 offset1:13
	ds_write2_b32 v254, v154, v155 offset0:14 offset1:15
	;; [unrolled: 1-line block ×8, first 2 shown]
.LBB54_200:
	s_or_b64 exec, exec, s[0:1]
	v_cmp_lt_i32_e32 vcc, 11, v255
	s_waitcnt lgkmcnt(0)
	s_barrier
	s_and_saveexec_b64 s[0:1], vcc
	s_cbranch_execz .LBB54_202
; %bb.201:
	v_mul_f32_e32 v78, v11, v30
	ds_read2_b32 v[4:5], v254 offset0:12 offset1:13
	ds_read2_b32 v[6:7], v254 offset0:14 offset1:15
	;; [unrolled: 1-line block ×5, first 2 shown]
	scratch_store_dwordx4 off, v[140:143], off offset:4 ; 16-byte Folded Spill
	s_nop 0
	scratch_store_dwordx4 off, v[144:147], off offset:20 ; 16-byte Folded Spill
	scratch_store_dwordx4 off, v[148:151], off offset:36 ; 16-byte Folded Spill
	;; [unrolled: 1-line block ×7, first 2 shown]
	scratch_load_dwordx4 v[12:15], off, off offset:4 ; 16-byte Folded Reload
	scratch_load_dwordx4 v[16:19], off, off offset:20 ; 16-byte Folded Reload
	;; [unrolled: 1-line block ×8, first 2 shown]
	v_mov_b32_e32 v159, v78
	v_mov_b32_e32 v199, v78
	;; [unrolled: 1-line block ×3, first 2 shown]
	s_waitcnt vmcnt(16)
	v_mov_b32_e32 v67, v78
	v_mov_b32_e32 v135, v78
	s_waitcnt vmcnt(4) lgkmcnt(4)
	v_pk_fma_f32 v[160:161], v[78:79], v[4:5], v[24:25] op_sel_hi:[0,1,1] neg_lo:[1,0,0] neg_hi:[1,0,0]
	scratch_load_dwordx4 v[12:15], off, off offset:4 ; 16-byte Folded Reload
	scratch_load_dwordx4 v[16:19], off, off offset:20 ; 16-byte Folded Reload
	;; [unrolled: 1-line block ×8, first 2 shown]
	v_mov_b32_e32 v200, v160
	v_mov_b32_e32 v201, v161
	;; [unrolled: 1-line block ×8, first 2 shown]
	s_waitcnt vmcnt(4) lgkmcnt(3)
	v_pk_fma_f32 v[202:203], v[78:79], v[6:7], v[26:27] op_sel_hi:[0,1,1] neg_lo:[1,0,0] neg_hi:[1,0,0]
	scratch_load_dwordx4 v[12:15], off, off offset:4 ; 16-byte Folded Reload
	scratch_load_dwordx4 v[16:19], off, off offset:20 ; 16-byte Folded Reload
	;; [unrolled: 1-line block ×8, first 2 shown]
	ds_read2_b32 v[4:5], v254 offset0:24 offset1:25
	v_mov_b32_e32 v100, v202
	v_mov_b32_e32 v101, v203
	;; [unrolled: 1-line block ×7, first 2 shown]
	s_waitcnt vmcnt(3) lgkmcnt(3)
	v_pk_fma_f32 v[102:103], v[78:79], v[8:9], v[28:29] op_sel_hi:[0,1,1] neg_lo:[1,0,0] neg_hi:[1,0,0]
	scratch_load_dwordx4 v[12:15], off, off offset:4 ; 16-byte Folded Reload
	scratch_load_dwordx4 v[16:19], off, off offset:20 ; 16-byte Folded Reload
	;; [unrolled: 1-line block ×8, first 2 shown]
	v_mov_b32_e32 v72, v102
	v_mov_b32_e32 v73, v103
	;; [unrolled: 1-line block ×6, first 2 shown]
	s_waitcnt vmcnt(1) lgkmcnt(2)
	v_pk_fma_f32 v[38:39], v[78:79], v[10:11], v[38:39] op_sel_hi:[0,1,1] neg_lo:[1,0,0] neg_hi:[1,0,0]
	scratch_store_dwordx4 off, v[12:15], off offset:4 ; 16-byte Folded Spill
	s_nop 0
	scratch_store_dwordx4 off, v[16:19], off offset:20 ; 16-byte Folded Spill
	scratch_store_dwordx4 off, v[20:23], off offset:36 ; 16-byte Folded Spill
	;; [unrolled: 1-line block ×6, first 2 shown]
	s_waitcnt vmcnt(7)
	scratch_store_dwordx4 off, v[40:43], off offset:116 ; 16-byte Folded Spill
	scratch_load_dwordx4 v[162:165], off, off offset:3724 ; 16-byte Folded Reload
	scratch_load_dwordx4 v[166:169], off, off offset:3740 ; 16-byte Folded Reload
	;; [unrolled: 1-line block ×8, first 2 shown]
	v_mov_b32_e32 v17, v78
	v_mov_b32_e32 v18, v160
	v_mov_b32_e32 v19, v161
	v_mov_b32_e32 v39, v78
	v_mov_b32_e32 v40, v160
	v_mov_b32_e32 v41, v161
	v_mov_b32_e32 v42, v202
	v_mov_b32_e32 v43, v203
	s_waitcnt vmcnt(5)
	v_mov_b32_e32 v173, v78
	v_mov_b32_e32 v6, v162
	;; [unrolled: 1-line block ×12, first 2 shown]
	scratch_store_dwordx4 off, v[6:9], off offset:3212 ; 16-byte Folded Spill
	s_nop 0
	scratch_store_dwordx4 off, v[10:13], off offset:3228 ; 16-byte Folded Spill
	scratch_store_dwordx4 off, v[14:17], off offset:3244 ; 16-byte Folded Spill
	;; [unrolled: 1-line block ×7, first 2 shown]
	v_mov_b32_e32 v28, v162
	v_mov_b32_e32 v29, v163
	;; [unrolled: 1-line block ×11, first 2 shown]
	scratch_store_dwordx4 off, v[28:31], off offset:2564 ; 16-byte Folded Spill
	s_nop 0
	scratch_store_dwordx4 off, v[32:35], off offset:2580 ; 16-byte Folded Spill
	scratch_store_dwordx4 off, v[36:39], off offset:2596 ; 16-byte Folded Spill
	;; [unrolled: 1-line block ×7, first 2 shown]
	v_mov_b32_e32 v44, v102
	v_mov_b32_e32 v45, v103
	;; [unrolled: 1-line block ×6, first 2 shown]
	s_waitcnt vmcnt(17)
	v_mov_b32_e32 v188, v162
	v_mov_b32_e32 v189, v163
	s_waitcnt vmcnt(16)
	v_mov_b32_e32 v190, v164
	v_mov_b32_e32 v191, v165
	;; [unrolled: 1-line block ×41, first 2 shown]
	scratch_store_dwordx4 off, v[28:31], off offset:1924 ; 16-byte Folded Spill
	s_nop 0
	scratch_store_dwordx4 off, v[32:35], off offset:1940 ; 16-byte Folded Spill
	scratch_store_dwordx4 off, v[36:39], off offset:1956 ; 16-byte Folded Spill
	;; [unrolled: 1-line block ×7, first 2 shown]
	scratch_load_dwordx4 v[6:9], off, off offset:4 ; 16-byte Folded Reload
	s_nop 0
	scratch_load_dwordx4 v[10:13], off, off offset:20 ; 16-byte Folded Reload
	scratch_load_dwordx4 v[14:17], off, off offset:36 ; 16-byte Folded Reload
	;; [unrolled: 1-line block ×7, first 2 shown]
	s_waitcnt vmcnt(3)
	v_mov_b32_e32 v22, v102
	v_mov_b32_e32 v23, v103
	;; [unrolled: 1-line block ×4, first 2 shown]
	s_waitcnt vmcnt(2)
	v_mov_b32_e32 v28, v162
	v_mov_b32_e32 v29, v163
	s_waitcnt vmcnt(1)
	v_mov_b32_e32 v30, v164
	v_mov_b32_e32 v31, v165
	;; [unrolled: 1-line block ×4, first 2 shown]
	s_waitcnt vmcnt(0)
	v_mov_b32_e32 v34, v168
	v_mov_b32_e32 v35, v169
	;; [unrolled: 1-line block ×18, first 2 shown]
	v_mov_b64_e32 v[218:219], v[20:21]
	v_mov_b64_e32 v[216:217], v[18:19]
	;; [unrolled: 1-line block ×8, first 2 shown]
	v_mov_b32_e32 v131, v169
	v_mov_b32_e32 v132, v170
	;; [unrolled: 1-line block ×4, first 2 shown]
	s_waitcnt lgkmcnt(1)
	v_pk_fma_f32 v[24:25], v[78:79], v[2:3], v[24:25] op_sel_hi:[0,1,1] neg_lo:[1,0,0] neg_hi:[1,0,0]
	v_mov_b64_e32 v[222:223], v[24:25]
	v_mov_b32_e32 v46, v222
	v_mov_b32_e32 v47, v223
	scratch_store_dwordx4 off, v[28:31], off offset:1668 ; 16-byte Folded Spill
	s_nop 0
	scratch_store_dwordx4 off, v[32:35], off offset:1684 ; 16-byte Folded Spill
	scratch_store_dwordx4 off, v[36:39], off offset:1700 ; 16-byte Folded Spill
	scratch_store_dwordx4 off, v[40:43], off offset:1716 ; 16-byte Folded Spill
	scratch_store_dwordx4 off, v[44:47], off offset:1732 ; 16-byte Folded Spill
	scratch_store_dwordx4 off, v[48:51], off offset:1748 ; 16-byte Folded Spill
	scratch_store_dwordx4 off, v[52:55], off offset:1764 ; 16-byte Folded Spill
	scratch_store_dwordx4 off, v[56:59], off offset:1780 ; 16-byte Folded Spill
	v_mov_b64_e32 v[220:221], v[22:23]
	ds_read2_b32 v[2:3], v254 offset0:20 offset1:21
	ds_read2_b32 v[6:7], v254 offset0:22 offset1:23
	scratch_load_dwordx4 v[8:11], off, off offset:4 ; 16-byte Folded Reload
	scratch_load_dwordx4 v[12:15], off, off offset:20 ; 16-byte Folded Reload
	;; [unrolled: 1-line block ×8, first 2 shown]
	v_mov_b32_e32 v56, v162
	v_mov_b32_e32 v57, v163
	;; [unrolled: 1-line block ×4, first 2 shown]
	s_waitcnt vmcnt(2)
	v_mov_b32_e32 v30, v164
	v_mov_b32_e32 v31, v165
	s_waitcnt vmcnt(1)
	v_mov_b32_e32 v32, v166
	v_mov_b32_e32 v33, v167
	;; [unrolled: 1-line block ×4, first 2 shown]
	s_waitcnt vmcnt(0)
	v_mov_b32_e32 v36, v170
	v_mov_b32_e32 v37, v171
	;; [unrolled: 1-line block ×8, first 2 shown]
	s_waitcnt lgkmcnt(1)
	v_pk_fma_f32 v[76:77], v[78:79], v[2:3], v[28:29] op_sel_hi:[0,1,1] neg_lo:[1,0,0] neg_hi:[1,0,0]
	v_mov_b32_e32 v28, v162
	v_mov_b32_e32 v29, v163
	;; [unrolled: 1-line block ×4, first 2 shown]
	scratch_store_dwordx4 off, v[28:31], off offset:1284 ; 16-byte Folded Spill
	s_nop 0
	scratch_store_dwordx4 off, v[32:35], off offset:1300 ; 16-byte Folded Spill
	scratch_store_dwordx4 off, v[36:39], off offset:1316 ; 16-byte Folded Spill
	;; [unrolled: 1-line block ×7, first 2 shown]
	scratch_load_dwordx4 v[8:11], off, off offset:4 ; 16-byte Folded Reload
	s_nop 0
	scratch_load_dwordx4 v[12:15], off, off offset:20 ; 16-byte Folded Reload
	scratch_load_dwordx4 v[16:19], off, off offset:36 ; 16-byte Folded Reload
	;; [unrolled: 1-line block ×7, first 2 shown]
	v_mov_b64_e32 v[48:49], v[220:221]
	s_waitcnt vmcnt(0)
	v_mov_b64_e32 v[32:33], v[204:205]
	v_mov_b64_e32 v[50:51], v[222:223]
	;; [unrolled: 1-line block ×4, first 2 shown]
	v_mov_b32_e32 v8, v164
	v_mov_b32_e32 v9, v165
	;; [unrolled: 1-line block ×20, first 2 shown]
	v_mov_b64_e32 v[38:39], v[210:211]
	v_mov_b64_e32 v[40:41], v[212:213]
	;; [unrolled: 1-line block ×5, first 2 shown]
	v_mov_b32_e32 v238, v50
	v_mov_b32_e32 v239, v51
	v_mov_b32_e32 v144, v76
	v_mov_b32_e32 v145, v77
	v_mov_b32_e32 v240, v76
	v_mov_b32_e32 v241, v77
	s_waitcnt lgkmcnt(0)
	v_pk_fma_f32 v[146:147], v[78:79], v[6:7], v[30:31] op_sel_hi:[0,1,1] neg_lo:[1,0,0] neg_hi:[1,0,0]
	v_mov_b32_e32 v6, v162
	v_mov_b32_e32 v7, v163
	;; [unrolled: 1-line block ×4, first 2 shown]
	scratch_store_dwordx4 off, v[6:9], off offset:1028 ; 16-byte Folded Spill
	s_nop 0
	scratch_store_dwordx4 off, v[10:13], off offset:1044 ; 16-byte Folded Spill
	scratch_store_dwordx4 off, v[14:17], off offset:1060 ; 16-byte Folded Spill
	;; [unrolled: 1-line block ×7, first 2 shown]
	scratch_load_dwordx4 v[204:207], off, off offset:4 ; 16-byte Folded Reload
	scratch_load_dwordx4 v[208:211], off, off offset:20 ; 16-byte Folded Reload
	;; [unrolled: 1-line block ×8, first 2 shown]
	s_waitcnt vmcnt(3)
	v_mov_b32_e32 v220, v162
	v_mov_b32_e32 v221, v163
	;; [unrolled: 1-line block ×4, first 2 shown]
	s_waitcnt vmcnt(2)
	v_mov_b32_e32 v224, v166
	v_mov_b32_e32 v225, v167
	;; [unrolled: 1-line block ×4, first 2 shown]
	s_waitcnt vmcnt(1)
	v_mov_b32_e32 v230, v172
	s_waitcnt vmcnt(0)
	v_mov_b32_e32 v232, v160
	v_mov_b32_e32 v233, v161
	;; [unrolled: 1-line block ×7, first 2 shown]
	v_pk_fma_f32 v[244:245], v[78:79], v[4:5], v[228:229] op_sel_hi:[0,1,1] neg_lo:[1,0,0] neg_hi:[1,0,0]
	scratch_load_dwordx4 v[0:3], off, off offset:4 ; 16-byte Folded Reload
	scratch_load_dwordx4 v[4:7], off, off offset:20 ; 16-byte Folded Reload
	;; [unrolled: 1-line block ×8, first 2 shown]
	s_waitcnt vmcnt(5)
	v_mov_b32_e32 v11, v78
	v_mov_b32_e32 v228, v170
	;; [unrolled: 1-line block ×3, first 2 shown]
	scratch_store_dwordx4 off, v[0:3], off offset:4 ; 16-byte Folded Spill
	s_nop 0
	scratch_store_dwordx4 off, v[4:7], off offset:20 ; 16-byte Folded Spill
	scratch_store_dwordx4 off, v[8:11], off offset:36 ; 16-byte Folded Spill
	s_waitcnt vmcnt(7)
	scratch_store_dwordx4 off, v[12:15], off offset:52 ; 16-byte Folded Spill
	s_waitcnt vmcnt(7)
	;; [unrolled: 2-line block ×5, first 2 shown]
	scratch_store_dwordx4 off, v[28:31], off offset:116 ; 16-byte Folded Spill
	v_mov_b64_e32 v[20:21], v[32:33]
	v_mov_b64_e32 v[22:23], v[34:35]
	;; [unrolled: 1-line block ×10, first 2 shown]
	v_mov_b32_e32 v18, v38
	v_mov_b32_e32 v19, v39
	v_mov_b64_e32 v[46:47], v[34:35]
	v_mov_b32_e32 v0, v162
	v_mov_b32_e32 v1, v163
	;; [unrolled: 1-line block ×17, first 2 shown]
	v_mov_b64_e32 v[44:45], v[32:33]
	v_mov_b64_e32 v[42:43], v[30:31]
	;; [unrolled: 1-line block ×7, first 2 shown]
	v_mov_b32_e32 v20, v76
	v_mov_b32_e32 v21, v77
	;; [unrolled: 1-line block ×6, first 2 shown]
	scratch_store_dwordx4 off, v[0:3], off offset:900 ; 16-byte Folded Spill
	s_nop 0
	scratch_store_dwordx4 off, v[4:7], off offset:916 ; 16-byte Folded Spill
	scratch_store_dwordx4 off, v[8:11], off offset:932 ; 16-byte Folded Spill
	;; [unrolled: 1-line block ×7, first 2 shown]
	scratch_load_dwordx4 v[0:3], off, off offset:4 ; 16-byte Folded Reload
	s_nop 0
	scratch_load_dwordx4 v[4:7], off, off offset:20 ; 16-byte Folded Reload
	scratch_load_dwordx4 v[8:11], off, off offset:36 ; 16-byte Folded Reload
	scratch_load_dwordx4 v[12:15], off, off offset:52 ; 16-byte Folded Reload
	scratch_load_dwordx4 v[16:19], off, off offset:68 ; 16-byte Folded Reload
	scratch_load_dwordx4 v[20:23], off, off offset:84 ; 16-byte Folded Reload
	scratch_load_dwordx4 v[24:27], off, off offset:100 ; 16-byte Folded Reload
	scratch_load_dwordx4 v[28:31], off, off offset:116 ; 16-byte Folded Reload
	s_waitcnt vmcnt(7)
	v_mov_b32_e32 v0, v162
	scratch_store_dwordx4 off, v[0:3], off offset:4 ; 16-byte Folded Spill
	s_waitcnt vmcnt(7)
	scratch_store_dwordx4 off, v[4:7], off offset:20 ; 16-byte Folded Spill
	s_waitcnt vmcnt(7)
	scratch_store_dwordx4 off, v[8:11], off offset:36 ; 16-byte Folded Spill
	s_waitcnt vmcnt(7)
	scratch_store_dwordx4 off, v[12:15], off offset:52 ; 16-byte Folded Spill
	s_waitcnt vmcnt(7)
	scratch_store_dwordx4 off, v[16:19], off offset:68 ; 16-byte Folded Spill
	s_waitcnt vmcnt(7)
	scratch_store_dwordx4 off, v[20:23], off offset:84 ; 16-byte Folded Spill
	s_waitcnt vmcnt(7)
	scratch_store_dwordx4 off, v[24:27], off offset:100 ; 16-byte Folded Spill
	s_waitcnt vmcnt(7)
	scratch_store_dwordx4 off, v[28:31], off offset:116 ; 16-byte Folded Spill
	scratch_load_dwordx4 v[0:3], off, off offset:4 ; 16-byte Folded Reload
	s_nop 0
	scratch_load_dwordx4 v[4:7], off, off offset:20 ; 16-byte Folded Reload
	scratch_load_dwordx4 v[8:11], off, off offset:36 ; 16-byte Folded Reload
	scratch_load_dwordx4 v[12:15], off, off offset:52 ; 16-byte Folded Reload
	scratch_load_dwordx4 v[16:19], off, off offset:68 ; 16-byte Folded Reload
	scratch_load_dwordx4 v[20:23], off, off offset:84 ; 16-byte Folded Reload
	scratch_load_dwordx4 v[24:27], off, off offset:100 ; 16-byte Folded Reload
	scratch_load_dwordx4 v[28:31], off, off offset:116 ; 16-byte Folded Reload
	s_waitcnt vmcnt(7)
	v_mov_b32_e32 v1, v163
	scratch_store_dwordx4 off, v[0:3], off offset:4 ; 16-byte Folded Spill
	s_waitcnt vmcnt(7)
	scratch_store_dwordx4 off, v[4:7], off offset:20 ; 16-byte Folded Spill
	s_waitcnt vmcnt(7)
	scratch_store_dwordx4 off, v[8:11], off offset:36 ; 16-byte Folded Spill
	s_waitcnt vmcnt(7)
	scratch_store_dwordx4 off, v[12:15], off offset:52 ; 16-byte Folded Spill
	s_waitcnt vmcnt(7)
	scratch_store_dwordx4 off, v[16:19], off offset:68 ; 16-byte Folded Spill
	s_waitcnt vmcnt(7)
	scratch_store_dwordx4 off, v[20:23], off offset:84 ; 16-byte Folded Spill
	s_waitcnt vmcnt(7)
	scratch_store_dwordx4 off, v[24:27], off offset:100 ; 16-byte Folded Spill
	s_waitcnt vmcnt(7)
	scratch_store_dwordx4 off, v[28:31], off offset:116 ; 16-byte Folded Spill
	;; [unrolled: 26-line block ×4, first 2 shown]
	scratch_load_dwordx4 v[0:3], off, off offset:4 ; 16-byte Folded Reload
	s_nop 0
	scratch_load_dwordx4 v[4:7], off, off offset:20 ; 16-byte Folded Reload
	scratch_load_dwordx4 v[8:11], off, off offset:36 ; 16-byte Folded Reload
	scratch_load_dwordx4 v[12:15], off, off offset:52 ; 16-byte Folded Reload
	scratch_load_dwordx4 v[16:19], off, off offset:68 ; 16-byte Folded Reload
	scratch_load_dwordx4 v[20:23], off, off offset:84 ; 16-byte Folded Reload
	scratch_load_dwordx4 v[24:27], off, off offset:100 ; 16-byte Folded Reload
	scratch_load_dwordx4 v[28:31], off, off offset:116 ; 16-byte Folded Reload
	s_waitcnt vmcnt(6)
	v_mov_b32_e32 v4, v166
	scratch_store_dwordx4 off, v[0:3], off offset:4 ; 16-byte Folded Spill
	s_nop 0
	scratch_store_dwordx4 off, v[4:7], off offset:20 ; 16-byte Folded Spill
	s_waitcnt vmcnt(7)
	scratch_store_dwordx4 off, v[8:11], off offset:36 ; 16-byte Folded Spill
	s_waitcnt vmcnt(7)
	scratch_store_dwordx4 off, v[12:15], off offset:52 ; 16-byte Folded Spill
	s_waitcnt vmcnt(7)
	scratch_store_dwordx4 off, v[16:19], off offset:68 ; 16-byte Folded Spill
	s_waitcnt vmcnt(7)
	scratch_store_dwordx4 off, v[20:23], off offset:84 ; 16-byte Folded Spill
	s_waitcnt vmcnt(7)
	scratch_store_dwordx4 off, v[24:27], off offset:100 ; 16-byte Folded Spill
	s_waitcnt vmcnt(7)
	scratch_store_dwordx4 off, v[28:31], off offset:116 ; 16-byte Folded Spill
	scratch_load_dwordx4 v[0:3], off, off offset:4 ; 16-byte Folded Reload
	s_nop 0
	scratch_load_dwordx4 v[4:7], off, off offset:20 ; 16-byte Folded Reload
	scratch_load_dwordx4 v[8:11], off, off offset:36 ; 16-byte Folded Reload
	scratch_load_dwordx4 v[12:15], off, off offset:52 ; 16-byte Folded Reload
	scratch_load_dwordx4 v[16:19], off, off offset:68 ; 16-byte Folded Reload
	scratch_load_dwordx4 v[20:23], off, off offset:84 ; 16-byte Folded Reload
	scratch_load_dwordx4 v[24:27], off, off offset:100 ; 16-byte Folded Reload
	scratch_load_dwordx4 v[28:31], off, off offset:116 ; 16-byte Folded Reload
	s_waitcnt vmcnt(6)
	v_mov_b32_e32 v5, v167
	scratch_store_dwordx4 off, v[0:3], off offset:4 ; 16-byte Folded Spill
	s_nop 0
	scratch_store_dwordx4 off, v[4:7], off offset:20 ; 16-byte Folded Spill
	s_waitcnt vmcnt(7)
	scratch_store_dwordx4 off, v[8:11], off offset:36 ; 16-byte Folded Spill
	s_waitcnt vmcnt(7)
	scratch_store_dwordx4 off, v[12:15], off offset:52 ; 16-byte Folded Spill
	s_waitcnt vmcnt(7)
	scratch_store_dwordx4 off, v[16:19], off offset:68 ; 16-byte Folded Spill
	s_waitcnt vmcnt(7)
	scratch_store_dwordx4 off, v[20:23], off offset:84 ; 16-byte Folded Spill
	s_waitcnt vmcnt(7)
	scratch_store_dwordx4 off, v[24:27], off offset:100 ; 16-byte Folded Spill
	s_waitcnt vmcnt(7)
	scratch_store_dwordx4 off, v[28:31], off offset:116 ; 16-byte Folded Spill
	;; [unrolled: 26-line block ×4, first 2 shown]
	scratch_load_dwordx4 v[0:3], off, off offset:4 ; 16-byte Folded Reload
	s_nop 0
	scratch_load_dwordx4 v[4:7], off, off offset:20 ; 16-byte Folded Reload
	scratch_load_dwordx4 v[8:11], off, off offset:36 ; 16-byte Folded Reload
	scratch_load_dwordx4 v[12:15], off, off offset:52 ; 16-byte Folded Reload
	scratch_load_dwordx4 v[16:19], off, off offset:68 ; 16-byte Folded Reload
	scratch_load_dwordx4 v[20:23], off, off offset:84 ; 16-byte Folded Reload
	scratch_load_dwordx4 v[24:27], off, off offset:100 ; 16-byte Folded Reload
	scratch_load_dwordx4 v[28:31], off, off offset:116 ; 16-byte Folded Reload
	s_waitcnt vmcnt(5)
	v_mov_b32_e32 v8, v170
	scratch_store_dwordx4 off, v[0:3], off offset:4 ; 16-byte Folded Spill
	s_nop 0
	scratch_store_dwordx4 off, v[4:7], off offset:20 ; 16-byte Folded Spill
	scratch_store_dwordx4 off, v[8:11], off offset:36 ; 16-byte Folded Spill
	s_waitcnt vmcnt(7)
	scratch_store_dwordx4 off, v[12:15], off offset:52 ; 16-byte Folded Spill
	s_waitcnt vmcnt(7)
	scratch_store_dwordx4 off, v[16:19], off offset:68 ; 16-byte Folded Spill
	s_waitcnt vmcnt(7)
	scratch_store_dwordx4 off, v[20:23], off offset:84 ; 16-byte Folded Spill
	s_waitcnt vmcnt(7)
	scratch_store_dwordx4 off, v[24:27], off offset:100 ; 16-byte Folded Spill
	s_waitcnt vmcnt(7)
	scratch_store_dwordx4 off, v[28:31], off offset:116 ; 16-byte Folded Spill
	scratch_load_dwordx4 v[0:3], off, off offset:4 ; 16-byte Folded Reload
	s_nop 0
	scratch_load_dwordx4 v[4:7], off, off offset:20 ; 16-byte Folded Reload
	scratch_load_dwordx4 v[8:11], off, off offset:36 ; 16-byte Folded Reload
	scratch_load_dwordx4 v[12:15], off, off offset:52 ; 16-byte Folded Reload
	scratch_load_dwordx4 v[16:19], off, off offset:68 ; 16-byte Folded Reload
	scratch_load_dwordx4 v[20:23], off, off offset:84 ; 16-byte Folded Reload
	scratch_load_dwordx4 v[24:27], off, off offset:100 ; 16-byte Folded Reload
	scratch_load_dwordx4 v[28:31], off, off offset:116 ; 16-byte Folded Reload
	s_waitcnt vmcnt(5)
	v_mov_b32_e32 v9, v171
	scratch_store_dwordx4 off, v[0:3], off offset:4 ; 16-byte Folded Spill
	s_nop 0
	scratch_store_dwordx4 off, v[4:7], off offset:20 ; 16-byte Folded Spill
	scratch_store_dwordx4 off, v[8:11], off offset:36 ; 16-byte Folded Spill
	s_waitcnt vmcnt(7)
	scratch_store_dwordx4 off, v[12:15], off offset:52 ; 16-byte Folded Spill
	s_waitcnt vmcnt(7)
	scratch_store_dwordx4 off, v[16:19], off offset:68 ; 16-byte Folded Spill
	s_waitcnt vmcnt(7)
	scratch_store_dwordx4 off, v[20:23], off offset:84 ; 16-byte Folded Spill
	s_waitcnt vmcnt(7)
	scratch_store_dwordx4 off, v[24:27], off offset:100 ; 16-byte Folded Spill
	s_waitcnt vmcnt(7)
	scratch_store_dwordx4 off, v[28:31], off offset:116 ; 16-byte Folded Spill
	scratch_load_dwordx4 v[0:3], off, off offset:4 ; 16-byte Folded Reload
	s_nop 0
	scratch_load_dwordx4 v[4:7], off, off offset:20 ; 16-byte Folded Reload
	scratch_load_dwordx4 v[8:11], off, off offset:36 ; 16-byte Folded Reload
	scratch_load_dwordx4 v[12:15], off, off offset:52 ; 16-byte Folded Reload
	scratch_load_dwordx4 v[16:19], off, off offset:68 ; 16-byte Folded Reload
	scratch_load_dwordx4 v[20:23], off, off offset:84 ; 16-byte Folded Reload
	scratch_load_dwordx4 v[24:27], off, off offset:100 ; 16-byte Folded Reload
	scratch_load_dwordx4 v[28:31], off, off offset:116 ; 16-byte Folded Reload
	s_waitcnt vmcnt(5)
	v_mov_b32_e32 v10, v172
	scratch_store_dwordx4 off, v[0:3], off offset:4 ; 16-byte Folded Spill
	s_nop 0
	scratch_store_dwordx4 off, v[4:7], off offset:20 ; 16-byte Folded Spill
	scratch_store_dwordx4 off, v[8:11], off offset:36 ; 16-byte Folded Spill
	s_waitcnt vmcnt(7)
	scratch_store_dwordx4 off, v[12:15], off offset:52 ; 16-byte Folded Spill
	s_waitcnt vmcnt(7)
	scratch_store_dwordx4 off, v[16:19], off offset:68 ; 16-byte Folded Spill
	s_waitcnt vmcnt(7)
	scratch_store_dwordx4 off, v[20:23], off offset:84 ; 16-byte Folded Spill
	s_waitcnt vmcnt(7)
	scratch_store_dwordx4 off, v[24:27], off offset:100 ; 16-byte Folded Spill
	s_waitcnt vmcnt(7)
	scratch_store_dwordx4 off, v[28:31], off offset:116 ; 16-byte Folded Spill
	scratch_load_dwordx4 v[0:3], off, off offset:4 ; 16-byte Folded Reload
	s_nop 0
	scratch_load_dwordx4 v[4:7], off, off offset:20 ; 16-byte Folded Reload
	scratch_load_dwordx4 v[8:11], off, off offset:36 ; 16-byte Folded Reload
	scratch_load_dwordx4 v[12:15], off, off offset:52 ; 16-byte Folded Reload
	scratch_load_dwordx4 v[16:19], off, off offset:68 ; 16-byte Folded Reload
	scratch_load_dwordx4 v[20:23], off, off offset:84 ; 16-byte Folded Reload
	scratch_load_dwordx4 v[24:27], off, off offset:100 ; 16-byte Folded Reload
	scratch_load_dwordx4 v[28:31], off, off offset:116 ; 16-byte Folded Reload
	s_waitcnt vmcnt(4)
	v_mov_b32_e32 v12, v160
	scratch_store_dwordx4 off, v[0:3], off offset:4 ; 16-byte Folded Spill
	s_nop 0
	scratch_store_dwordx4 off, v[4:7], off offset:20 ; 16-byte Folded Spill
	scratch_store_dwordx4 off, v[8:11], off offset:36 ; 16-byte Folded Spill
	scratch_store_dwordx4 off, v[12:15], off offset:52 ; 16-byte Folded Spill
	s_waitcnt vmcnt(7)
	scratch_store_dwordx4 off, v[16:19], off offset:68 ; 16-byte Folded Spill
	s_waitcnt vmcnt(7)
	scratch_store_dwordx4 off, v[20:23], off offset:84 ; 16-byte Folded Spill
	s_waitcnt vmcnt(7)
	scratch_store_dwordx4 off, v[24:27], off offset:100 ; 16-byte Folded Spill
	s_waitcnt vmcnt(7)
	scratch_store_dwordx4 off, v[28:31], off offset:116 ; 16-byte Folded Spill
	scratch_load_dwordx4 v[0:3], off, off offset:4 ; 16-byte Folded Reload
	s_nop 0
	scratch_load_dwordx4 v[4:7], off, off offset:20 ; 16-byte Folded Reload
	scratch_load_dwordx4 v[8:11], off, off offset:36 ; 16-byte Folded Reload
	scratch_load_dwordx4 v[12:15], off, off offset:52 ; 16-byte Folded Reload
	scratch_load_dwordx4 v[16:19], off, off offset:68 ; 16-byte Folded Reload
	scratch_load_dwordx4 v[20:23], off, off offset:84 ; 16-byte Folded Reload
	scratch_load_dwordx4 v[24:27], off, off offset:100 ; 16-byte Folded Reload
	scratch_load_dwordx4 v[28:31], off, off offset:116 ; 16-byte Folded Reload
	s_waitcnt vmcnt(4)
	v_mov_b32_e32 v13, v161
	scratch_store_dwordx4 off, v[0:3], off offset:4 ; 16-byte Folded Spill
	s_nop 0
	scratch_store_dwordx4 off, v[4:7], off offset:20 ; 16-byte Folded Spill
	scratch_store_dwordx4 off, v[8:11], off offset:36 ; 16-byte Folded Spill
	scratch_store_dwordx4 off, v[12:15], off offset:52 ; 16-byte Folded Spill
	s_waitcnt vmcnt(7)
	scratch_store_dwordx4 off, v[16:19], off offset:68 ; 16-byte Folded Spill
	s_waitcnt vmcnt(7)
	scratch_store_dwordx4 off, v[20:23], off offset:84 ; 16-byte Folded Spill
	s_waitcnt vmcnt(7)
	scratch_store_dwordx4 off, v[24:27], off offset:100 ; 16-byte Folded Spill
	s_waitcnt vmcnt(7)
	scratch_store_dwordx4 off, v[28:31], off offset:116 ; 16-byte Folded Spill
	;; [unrolled: 24-line block ×4, first 2 shown]
	scratch_load_dwordx4 v[0:3], off, off offset:4 ; 16-byte Folded Reload
	s_nop 0
	scratch_load_dwordx4 v[4:7], off, off offset:20 ; 16-byte Folded Reload
	scratch_load_dwordx4 v[8:11], off, off offset:36 ; 16-byte Folded Reload
	scratch_load_dwordx4 v[12:15], off, off offset:52 ; 16-byte Folded Reload
	scratch_load_dwordx4 v[16:19], off, off offset:68 ; 16-byte Folded Reload
	scratch_load_dwordx4 v[20:23], off, off offset:84 ; 16-byte Folded Reload
	scratch_load_dwordx4 v[24:27], off, off offset:100 ; 16-byte Folded Reload
	scratch_load_dwordx4 v[28:31], off, off offset:116 ; 16-byte Folded Reload
	s_waitcnt vmcnt(3)
	v_mov_b32_e32 v16, v102
	scratch_store_dwordx4 off, v[0:3], off offset:4 ; 16-byte Folded Spill
	s_nop 0
	scratch_store_dwordx4 off, v[4:7], off offset:20 ; 16-byte Folded Spill
	scratch_store_dwordx4 off, v[8:11], off offset:36 ; 16-byte Folded Spill
	scratch_store_dwordx4 off, v[12:15], off offset:52 ; 16-byte Folded Spill
	scratch_store_dwordx4 off, v[16:19], off offset:68 ; 16-byte Folded Spill
	s_waitcnt vmcnt(7)
	scratch_store_dwordx4 off, v[20:23], off offset:84 ; 16-byte Folded Spill
	s_waitcnt vmcnt(7)
	scratch_store_dwordx4 off, v[24:27], off offset:100 ; 16-byte Folded Spill
	s_waitcnt vmcnt(7)
	scratch_store_dwordx4 off, v[28:31], off offset:116 ; 16-byte Folded Spill
	scratch_load_dwordx4 v[0:3], off, off offset:4 ; 16-byte Folded Reload
	s_nop 0
	scratch_load_dwordx4 v[4:7], off, off offset:20 ; 16-byte Folded Reload
	scratch_load_dwordx4 v[8:11], off, off offset:36 ; 16-byte Folded Reload
	scratch_load_dwordx4 v[12:15], off, off offset:52 ; 16-byte Folded Reload
	scratch_load_dwordx4 v[16:19], off, off offset:68 ; 16-byte Folded Reload
	scratch_load_dwordx4 v[20:23], off, off offset:84 ; 16-byte Folded Reload
	scratch_load_dwordx4 v[24:27], off, off offset:100 ; 16-byte Folded Reload
	scratch_load_dwordx4 v[28:31], off, off offset:116 ; 16-byte Folded Reload
	s_waitcnt vmcnt(3)
	v_mov_b32_e32 v17, v103
	scratch_store_dwordx4 off, v[0:3], off offset:4 ; 16-byte Folded Spill
	s_nop 0
	scratch_store_dwordx4 off, v[4:7], off offset:20 ; 16-byte Folded Spill
	scratch_store_dwordx4 off, v[8:11], off offset:36 ; 16-byte Folded Spill
	scratch_store_dwordx4 off, v[12:15], off offset:52 ; 16-byte Folded Spill
	scratch_store_dwordx4 off, v[16:19], off offset:68 ; 16-byte Folded Spill
	s_waitcnt vmcnt(7)
	scratch_store_dwordx4 off, v[20:23], off offset:84 ; 16-byte Folded Spill
	s_waitcnt vmcnt(7)
	scratch_store_dwordx4 off, v[24:27], off offset:100 ; 16-byte Folded Spill
	s_waitcnt vmcnt(7)
	scratch_store_dwordx4 off, v[28:31], off offset:116 ; 16-byte Folded Spill
	scratch_load_dwordx4 v[0:3], off, off offset:4 ; 16-byte Folded Reload
	s_nop 0
	scratch_load_dwordx4 v[4:7], off, off offset:20 ; 16-byte Folded Reload
	scratch_load_dwordx4 v[8:11], off, off offset:36 ; 16-byte Folded Reload
	scratch_load_dwordx4 v[12:15], off, off offset:52 ; 16-byte Folded Reload
	scratch_load_dwordx4 v[16:19], off, off offset:68 ; 16-byte Folded Reload
	scratch_load_dwordx4 v[20:23], off, off offset:84 ; 16-byte Folded Reload
	scratch_load_dwordx4 v[24:27], off, off offset:100 ; 16-byte Folded Reload
	scratch_load_dwordx4 v[28:31], off, off offset:116 ; 16-byte Folded Reload
	s_waitcnt vmcnt(3)
	v_mov_b32_e32 v18, v50
	scratch_store_dwordx4 off, v[0:3], off offset:4 ; 16-byte Folded Spill
	s_nop 0
	scratch_store_dwordx4 off, v[4:7], off offset:20 ; 16-byte Folded Spill
	scratch_store_dwordx4 off, v[8:11], off offset:36 ; 16-byte Folded Spill
	scratch_store_dwordx4 off, v[12:15], off offset:52 ; 16-byte Folded Spill
	scratch_store_dwordx4 off, v[16:19], off offset:68 ; 16-byte Folded Spill
	s_waitcnt vmcnt(7)
	scratch_store_dwordx4 off, v[20:23], off offset:84 ; 16-byte Folded Spill
	s_waitcnt vmcnt(7)
	scratch_store_dwordx4 off, v[24:27], off offset:100 ; 16-byte Folded Spill
	s_waitcnt vmcnt(7)
	scratch_store_dwordx4 off, v[28:31], off offset:116 ; 16-byte Folded Spill
	scratch_load_dwordx4 v[0:3], off, off offset:4 ; 16-byte Folded Reload
	s_nop 0
	scratch_load_dwordx4 v[4:7], off, off offset:20 ; 16-byte Folded Reload
	scratch_load_dwordx4 v[8:11], off, off offset:36 ; 16-byte Folded Reload
	;; [unrolled: 1-line block ×7, first 2 shown]
	s_waitcnt vmcnt(3)
	v_mov_b32_e32 v19, v51
	scratch_store_dwordx4 off, v[32:35], off offset:1540 ; 16-byte Folded Spill
	s_nop 0
	scratch_store_dwordx4 off, v[36:39], off offset:1556 ; 16-byte Folded Spill
	scratch_store_dwordx4 off, v[40:43], off offset:1572 ; 16-byte Folded Spill
	;; [unrolled: 1-line block ×8, first 2 shown]
	s_nop 0
	scratch_store_dwordx4 off, v[4:7], off offset:20 ; 16-byte Folded Spill
	scratch_store_dwordx4 off, v[8:11], off offset:36 ; 16-byte Folded Spill
	;; [unrolled: 1-line block ×4, first 2 shown]
	s_waitcnt vmcnt(15)
	scratch_store_dwordx4 off, v[20:23], off offset:84 ; 16-byte Folded Spill
	s_waitcnt vmcnt(15)
	scratch_store_dwordx4 off, v[24:27], off offset:100 ; 16-byte Folded Spill
	;; [unrolled: 2-line block ×3, first 2 shown]
	scratch_load_dwordx4 v[0:3], off, off offset:4 ; 16-byte Folded Reload
	s_nop 0
	scratch_load_dwordx4 v[4:7], off, off offset:20 ; 16-byte Folded Reload
	scratch_load_dwordx4 v[8:11], off, off offset:36 ; 16-byte Folded Reload
	;; [unrolled: 1-line block ×7, first 2 shown]
	s_waitcnt vmcnt(2)
	v_mov_b32_e32 v20, v76
	v_mov_b64_e32 v[50:51], v[72:73]
	v_mov_b64_e32 v[52:53], v[74:75]
	v_mov_b64_e32 v[54:55], v[76:77]
	scratch_store_dwordx4 off, v[0:3], off offset:4 ; 16-byte Folded Spill
	s_nop 0
	scratch_store_dwordx4 off, v[4:7], off offset:20 ; 16-byte Folded Spill
	scratch_store_dwordx4 off, v[8:11], off offset:36 ; 16-byte Folded Spill
	scratch_store_dwordx4 off, v[12:15], off offset:52 ; 16-byte Folded Spill
	scratch_store_dwordx4 off, v[16:19], off offset:68 ; 16-byte Folded Spill
	scratch_store_dwordx4 off, v[20:23], off offset:84 ; 16-byte Folded Spill
	s_waitcnt vmcnt(7)
	scratch_store_dwordx4 off, v[24:27], off offset:100 ; 16-byte Folded Spill
	s_waitcnt vmcnt(7)
	scratch_store_dwordx4 off, v[28:31], off offset:116 ; 16-byte Folded Spill
	scratch_load_dwordx4 v[0:3], off, off offset:4 ; 16-byte Folded Reload
	s_nop 0
	scratch_load_dwordx4 v[4:7], off, off offset:20 ; 16-byte Folded Reload
	scratch_load_dwordx4 v[8:11], off, off offset:36 ; 16-byte Folded Reload
	scratch_load_dwordx4 v[12:15], off, off offset:52 ; 16-byte Folded Reload
	scratch_load_dwordx4 v[16:19], off, off offset:68 ; 16-byte Folded Reload
	scratch_load_dwordx4 v[20:23], off, off offset:84 ; 16-byte Folded Reload
	scratch_load_dwordx4 v[24:27], off, off offset:100 ; 16-byte Folded Reload
	scratch_load_dwordx4 v[28:31], off, off offset:116 ; 16-byte Folded Reload
	s_waitcnt vmcnt(2)
	v_mov_b32_e32 v21, v77
	v_mov_b64_e32 v[34:35], v[56:57]
	v_mov_b64_e32 v[36:37], v[58:59]
	;; [unrolled: 1-line block ×8, first 2 shown]
	scratch_store_dwordx4 off, v[0:3], off offset:4 ; 16-byte Folded Spill
	s_nop 0
	scratch_store_dwordx4 off, v[4:7], off offset:20 ; 16-byte Folded Spill
	scratch_store_dwordx4 off, v[8:11], off offset:36 ; 16-byte Folded Spill
	scratch_store_dwordx4 off, v[12:15], off offset:52 ; 16-byte Folded Spill
	scratch_store_dwordx4 off, v[16:19], off offset:68 ; 16-byte Folded Spill
	scratch_store_dwordx4 off, v[20:23], off offset:84 ; 16-byte Folded Spill
	s_waitcnt vmcnt(7)
	scratch_store_dwordx4 off, v[24:27], off offset:100 ; 16-byte Folded Spill
	s_waitcnt vmcnt(7)
	scratch_store_dwordx4 off, v[28:31], off offset:116 ; 16-byte Folded Spill
	scratch_load_dwordx4 v[0:3], off, off offset:4 ; 16-byte Folded Reload
	s_nop 0
	scratch_load_dwordx4 v[4:7], off, off offset:20 ; 16-byte Folded Reload
	scratch_load_dwordx4 v[8:11], off, off offset:36 ; 16-byte Folded Reload
	scratch_load_dwordx4 v[12:15], off, off offset:52 ; 16-byte Folded Reload
	scratch_load_dwordx4 v[16:19], off, off offset:68 ; 16-byte Folded Reload
	scratch_load_dwordx4 v[20:23], off, off offset:84 ; 16-byte Folded Reload
	scratch_load_dwordx4 v[24:27], off, off offset:100 ; 16-byte Folded Reload
	scratch_load_dwordx4 v[28:31], off, off offset:116 ; 16-byte Folded Reload
	s_waitcnt vmcnt(2)
	v_mov_b32_e32 v22, v146
	scratch_store_dwordx4 off, v[0:3], off offset:4 ; 16-byte Folded Spill
	s_nop 0
	scratch_store_dwordx4 off, v[4:7], off offset:20 ; 16-byte Folded Spill
	scratch_store_dwordx4 off, v[8:11], off offset:36 ; 16-byte Folded Spill
	scratch_store_dwordx4 off, v[12:15], off offset:52 ; 16-byte Folded Spill
	scratch_store_dwordx4 off, v[16:19], off offset:68 ; 16-byte Folded Spill
	scratch_store_dwordx4 off, v[20:23], off offset:84 ; 16-byte Folded Spill
	s_waitcnt vmcnt(7)
	scratch_store_dwordx4 off, v[24:27], off offset:100 ; 16-byte Folded Spill
	s_waitcnt vmcnt(7)
	scratch_store_dwordx4 off, v[28:31], off offset:116 ; 16-byte Folded Spill
	scratch_load_dwordx4 v[0:3], off, off offset:4 ; 16-byte Folded Reload
	s_nop 0
	scratch_load_dwordx4 v[4:7], off, off offset:20 ; 16-byte Folded Reload
	scratch_load_dwordx4 v[8:11], off, off offset:36 ; 16-byte Folded Reload
	scratch_load_dwordx4 v[12:15], off, off offset:52 ; 16-byte Folded Reload
	scratch_load_dwordx4 v[16:19], off, off offset:68 ; 16-byte Folded Reload
	scratch_load_dwordx4 v[20:23], off, off offset:84 ; 16-byte Folded Reload
	scratch_load_dwordx4 v[24:27], off, off offset:100 ; 16-byte Folded Reload
	scratch_load_dwordx4 v[28:31], off, off offset:116 ; 16-byte Folded Reload
	s_waitcnt vmcnt(2)
	v_mov_b32_e32 v23, v147
	scratch_store_dwordx4 off, v[0:3], off offset:4 ; 16-byte Folded Spill
	s_nop 0
	scratch_store_dwordx4 off, v[4:7], off offset:20 ; 16-byte Folded Spill
	scratch_store_dwordx4 off, v[8:11], off offset:36 ; 16-byte Folded Spill
	scratch_store_dwordx4 off, v[12:15], off offset:52 ; 16-byte Folded Spill
	scratch_store_dwordx4 off, v[16:19], off offset:68 ; 16-byte Folded Spill
	scratch_store_dwordx4 off, v[20:23], off offset:84 ; 16-byte Folded Spill
	s_waitcnt vmcnt(7)
	scratch_store_dwordx4 off, v[24:27], off offset:100 ; 16-byte Folded Spill
	s_waitcnt vmcnt(7)
	scratch_store_dwordx4 off, v[28:31], off offset:116 ; 16-byte Folded Spill
	scratch_load_dwordx4 v[0:3], off, off offset:4 ; 16-byte Folded Reload
	s_nop 0
	scratch_load_dwordx4 v[4:7], off, off offset:20 ; 16-byte Folded Reload
	scratch_load_dwordx4 v[8:11], off, off offset:36 ; 16-byte Folded Reload
	scratch_load_dwordx4 v[12:15], off, off offset:52 ; 16-byte Folded Reload
	scratch_load_dwordx4 v[16:19], off, off offset:68 ; 16-byte Folded Reload
	scratch_load_dwordx4 v[20:23], off, off offset:84 ; 16-byte Folded Reload
	scratch_load_dwordx4 v[24:27], off, off offset:100 ; 16-byte Folded Reload
	scratch_load_dwordx4 v[28:31], off, off offset:116 ; 16-byte Folded Reload
	s_waitcnt vmcnt(1)
	v_mov_b32_e32 v24, v244
	scratch_store_dwordx4 off, v[0:3], off offset:4 ; 16-byte Folded Spill
	s_nop 0
	scratch_store_dwordx4 off, v[4:7], off offset:20 ; 16-byte Folded Spill
	scratch_store_dwordx4 off, v[8:11], off offset:36 ; 16-byte Folded Spill
	;; [unrolled: 1-line block ×6, first 2 shown]
	s_waitcnt vmcnt(7)
	scratch_store_dwordx4 off, v[28:31], off offset:116 ; 16-byte Folded Spill
	scratch_load_dwordx4 v[0:3], off, off offset:4 ; 16-byte Folded Reload
	s_nop 0
	scratch_load_dwordx4 v[4:7], off, off offset:20 ; 16-byte Folded Reload
	scratch_load_dwordx4 v[8:11], off, off offset:36 ; 16-byte Folded Reload
	;; [unrolled: 1-line block ×7, first 2 shown]
	s_waitcnt vmcnt(1)
	v_mov_b32_e32 v25, v245
	scratch_store_dwordx4 off, v[0:3], off offset:4 ; 16-byte Folded Spill
	s_nop 0
	scratch_store_dwordx4 off, v[4:7], off offset:20 ; 16-byte Folded Spill
	scratch_store_dwordx4 off, v[8:11], off offset:36 ; 16-byte Folded Spill
	;; [unrolled: 1-line block ×6, first 2 shown]
	s_waitcnt vmcnt(7)
	scratch_store_dwordx4 off, v[28:31], off offset:116 ; 16-byte Folded Spill
	scratch_store_dwordx4 off, v[162:165], off offset:3596 ; 16-byte Folded Spill
	s_nop 0
	scratch_store_dwordx4 off, v[166:169], off offset:3612 ; 16-byte Folded Spill
	scratch_store_dwordx4 off, v[170:173], off offset:3628 ; 16-byte Folded Spill
	;; [unrolled: 1-line block ×7, first 2 shown]
	scratch_load_dwordx4 v[0:3], off, off offset:4 ; 16-byte Folded Reload
	scratch_load_dwordx4 v[4:7], off, off offset:20 ; 16-byte Folded Reload
	;; [unrolled: 1-line block ×8, first 2 shown]
	s_waitcnt vmcnt(4)
	v_mov_b32_e32 v12, v160
	scratch_store_dwordx4 off, v[148:151], off offset:3084 ; 16-byte Folded Spill
	s_nop 0
	scratch_store_dwordx4 off, v[152:155], off offset:3100 ; 16-byte Folded Spill
	scratch_store_dwordx4 off, v[156:159], off offset:3116 ; 16-byte Folded Spill
	scratch_store_dwordx4 off, v[160:163], off offset:3132 ; 16-byte Folded Spill
	scratch_store_dwordx4 off, v[164:167], off offset:3148 ; 16-byte Folded Spill
	scratch_store_dwordx4 off, v[168:171], off offset:3164 ; 16-byte Folded Spill
	scratch_store_dwordx4 off, v[172:175], off offset:3180 ; 16-byte Folded Spill
	scratch_store_dwordx4 off, v[176:179], off offset:3196 ; 16-byte Folded Spill
	scratch_store_dwordx4 off, v[188:191], off offset:2308 ; 16-byte Folded Spill
	s_nop 0
	scratch_store_dwordx4 off, v[192:195], off offset:2324 ; 16-byte Folded Spill
	scratch_store_dwordx4 off, v[196:199], off offset:2340 ; 16-byte Folded Spill
	;; [unrolled: 1-line block ×7, first 2 shown]
	v_mov_b32_e32 v172, v102
	s_waitcnt vmcnt(17)
	v_mov_b32_e32 v253, v26
	v_mov_b32_e32 v111, v161
	scratch_store_dwordx4 off, v[86:89], off offset:1796 ; 16-byte Folded Spill
	s_nop 0
	scratch_store_dwordx4 off, v[90:93], off offset:1812 ; 16-byte Folded Spill
	scratch_store_dwordx4 off, v[94:97], off offset:1828 ; 16-byte Folded Spill
	;; [unrolled: 1-line block ×7, first 2 shown]
	v_mov_b32_e32 v85, v203
	scratch_load_dwordx4 v[174:177], off, off offset:1540 ; 16-byte Folded Reload
	scratch_load_dwordx4 v[178:181], off, off offset:1556 ; 16-byte Folded Reload
	;; [unrolled: 1-line block ×8, first 2 shown]
	v_mov_b64_e32 v[114:115], v[124:125]
	v_mov_b64_e32 v[116:117], v[126:127]
	;; [unrolled: 1-line block ×8, first 2 shown]
	v_mov_b32_e32 v130, v140
	v_mov_b32_e32 v131, v141
	;; [unrolled: 1-line block ×8, first 2 shown]
	s_waitcnt vmcnt(4)
	v_mov_b64_e32 v[56:57], v[174:175]
	s_waitcnt vmcnt(3)
	v_mov_b64_e32 v[72:73], v[190:191]
	v_mov_b64_e32 v[74:75], v[192:193]
	v_mov_b32_e32 v19, v75
	scratch_store_dwordx4 off, v[0:3], off offset:1412 ; 16-byte Folded Spill
	s_nop 0
	scratch_store_dwordx4 off, v[4:7], off offset:1428 ; 16-byte Folded Spill
	scratch_store_dwordx4 off, v[8:11], off offset:1444 ; 16-byte Folded Spill
	scratch_store_dwordx4 off, v[12:15], off offset:1460 ; 16-byte Folded Spill
	scratch_store_dwordx4 off, v[16:19], off offset:1476 ; 16-byte Folded Spill
	scratch_store_dwordx4 off, v[20:23], off offset:1492 ; 16-byte Folded Spill
	scratch_store_dwordx4 off, v[24:27], off offset:1508 ; 16-byte Folded Spill
	scratch_store_dwordx4 off, v[28:31], off offset:1524 ; 16-byte Folded Spill
	v_mov_b64_e32 v[58:59], v[176:177]
	v_mov_b64_e32 v[60:61], v[178:179]
	;; [unrolled: 1-line block ×4, first 2 shown]
	v_mov_b32_e32 v20, v54
	v_mov_b64_e32 v[66:67], v[184:185]
	v_mov_b64_e32 v[68:69], v[186:187]
	;; [unrolled: 1-line block ×3, first 2 shown]
	v_mov_b32_e32 v177, v147
	v_mov_b32_e32 v176, v244
	v_mov_b32_e32 v76, v74
	scratch_store_dwordx4 off, v[0:3], off offset:260 ; 16-byte Folded Spill
	s_nop 0
	scratch_store_dwordx4 off, v[4:7], off offset:276 ; 16-byte Folded Spill
	scratch_store_dwordx4 off, v[8:11], off offset:292 ; 16-byte Folded Spill
	scratch_store_dwordx4 off, v[12:15], off offset:308 ; 16-byte Folded Spill
	scratch_store_dwordx4 off, v[16:19], off offset:324 ; 16-byte Folded Spill
	scratch_store_dwordx4 off, v[20:23], off offset:340 ; 16-byte Folded Spill
	scratch_store_dwordx4 off, v[24:27], off offset:356 ; 16-byte Folded Spill
	scratch_store_dwordx4 off, v[28:31], off offset:372 ; 16-byte Folded Spill
	scratch_store_dwordx4 off, v[34:37], off offset:1156 ; 16-byte Folded Spill
	s_nop 0
	scratch_store_dwordx4 off, v[38:41], off offset:1172 ; 16-byte Folded Spill
	scratch_store_dwordx4 off, v[42:45], off offset:1188 ; 16-byte Folded Spill
	;; [unrolled: 1-line block ×7, first 2 shown]
	v_mov_b32_e32 v22, v146
	scratch_store_dwordx4 off, v[0:3], off offset:516 ; 16-byte Folded Spill
	s_nop 0
	scratch_store_dwordx4 off, v[4:7], off offset:532 ; 16-byte Folded Spill
	scratch_store_dwordx4 off, v[8:11], off offset:548 ; 16-byte Folded Spill
	scratch_store_dwordx4 off, v[12:15], off offset:564 ; 16-byte Folded Spill
	scratch_store_dwordx4 off, v[16:19], off offset:580 ; 16-byte Folded Spill
	scratch_store_dwordx4 off, v[20:23], off offset:596 ; 16-byte Folded Spill
	scratch_store_dwordx4 off, v[24:27], off offset:612 ; 16-byte Folded Spill
	scratch_store_dwordx4 off, v[28:31], off offset:628 ; 16-byte Folded Spill
	scratch_load_dwordx4 v[140:143], off, off offset:4 ; 16-byte Folded Reload
	scratch_load_dwordx4 v[144:147], off, off offset:20 ; 16-byte Folded Reload
	scratch_load_dwordx4 v[148:151], off, off offset:36 ; 16-byte Folded Reload
	scratch_load_dwordx4 v[152:155], off, off offset:52 ; 16-byte Folded Reload
	scratch_load_dwordx4 v[156:159], off, off offset:68 ; 16-byte Folded Reload
	scratch_load_dwordx4 v[160:163], off, off offset:84 ; 16-byte Folded Reload
	scratch_load_dwordx4 v[164:167], off, off offset:100 ; 16-byte Folded Reload
	scratch_load_dwordx4 v[168:171], off, off offset:116 ; 16-byte Folded Reload
	s_nop 0
	scratch_store_dwordx4 off, v[220:223], off offset:644 ; 16-byte Folded Spill
	s_nop 0
	scratch_store_dwordx4 off, v[224:227], off offset:660 ; 16-byte Folded Spill
	scratch_store_dwordx4 off, v[228:231], off offset:676 ; 16-byte Folded Spill
	;; [unrolled: 1-line block ×7, first 2 shown]
	v_mov_b32_e32 v173, v55
	v_mov_b32_e32 v37, v245
	s_waitcnt vmcnt(9)
	v_mov_b32_e32 v81, v167
.LBB54_202:
	s_or_b64 exec, exec, s[0:1]
	v_lshl_add_u32 v28, v255, 2, v254
	s_barrier
	ds_write_b32 v28, v12
	s_waitcnt lgkmcnt(0)
	s_barrier
	ds_read_b32 v30, v254 offset:48
	s_cmp_lt_i32 s22, 14
	v_mov_b32_e32 v28, 12
	s_cbranch_scc1 .LBB54_205
; %bb.203:
	scratch_load_dword v0, off, off offset:2692 ; 4-byte Folded Reload
	v_mov_b32_e32 v28, 12
	s_mov_b32 s0, 13
	s_waitcnt vmcnt(0)
	v_add3_u32 v29, v0, 0, 52
.LBB54_204:                             ; =>This Inner Loop Header: Depth=1
	ds_read_b32 v31, v29
	v_add_u32_e32 v29, 4, v29
	s_waitcnt lgkmcnt(0)
	v_cmp_lt_f32_e64 vcc, |v30|, |v31|
	s_nop 1
	v_cndmask_b32_e32 v30, v30, v31, vcc
	v_mov_b32_e32 v31, s0
	s_add_i32 s0, s0, 1
	v_cndmask_b32_e32 v28, v28, v31, vcc
	s_cmp_lg_u32 s22, s0
	s_cbranch_scc1 .LBB54_204
.LBB54_205:
	s_waitcnt lgkmcnt(0)
	v_cmp_eq_f32_e32 vcc, 0, v30
	s_and_saveexec_b64 s[0:1], vcc
	s_xor_b64 s[0:1], exec, s[0:1]
	s_cbranch_execz .LBB54_207
; %bb.206:
	scratch_load_dword v0, off, off offset:132 ; 4-byte Folded Reload
	s_waitcnt vmcnt(0)
	v_cmp_ne_u32_e32 vcc, 0, v0
	s_nop 1
	v_cndmask_b32_e32 v0, 13, v0, vcc
	scratch_store_dword off, v0, off offset:132 ; 4-byte Folded Spill
.LBB54_207:
	s_andn2_saveexec_b64 s[0:1], s[0:1]
	s_cbranch_execz .LBB54_209
; %bb.208:
	v_div_scale_f32 v29, s[2:3], v30, v30, 1.0
	v_rcp_f32_e32 v31, v29
	s_waitcnt vmcnt(3)
	v_div_scale_f32 v56, vcc, 1.0, v30, 1.0
	v_fma_f32 v57, -v29, v31, 1.0
	v_fmac_f32_e32 v31, v57, v31
	v_mul_f32_e32 v57, v56, v31
	s_waitcnt vmcnt(2)
	v_fma_f32 v58, -v29, v57, v56
	v_fmac_f32_e32 v57, v58, v31
	v_fma_f32 v29, -v29, v57, v56
	v_div_fmas_f32 v29, v29, v31, v57
	v_div_fixup_f32 v30, v29, v30, 1.0
.LBB54_209:
	s_or_b64 exec, exec, s[0:1]
	v_cmp_ne_u32_e32 vcc, v255, v28
	s_and_saveexec_b64 s[0:1], vcc
	s_xor_b64 s[0:1], exec, s[0:1]
	s_cbranch_execz .LBB54_215
; %bb.210:
	v_cmp_eq_u32_e32 vcc, 12, v255
	s_and_saveexec_b64 s[2:3], vcc
	s_cbranch_execz .LBB54_214
; %bb.211:
	v_cmp_ne_u32_e32 vcc, 12, v28
	s_xor_b64 s[18:19], s[16:17], -1
	s_and_b64 s[20:21], s[18:19], vcc
	s_and_saveexec_b64 s[18:19], s[20:21]
	s_cbranch_execz .LBB54_213
; %bb.212:
	s_movk_i32 s20, 0x118c
	scratch_load_dwordx2 v[58:59], off, s20 ; 8-byte Folded Reload
	v_ashrrev_i32_e32 v29, 31, v28
	s_waitcnt vmcnt(0)
	v_lshl_add_u64 v[56:57], v[28:29], 2, v[58:59]
	global_load_dword v29, v[56:57], off
	global_load_dword v31, v[58:59], off offset:48
	s_waitcnt vmcnt(1)
	global_store_dword v[58:59], v29, off offset:48
	s_waitcnt vmcnt(1)
	global_store_dword v[56:57], v31, off
.LBB54_213:
	s_or_b64 exec, exec, s[18:19]
	v_mov_b32_e32 v29, v28
	v_mov_b32_e32 v255, v28
	scratch_store_dword off, v29, off offset:3080 ; 4-byte Folded Spill
.LBB54_214:
	s_or_b64 exec, exec, s[2:3]
.LBB54_215:
	s_andn2_saveexec_b64 s[0:1], s[0:1]
	s_cbranch_execz .LBB54_217
; %bb.216:
	v_mov_b32_e32 v255, 12
	ds_write2_b32 v254, v153, v154 offset0:13 offset1:14
	ds_write2_b32 v254, v155, v156 offset0:15 offset1:16
	;; [unrolled: 1-line block ×7, first 2 shown]
	ds_write_b32 v254, v81 offset:108
.LBB54_217:
	s_or_b64 exec, exec, s[0:1]
	v_cmp_lt_i32_e32 vcc, 12, v255
	s_waitcnt lgkmcnt(0)
	s_barrier
	s_and_saveexec_b64 s[0:1], vcc
	s_cbranch_execz .LBB54_219
; %bb.218:
	scratch_load_dwordx4 v[32:35], off, off offset:3596 ; 16-byte Folded Reload
	scratch_load_dwordx4 v[36:39], off, off offset:3612 ; 16-byte Folded Reload
	;; [unrolled: 1-line block ×8, first 2 shown]
	ds_read2_b32 v[0:1], v254 offset0:13 offset1:14
	ds_read2_b32 v[4:5], v254 offset0:15 offset1:16
	;; [unrolled: 1-line block ×4, first 2 shown]
	v_mul_f32_e32 v76, v12, v30
	v_mov_b32_e32 v2, v153
	v_mov_b32_e32 v3, v154
	s_waitcnt lgkmcnt(3)
	v_pk_fma_f32 v[28:29], v[76:77], v[0:1], v[2:3] op_sel_hi:[0,1,1] neg_lo:[1,0,0] neg_hi:[1,0,0]
	v_mov_b32_e32 v0, v155
	v_mov_b32_e32 v1, v156
	s_waitcnt lgkmcnt(2)
	v_pk_fma_f32 v[30:31], v[76:77], v[4:5], v[0:1] op_sel_hi:[0,1,1] neg_lo:[1,0,0] neg_hi:[1,0,0]
	v_mov_b32_e32 v0, v157
	v_mov_b32_e32 v1, v158
	s_waitcnt vmcnt(1) lgkmcnt(1)
	v_pk_fma_f32 v[56:57], v[76:77], v[6:7], v[0:1] op_sel_hi:[0,1,1] neg_lo:[1,0,0] neg_hi:[1,0,0]
	v_mov_b32_e32 v0, v159
	v_mov_b32_e32 v1, v160
	s_waitcnt lgkmcnt(0)
	v_pk_fma_f32 v[58:59], v[76:77], v[8:9], v[0:1] op_sel_hi:[0,1,1] neg_lo:[1,0,0] neg_hi:[1,0,0]
	ds_read2_b32 v[0:1], v254 offset0:21 offset1:22
	ds_read2_b32 v[4:5], v254 offset0:23 offset1:24
	ds_read2_b32 v[6:7], v254 offset0:25 offset1:26
	ds_read_b32 v8, v254 offset:108
	v_mov_b32_e32 v2, v161
	v_mov_b32_e32 v3, v162
	;; [unrolled: 1-line block ×3, first 2 shown]
	s_waitcnt vmcnt(0) lgkmcnt(3)
	v_pk_fma_f32 v[60:61], v[76:77], v[0:1], v[2:3] op_sel_hi:[0,1,1] neg_lo:[1,0,0] neg_hi:[1,0,0]
	v_mov_b32_e32 v0, v163
	v_mov_b32_e32 v1, v164
	s_waitcnt lgkmcnt(2)
	v_pk_fma_f32 v[62:63], v[76:77], v[4:5], v[0:1] op_sel_hi:[0,1,1] neg_lo:[1,0,0] neg_hi:[1,0,0]
	v_mov_b32_e32 v0, v165
	v_mov_b32_e32 v1, v166
	s_waitcnt lgkmcnt(1)
	v_pk_fma_f32 v[252:253], v[76:77], v[6:7], v[0:1] op_sel_hi:[0,1,1] neg_lo:[1,0,0] neg_hi:[1,0,0]
	s_waitcnt lgkmcnt(0)
	v_fma_f32 v167, -v76, v8, v81
	v_mov_b32_e32 v13, v28
	v_mov_b32_e32 v14, v29
	v_mov_b32_e32 v77, v28
	v_mov_b32_e32 v126, v76
	v_mov_b32_e32 v152, v76
	v_mov_b32_e32 v131, v56
	v_mov_b32_e32 v132, v57
	v_mov_b32_e32 v133, v58
	v_mov_b32_e32 v134, v59
	v_mov_b32_e32 v135, v60
	v_mov_b32_e32 v136, v61
	v_mov_b32_e32 v157, v56
	v_mov_b32_e32 v158, v57
	v_mov_b32_e32 v159, v58
	v_mov_b32_e32 v160, v59
	v_mov_b32_e32 v161, v60
	v_mov_b32_e32 v162, v61
	v_mov_b32_e32 v163, v62
	v_mov_b32_e32 v164, v63
	v_mov_b32_e32 v165, v252
	v_mov_b32_e32 v166, v253
	v_mov_b32_e32 v173, v60
	v_mov_b32_e32 v177, v62
	v_mov_b32_e32 v176, v63
	v_mov_b64_e32 v[74:75], v[42:43]
	v_mov_b64_e32 v[72:73], v[40:41]
	;; [unrolled: 1-line block ×6, first 2 shown]
	v_mov_b32_e32 v0, v64
	v_mov_b32_e32 v1, v65
	;; [unrolled: 1-line block ×12, first 2 shown]
	scratch_store_dwordx4 off, v[0:3], off offset:2308 ; 16-byte Folded Spill
	s_nop 0
	scratch_store_dwordx4 off, v[4:7], off offset:2324 ; 16-byte Folded Spill
	scratch_store_dwordx4 off, v[8:11], off offset:2340 ; 16-byte Folded Spill
	;; [unrolled: 1-line block ×7, first 2 shown]
	v_mov_b32_e32 v114, v64
	v_mov_b32_e32 v115, v65
	;; [unrolled: 1-line block ×26, first 2 shown]
	scratch_store_dwordx4 off, v[0:3], off offset:2564 ; 16-byte Folded Spill
	s_nop 0
	scratch_store_dwordx4 off, v[4:7], off offset:2580 ; 16-byte Folded Spill
	scratch_store_dwordx4 off, v[8:11], off offset:2596 ; 16-byte Folded Spill
	scratch_store_dwordx4 off, v[12:15], off offset:2612 ; 16-byte Folded Spill
	scratch_store_dwordx4 off, v[16:19], off offset:2628 ; 16-byte Folded Spill
	scratch_store_dwordx4 off, v[20:23], off offset:2644 ; 16-byte Folded Spill
	scratch_store_dwordx4 off, v[24:27], off offset:2660 ; 16-byte Folded Spill
	scratch_store_dwordx4 off, v[28:31], off offset:2676 ; 16-byte Folded Spill
	v_mov_b32_e32 v16, v31
	scratch_store_dwordx4 off, v[0:3], off offset:1796 ; 16-byte Folded Spill
	s_nop 0
	scratch_store_dwordx4 off, v[4:7], off offset:1812 ; 16-byte Folded Spill
	scratch_store_dwordx4 off, v[8:11], off offset:1828 ; 16-byte Folded Spill
	scratch_store_dwordx4 off, v[12:15], off offset:1844 ; 16-byte Folded Spill
	scratch_store_dwordx4 off, v[16:19], off offset:1860 ; 16-byte Folded Spill
	scratch_store_dwordx4 off, v[20:23], off offset:1876 ; 16-byte Folded Spill
	scratch_store_dwordx4 off, v[24:27], off offset:1892 ; 16-byte Folded Spill
	scratch_store_dwordx4 off, v[28:31], off offset:1908 ; 16-byte Folded Spill
	v_mov_b32_e32 v17, v56
	;; [unrolled: 10-line block ×7, first 2 shown]
	v_mov_b32_e32 v23, v62
	v_mov_b32_e32 v127, v28
	;; [unrolled: 1-line block ×5, first 2 shown]
	scratch_store_dwordx4 off, v[0:3], off offset:1028 ; 16-byte Folded Spill
	s_nop 0
	scratch_store_dwordx4 off, v[4:7], off offset:1044 ; 16-byte Folded Spill
	scratch_store_dwordx4 off, v[8:11], off offset:1060 ; 16-byte Folded Spill
	;; [unrolled: 1-line block ×7, first 2 shown]
	s_nop 0
	v_mov_b32_e32 v24, v63
	scratch_store_dwordx4 off, v[0:3], off offset:644 ; 16-byte Folded Spill
	s_nop 0
	scratch_store_dwordx4 off, v[4:7], off offset:660 ; 16-byte Folded Spill
	scratch_store_dwordx4 off, v[8:11], off offset:676 ; 16-byte Folded Spill
	;; [unrolled: 1-line block ×7, first 2 shown]
	s_nop 0
	v_mov_b32_e32 v25, v252
	scratch_store_dwordx4 off, v[0:3], off offset:900 ; 16-byte Folded Spill
	s_nop 0
	scratch_store_dwordx4 off, v[4:7], off offset:916 ; 16-byte Folded Spill
	scratch_store_dwordx4 off, v[8:11], off offset:932 ; 16-byte Folded Spill
	scratch_store_dwordx4 off, v[12:15], off offset:948 ; 16-byte Folded Spill
	scratch_store_dwordx4 off, v[16:19], off offset:964 ; 16-byte Folded Spill
	scratch_store_dwordx4 off, v[20:23], off offset:980 ; 16-byte Folded Spill
	scratch_store_dwordx4 off, v[24:27], off offset:996 ; 16-byte Folded Spill
	scratch_store_dwordx4 off, v[28:31], off offset:1012 ; 16-byte Folded Spill
	scratch_store_dwordx4 off, v[64:67], off offset:3212 ; 16-byte Folded Spill
	s_nop 0
	scratch_store_dwordx4 off, v[68:71], off offset:3228 ; 16-byte Folded Spill
	scratch_store_dwordx4 off, v[72:75], off offset:3244 ; 16-byte Folded Spill
	scratch_store_dwordx4 off, v[76:79], off offset:3260 ; 16-byte Folded Spill
	scratch_store_dwordx4 off, v[80:83], off offset:3276 ; 16-byte Folded Spill
	scratch_store_dwordx4 off, v[84:87], off offset:3292 ; 16-byte Folded Spill
	scratch_store_dwordx4 off, v[88:91], off offset:3308 ; 16-byte Folded Spill
	scratch_store_dwordx4 off, v[92:95], off offset:3324 ; 16-byte Folded Spill
	;; [unrolled: 9-line block ×3, first 2 shown]
	v_mov_b32_e32 v83, v56
	v_mov_b32_e32 v76, v57
	;; [unrolled: 1-line block ×11, first 2 shown]
	scratch_store_dwordx4 off, v[0:3], off offset:1412 ; 16-byte Folded Spill
	s_nop 0
	scratch_store_dwordx4 off, v[4:7], off offset:1428 ; 16-byte Folded Spill
	scratch_store_dwordx4 off, v[8:11], off offset:1444 ; 16-byte Folded Spill
	scratch_store_dwordx4 off, v[12:15], off offset:1460 ; 16-byte Folded Spill
	scratch_store_dwordx4 off, v[16:19], off offset:1476 ; 16-byte Folded Spill
	scratch_store_dwordx4 off, v[20:23], off offset:1492 ; 16-byte Folded Spill
	scratch_store_dwordx4 off, v[24:27], off offset:1508 ; 16-byte Folded Spill
	scratch_store_dwordx4 off, v[28:31], off offset:1524 ; 16-byte Folded Spill
	scratch_store_dwordx4 off, v[0:3], off offset:260 ; 16-byte Folded Spill
	s_nop 0
	scratch_store_dwordx4 off, v[4:7], off offset:276 ; 16-byte Folded Spill
	scratch_store_dwordx4 off, v[8:11], off offset:292 ; 16-byte Folded Spill
	scratch_store_dwordx4 off, v[12:15], off offset:308 ; 16-byte Folded Spill
	scratch_store_dwordx4 off, v[16:19], off offset:324 ; 16-byte Folded Spill
	scratch_store_dwordx4 off, v[20:23], off offset:340 ; 16-byte Folded Spill
	scratch_store_dwordx4 off, v[24:27], off offset:356 ; 16-byte Folded Spill
	scratch_store_dwordx4 off, v[28:31], off offset:372 ; 16-byte Folded Spill
	;; [unrolled: 9-line block ×3, first 2 shown]
.LBB54_219:
	s_or_b64 exec, exec, s[0:1]
	s_nop 0
	v_lshl_add_u32 v28, v255, 2, v254
	s_waitcnt vmcnt(63) expcnt(7) lgkmcnt(15)
	s_barrier
	ds_write_b32 v28, v111
	s_waitcnt lgkmcnt(0)
	s_barrier
	ds_read_b32 v30, v254 offset:52
	s_cmp_lt_i32 s22, 15
	v_mov_b32_e32 v28, 13
	s_cbranch_scc1 .LBB54_222
; %bb.220:
	scratch_load_dword v0, off, off offset:2692 ; 4-byte Folded Reload
	v_mov_b32_e32 v28, 13
	s_mov_b32 s0, 14
	s_waitcnt vmcnt(0)
	v_add3_u32 v29, v0, 0, 56
.LBB54_221:                             ; =>This Inner Loop Header: Depth=1
	ds_read_b32 v31, v29
	v_add_u32_e32 v29, 4, v29
	s_waitcnt lgkmcnt(0)
	v_cmp_lt_f32_e64 vcc, |v30|, |v31|
	s_nop 1
	v_cndmask_b32_e32 v30, v30, v31, vcc
	v_mov_b32_e32 v31, s0
	s_add_i32 s0, s0, 1
	v_cndmask_b32_e32 v28, v28, v31, vcc
	s_cmp_lg_u32 s22, s0
	s_cbranch_scc1 .LBB54_221
.LBB54_222:
	s_waitcnt lgkmcnt(0)
	v_cmp_eq_f32_e32 vcc, 0, v30
	s_and_saveexec_b64 s[0:1], vcc
	s_xor_b64 s[0:1], exec, s[0:1]
	s_cbranch_execz .LBB54_224
; %bb.223:
	scratch_load_dword v0, off, off offset:132 ; 4-byte Folded Reload
	s_waitcnt vmcnt(0)
	v_cmp_ne_u32_e32 vcc, 0, v0
	s_nop 1
	v_cndmask_b32_e32 v0, 14, v0, vcc
	scratch_store_dword off, v0, off offset:132 ; 4-byte Folded Spill
.LBB54_224:
	s_andn2_saveexec_b64 s[0:1], s[0:1]
	s_cbranch_execz .LBB54_226
; %bb.225:
	v_div_scale_f32 v29, s[2:3], v30, v30, 1.0
	v_rcp_f32_e32 v31, v29
	s_waitcnt vmcnt(3)
	v_div_scale_f32 v56, vcc, 1.0, v30, 1.0
	v_fma_f32 v57, -v29, v31, 1.0
	v_fmac_f32_e32 v31, v57, v31
	v_mul_f32_e32 v57, v56, v31
	s_waitcnt vmcnt(2)
	v_fma_f32 v58, -v29, v57, v56
	v_fmac_f32_e32 v57, v58, v31
	v_fma_f32 v29, -v29, v57, v56
	v_div_fmas_f32 v29, v29, v31, v57
	v_div_fixup_f32 v30, v29, v30, 1.0
.LBB54_226:
	s_or_b64 exec, exec, s[0:1]
	v_cmp_ne_u32_e32 vcc, v255, v28
	s_and_saveexec_b64 s[0:1], vcc
	s_xor_b64 s[0:1], exec, s[0:1]
	s_cbranch_execz .LBB54_232
; %bb.227:
	v_cmp_eq_u32_e32 vcc, 13, v255
	s_and_saveexec_b64 s[2:3], vcc
	s_cbranch_execz .LBB54_231
; %bb.228:
	v_cmp_ne_u32_e32 vcc, 13, v28
	s_xor_b64 s[18:19], s[16:17], -1
	s_and_b64 s[20:21], s[18:19], vcc
	s_and_saveexec_b64 s[18:19], s[20:21]
	s_cbranch_execz .LBB54_230
; %bb.229:
	s_movk_i32 s20, 0x118c
	scratch_load_dwordx2 v[58:59], off, s20 ; 8-byte Folded Reload
	v_ashrrev_i32_e32 v29, 31, v28
	s_waitcnt vmcnt(0)
	v_lshl_add_u64 v[56:57], v[28:29], 2, v[58:59]
	global_load_dword v29, v[56:57], off
	global_load_dword v31, v[58:59], off offset:52
	s_waitcnt vmcnt(1)
	global_store_dword v[58:59], v29, off offset:52
	s_waitcnt vmcnt(1)
	global_store_dword v[56:57], v31, off
.LBB54_230:
	s_or_b64 exec, exec, s[18:19]
	v_mov_b32_e32 v29, v28
	v_mov_b32_e32 v255, v28
	scratch_store_dword off, v29, off offset:3080 ; 4-byte Folded Spill
.LBB54_231:
	s_or_b64 exec, exec, s[2:3]
.LBB54_232:
	s_andn2_saveexec_b64 s[0:1], s[0:1]
	s_cbranch_execz .LBB54_234
; %bb.233:
	v_mov_b32_e32 v255, 13
	ds_write2_b32 v254, v154, v155 offset0:14 offset1:15
	ds_write2_b32 v254, v156, v157 offset0:16 offset1:17
	;; [unrolled: 1-line block ×7, first 2 shown]
.LBB54_234:
	s_or_b64 exec, exec, s[0:1]
	v_cmp_lt_i32_e32 vcc, 13, v255
	s_waitcnt lgkmcnt(0)
	s_barrier
	s_and_saveexec_b64 s[0:1], vcc
	s_cbranch_execz .LBB54_236
; %bb.235:
	v_mul_f32_e32 v24, v111, v30
	ds_read2_b32 v[4:5], v254 offset0:14 offset1:15
	ds_read2_b32 v[6:7], v254 offset0:16 offset1:17
	ds_read2_b32 v[8:9], v254 offset0:18 offset1:19
	ds_read2_b32 v[10:11], v254 offset0:26 offset1:27
	ds_read2_b32 v[2:3], v254 offset0:20 offset1:21
	ds_read2_b32 v[26:27], v254 offset0:24 offset1:25
	scratch_load_dwordx4 v[86:89], off, off offset:3084 ; 16-byte Folded Reload
	scratch_load_dwordx4 v[90:93], off, off offset:3100 ; 16-byte Folded Reload
	;; [unrolled: 1-line block ×8, first 2 shown]
	s_waitcnt lgkmcnt(5)
	v_pk_fma_f32 v[196:197], v[24:25], v[4:5], v[154:155] op_sel_hi:[0,1,1] neg_lo:[1,0,0] neg_hi:[1,0,0]
	v_mov_b32_e32 v41, v24
	v_mov_b32_e32 v42, v196
	;; [unrolled: 1-line block ×3, first 2 shown]
	s_waitcnt lgkmcnt(4)
	v_pk_fma_f32 v[130:131], v[24:25], v[6:7], v[156:157] op_sel_hi:[0,1,1] neg_lo:[1,0,0] neg_hi:[1,0,0]
	s_waitcnt lgkmcnt(3)
	v_pk_fma_f32 v[22:23], v[24:25], v[8:9], v[158:159] op_sel_hi:[0,1,1] neg_lo:[1,0,0] neg_hi:[1,0,0]
	;; [unrolled: 2-line block ×3, first 2 shown]
	v_mov_b64_e32 v[140:141], v[160:161]
	v_mov_b64_e32 v[142:143], v[162:163]
	;; [unrolled: 1-line block ×4, first 2 shown]
	v_mov_b32_e32 v20, v130
	v_mov_b32_e32 v21, v131
	v_mov_b64_e32 v[166:167], v[22:23]
	s_waitcnt lgkmcnt(1)
	v_pk_fma_f32 v[76:77], v[24:25], v[2:3], v[140:141] op_sel_hi:[0,1,1] neg_lo:[1,0,0] neg_hi:[1,0,0]
	v_mov_b64_e32 v[164:165], v[20:21]
	v_mov_b32_e32 v18, v196
	v_mov_b32_e32 v19, v197
	;; [unrolled: 1-line block ×3, first 2 shown]
	s_waitcnt lgkmcnt(0)
	v_pk_fma_f32 v[234:235], v[24:25], v[26:27], v[144:145] op_sel_hi:[0,1,1] neg_lo:[1,0,0] neg_hi:[1,0,0]
	v_mov_b32_e32 v74, v166
	v_mov_b32_e32 v75, v167
	;; [unrolled: 1-line block ×4, first 2 shown]
	s_waitcnt vmcnt(16)
	v_mov_b32_e32 v168, v76
	v_mov_b32_e32 v169, v77
	;; [unrolled: 1-line block ×4, first 2 shown]
	s_waitcnt vmcnt(4)
	v_mov_b32_e32 v99, v24
	v_mov_b32_e32 v195, v24
	;; [unrolled: 1-line block ×34, first 2 shown]
	scratch_store_dwordx4 off, v[28:31], off offset:2564 ; 16-byte Folded Spill
	s_nop 0
	scratch_store_dwordx4 off, v[32:35], off offset:2580 ; 16-byte Folded Spill
	scratch_store_dwordx4 off, v[36:39], off offset:2596 ; 16-byte Folded Spill
	;; [unrolled: 1-line block ×7, first 2 shown]
	v_mov_b32_e32 v44, v130
	v_mov_b32_e32 v45, v131
	;; [unrolled: 1-line block ×15, first 2 shown]
	v_mov_b64_e32 v[162:163], v[18:19]
	v_mov_b64_e32 v[148:149], v[4:5]
	;; [unrolled: 1-line block ×8, first 2 shown]
	v_mov_b32_e32 v18, v166
	v_mov_b32_e32 v19, v167
	s_waitcnt vmcnt(8)
	v_mov_b32_e32 v114, v86
	v_mov_b32_e32 v115, v87
	;; [unrolled: 1-line block ×35, first 2 shown]
	scratch_store_dwordx4 off, v[28:31], off offset:1924 ; 16-byte Folded Spill
	s_nop 0
	scratch_store_dwordx4 off, v[32:35], off offset:1940 ; 16-byte Folded Spill
	scratch_store_dwordx4 off, v[36:39], off offset:1956 ; 16-byte Folded Spill
	;; [unrolled: 1-line block ×7, first 2 shown]
	v_mov_b32_e32 v46, v166
	v_mov_b32_e32 v47, v167
	;; [unrolled: 1-line block ×35, first 2 shown]
	scratch_store_dwordx4 off, v[28:31], off offset:1668 ; 16-byte Folded Spill
	s_nop 0
	scratch_store_dwordx4 off, v[32:35], off offset:1684 ; 16-byte Folded Spill
	scratch_store_dwordx4 off, v[36:39], off offset:1700 ; 16-byte Folded Spill
	;; [unrolled: 1-line block ×7, first 2 shown]
	s_nop 1
	v_mov_b32_e32 v56, v86
	v_mov_b32_e32 v57, v87
	;; [unrolled: 1-line block ×6, first 2 shown]
	scratch_store_dwordx4 off, v[28:31], off offset:1284 ; 16-byte Folded Spill
	s_nop 0
	scratch_store_dwordx4 off, v[32:35], off offset:1300 ; 16-byte Folded Spill
	scratch_store_dwordx4 off, v[36:39], off offset:1316 ; 16-byte Folded Spill
	;; [unrolled: 1-line block ×7, first 2 shown]
	ds_read2_b32 v[2:3], v254 offset0:22 offset1:23
	s_waitcnt lgkmcnt(0)
	v_pk_fma_f32 v[22:23], v[24:25], v[2:3], v[142:143] op_sel_hi:[0,1,1] neg_lo:[1,0,0] neg_hi:[1,0,0]
	v_mov_b32_e32 v50, v22
	v_mov_b32_e32 v51, v23
	;; [unrolled: 1-line block ×10, first 2 shown]
	scratch_store_dwordx4 off, v[28:31], off offset:1028 ; 16-byte Folded Spill
	s_nop 0
	scratch_store_dwordx4 off, v[32:35], off offset:1044 ; 16-byte Folded Spill
	scratch_store_dwordx4 off, v[36:39], off offset:1060 ; 16-byte Folded Spill
	;; [unrolled: 1-line block ×7, first 2 shown]
	v_mov_b64_e32 v[42:43], v[164:165]
	v_mov_b64_e32 v[26:27], v[148:149]
	;; [unrolled: 1-line block ×10, first 2 shown]
	v_mov_b32_e32 v161, v24
	v_mov_b32_e32 v148, v86
	;; [unrolled: 1-line block ×20, first 2 shown]
	scratch_store_dwordx4 off, v[148:151], off offset:900 ; 16-byte Folded Spill
	s_nop 0
	scratch_store_dwordx4 off, v[152:155], off offset:916 ; 16-byte Folded Spill
	scratch_store_dwordx4 off, v[156:159], off offset:932 ; 16-byte Folded Spill
	;; [unrolled: 1-line block ×7, first 2 shown]
	v_mov_b64_e32 v[166:167], v[146:147]
	v_mov_b32_e32 v146, v92
	v_mov_b32_e32 v147, v93
	;; [unrolled: 1-line block ×23, first 2 shown]
	scratch_store_dwordx4 off, v[26:29], off offset:1540 ; 16-byte Folded Spill
	s_nop 0
	scratch_store_dwordx4 off, v[30:33], off offset:1556 ; 16-byte Folded Spill
	scratch_store_dwordx4 off, v[34:37], off offset:1572 ; 16-byte Folded Spill
	scratch_store_dwordx4 off, v[38:41], off offset:1588 ; 16-byte Folded Spill
	scratch_store_dwordx4 off, v[42:45], off offset:1604 ; 16-byte Folded Spill
	scratch_store_dwordx4 off, v[46:49], off offset:1620 ; 16-byte Folded Spill
	scratch_store_dwordx4 off, v[50:53], off offset:1636 ; 16-byte Folded Spill
	scratch_store_dwordx4 off, v[54:57], off offset:1652 ; 16-byte Folded Spill
	scratch_store_dwordx4 off, v[86:89], off offset:3212 ; 16-byte Folded Spill
	s_nop 0
	scratch_store_dwordx4 off, v[90:93], off offset:3228 ; 16-byte Folded Spill
	scratch_store_dwordx4 off, v[94:97], off offset:3244 ; 16-byte Folded Spill
	scratch_store_dwordx4 off, v[98:101], off offset:3260 ; 16-byte Folded Spill
	scratch_store_dwordx4 off, v[102:105], off offset:3276 ; 16-byte Folded Spill
	scratch_store_dwordx4 off, v[106:109], off offset:3292 ; 16-byte Folded Spill
	scratch_store_dwordx4 off, v[110:113], off offset:3308 ; 16-byte Folded Spill
	scratch_store_dwordx4 off, v[114:117], off offset:3324 ; 16-byte Folded Spill
	;; [unrolled: 9-line block ×3, first 2 shown]
	v_mov_b32_e32 v102, v130
	v_mov_b64_e32 v[50:51], v[72:73]
	v_mov_b64_e32 v[52:53], v[74:75]
	;; [unrolled: 1-line block ×12, first 2 shown]
	scratch_store_dwordx4 off, v[86:89], off offset:1796 ; 16-byte Folded Spill
	s_nop 0
	scratch_store_dwordx4 off, v[90:93], off offset:1812 ; 16-byte Folded Spill
	scratch_store_dwordx4 off, v[94:97], off offset:1828 ; 16-byte Folded Spill
	;; [unrolled: 1-line block ×7, first 2 shown]
	v_mov_b32_e32 v85, v197
	scratch_load_dwordx4 v[174:177], off, off offset:1540 ; 16-byte Folded Reload
	scratch_load_dwordx4 v[178:181], off, off offset:1556 ; 16-byte Folded Reload
	;; [unrolled: 1-line block ×8, first 2 shown]
	v_mov_b64_e32 v[36:37], v[58:59]
	v_mov_b64_e32 v[38:39], v[60:61]
	;; [unrolled: 1-line block ×7, first 2 shown]
	s_waitcnt vmcnt(4)
	v_mov_b64_e32 v[56:57], v[174:175]
	s_waitcnt vmcnt(3)
	v_mov_b64_e32 v[72:73], v[190:191]
	v_mov_b64_e32 v[74:75], v[192:193]
	v_mov_b32_e32 v25, v75
	scratch_store_dwordx4 off, v[6:9], off offset:1412 ; 16-byte Folded Spill
	s_nop 0
	scratch_store_dwordx4 off, v[10:13], off offset:1428 ; 16-byte Folded Spill
	scratch_store_dwordx4 off, v[14:17], off offset:1444 ; 16-byte Folded Spill
	;; [unrolled: 1-line block ×7, first 2 shown]
	v_mov_b64_e32 v[58:59], v[176:177]
	v_mov_b64_e32 v[60:61], v[178:179]
	;; [unrolled: 1-line block ×4, first 2 shown]
	v_mov_b32_e32 v24, v54
	v_mov_b64_e32 v[66:67], v[184:185]
	v_mov_b64_e32 v[68:69], v[186:187]
	;; [unrolled: 1-line block ×3, first 2 shown]
	v_mov_b32_e32 v176, v234
	v_mov_b32_e32 v76, v74
	scratch_store_dwordx4 off, v[4:7], off offset:260 ; 16-byte Folded Spill
	s_nop 0
	scratch_store_dwordx4 off, v[8:11], off offset:276 ; 16-byte Folded Spill
	scratch_store_dwordx4 off, v[12:15], off offset:292 ; 16-byte Folded Spill
	;; [unrolled: 1-line block ×8, first 2 shown]
	s_nop 0
	scratch_store_dwordx4 off, v[38:41], off offset:1172 ; 16-byte Folded Spill
	scratch_store_dwordx4 off, v[42:45], off offset:1188 ; 16-byte Folded Spill
	;; [unrolled: 1-line block ×7, first 2 shown]
	v_mov_b32_e32 v24, v22
	scratch_store_dwordx4 off, v[2:5], off offset:516 ; 16-byte Folded Spill
	s_nop 0
	scratch_store_dwordx4 off, v[6:9], off offset:532 ; 16-byte Folded Spill
	scratch_store_dwordx4 off, v[10:13], off offset:548 ; 16-byte Folded Spill
	;; [unrolled: 1-line block ×8, first 2 shown]
	s_nop 0
	scratch_store_dwordx4 off, v[214:217], off offset:660 ; 16-byte Folded Spill
	scratch_store_dwordx4 off, v[218:221], off offset:676 ; 16-byte Folded Spill
	;; [unrolled: 1-line block ×7, first 2 shown]
	v_mov_b32_e32 v173, v55
	v_mov_b64_e32 v[128:129], v[14:15]
	v_mov_b32_e32 v136, v22
	v_mov_b64_e32 v[126:127], v[12:13]
	v_mov_b64_e32 v[124:125], v[10:11]
	;; [unrolled: 1-line block ×7, first 2 shown]
	v_mov_b32_e32 v135, v21
	v_mov_b32_e32 v134, v20
	;; [unrolled: 1-line block ×8, first 2 shown]
.LBB54_236:
	s_or_b64 exec, exec, s[0:1]
	v_lshl_add_u32 v28, v255, 2, v254
	s_barrier
	ds_write_b32 v28, v84
	s_waitcnt lgkmcnt(0)
	s_barrier
	ds_read_b32 v30, v254 offset:56
	s_cmp_lt_i32 s22, 16
	v_mov_b32_e32 v28, 14
	s_cbranch_scc1 .LBB54_478
; %bb.237:
	scratch_load_dword v0, off, off offset:2692 ; 4-byte Folded Reload
	v_mov_b64_e32 v[234:235], v[128:129]
	v_mov_b32_e32 v242, v136
	v_mov_b32_e32 v28, 14
	s_mov_b32 s0, 15
	v_mov_b64_e32 v[232:233], v[126:127]
	v_mov_b64_e32 v[230:231], v[124:125]
	;; [unrolled: 1-line block ×7, first 2 shown]
	v_mov_b32_e32 v241, v135
	v_mov_b32_e32 v240, v134
	;; [unrolled: 1-line block ×6, first 2 shown]
	s_waitcnt vmcnt(0)
	v_add3_u32 v29, v0, 0, 60
.LBB54_238:                             ; =>This Inner Loop Header: Depth=1
	ds_read_b32 v31, v29
	v_add_u32_e32 v29, 4, v29
	s_waitcnt lgkmcnt(0)
	v_cmp_lt_f32_e64 vcc, |v30|, |v31|
	s_nop 1
	v_cndmask_b32_e32 v30, v30, v31, vcc
	v_mov_b32_e32 v31, s0
	s_add_i32 s0, s0, 1
	v_cndmask_b32_e32 v28, v28, v31, vcc
	s_cmp_lg_u32 s22, s0
	s_cbranch_scc1 .LBB54_238
; %bb.239:
	v_cmp_eq_f32_e32 vcc, 0, v30
	s_and_saveexec_b64 s[0:1], vcc
	s_xor_b64 s[0:1], exec, s[0:1]
	s_cbranch_execz .LBB54_241
.LBB54_240:
	scratch_load_dword v0, off, off offset:132 ; 4-byte Folded Reload
	s_waitcnt vmcnt(0)
	v_cmp_ne_u32_e32 vcc, 0, v0
	s_nop 1
	v_cndmask_b32_e32 v0, 15, v0, vcc
	scratch_store_dword off, v0, off offset:132 ; 4-byte Folded Spill
.LBB54_241:
	s_andn2_saveexec_b64 s[0:1], s[0:1]
	s_cbranch_execz .LBB54_243
; %bb.242:
	v_div_scale_f32 v29, s[2:3], v30, v30, 1.0
	v_rcp_f32_e32 v31, v29
	s_waitcnt vmcnt(3)
	v_div_scale_f32 v56, vcc, 1.0, v30, 1.0
	v_fma_f32 v57, -v29, v31, 1.0
	v_fmac_f32_e32 v31, v57, v31
	v_mul_f32_e32 v57, v56, v31
	s_waitcnt vmcnt(2)
	v_fma_f32 v58, -v29, v57, v56
	v_fmac_f32_e32 v57, v58, v31
	v_fma_f32 v29, -v29, v57, v56
	v_div_fmas_f32 v29, v29, v31, v57
	v_div_fixup_f32 v30, v29, v30, 1.0
.LBB54_243:
	s_or_b64 exec, exec, s[0:1]
	v_cmp_ne_u32_e32 vcc, v255, v28
	s_and_saveexec_b64 s[0:1], vcc
	s_xor_b64 s[0:1], exec, s[0:1]
	s_cbranch_execz .LBB54_249
; %bb.244:
	v_cmp_eq_u32_e32 vcc, 14, v255
	s_and_saveexec_b64 s[2:3], vcc
	s_cbranch_execz .LBB54_248
; %bb.245:
	v_cmp_ne_u32_e32 vcc, 14, v28
	s_xor_b64 s[18:19], s[16:17], -1
	s_and_b64 s[20:21], s[18:19], vcc
	s_and_saveexec_b64 s[18:19], s[20:21]
	s_cbranch_execz .LBB54_247
; %bb.246:
	s_movk_i32 s20, 0x118c
	scratch_load_dwordx2 v[58:59], off, s20 ; 8-byte Folded Reload
	v_ashrrev_i32_e32 v29, 31, v28
	s_waitcnt vmcnt(0)
	v_lshl_add_u64 v[56:57], v[28:29], 2, v[58:59]
	global_load_dword v29, v[56:57], off
	global_load_dword v31, v[58:59], off offset:56
	s_waitcnt vmcnt(1)
	global_store_dword v[58:59], v29, off offset:56
	s_waitcnt vmcnt(1)
	global_store_dword v[56:57], v31, off
.LBB54_247:
	s_or_b64 exec, exec, s[18:19]
	v_mov_b32_e32 v29, v28
	v_mov_b32_e32 v255, v28
	scratch_store_dword off, v29, off offset:3080 ; 4-byte Folded Spill
.LBB54_248:
	s_or_b64 exec, exec, s[2:3]
.LBB54_249:
	s_andn2_saveexec_b64 s[0:1], s[0:1]
	s_cbranch_execz .LBB54_251
; %bb.250:
	v_mov_b32_e32 v255, 14
	ds_write2_b32 v254, v155, v156 offset0:15 offset1:16
	ds_write2_b32 v254, v157, v158 offset0:17 offset1:18
	;; [unrolled: 1-line block ×6, first 2 shown]
	ds_write_b32 v254, v81 offset:108
.LBB54_251:
	s_or_b64 exec, exec, s[0:1]
	v_cmp_lt_i32_e32 vcc, 14, v255
	s_waitcnt lgkmcnt(0)
	s_barrier
	s_and_saveexec_b64 s[0:1], vcc
	s_cbranch_execz .LBB54_253
; %bb.252:
	scratch_load_dwordx4 v[32:35], off, off offset:3212 ; 16-byte Folded Reload
	scratch_load_dwordx4 v[36:39], off, off offset:3228 ; 16-byte Folded Reload
	;; [unrolled: 1-line block ×8, first 2 shown]
	ds_read2_b32 v[0:1], v254 offset0:15 offset1:16
	ds_read2_b32 v[4:5], v254 offset0:17 offset1:18
	;; [unrolled: 1-line block ×4, first 2 shown]
	v_mul_f32_e32 v76, v84, v30
	v_mov_b32_e32 v2, v155
	v_mov_b32_e32 v3, v156
	s_waitcnt lgkmcnt(3)
	v_pk_fma_f32 v[28:29], v[76:77], v[0:1], v[2:3] op_sel_hi:[0,1,1] neg_lo:[1,0,0] neg_hi:[1,0,0]
	v_mov_b32_e32 v0, v157
	v_mov_b32_e32 v1, v158
	s_waitcnt lgkmcnt(2)
	v_pk_fma_f32 v[30:31], v[76:77], v[4:5], v[0:1] op_sel_hi:[0,1,1] neg_lo:[1,0,0] neg_hi:[1,0,0]
	v_mov_b32_e32 v0, v159
	v_mov_b32_e32 v1, v160
	s_waitcnt vmcnt(1) lgkmcnt(1)
	v_pk_fma_f32 v[56:57], v[76:77], v[6:7], v[0:1] op_sel_hi:[0,1,1] neg_lo:[1,0,0] neg_hi:[1,0,0]
	v_mov_b32_e32 v0, v161
	v_mov_b32_e32 v1, v162
	s_waitcnt lgkmcnt(0)
	v_pk_fma_f32 v[58:59], v[76:77], v[8:9], v[0:1] op_sel_hi:[0,1,1] neg_lo:[1,0,0] neg_hi:[1,0,0]
	ds_read2_b32 v[0:1], v254 offset0:23 offset1:24
	ds_read2_b32 v[4:5], v254 offset0:25 offset1:26
	ds_read_b32 v6, v254 offset:108
	v_mov_b32_e32 v2, v163
	v_mov_b32_e32 v3, v164
	;; [unrolled: 1-line block ×3, first 2 shown]
	s_waitcnt vmcnt(0) lgkmcnt(2)
	v_pk_fma_f32 v[60:61], v[76:77], v[0:1], v[2:3] op_sel_hi:[0,1,1] neg_lo:[1,0,0] neg_hi:[1,0,0]
	v_mov_b32_e32 v0, v165
	v_mov_b32_e32 v1, v166
	s_waitcnt lgkmcnt(1)
	v_pk_fma_f32 v[252:253], v[76:77], v[4:5], v[0:1] op_sel_hi:[0,1,1] neg_lo:[1,0,0] neg_hi:[1,0,0]
	s_waitcnt lgkmcnt(0)
	v_fma_f32 v167, -v76, v6, v81
	v_mov_b32_e32 v15, v28
	v_mov_b32_e32 v16, v29
	;; [unrolled: 1-line block ×20, first 2 shown]
	v_mov_b64_e32 v[72:73], v[42:43]
	v_mov_b64_e32 v[70:71], v[40:41]
	v_mov_b64_e32 v[68:69], v[38:39]
	v_mov_b64_e32 v[66:67], v[36:37]
	v_mov_b64_e32 v[64:65], v[34:35]
	v_mov_b64_e32 v[62:63], v[32:33]
	v_mov_b64_e32 v[74:75], v[44:45]
	v_mov_b32_e32 v0, v62
	v_mov_b32_e32 v1, v63
	;; [unrolled: 1-line block ×14, first 2 shown]
	scratch_store_dwordx4 off, v[0:3], off offset:1796 ; 16-byte Folded Spill
	s_nop 0
	scratch_store_dwordx4 off, v[4:7], off offset:1812 ; 16-byte Folded Spill
	scratch_store_dwordx4 off, v[8:11], off offset:1828 ; 16-byte Folded Spill
	;; [unrolled: 1-line block ×7, first 2 shown]
	v_mov_b32_e32 v220, v62
	v_mov_b32_e32 v221, v63
	;; [unrolled: 1-line block ×30, first 2 shown]
	scratch_store_dwordx4 off, v[0:3], off offset:1924 ; 16-byte Folded Spill
	s_nop 0
	scratch_store_dwordx4 off, v[4:7], off offset:1940 ; 16-byte Folded Spill
	scratch_store_dwordx4 off, v[8:11], off offset:1956 ; 16-byte Folded Spill
	scratch_store_dwordx4 off, v[12:15], off offset:1972 ; 16-byte Folded Spill
	scratch_store_dwordx4 off, v[16:19], off offset:1988 ; 16-byte Folded Spill
	scratch_store_dwordx4 off, v[20:23], off offset:2004 ; 16-byte Folded Spill
	scratch_store_dwordx4 off, v[24:27], off offset:2020 ; 16-byte Folded Spill
	scratch_store_dwordx4 off, v[28:31], off offset:2036 ; 16-byte Folded Spill
	v_mov_b32_e32 v18, v31
	scratch_store_dwordx4 off, v[0:3], off offset:1540 ; 16-byte Folded Spill
	s_nop 0
	scratch_store_dwordx4 off, v[4:7], off offset:1556 ; 16-byte Folded Spill
	scratch_store_dwordx4 off, v[8:11], off offset:1572 ; 16-byte Folded Spill
	scratch_store_dwordx4 off, v[12:15], off offset:1588 ; 16-byte Folded Spill
	scratch_store_dwordx4 off, v[16:19], off offset:1604 ; 16-byte Folded Spill
	scratch_store_dwordx4 off, v[20:23], off offset:1620 ; 16-byte Folded Spill
	scratch_store_dwordx4 off, v[24:27], off offset:1636 ; 16-byte Folded Spill
	scratch_store_dwordx4 off, v[28:31], off offset:1652 ; 16-byte Folded Spill
	v_mov_b32_e32 v19, v56
	;; [unrolled: 10-line block ×5, first 2 shown]
	v_mov_b32_e32 v23, v60
	v_mov_b32_e32 v235, v28
	;; [unrolled: 1-line block ×5, first 2 shown]
	scratch_store_dwordx4 off, v[0:3], off offset:1028 ; 16-byte Folded Spill
	s_nop 0
	scratch_store_dwordx4 off, v[4:7], off offset:1044 ; 16-byte Folded Spill
	scratch_store_dwordx4 off, v[8:11], off offset:1060 ; 16-byte Folded Spill
	;; [unrolled: 1-line block ×7, first 2 shown]
	s_nop 0
	v_mov_b32_e32 v24, v61
	scratch_store_dwordx4 off, v[0:3], off offset:644 ; 16-byte Folded Spill
	s_nop 0
	scratch_store_dwordx4 off, v[4:7], off offset:660 ; 16-byte Folded Spill
	scratch_store_dwordx4 off, v[8:11], off offset:676 ; 16-byte Folded Spill
	;; [unrolled: 1-line block ×7, first 2 shown]
	s_nop 0
	v_mov_b32_e32 v25, v252
	scratch_store_dwordx4 off, v[0:3], off offset:900 ; 16-byte Folded Spill
	s_nop 0
	scratch_store_dwordx4 off, v[4:7], off offset:916 ; 16-byte Folded Spill
	scratch_store_dwordx4 off, v[8:11], off offset:932 ; 16-byte Folded Spill
	scratch_store_dwordx4 off, v[12:15], off offset:948 ; 16-byte Folded Spill
	scratch_store_dwordx4 off, v[16:19], off offset:964 ; 16-byte Folded Spill
	scratch_store_dwordx4 off, v[20:23], off offset:980 ; 16-byte Folded Spill
	scratch_store_dwordx4 off, v[24:27], off offset:996 ; 16-byte Folded Spill
	scratch_store_dwordx4 off, v[28:31], off offset:1012 ; 16-byte Folded Spill
	scratch_store_dwordx4 off, v[62:65], off offset:2564 ; 16-byte Folded Spill
	s_nop 0
	scratch_store_dwordx4 off, v[66:69], off offset:2580 ; 16-byte Folded Spill
	scratch_store_dwordx4 off, v[70:73], off offset:2596 ; 16-byte Folded Spill
	scratch_store_dwordx4 off, v[74:77], off offset:2612 ; 16-byte Folded Spill
	scratch_store_dwordx4 off, v[78:81], off offset:2628 ; 16-byte Folded Spill
	scratch_store_dwordx4 off, v[82:85], off offset:2644 ; 16-byte Folded Spill
	scratch_store_dwordx4 off, v[86:89], off offset:2660 ; 16-byte Folded Spill
	scratch_store_dwordx4 off, v[90:93], off offset:2676 ; 16-byte Folded Spill
	scratch_store_dwordx4 off, v[62:65], off offset:2308 ; 16-byte Folded Spill
	s_nop 0
	scratch_store_dwordx4 off, v[66:69], off offset:2324 ; 16-byte Folded Spill
	scratch_store_dwordx4 off, v[70:73], off offset:2340 ; 16-byte Folded Spill
	scratch_store_dwordx4 off, v[74:77], off offset:2356 ; 16-byte Folded Spill
	scratch_store_dwordx4 off, v[78:81], off offset:2372 ; 16-byte Folded Spill
	scratch_store_dwordx4 off, v[82:85], off offset:2388 ; 16-byte Folded Spill
	scratch_store_dwordx4 off, v[86:89], off offset:2404 ; 16-byte Folded Spill
	scratch_store_dwordx4 off, v[90:93], off offset:2420 ; 16-byte Folded Spill
	v_mov_b32_e32 v81, v167
	v_mov_b32_e32 v155, v28
	;; [unrolled: 1-line block ×9, first 2 shown]
	scratch_store_dwordx4 off, v[0:3], off offset:1412 ; 16-byte Folded Spill
	s_nop 0
	scratch_store_dwordx4 off, v[4:7], off offset:1428 ; 16-byte Folded Spill
	scratch_store_dwordx4 off, v[8:11], off offset:1444 ; 16-byte Folded Spill
	scratch_store_dwordx4 off, v[12:15], off offset:1460 ; 16-byte Folded Spill
	scratch_store_dwordx4 off, v[16:19], off offset:1476 ; 16-byte Folded Spill
	scratch_store_dwordx4 off, v[20:23], off offset:1492 ; 16-byte Folded Spill
	scratch_store_dwordx4 off, v[24:27], off offset:1508 ; 16-byte Folded Spill
	scratch_store_dwordx4 off, v[28:31], off offset:1524 ; 16-byte Folded Spill
	scratch_store_dwordx4 off, v[0:3], off offset:260 ; 16-byte Folded Spill
	s_nop 0
	scratch_store_dwordx4 off, v[4:7], off offset:276 ; 16-byte Folded Spill
	scratch_store_dwordx4 off, v[8:11], off offset:292 ; 16-byte Folded Spill
	scratch_store_dwordx4 off, v[12:15], off offset:308 ; 16-byte Folded Spill
	scratch_store_dwordx4 off, v[16:19], off offset:324 ; 16-byte Folded Spill
	scratch_store_dwordx4 off, v[20:23], off offset:340 ; 16-byte Folded Spill
	scratch_store_dwordx4 off, v[24:27], off offset:356 ; 16-byte Folded Spill
	scratch_store_dwordx4 off, v[28:31], off offset:372 ; 16-byte Folded Spill
	;; [unrolled: 9-line block ×3, first 2 shown]
.LBB54_253:
	s_or_b64 exec, exec, s[0:1]
	s_nop 0
	v_lshl_add_u32 v28, v255, 2, v254
	s_waitcnt vmcnt(63) expcnt(7) lgkmcnt(15)
	s_barrier
	ds_write_b32 v28, v85
	s_waitcnt lgkmcnt(0)
	s_barrier
	ds_read_b32 v30, v254 offset:60
	s_cmp_lt_i32 s22, 17
	v_mov_b32_e32 v28, 15
	s_cbranch_scc1 .LBB54_256
; %bb.254:
	scratch_load_dword v0, off, off offset:2692 ; 4-byte Folded Reload
	v_mov_b32_e32 v28, 15
	s_mov_b32 s0, 16
	s_waitcnt vmcnt(0)
	v_add3_u32 v29, v0, 0, 64
.LBB54_255:                             ; =>This Inner Loop Header: Depth=1
	ds_read_b32 v31, v29
	v_add_u32_e32 v29, 4, v29
	s_waitcnt lgkmcnt(0)
	v_cmp_lt_f32_e64 vcc, |v30|, |v31|
	s_nop 1
	v_cndmask_b32_e32 v30, v30, v31, vcc
	v_mov_b32_e32 v31, s0
	s_add_i32 s0, s0, 1
	v_cndmask_b32_e32 v28, v28, v31, vcc
	s_cmp_lg_u32 s22, s0
	s_cbranch_scc1 .LBB54_255
.LBB54_256:
	s_waitcnt lgkmcnt(0)
	v_cmp_eq_f32_e32 vcc, 0, v30
	s_and_saveexec_b64 s[0:1], vcc
	s_xor_b64 s[0:1], exec, s[0:1]
	s_cbranch_execz .LBB54_258
; %bb.257:
	scratch_load_dword v0, off, off offset:132 ; 4-byte Folded Reload
	s_waitcnt vmcnt(0)
	v_cmp_ne_u32_e32 vcc, 0, v0
	s_nop 1
	v_cndmask_b32_e32 v0, 16, v0, vcc
	scratch_store_dword off, v0, off offset:132 ; 4-byte Folded Spill
.LBB54_258:
	s_andn2_saveexec_b64 s[0:1], s[0:1]
	s_cbranch_execz .LBB54_260
; %bb.259:
	v_div_scale_f32 v29, s[2:3], v30, v30, 1.0
	v_rcp_f32_e32 v31, v29
	s_waitcnt vmcnt(3)
	v_div_scale_f32 v56, vcc, 1.0, v30, 1.0
	v_fma_f32 v57, -v29, v31, 1.0
	v_fmac_f32_e32 v31, v57, v31
	v_mul_f32_e32 v57, v56, v31
	s_waitcnt vmcnt(2)
	v_fma_f32 v58, -v29, v57, v56
	v_fmac_f32_e32 v57, v58, v31
	v_fma_f32 v29, -v29, v57, v56
	v_div_fmas_f32 v29, v29, v31, v57
	v_div_fixup_f32 v30, v29, v30, 1.0
.LBB54_260:
	s_or_b64 exec, exec, s[0:1]
	v_cmp_ne_u32_e32 vcc, v255, v28
	s_and_saveexec_b64 s[0:1], vcc
	s_xor_b64 s[0:1], exec, s[0:1]
	s_cbranch_execz .LBB54_266
; %bb.261:
	v_cmp_eq_u32_e32 vcc, 15, v255
	s_and_saveexec_b64 s[2:3], vcc
	s_cbranch_execz .LBB54_265
; %bb.262:
	v_cmp_ne_u32_e32 vcc, 15, v28
	s_xor_b64 s[18:19], s[16:17], -1
	s_and_b64 s[20:21], s[18:19], vcc
	s_and_saveexec_b64 s[18:19], s[20:21]
	s_cbranch_execz .LBB54_264
; %bb.263:
	s_movk_i32 s20, 0x118c
	scratch_load_dwordx2 v[58:59], off, s20 ; 8-byte Folded Reload
	v_ashrrev_i32_e32 v29, 31, v28
	s_waitcnt vmcnt(0)
	v_lshl_add_u64 v[56:57], v[28:29], 2, v[58:59]
	global_load_dword v29, v[56:57], off
	global_load_dword v31, v[58:59], off offset:60
	s_waitcnt vmcnt(1)
	global_store_dword v[58:59], v29, off offset:60
	s_waitcnt vmcnt(1)
	global_store_dword v[56:57], v31, off
.LBB54_264:
	s_or_b64 exec, exec, s[18:19]
	v_mov_b32_e32 v29, v28
	v_mov_b32_e32 v255, v28
	scratch_store_dword off, v29, off offset:3080 ; 4-byte Folded Spill
.LBB54_265:
	s_or_b64 exec, exec, s[2:3]
.LBB54_266:
	s_andn2_saveexec_b64 s[0:1], s[0:1]
	s_cbranch_execz .LBB54_268
; %bb.267:
	v_mov_b32_e32 v255, 15
	ds_write2_b32 v254, v156, v157 offset0:16 offset1:17
	ds_write2_b32 v254, v158, v159 offset0:18 offset1:19
	;; [unrolled: 1-line block ×6, first 2 shown]
.LBB54_268:
	s_or_b64 exec, exec, s[0:1]
	v_cmp_lt_i32_e32 vcc, 15, v255
	s_waitcnt lgkmcnt(0)
	s_barrier
	s_and_saveexec_b64 s[0:1], vcc
	s_cbranch_execz .LBB54_270
; %bb.269:
	v_mul_f32_e32 v0, v85, v30
	ds_read2_b32 v[4:5], v254 offset0:16 offset1:17
	ds_read2_b32 v[6:7], v254 offset0:18 offset1:19
	;; [unrolled: 1-line block ×5, first 2 shown]
	s_waitcnt lgkmcnt(4)
	v_pk_fma_f32 v[92:93], v[0:1], v[4:5], v[156:157] op_sel_hi:[0,1,1] neg_lo:[1,0,0] neg_hi:[1,0,0]
	ds_read2_b32 v[4:5], v254 offset0:24 offset1:25
	scratch_load_dwordx4 v[28:31], off, off offset:2308 ; 16-byte Folded Reload
	scratch_load_dwordx4 v[32:35], off, off offset:2324 ; 16-byte Folded Reload
	;; [unrolled: 1-line block ×8, first 2 shown]
	s_waitcnt vmcnt(4)
	v_mov_b32_e32 v43, v0
	s_waitcnt vmcnt(3)
	v_mov_b32_e32 v44, v92
	v_mov_b32_e32 v45, v93
	s_waitcnt lgkmcnt(4)
	v_pk_fma_f32 v[74:75], v[0:1], v[6:7], v[158:159] op_sel_hi:[0,1,1] neg_lo:[1,0,0] neg_hi:[1,0,0]
	s_waitcnt lgkmcnt(3)
	v_pk_fma_f32 v[194:195], v[0:1], v[8:9], v[160:161] op_sel_hi:[0,1,1] neg_lo:[1,0,0] neg_hi:[1,0,0]
	;; [unrolled: 2-line block ×3, first 2 shown]
	v_pk_fma_f32 v[166:167], v[0:1], v[10:11], v[166:167] op_sel_hi:[0,1,1] neg_lo:[1,0,0] neg_hi:[1,0,0]
	v_mov_b32_e32 v21, v0
	v_mov_b32_e32 v22, v92
	;; [unrolled: 1-line block ×7, first 2 shown]
	s_waitcnt lgkmcnt(0)
	v_pk_fma_f32 v[138:139], v[0:1], v[4:5], v[164:165] op_sel_hi:[0,1,1] neg_lo:[1,0,0] neg_hi:[1,0,0]
	v_mov_b32_e32 v109, v0
	v_mov_b32_e32 v155, v0
	v_mov_b32_e32 v156, v92
	v_mov_b32_e32 v157, v93
	v_mov_b32_e32 v158, v74
	v_mov_b32_e32 v159, v75
	v_mov_b32_e32 v160, v194
	v_mov_b32_e32 v161, v195
	v_mov_b32_e32 v162, v242
	v_mov_b32_e32 v163, v243
	v_mov_b32_e32 v164, v138
	v_mov_b32_e32 v165, v139
	v_mov_b32_e32 v91, v0
	v_mov_b32_e32 v72, v92
	v_mov_b32_e32 v73, v93
	v_mov_b32_e32 v190, v92
	v_mov_b32_e32 v191, v93
	v_mov_b32_e32 v236, v92
	v_mov_b32_e32 v237, v93
	v_mov_b32_e32 v130, v92
	v_mov_b32_e32 v131, v93
	v_mov_b32_e32 v172, v92
	v_mov_b32_e32 v71, v0
	v_mov_b32_e32 v189, v0
	v_mov_b32_e32 v192, v74
	v_mov_b32_e32 v193, v75
	v_mov_b32_e32 v235, v0
	v_mov_b32_e32 v238, v74
	v_mov_b32_e32 v239, v75
	v_mov_b32_e32 v240, v194
	v_mov_b32_e32 v241, v195
	v_mov_b32_e32 v129, v0
	v_mov_b32_e32 v132, v74
	v_mov_b32_e32 v133, v75
	v_mov_b32_e32 v134, v194
	v_mov_b32_e32 v135, v195
	v_mov_b32_e32 v136, v242
	v_mov_b32_e32 v137, v243
	v_mov_b64_e32 v[104:105], v[38:39]
	v_mov_b32_e32 v108, v42
	v_mov_b64_e32 v[102:103], v[36:37]
	v_mov_b64_e32 v[100:101], v[34:35]
	;; [unrolled: 1-line block ×5, first 2 shown]
	v_mov_b32_e32 v107, v41
	v_mov_b32_e32 v106, v40
	scratch_store_dwordx4 off, v[28:31], off offset:1924 ; 16-byte Folded Spill
	s_nop 0
	scratch_store_dwordx4 off, v[32:35], off offset:1940 ; 16-byte Folded Spill
	scratch_store_dwordx4 off, v[36:39], off offset:1956 ; 16-byte Folded Spill
	;; [unrolled: 1-line block ×4, first 2 shown]
	s_waitcnt vmcnt(7)
	scratch_store_dwordx4 off, v[48:51], off offset:2004 ; 16-byte Folded Spill
	s_waitcnt vmcnt(7)
	scratch_store_dwordx4 off, v[52:55], off offset:2020 ; 16-byte Folded Spill
	;; [unrolled: 2-line block ×3, first 2 shown]
	v_mov_b32_e32 v46, v74
	v_mov_b32_e32 v47, v75
	;; [unrolled: 1-line block ×65, first 2 shown]
	scratch_store_dwordx4 off, v[28:31], off offset:1668 ; 16-byte Folded Spill
	s_nop 0
	scratch_store_dwordx4 off, v[32:35], off offset:1684 ; 16-byte Folded Spill
	scratch_store_dwordx4 off, v[36:39], off offset:1700 ; 16-byte Folded Spill
	scratch_store_dwordx4 off, v[40:43], off offset:1716 ; 16-byte Folded Spill
	scratch_store_dwordx4 off, v[44:47], off offset:1732 ; 16-byte Folded Spill
	scratch_store_dwordx4 off, v[48:51], off offset:1748 ; 16-byte Folded Spill
	scratch_store_dwordx4 off, v[52:55], off offset:1764 ; 16-byte Folded Spill
	scratch_store_dwordx4 off, v[56:59], off offset:1780 ; 16-byte Folded Spill
	v_mov_b32_e32 v48, v194
	v_mov_b32_e32 v49, v195
	v_mov_b32_e32 v62, v100
	v_mov_b32_e32 v63, v101
	v_mov_b32_e32 v64, v102
	v_mov_b32_e32 v65, v103
	v_mov_b32_e32 v66, v104
	v_mov_b32_e32 v67, v105
	v_mov_b32_e32 v68, v106
	v_mov_b32_e32 v69, v107
	v_mov_b32_e32 v70, v108
	v_mov_b32_e32 v174, v94
	v_mov_b32_e32 v175, v95
	v_mov_b32_e32 v176, v96
	v_mov_b32_e32 v177, v97
	v_mov_b32_e32 v178, v98
	v_mov_b32_e32 v179, v99
	v_mov_b32_e32 v180, v100
	v_mov_b32_e32 v181, v101
	v_mov_b32_e32 v182, v102
	v_mov_b32_e32 v183, v103
	v_mov_b32_e32 v184, v104
	v_mov_b32_e32 v185, v105
	v_mov_b32_e32 v186, v106
	v_mov_b32_e32 v187, v107
	v_mov_b32_e32 v188, v108
	v_mov_b32_e32 v220, v94
	v_mov_b32_e32 v221, v95
	v_mov_b32_e32 v222, v96
	v_mov_b32_e32 v223, v97
	v_mov_b32_e32 v224, v98
	v_mov_b32_e32 v225, v99
	v_mov_b32_e32 v226, v100
	v_mov_b32_e32 v227, v101
	v_mov_b32_e32 v228, v102
	v_mov_b32_e32 v229, v103
	v_mov_b32_e32 v230, v104
	v_mov_b32_e32 v231, v105
	v_mov_b32_e32 v232, v106
	v_mov_b32_e32 v233, v107
	v_mov_b32_e32 v234, v108
	v_mov_b32_e32 v126, v106
	v_mov_b32_e32 v127, v107
	v_mov_b32_e32 v128, v108
	scratch_store_dwordx4 off, v[28:31], off offset:1284 ; 16-byte Folded Spill
	s_nop 0
	scratch_store_dwordx4 off, v[32:35], off offset:1300 ; 16-byte Folded Spill
	scratch_store_dwordx4 off, v[36:39], off offset:1316 ; 16-byte Folded Spill
	;; [unrolled: 1-line block ×7, first 2 shown]
	v_mov_b32_e32 v28, v242
	v_mov_b32_e32 v29, v243
	scratch_store_dwordx4 off, v[6:9], off offset:1028 ; 16-byte Folded Spill
	s_nop 0
	scratch_store_dwordx4 off, v[10:13], off offset:1044 ; 16-byte Folded Spill
	scratch_store_dwordx4 off, v[14:17], off offset:1060 ; 16-byte Folded Spill
	;; [unrolled: 1-line block ×7, first 2 shown]
	v_mov_b64_e32 v[26:27], v[166:167]
	scratch_store_dwordx4 off, v[140:143], off offset:900 ; 16-byte Folded Spill
	s_nop 0
	scratch_store_dwordx4 off, v[144:147], off offset:916 ; 16-byte Folded Spill
	scratch_store_dwordx4 off, v[148:151], off offset:932 ; 16-byte Folded Spill
	;; [unrolled: 1-line block ×8, first 2 shown]
	s_nop 0
	scratch_store_dwordx4 off, v[98:101], off offset:2580 ; 16-byte Folded Spill
	scratch_store_dwordx4 off, v[102:105], off offset:2596 ; 16-byte Folded Spill
	;; [unrolled: 1-line block ×7, first 2 shown]
	v_mov_b32_e32 v15, v0
	v_mov_b32_e32 v20, v194
	v_mov_b32_e32 v155, v0
	scratch_store_dwordx4 off, v[76:79], off offset:1796 ; 16-byte Folded Spill
	s_nop 0
	scratch_store_dwordx4 off, v[80:83], off offset:1812 ; 16-byte Folded Spill
	scratch_store_dwordx4 off, v[84:87], off offset:1828 ; 16-byte Folded Spill
	;; [unrolled: 1-line block ×7, first 2 shown]
	v_mov_b32_e32 v76, v74
	v_mov_b32_e32 v253, v166
	;; [unrolled: 1-line block ×3, first 2 shown]
	scratch_store_dwordx4 off, v[56:59], off offset:1540 ; 16-byte Folded Spill
	s_nop 0
	scratch_store_dwordx4 off, v[60:63], off offset:1556 ; 16-byte Folded Spill
	scratch_store_dwordx4 off, v[64:67], off offset:1572 ; 16-byte Folded Spill
	scratch_store_dwordx4 off, v[68:71], off offset:1588 ; 16-byte Folded Spill
	scratch_store_dwordx4 off, v[72:75], off offset:1604 ; 16-byte Folded Spill
	scratch_store_dwordx4 off, v[76:79], off offset:1620 ; 16-byte Folded Spill
	scratch_store_dwordx4 off, v[80:83], off offset:1636 ; 16-byte Folded Spill
	scratch_store_dwordx4 off, v[84:87], off offset:1652 ; 16-byte Folded Spill
	scratch_store_dwordx4 off, v[56:59], off offset:1412 ; 16-byte Folded Spill
	s_nop 0
	scratch_store_dwordx4 off, v[60:63], off offset:1428 ; 16-byte Folded Spill
	scratch_store_dwordx4 off, v[64:67], off offset:1444 ; 16-byte Folded Spill
	scratch_store_dwordx4 off, v[68:71], off offset:1460 ; 16-byte Folded Spill
	scratch_store_dwordx4 off, v[72:75], off offset:1476 ; 16-byte Folded Spill
	scratch_store_dwordx4 off, v[76:79], off offset:1492 ; 16-byte Folded Spill
	scratch_store_dwordx4 off, v[80:83], off offset:1508 ; 16-byte Folded Spill
	scratch_store_dwordx4 off, v[84:87], off offset:1524 ; 16-byte Folded Spill
	scratch_store_dwordx4 off, v[0:3], off offset:260 ; 16-byte Folded Spill
	s_nop 0
	scratch_store_dwordx4 off, v[4:7], off offset:276 ; 16-byte Folded Spill
	scratch_store_dwordx4 off, v[8:11], off offset:292 ; 16-byte Folded Spill
	scratch_store_dwordx4 off, v[12:15], off offset:308 ; 16-byte Folded Spill
	scratch_store_dwordx4 off, v[16:19], off offset:324 ; 16-byte Folded Spill
	scratch_store_dwordx4 off, v[20:23], off offset:340 ; 16-byte Folded Spill
	scratch_store_dwordx4 off, v[24:27], off offset:356 ; 16-byte Folded Spill
	scratch_store_dwordx4 off, v[28:31], off offset:372 ; 16-byte Folded Spill
	scratch_store_dwordx4 off, v[174:177], off offset:1156 ; 16-byte Folded Spill
	s_nop 0
	scratch_store_dwordx4 off, v[178:181], off offset:1172 ; 16-byte Folded Spill
	scratch_store_dwordx4 off, v[182:185], off offset:1188 ; 16-byte Folded Spill
	scratch_store_dwordx4 off, v[186:189], off offset:1204 ; 16-byte Folded Spill
	scratch_store_dwordx4 off, v[190:193], off offset:1220 ; 16-byte Folded Spill
	scratch_store_dwordx4 off, v[194:197], off offset:1236 ; 16-byte Folded Spill
	scratch_store_dwordx4 off, v[198:201], off offset:1252 ; 16-byte Folded Spill
	scratch_store_dwordx4 off, v[202:205], off offset:1268 ; 16-byte Folded Spill
	v_mov_b32_e32 v22, v242
	v_mov_b32_e32 v176, v138
	v_mov_b32_e32 v177, v243
	v_mov_b32_e32 v81, v167
	scratch_store_dwordx4 off, v[0:3], off offset:516 ; 16-byte Folded Spill
	s_nop 0
	scratch_store_dwordx4 off, v[4:7], off offset:532 ; 16-byte Folded Spill
	scratch_store_dwordx4 off, v[8:11], off offset:548 ; 16-byte Folded Spill
	;; [unrolled: 1-line block ×8, first 2 shown]
	s_nop 0
	scratch_store_dwordx4 off, v[118:121], off offset:660 ; 16-byte Folded Spill
	scratch_store_dwordx4 off, v[122:125], off offset:676 ; 16-byte Folded Spill
	;; [unrolled: 1-line block ×7, first 2 shown]
	v_mov_b32_e32 v173, v195
	v_mov_b32_e32 v37, v139
.LBB54_270:
	s_or_b64 exec, exec, s[0:1]
	v_lshl_add_u32 v28, v255, 2, v254
	s_waitcnt vmcnt(63) expcnt(7) lgkmcnt(15)
	s_barrier
	ds_write_b32 v28, v172
	s_waitcnt lgkmcnt(0)
	s_barrier
	ds_read_b32 v30, v254 offset:64
	s_cmp_lt_i32 s22, 18
	v_mov_b32_e32 v28, 16
	s_cbranch_scc1 .LBB54_273
; %bb.271:
	v_add_u32_e32 v29, 0x44, v254
	v_mov_b32_e32 v28, 16
	s_mov_b32 s0, 17
.LBB54_272:                             ; =>This Inner Loop Header: Depth=1
	ds_read_b32 v31, v29
	v_add_u32_e32 v29, 4, v29
	s_waitcnt lgkmcnt(0)
	v_cmp_lt_f32_e64 vcc, |v30|, |v31|
	s_nop 1
	v_cndmask_b32_e32 v30, v30, v31, vcc
	v_mov_b32_e32 v31, s0
	s_add_i32 s0, s0, 1
	v_cndmask_b32_e32 v28, v28, v31, vcc
	s_cmp_lg_u32 s22, s0
	s_cbranch_scc1 .LBB54_272
.LBB54_273:
	s_waitcnt lgkmcnt(0)
	v_cmp_eq_f32_e32 vcc, 0, v30
	s_and_saveexec_b64 s[0:1], vcc
	s_xor_b64 s[0:1], exec, s[0:1]
	s_cbranch_execz .LBB54_275
; %bb.274:
	scratch_load_dword v0, off, off offset:132 ; 4-byte Folded Reload
	s_waitcnt vmcnt(0)
	v_cmp_ne_u32_e32 vcc, 0, v0
	s_nop 1
	v_cndmask_b32_e32 v0, 17, v0, vcc
	scratch_store_dword off, v0, off offset:132 ; 4-byte Folded Spill
.LBB54_275:
	s_andn2_saveexec_b64 s[0:1], s[0:1]
	s_cbranch_execz .LBB54_277
; %bb.276:
	v_div_scale_f32 v29, s[2:3], v30, v30, 1.0
	v_rcp_f32_e32 v31, v29
	s_waitcnt vmcnt(3)
	v_div_scale_f32 v56, vcc, 1.0, v30, 1.0
	v_fma_f32 v57, -v29, v31, 1.0
	v_fmac_f32_e32 v31, v57, v31
	v_mul_f32_e32 v57, v56, v31
	s_waitcnt vmcnt(2)
	v_fma_f32 v58, -v29, v57, v56
	v_fmac_f32_e32 v57, v58, v31
	v_fma_f32 v29, -v29, v57, v56
	v_div_fmas_f32 v29, v29, v31, v57
	v_div_fixup_f32 v30, v29, v30, 1.0
.LBB54_277:
	s_or_b64 exec, exec, s[0:1]
	v_cmp_ne_u32_e32 vcc, v255, v28
	s_and_saveexec_b64 s[0:1], vcc
	s_xor_b64 s[0:1], exec, s[0:1]
	s_cbranch_execz .LBB54_283
; %bb.278:
	v_cmp_eq_u32_e32 vcc, 16, v255
	s_and_saveexec_b64 s[2:3], vcc
	s_cbranch_execz .LBB54_282
; %bb.279:
	v_cmp_ne_u32_e32 vcc, 16, v28
	s_xor_b64 s[18:19], s[16:17], -1
	s_and_b64 s[20:21], s[18:19], vcc
	s_and_saveexec_b64 s[18:19], s[20:21]
	s_cbranch_execz .LBB54_281
; %bb.280:
	s_movk_i32 s20, 0x118c
	scratch_load_dwordx2 v[58:59], off, s20 ; 8-byte Folded Reload
	v_ashrrev_i32_e32 v29, 31, v28
	s_waitcnt vmcnt(0)
	v_lshl_add_u64 v[56:57], v[28:29], 2, v[58:59]
	global_load_dword v29, v[56:57], off
	global_load_dword v31, v[58:59], off offset:64
	s_waitcnt vmcnt(1)
	global_store_dword v[58:59], v29, off offset:64
	s_waitcnt vmcnt(1)
	global_store_dword v[56:57], v31, off
.LBB54_281:
	s_or_b64 exec, exec, s[18:19]
	v_mov_b32_e32 v29, v28
	v_mov_b32_e32 v255, v28
	scratch_store_dword off, v29, off offset:3080 ; 4-byte Folded Spill
.LBB54_282:
	s_or_b64 exec, exec, s[2:3]
.LBB54_283:
	s_andn2_saveexec_b64 s[0:1], s[0:1]
	s_cbranch_execz .LBB54_285
; %bb.284:
	v_mov_b32_e32 v255, 16
	ds_write2_b32 v254, v157, v158 offset0:17 offset1:18
	ds_write2_b32 v254, v159, v160 offset0:19 offset1:20
	;; [unrolled: 1-line block ×5, first 2 shown]
	ds_write_b32 v254, v81 offset:108
.LBB54_285:
	s_or_b64 exec, exec, s[0:1]
	v_cmp_lt_i32_e32 vcc, 16, v255
	s_waitcnt lgkmcnt(0)
	s_barrier
	s_and_saveexec_b64 s[0:1], vcc
	s_cbranch_execz .LBB54_287
; %bb.286:
	scratch_load_dwordx4 v[32:35], off, off offset:2564 ; 16-byte Folded Reload
	scratch_load_dwordx4 v[36:39], off, off offset:2580 ; 16-byte Folded Reload
	;; [unrolled: 1-line block ×8, first 2 shown]
	ds_read2_b32 v[0:1], v254 offset0:17 offset1:18
	ds_read2_b32 v[4:5], v254 offset0:19 offset1:20
	;; [unrolled: 1-line block ×4, first 2 shown]
	v_mul_f32_e32 v76, v172, v30
	v_mov_b32_e32 v2, v157
	v_mov_b32_e32 v3, v158
	s_waitcnt lgkmcnt(3)
	v_pk_fma_f32 v[28:29], v[76:77], v[0:1], v[2:3] op_sel_hi:[0,1,1] neg_lo:[1,0,0] neg_hi:[1,0,0]
	v_mov_b32_e32 v0, v159
	v_mov_b32_e32 v1, v160
	s_waitcnt lgkmcnt(2)
	v_pk_fma_f32 v[30:31], v[76:77], v[4:5], v[0:1] op_sel_hi:[0,1,1] neg_lo:[1,0,0] neg_hi:[1,0,0]
	ds_read2_b32 v[2:3], v254 offset0:25 offset1:26
	ds_read_b32 v4, v254 offset:108
	v_mov_b32_e32 v0, v161
	v_mov_b32_e32 v1, v162
	s_waitcnt vmcnt(1) lgkmcnt(3)
	v_pk_fma_f32 v[56:57], v[76:77], v[6:7], v[0:1] op_sel_hi:[0,1,1] neg_lo:[1,0,0] neg_hi:[1,0,0]
	v_mov_b32_e32 v0, v163
	v_mov_b32_e32 v1, v164
	s_waitcnt lgkmcnt(2)
	v_pk_fma_f32 v[58:59], v[76:77], v[8:9], v[0:1] op_sel_hi:[0,1,1] neg_lo:[1,0,0] neg_hi:[1,0,0]
	v_mov_b32_e32 v0, v165
	v_mov_b32_e32 v1, v166
	s_waitcnt lgkmcnt(1)
	v_pk_fma_f32 v[252:253], v[76:77], v[2:3], v[0:1] op_sel_hi:[0,1,1] neg_lo:[1,0,0] neg_hi:[1,0,0]
	s_waitcnt lgkmcnt(0)
	v_fma_f32 v167, -v76, v4, v81
	v_mov_b32_e32 v16, v76
	v_mov_b32_e32 v17, v28
	v_mov_b32_e32 v18, v29
	v_mov_b32_e32 v77, v28
	v_mov_b32_e32 v236, v76
	v_mov_b32_e32 v156, v76
	v_mov_b32_e32 v241, v56
	v_mov_b32_e32 v242, v57
	v_mov_b32_e32 v161, v56
	v_mov_b32_e32 v162, v57
	v_mov_b32_e32 v163, v58
	v_mov_b32_e32 v164, v59
	v_mov_b32_e32 v165, v252
	v_mov_b32_e32 v166, v253
	v_mov_b32_e32 v173, v56
	v_mov_b32_e32 v177, v58
	v_mov_b32_e32 v176, v59
	s_waitcnt vmcnt(0)
	v_mov_b64_e32 v[74:75], v[46:47]
	v_mov_b64_e32 v[72:73], v[44:45]
	;; [unrolled: 1-line block ×8, first 2 shown]
	v_mov_b32_e32 v0, v60
	v_mov_b32_e32 v1, v61
	;; [unrolled: 1-line block ×16, first 2 shown]
	scratch_store_dwordx4 off, v[0:3], off offset:1540 ; 16-byte Folded Spill
	s_nop 0
	scratch_store_dwordx4 off, v[4:7], off offset:1556 ; 16-byte Folded Spill
	scratch_store_dwordx4 off, v[8:11], off offset:1572 ; 16-byte Folded Spill
	;; [unrolled: 1-line block ×7, first 2 shown]
	v_mov_b32_e32 v220, v60
	v_mov_b32_e32 v221, v61
	;; [unrolled: 1-line block ×34, first 2 shown]
	scratch_store_dwordx4 off, v[0:3], off offset:1668 ; 16-byte Folded Spill
	s_nop 0
	scratch_store_dwordx4 off, v[4:7], off offset:1684 ; 16-byte Folded Spill
	scratch_store_dwordx4 off, v[8:11], off offset:1700 ; 16-byte Folded Spill
	scratch_store_dwordx4 off, v[12:15], off offset:1716 ; 16-byte Folded Spill
	scratch_store_dwordx4 off, v[16:19], off offset:1732 ; 16-byte Folded Spill
	scratch_store_dwordx4 off, v[20:23], off offset:1748 ; 16-byte Folded Spill
	scratch_store_dwordx4 off, v[24:27], off offset:1764 ; 16-byte Folded Spill
	scratch_store_dwordx4 off, v[28:31], off offset:1780 ; 16-byte Folded Spill
	v_mov_b32_e32 v20, v31
	scratch_store_dwordx4 off, v[0:3], off offset:1156 ; 16-byte Folded Spill
	s_nop 0
	scratch_store_dwordx4 off, v[4:7], off offset:1172 ; 16-byte Folded Spill
	scratch_store_dwordx4 off, v[8:11], off offset:1188 ; 16-byte Folded Spill
	scratch_store_dwordx4 off, v[12:15], off offset:1204 ; 16-byte Folded Spill
	scratch_store_dwordx4 off, v[16:19], off offset:1220 ; 16-byte Folded Spill
	scratch_store_dwordx4 off, v[20:23], off offset:1236 ; 16-byte Folded Spill
	scratch_store_dwordx4 off, v[24:27], off offset:1252 ; 16-byte Folded Spill
	scratch_store_dwordx4 off, v[28:31], off offset:1268 ; 16-byte Folded Spill
	v_mov_b32_e32 v21, v56
	scratch_store_dwordx4 off, v[0:3], off offset:1284 ; 16-byte Folded Spill
	s_nop 0
	scratch_store_dwordx4 off, v[4:7], off offset:1300 ; 16-byte Folded Spill
	scratch_store_dwordx4 off, v[8:11], off offset:1316 ; 16-byte Folded Spill
	scratch_store_dwordx4 off, v[12:15], off offset:1332 ; 16-byte Folded Spill
	scratch_store_dwordx4 off, v[16:19], off offset:1348 ; 16-byte Folded Spill
	scratch_store_dwordx4 off, v[20:23], off offset:1364 ; 16-byte Folded Spill
	scratch_store_dwordx4 off, v[24:27], off offset:1380 ; 16-byte Folded Spill
	scratch_store_dwordx4 off, v[28:31], off offset:1396 ; 16-byte Folded Spill
	v_mov_b32_e32 v22, v57
	v_mov_b32_e32 v23, v58
	v_mov_b32_e32 v237, v28
	;; [unrolled: 1-line block ×5, first 2 shown]
	scratch_store_dwordx4 off, v[0:3], off offset:1028 ; 16-byte Folded Spill
	s_nop 0
	scratch_store_dwordx4 off, v[4:7], off offset:1044 ; 16-byte Folded Spill
	scratch_store_dwordx4 off, v[8:11], off offset:1060 ; 16-byte Folded Spill
	;; [unrolled: 1-line block ×7, first 2 shown]
	s_nop 0
	v_mov_b32_e32 v24, v59
	scratch_store_dwordx4 off, v[0:3], off offset:644 ; 16-byte Folded Spill
	s_nop 0
	scratch_store_dwordx4 off, v[4:7], off offset:660 ; 16-byte Folded Spill
	scratch_store_dwordx4 off, v[8:11], off offset:676 ; 16-byte Folded Spill
	;; [unrolled: 1-line block ×7, first 2 shown]
	s_nop 0
	v_mov_b32_e32 v25, v252
	scratch_store_dwordx4 off, v[0:3], off offset:900 ; 16-byte Folded Spill
	s_nop 0
	scratch_store_dwordx4 off, v[4:7], off offset:916 ; 16-byte Folded Spill
	scratch_store_dwordx4 off, v[8:11], off offset:932 ; 16-byte Folded Spill
	scratch_store_dwordx4 off, v[12:15], off offset:948 ; 16-byte Folded Spill
	scratch_store_dwordx4 off, v[16:19], off offset:964 ; 16-byte Folded Spill
	scratch_store_dwordx4 off, v[20:23], off offset:980 ; 16-byte Folded Spill
	scratch_store_dwordx4 off, v[24:27], off offset:996 ; 16-byte Folded Spill
	scratch_store_dwordx4 off, v[28:31], off offset:1012 ; 16-byte Folded Spill
	scratch_store_dwordx4 off, v[60:63], off offset:1924 ; 16-byte Folded Spill
	s_nop 0
	scratch_store_dwordx4 off, v[64:67], off offset:1940 ; 16-byte Folded Spill
	scratch_store_dwordx4 off, v[68:71], off offset:1956 ; 16-byte Folded Spill
	scratch_store_dwordx4 off, v[72:75], off offset:1972 ; 16-byte Folded Spill
	scratch_store_dwordx4 off, v[76:79], off offset:1988 ; 16-byte Folded Spill
	scratch_store_dwordx4 off, v[80:83], off offset:2004 ; 16-byte Folded Spill
	scratch_store_dwordx4 off, v[84:87], off offset:2020 ; 16-byte Folded Spill
	scratch_store_dwordx4 off, v[88:91], off offset:2036 ; 16-byte Folded Spill
	;; [unrolled: 9-line block ×3, first 2 shown]
	v_mov_b32_e32 v81, v167
	v_mov_b32_e32 v157, v28
	v_mov_b32_e32 v158, v29
	v_mov_b32_e32 v159, v30
	v_mov_b32_e32 v160, v31
	v_mov_b32_e32 v83, v28
	v_mov_b32_e32 v76, v29
	scratch_store_dwordx4 off, v[0:3], off offset:1412 ; 16-byte Folded Spill
	s_nop 0
	scratch_store_dwordx4 off, v[4:7], off offset:1428 ; 16-byte Folded Spill
	scratch_store_dwordx4 off, v[8:11], off offset:1444 ; 16-byte Folded Spill
	scratch_store_dwordx4 off, v[12:15], off offset:1460 ; 16-byte Folded Spill
	scratch_store_dwordx4 off, v[16:19], off offset:1476 ; 16-byte Folded Spill
	scratch_store_dwordx4 off, v[20:23], off offset:1492 ; 16-byte Folded Spill
	scratch_store_dwordx4 off, v[24:27], off offset:1508 ; 16-byte Folded Spill
	scratch_store_dwordx4 off, v[28:31], off offset:1524 ; 16-byte Folded Spill
	scratch_store_dwordx4 off, v[0:3], off offset:260 ; 16-byte Folded Spill
	s_nop 0
	scratch_store_dwordx4 off, v[4:7], off offset:276 ; 16-byte Folded Spill
	scratch_store_dwordx4 off, v[8:11], off offset:292 ; 16-byte Folded Spill
	scratch_store_dwordx4 off, v[12:15], off offset:308 ; 16-byte Folded Spill
	scratch_store_dwordx4 off, v[16:19], off offset:324 ; 16-byte Folded Spill
	scratch_store_dwordx4 off, v[20:23], off offset:340 ; 16-byte Folded Spill
	scratch_store_dwordx4 off, v[24:27], off offset:356 ; 16-byte Folded Spill
	scratch_store_dwordx4 off, v[28:31], off offset:372 ; 16-byte Folded Spill
	scratch_store_dwordx4 off, v[0:3], off offset:516 ; 16-byte Folded Spill
	s_nop 0
	scratch_store_dwordx4 off, v[4:7], off offset:532 ; 16-byte Folded Spill
	scratch_store_dwordx4 off, v[8:11], off offset:548 ; 16-byte Folded Spill
	scratch_store_dwordx4 off, v[12:15], off offset:564 ; 16-byte Folded Spill
	scratch_store_dwordx4 off, v[16:19], off offset:580 ; 16-byte Folded Spill
	scratch_store_dwordx4 off, v[20:23], off offset:596 ; 16-byte Folded Spill
	scratch_store_dwordx4 off, v[24:27], off offset:612 ; 16-byte Folded Spill
	scratch_store_dwordx4 off, v[28:31], off offset:628 ; 16-byte Folded Spill
.LBB54_287:
	s_or_b64 exec, exec, s[0:1]
	s_nop 0
	v_lshl_add_u32 v28, v255, 2, v254
	s_waitcnt vmcnt(63) expcnt(7) lgkmcnt(15)
	s_barrier
	ds_write_b32 v28, v83
	s_waitcnt lgkmcnt(0)
	s_barrier
	ds_read_b32 v30, v254 offset:68
	s_cmp_lt_i32 s22, 19
	v_mov_b32_e32 v28, 17
	s_cbranch_scc1 .LBB54_290
; %bb.288:
	v_add_u32_e32 v29, 0x48, v254
	v_mov_b32_e32 v28, 17
	s_mov_b32 s0, 18
.LBB54_289:                             ; =>This Inner Loop Header: Depth=1
	ds_read_b32 v31, v29
	v_add_u32_e32 v29, 4, v29
	s_waitcnt lgkmcnt(0)
	v_cmp_lt_f32_e64 vcc, |v30|, |v31|
	s_nop 1
	v_cndmask_b32_e32 v30, v30, v31, vcc
	v_mov_b32_e32 v31, s0
	s_add_i32 s0, s0, 1
	v_cndmask_b32_e32 v28, v28, v31, vcc
	s_cmp_lg_u32 s22, s0
	s_cbranch_scc1 .LBB54_289
.LBB54_290:
	s_waitcnt lgkmcnt(0)
	v_cmp_eq_f32_e32 vcc, 0, v30
	s_and_saveexec_b64 s[0:1], vcc
	s_xor_b64 s[0:1], exec, s[0:1]
	s_cbranch_execz .LBB54_292
; %bb.291:
	scratch_load_dword v0, off, off offset:132 ; 4-byte Folded Reload
	s_waitcnt vmcnt(0)
	v_cmp_ne_u32_e32 vcc, 0, v0
	s_nop 1
	v_cndmask_b32_e32 v0, 18, v0, vcc
	scratch_store_dword off, v0, off offset:132 ; 4-byte Folded Spill
.LBB54_292:
	s_andn2_saveexec_b64 s[0:1], s[0:1]
	s_cbranch_execz .LBB54_294
; %bb.293:
	v_div_scale_f32 v29, s[2:3], v30, v30, 1.0
	v_rcp_f32_e32 v31, v29
	s_waitcnt vmcnt(3)
	v_div_scale_f32 v56, vcc, 1.0, v30, 1.0
	v_fma_f32 v57, -v29, v31, 1.0
	v_fmac_f32_e32 v31, v57, v31
	v_mul_f32_e32 v57, v56, v31
	s_waitcnt vmcnt(2)
	v_fma_f32 v58, -v29, v57, v56
	v_fmac_f32_e32 v57, v58, v31
	v_fma_f32 v29, -v29, v57, v56
	v_div_fmas_f32 v29, v29, v31, v57
	v_div_fixup_f32 v30, v29, v30, 1.0
.LBB54_294:
	s_or_b64 exec, exec, s[0:1]
	v_cmp_ne_u32_e32 vcc, v255, v28
	s_and_saveexec_b64 s[0:1], vcc
	s_xor_b64 s[0:1], exec, s[0:1]
	s_cbranch_execz .LBB54_300
; %bb.295:
	v_cmp_eq_u32_e32 vcc, 17, v255
	s_and_saveexec_b64 s[2:3], vcc
	s_cbranch_execz .LBB54_299
; %bb.296:
	v_cmp_ne_u32_e32 vcc, 17, v28
	s_xor_b64 s[18:19], s[16:17], -1
	s_and_b64 s[20:21], s[18:19], vcc
	s_and_saveexec_b64 s[18:19], s[20:21]
	s_cbranch_execz .LBB54_298
; %bb.297:
	s_movk_i32 s20, 0x118c
	scratch_load_dwordx2 v[58:59], off, s20 ; 8-byte Folded Reload
	v_ashrrev_i32_e32 v29, 31, v28
	s_waitcnt vmcnt(0)
	v_lshl_add_u64 v[56:57], v[28:29], 2, v[58:59]
	global_load_dword v29, v[56:57], off
	global_load_dword v31, v[58:59], off offset:68
	s_waitcnt vmcnt(1)
	global_store_dword v[58:59], v29, off offset:68
	s_waitcnt vmcnt(1)
	global_store_dword v[56:57], v31, off
.LBB54_298:
	s_or_b64 exec, exec, s[18:19]
	v_mov_b32_e32 v29, v28
	v_mov_b32_e32 v255, v28
	scratch_store_dword off, v29, off offset:3080 ; 4-byte Folded Spill
.LBB54_299:
	s_or_b64 exec, exec, s[2:3]
.LBB54_300:
	s_andn2_saveexec_b64 s[0:1], s[0:1]
	s_cbranch_execz .LBB54_302
; %bb.301:
	v_mov_b32_e32 v255, 17
	ds_write2_b32 v254, v158, v159 offset0:18 offset1:19
	ds_write2_b32 v254, v160, v161 offset0:20 offset1:21
	;; [unrolled: 1-line block ×5, first 2 shown]
.LBB54_302:
	s_or_b64 exec, exec, s[0:1]
	v_cmp_lt_i32_e32 vcc, 17, v255
	s_waitcnt lgkmcnt(0)
	s_barrier
	s_and_saveexec_b64 s[0:1], vcc
	s_cbranch_execz .LBB54_304
; %bb.303:
	v_mul_f32_e32 v0, v83, v30
	ds_read2_b32 v[2:3], v254 offset0:18 offset1:19
	ds_read2_b32 v[6:7], v254 offset0:20 offset1:21
	ds_read2_b32 v[8:9], v254 offset0:22 offset1:23
	ds_read2_b32 v[10:11], v254 offset0:24 offset1:25
	scratch_load_dwordx4 v[12:15], off, off offset:1796 ; 16-byte Folded Reload
	scratch_load_dwordx4 v[16:19], off, off offset:1812 ; 16-byte Folded Reload
	;; [unrolled: 1-line block ×8, first 2 shown]
	v_mov_b32_e32 v4, v158
	v_mov_b32_e32 v5, v159
	s_waitcnt lgkmcnt(3)
	v_pk_fma_f32 v[110:111], v[0:1], v[2:3], v[4:5] op_sel_hi:[0,1,1] neg_lo:[1,0,0] neg_hi:[1,0,0]
	v_mov_b32_e32 v47, v0
	v_mov_b32_e32 v48, v110
	;; [unrolled: 1-line block ×5, first 2 shown]
	s_waitcnt lgkmcnt(2)
	v_pk_fma_f32 v[192:193], v[0:1], v[6:7], v[2:3] op_sel_hi:[0,1,1] neg_lo:[1,0,0] neg_hi:[1,0,0]
	v_mov_b32_e32 v2, v162
	v_mov_b32_e32 v3, v163
	s_waitcnt lgkmcnt(1)
	v_pk_fma_f32 v[242:243], v[0:1], v[8:9], v[2:3] op_sel_hi:[0,1,1] neg_lo:[1,0,0] neg_hi:[1,0,0]
	v_mov_b32_e32 v2, v164
	v_mov_b32_e32 v3, v165
	s_waitcnt lgkmcnt(0)
	v_pk_fma_f32 v[138:139], v[0:1], v[10:11], v[2:3] op_sel_hi:[0,1,1] neg_lo:[1,0,0] neg_hi:[1,0,0]
	s_waitcnt vmcnt(3)
	v_mov_b32_e32 v29, v0
	v_mov_b32_e32 v157, v0
	;; [unrolled: 1-line block ×39, first 2 shown]
	s_waitcnt vmcnt(2)
	v_mov_b32_e32 v32, v14
	v_mov_b32_e32 v33, v15
	v_mov_b32_e32 v34, v16
	v_mov_b32_e32 v35, v17
	s_waitcnt vmcnt(1)
	v_mov_b32_e32 v36, v18
	v_mov_b32_e32 v37, v19
	v_mov_b32_e32 v38, v20
	v_mov_b32_e32 v39, v21
	;; [unrolled: 5-line block ×3, first 2 shown]
	v_mov_b32_e32 v44, v26
	v_mov_b32_e32 v45, v27
	;; [unrolled: 1-line block ×3, first 2 shown]
	scratch_store_dwordx4 off, v[30:33], off offset:1668 ; 16-byte Folded Spill
	s_nop 0
	scratch_store_dwordx4 off, v[34:37], off offset:1684 ; 16-byte Folded Spill
	scratch_store_dwordx4 off, v[38:41], off offset:1700 ; 16-byte Folded Spill
	;; [unrolled: 1-line block ×7, first 2 shown]
	v_mov_b32_e32 v50, v192
	v_mov_b32_e32 v51, v193
	;; [unrolled: 1-line block ×57, first 2 shown]
	scratch_store_dwordx4 off, v[30:33], off offset:1284 ; 16-byte Folded Spill
	s_nop 0
	scratch_store_dwordx4 off, v[34:37], off offset:1300 ; 16-byte Folded Spill
	scratch_store_dwordx4 off, v[38:41], off offset:1316 ; 16-byte Folded Spill
	scratch_store_dwordx4 off, v[42:45], off offset:1332 ; 16-byte Folded Spill
	scratch_store_dwordx4 off, v[46:49], off offset:1348 ; 16-byte Folded Spill
	scratch_store_dwordx4 off, v[50:53], off offset:1364 ; 16-byte Folded Spill
	scratch_store_dwordx4 off, v[54:57], off offset:1380 ; 16-byte Folded Spill
	scratch_store_dwordx4 off, v[58:61], off offset:1396 ; 16-byte Folded Spill
	v_mov_b32_e32 v52, v242
	v_mov_b32_e32 v53, v243
	;; [unrolled: 1-line block ×41, first 2 shown]
	scratch_store_dwordx4 off, v[30:33], off offset:1028 ; 16-byte Folded Spill
	s_nop 0
	scratch_store_dwordx4 off, v[34:37], off offset:1044 ; 16-byte Folded Spill
	scratch_store_dwordx4 off, v[38:41], off offset:1060 ; 16-byte Folded Spill
	;; [unrolled: 1-line block ×7, first 2 shown]
	ds_read2_b32 v[2:3], v254 offset0:26 offset1:27
	scratch_store_dwordx4 off, v[140:143], off offset:900 ; 16-byte Folded Spill
	s_nop 0
	scratch_store_dwordx4 off, v[144:147], off offset:916 ; 16-byte Folded Spill
	scratch_store_dwordx4 off, v[148:151], off offset:932 ; 16-byte Folded Spill
	;; [unrolled: 1-line block ×7, first 2 shown]
	v_mov_b32_e32 v54, v12
	v_mov_b32_e32 v55, v13
	;; [unrolled: 1-line block ×8, first 2 shown]
	s_waitcnt lgkmcnt(0)
	v_pk_fma_f32 v[80:81], v[0:1], v[2:3], v[4:5] op_sel_hi:[0,1,1] neg_lo:[1,0,0] neg_hi:[1,0,0]
	v_mov_b64_e32 v[170:171], v[84:85]
	v_mov_b64_e32 v[168:169], v[82:83]
	;; [unrolled: 1-line block ×16, first 2 shown]
	v_mov_b32_e32 v76, v110
	v_mov_b32_e32 v253, v80
	scratch_store_dwordx4 off, v[12:15], off offset:1924 ; 16-byte Folded Spill
	s_nop 0
	scratch_store_dwordx4 off, v[16:19], off offset:1940 ; 16-byte Folded Spill
	scratch_store_dwordx4 off, v[20:23], off offset:1956 ; 16-byte Folded Spill
	scratch_store_dwordx4 off, v[24:27], off offset:1972 ; 16-byte Folded Spill
	scratch_store_dwordx4 off, v[28:31], off offset:1988 ; 16-byte Folded Spill
	scratch_store_dwordx4 off, v[32:35], off offset:2004 ; 16-byte Folded Spill
	scratch_store_dwordx4 off, v[36:39], off offset:2020 ; 16-byte Folded Spill
	scratch_store_dwordx4 off, v[40:43], off offset:2036 ; 16-byte Folded Spill
	scratch_store_dwordx4 off, v[92:95], off offset:1540 ; 16-byte Folded Spill
	s_nop 0
	scratch_store_dwordx4 off, v[96:99], off offset:1556 ; 16-byte Folded Spill
	scratch_store_dwordx4 off, v[100:103], off offset:1572 ; 16-byte Folded Spill
	scratch_store_dwordx4 off, v[104:107], off offset:1588 ; 16-byte Folded Spill
	scratch_store_dwordx4 off, v[108:111], off offset:1604 ; 16-byte Folded Spill
	scratch_store_dwordx4 off, v[112:115], off offset:1620 ; 16-byte Folded Spill
	scratch_store_dwordx4 off, v[116:119], off offset:1636 ; 16-byte Folded Spill
	scratch_store_dwordx4 off, v[120:123], off offset:1652 ; 16-byte Folded Spill
	;; [unrolled: 9-line block ×3, first 2 shown]
	v_mov_b32_e32 v20, v192
	scratch_store_dwordx4 off, v[0:3], off offset:260 ; 16-byte Folded Spill
	s_nop 0
	scratch_store_dwordx4 off, v[4:7], off offset:276 ; 16-byte Folded Spill
	scratch_store_dwordx4 off, v[8:11], off offset:292 ; 16-byte Folded Spill
	;; [unrolled: 1-line block ×8, first 2 shown]
	s_nop 0
	scratch_store_dwordx4 off, v[176:179], off offset:1172 ; 16-byte Folded Spill
	scratch_store_dwordx4 off, v[180:183], off offset:1188 ; 16-byte Folded Spill
	;; [unrolled: 1-line block ×7, first 2 shown]
	v_mov_b32_e32 v22, v242
	v_mov_b32_e32 v176, v138
	;; [unrolled: 1-line block ×3, first 2 shown]
	scratch_store_dwordx4 off, v[0:3], off offset:516 ; 16-byte Folded Spill
	s_nop 0
	scratch_store_dwordx4 off, v[4:7], off offset:532 ; 16-byte Folded Spill
	scratch_store_dwordx4 off, v[8:11], off offset:548 ; 16-byte Folded Spill
	;; [unrolled: 1-line block ×8, first 2 shown]
	s_nop 0
	scratch_store_dwordx4 off, v[118:121], off offset:660 ; 16-byte Folded Spill
	scratch_store_dwordx4 off, v[122:125], off offset:676 ; 16-byte Folded Spill
	;; [unrolled: 1-line block ×7, first 2 shown]
	v_mov_b32_e32 v173, v193
	v_mov_b32_e32 v37, v139
.LBB54_304:
	s_or_b64 exec, exec, s[0:1]
	v_lshl_add_u32 v28, v255, 2, v254
	s_waitcnt vmcnt(63) expcnt(7) lgkmcnt(15)
	s_barrier
	ds_write_b32 v28, v76
	s_waitcnt lgkmcnt(0)
	s_barrier
	ds_read_b32 v30, v254 offset:72
	s_cmp_lt_i32 s22, 20
	v_mov_b32_e32 v28, 18
	s_cbranch_scc1 .LBB54_307
; %bb.305:
	v_add_u32_e32 v29, 0x4c, v254
	v_mov_b32_e32 v28, 18
	s_mov_b32 s0, 19
.LBB54_306:                             ; =>This Inner Loop Header: Depth=1
	ds_read_b32 v31, v29
	s_waitcnt vmcnt(3)
	v_mov_b32_e32 v56, s0
	s_add_i32 s0, s0, 1
	v_add_u32_e32 v29, 4, v29
	s_cmp_lg_u32 s22, s0
	s_waitcnt lgkmcnt(0)
	v_cmp_lt_f32_e64 vcc, |v30|, |v31|
	s_nop 1
	v_cndmask_b32_e32 v30, v30, v31, vcc
	v_cndmask_b32_e32 v28, v28, v56, vcc
	s_cbranch_scc1 .LBB54_306
.LBB54_307:
	s_waitcnt lgkmcnt(0)
	v_cmp_eq_f32_e32 vcc, 0, v30
	s_and_saveexec_b64 s[0:1], vcc
	s_xor_b64 s[0:1], exec, s[0:1]
	s_cbranch_execz .LBB54_309
; %bb.308:
	scratch_load_dword v0, off, off offset:132 ; 4-byte Folded Reload
	s_waitcnt vmcnt(0)
	v_cmp_ne_u32_e32 vcc, 0, v0
	s_nop 1
	v_cndmask_b32_e32 v0, 19, v0, vcc
	scratch_store_dword off, v0, off offset:132 ; 4-byte Folded Spill
.LBB54_309:
	s_andn2_saveexec_b64 s[0:1], s[0:1]
	s_cbranch_execz .LBB54_311
; %bb.310:
	v_div_scale_f32 v29, s[2:3], v30, v30, 1.0
	v_rcp_f32_e32 v31, v29
	s_waitcnt vmcnt(3)
	v_div_scale_f32 v56, vcc, 1.0, v30, 1.0
	v_fma_f32 v57, -v29, v31, 1.0
	v_fmac_f32_e32 v31, v57, v31
	v_mul_f32_e32 v57, v56, v31
	s_waitcnt vmcnt(2)
	v_fma_f32 v58, -v29, v57, v56
	v_fmac_f32_e32 v57, v58, v31
	v_fma_f32 v29, -v29, v57, v56
	v_div_fmas_f32 v29, v29, v31, v57
	v_div_fixup_f32 v30, v29, v30, 1.0
.LBB54_311:
	s_or_b64 exec, exec, s[0:1]
	v_cmp_ne_u32_e32 vcc, v255, v28
	s_and_saveexec_b64 s[0:1], vcc
	s_xor_b64 s[0:1], exec, s[0:1]
	s_cbranch_execz .LBB54_317
; %bb.312:
	v_cmp_eq_u32_e32 vcc, 18, v255
	s_and_saveexec_b64 s[2:3], vcc
	s_cbranch_execz .LBB54_316
; %bb.313:
	v_cmp_ne_u32_e32 vcc, 18, v28
	s_xor_b64 s[18:19], s[16:17], -1
	s_and_b64 s[20:21], s[18:19], vcc
	s_and_saveexec_b64 s[18:19], s[20:21]
	s_cbranch_execz .LBB54_315
; %bb.314:
	s_movk_i32 s20, 0x118c
	scratch_load_dwordx2 v[58:59], off, s20 ; 8-byte Folded Reload
	v_ashrrev_i32_e32 v29, 31, v28
	s_waitcnt vmcnt(0)
	v_lshl_add_u64 v[56:57], v[28:29], 2, v[58:59]
	global_load_dword v29, v[56:57], off
	global_load_dword v31, v[58:59], off offset:72
	s_waitcnt vmcnt(1)
	global_store_dword v[58:59], v29, off offset:72
	s_waitcnt vmcnt(1)
	global_store_dword v[56:57], v31, off
.LBB54_315:
	s_or_b64 exec, exec, s[18:19]
	v_mov_b32_e32 v29, v28
	v_mov_b32_e32 v255, v28
	scratch_store_dword off, v29, off offset:3080 ; 4-byte Folded Spill
.LBB54_316:
	s_or_b64 exec, exec, s[2:3]
.LBB54_317:
	s_andn2_saveexec_b64 s[0:1], s[0:1]
	s_cbranch_execz .LBB54_319
; %bb.318:
	v_mov_b32_e32 v255, 18
	ds_write2_b32 v254, v159, v160 offset0:19 offset1:20
	ds_write2_b32 v254, v161, v162 offset0:21 offset1:22
	;; [unrolled: 1-line block ×4, first 2 shown]
	ds_write_b32 v254, v81 offset:108
.LBB54_319:
	s_or_b64 exec, exec, s[0:1]
	v_cmp_lt_i32_e32 vcc, 18, v255
	s_waitcnt lgkmcnt(0)
	s_barrier
	s_and_saveexec_b64 s[0:1], vcc
	s_cbranch_execz .LBB54_321
; %bb.320:
	scratch_load_dwordx4 v[32:35], off, off offset:1924 ; 16-byte Folded Reload
	scratch_load_dwordx4 v[36:39], off, off offset:1940 ; 16-byte Folded Reload
	scratch_load_dwordx4 v[40:43], off, off offset:1956 ; 16-byte Folded Reload
	scratch_load_dwordx4 v[44:47], off, off offset:1972 ; 16-byte Folded Reload
	scratch_load_dwordx4 v[48:51], off, off offset:1988 ; 16-byte Folded Reload
	scratch_load_dwordx4 v[52:55], off, off offset:2004 ; 16-byte Folded Reload
	scratch_load_dwordx4 v[56:59], off, off offset:2020 ; 16-byte Folded Reload
	scratch_load_dwordx4 v[60:63], off, off offset:2036 ; 16-byte Folded Reload
	ds_read2_b32 v[0:1], v254 offset0:19 offset1:20
	ds_read2_b32 v[4:5], v254 offset0:21 offset1:22
	;; [unrolled: 1-line block ×4, first 2 shown]
	ds_read_b32 v10, v254 offset:108
	v_mul_f32_e32 v110, v76, v30
	v_mov_b32_e32 v3, v160
	v_mov_b32_e32 v2, v159
	s_waitcnt lgkmcnt(4)
	v_pk_fma_f32 v[0:1], v[110:111], v[0:1], v[2:3] op_sel_hi:[0,1,1] neg_lo:[1,0,0] neg_hi:[1,0,0]
	v_mov_b32_e32 v3, v162
	v_mov_b32_e32 v2, v161
	s_waitcnt lgkmcnt(3)
	v_pk_fma_f32 v[2:3], v[110:111], v[4:5], v[2:3] op_sel_hi:[0,1,1] neg_lo:[1,0,0] neg_hi:[1,0,0]
	;; [unrolled: 4-line block ×4, first 2 shown]
	s_waitcnt lgkmcnt(0)
	v_fma_f32 v81, -v110, v10, v81
	v_mov_b32_e32 v24, v110
	v_mov_b32_e32 v25, v0
	;; [unrolled: 1-line block ×18, first 2 shown]
	s_waitcnt vmcnt(4)
	v_mov_b64_e32 v[106:107], v[46:47]
	v_mov_b64_e32 v[104:105], v[44:45]
	;; [unrolled: 1-line block ×8, first 2 shown]
	s_waitcnt vmcnt(3)
	v_mov_b64_e32 v[108:109], v[48:49]
	v_mov_b32_e32 v6, v92
	v_mov_b32_e32 v7, v93
	;; [unrolled: 1-line block ×18, first 2 shown]
	scratch_store_dwordx4 off, v[6:9], off offset:1156 ; 16-byte Folded Spill
	s_nop 0
	scratch_store_dwordx4 off, v[10:13], off offset:1172 ; 16-byte Folded Spill
	scratch_store_dwordx4 off, v[14:17], off offset:1188 ; 16-byte Folded Spill
	;; [unrolled: 1-line block ×7, first 2 shown]
	v_mov_b32_e32 v27, v2
	v_mov_b32_e32 v220, v92
	v_mov_b32_e32 v221, v93
	v_mov_b32_e32 v222, v94
	v_mov_b32_e32 v223, v95
	v_mov_b32_e32 v224, v96
	v_mov_b32_e32 v225, v97
	v_mov_b32_e32 v226, v98
	v_mov_b32_e32 v227, v99
	v_mov_b32_e32 v228, v100
	v_mov_b32_e32 v229, v101
	v_mov_b32_e32 v230, v102
	v_mov_b32_e32 v231, v103
	v_mov_b32_e32 v232, v104
	v_mov_b32_e32 v233, v105
	v_mov_b32_e32 v234, v106
	v_mov_b32_e32 v235, v107
	v_mov_b32_e32 v236, v108
	v_mov_b32_e32 v237, v109
	s_waitcnt vmcnt(10)
	v_mov_b32_e32 v54, v92
	v_mov_b32_e32 v55, v93
	s_waitcnt vmcnt(9)
	v_mov_b32_e32 v56, v94
	v_mov_b32_e32 v57, v95
	;; [unrolled: 1-line block ×4, first 2 shown]
	s_waitcnt vmcnt(8)
	v_mov_b32_e32 v60, v98
	v_mov_b32_e32 v61, v99
	;; [unrolled: 1-line block ×12, first 2 shown]
	v_mov_b64_e32 v[170:171], v[84:85]
	v_mov_b64_e32 v[166:167], v[80:81]
	;; [unrolled: 1-line block ×11, first 2 shown]
	scratch_store_dwordx4 off, v[6:9], off offset:1284 ; 16-byte Folded Spill
	s_nop 0
	scratch_store_dwordx4 off, v[10:13], off offset:1300 ; 16-byte Folded Spill
	scratch_store_dwordx4 off, v[14:17], off offset:1316 ; 16-byte Folded Spill
	;; [unrolled: 1-line block ×7, first 2 shown]
	v_mov_b32_e32 v28, v3
	v_mov_b32_e32 v29, v4
	v_mov_b64_e32 v[146:147], v[60:61]
	v_mov_b64_e32 v[144:145], v[58:59]
	;; [unrolled: 1-line block ×5, first 2 shown]
	scratch_store_dwordx4 off, v[6:9], off offset:1028 ; 16-byte Folded Spill
	s_nop 0
	scratch_store_dwordx4 off, v[10:13], off offset:1044 ; 16-byte Folded Spill
	scratch_store_dwordx4 off, v[14:17], off offset:1060 ; 16-byte Folded Spill
	;; [unrolled: 1-line block ×7, first 2 shown]
	s_nop 0
	v_mov_b32_e32 v30, v5
	scratch_store_dwordx4 off, v[6:9], off offset:644 ; 16-byte Folded Spill
	s_nop 0
	scratch_store_dwordx4 off, v[10:13], off offset:660 ; 16-byte Folded Spill
	scratch_store_dwordx4 off, v[14:17], off offset:676 ; 16-byte Folded Spill
	;; [unrolled: 1-line block ×7, first 2 shown]
	s_nop 0
	v_mov_b32_e32 v31, v252
	scratch_store_dwordx4 off, v[6:9], off offset:900 ; 16-byte Folded Spill
	s_nop 0
	scratch_store_dwordx4 off, v[10:13], off offset:916 ; 16-byte Folded Spill
	scratch_store_dwordx4 off, v[14:17], off offset:932 ; 16-byte Folded Spill
	;; [unrolled: 1-line block ×7, first 2 shown]
	v_mov_b32_e32 v19, v0
	scratch_store_dwordx4 off, v[92:95], off offset:1668 ; 16-byte Folded Spill
	s_nop 0
	scratch_store_dwordx4 off, v[96:99], off offset:1684 ; 16-byte Folded Spill
	scratch_store_dwordx4 off, v[100:103], off offset:1700 ; 16-byte Folded Spill
	;; [unrolled: 1-line block ×8, first 2 shown]
	s_nop 0
	scratch_store_dwordx4 off, v[96:99], off offset:1556 ; 16-byte Folded Spill
	scratch_store_dwordx4 off, v[100:103], off offset:1572 ; 16-byte Folded Spill
	;; [unrolled: 1-line block ×7, first 2 shown]
	v_mov_b32_e32 v37, v252
	scratch_store_dwordx4 off, v[0:3], off offset:1412 ; 16-byte Folded Spill
	s_nop 0
	scratch_store_dwordx4 off, v[4:7], off offset:1428 ; 16-byte Folded Spill
	scratch_store_dwordx4 off, v[8:11], off offset:1444 ; 16-byte Folded Spill
	;; [unrolled: 1-line block ×7, first 2 shown]
	v_mov_b32_e32 v20, v1
	scratch_store_dwordx4 off, v[0:3], off offset:260 ; 16-byte Folded Spill
	s_nop 0
	scratch_store_dwordx4 off, v[4:7], off offset:276 ; 16-byte Folded Spill
	scratch_store_dwordx4 off, v[8:11], off offset:292 ; 16-byte Folded Spill
	;; [unrolled: 1-line block ×7, first 2 shown]
	v_mov_b32_e32 v22, v3
	v_mov_b32_e32 v173, v2
	scratch_store_dwordx4 off, v[0:3], off offset:516 ; 16-byte Folded Spill
	s_nop 0
	scratch_store_dwordx4 off, v[4:7], off offset:532 ; 16-byte Folded Spill
	scratch_store_dwordx4 off, v[8:11], off offset:548 ; 16-byte Folded Spill
	;; [unrolled: 1-line block ×7, first 2 shown]
	v_mov_b32_e32 v177, v4
	v_mov_b32_e32 v176, v5
.LBB54_321:
	s_or_b64 exec, exec, s[0:1]
	s_waitcnt vmcnt(63) expcnt(7) lgkmcnt(15)
	s_barrier
	scratch_load_dwordx4 v[38:41], off, off offset:1412 ; 16-byte Folded Reload
	scratch_load_dwordx4 v[42:45], off, off offset:1428 ; 16-byte Folded Reload
	;; [unrolled: 1-line block ×8, first 2 shown]
	v_lshl_add_u32 v28, v255, 2, v254
	s_cmp_lt_i32 s22, 21
	s_waitcnt vmcnt(3)
	ds_write_b32 v28, v57
	s_waitcnt lgkmcnt(0)
	s_barrier
	ds_read_b32 v30, v254 offset:76
	v_mov_b32_e32 v28, 19
	s_cbranch_scc1 .LBB54_324
; %bb.322:
	v_add_u32_e32 v29, 0x50, v254
	v_mov_b32_e32 v28, 19
	s_mov_b32 s0, 20
.LBB54_323:                             ; =>This Inner Loop Header: Depth=1
	ds_read_b32 v31, v29
	v_mov_b32_e32 v56, s0
	s_add_i32 s0, s0, 1
	v_add_u32_e32 v29, 4, v29
	s_cmp_lg_u32 s22, s0
	s_waitcnt lgkmcnt(0)
	v_cmp_lt_f32_e64 vcc, |v30|, |v31|
	s_nop 1
	v_cndmask_b32_e32 v30, v30, v31, vcc
	v_cndmask_b32_e32 v28, v28, v56, vcc
	s_cbranch_scc1 .LBB54_323
.LBB54_324:
	s_waitcnt lgkmcnt(0)
	v_cmp_eq_f32_e32 vcc, 0, v30
	s_and_saveexec_b64 s[0:1], vcc
	s_xor_b64 s[0:1], exec, s[0:1]
	s_cbranch_execz .LBB54_326
; %bb.325:
	scratch_load_dword v0, off, off offset:132 ; 4-byte Folded Reload
	s_waitcnt vmcnt(0)
	v_cmp_ne_u32_e32 vcc, 0, v0
	s_nop 1
	v_cndmask_b32_e32 v0, 20, v0, vcc
	scratch_store_dword off, v0, off offset:132 ; 4-byte Folded Spill
.LBB54_326:
	s_andn2_saveexec_b64 s[0:1], s[0:1]
	s_cbranch_execz .LBB54_328
; %bb.327:
	v_div_scale_f32 v29, s[2:3], v30, v30, 1.0
	v_rcp_f32_e32 v31, v29
	v_div_scale_f32 v56, vcc, 1.0, v30, 1.0
	v_fma_f32 v57, -v29, v31, 1.0
	v_fmac_f32_e32 v31, v57, v31
	v_mul_f32_e32 v57, v56, v31
	s_waitcnt vmcnt(2)
	v_fma_f32 v58, -v29, v57, v56
	v_fmac_f32_e32 v57, v58, v31
	v_fma_f32 v29, -v29, v57, v56
	v_div_fmas_f32 v29, v29, v31, v57
	v_div_fixup_f32 v30, v29, v30, 1.0
.LBB54_328:
	s_or_b64 exec, exec, s[0:1]
	v_cmp_ne_u32_e32 vcc, v255, v28
	s_and_saveexec_b64 s[0:1], vcc
	s_xor_b64 s[0:1], exec, s[0:1]
	s_cbranch_execz .LBB54_334
; %bb.329:
	v_cmp_eq_u32_e32 vcc, 19, v255
	s_and_saveexec_b64 s[2:3], vcc
	s_cbranch_execz .LBB54_333
; %bb.330:
	v_cmp_ne_u32_e32 vcc, 19, v28
	s_xor_b64 s[18:19], s[16:17], -1
	s_and_b64 s[20:21], s[18:19], vcc
	s_and_saveexec_b64 s[18:19], s[20:21]
	s_cbranch_execz .LBB54_332
; %bb.331:
	s_movk_i32 s20, 0x118c
	scratch_load_dwordx2 v[58:59], off, s20 ; 8-byte Folded Reload
	v_ashrrev_i32_e32 v29, 31, v28
	s_waitcnt vmcnt(0)
	v_lshl_add_u64 v[56:57], v[28:29], 2, v[58:59]
	global_load_dword v29, v[56:57], off
	global_load_dword v31, v[58:59], off offset:76
	s_waitcnt vmcnt(1)
	global_store_dword v[58:59], v29, off offset:76
	s_waitcnt vmcnt(1)
	global_store_dword v[56:57], v31, off
.LBB54_332:
	s_or_b64 exec, exec, s[18:19]
	v_mov_b32_e32 v29, v28
	v_mov_b32_e32 v255, v28
	scratch_store_dword off, v29, off offset:3080 ; 4-byte Folded Spill
.LBB54_333:
	s_or_b64 exec, exec, s[2:3]
.LBB54_334:
	s_andn2_saveexec_b64 s[0:1], s[0:1]
	s_cbranch_execz .LBB54_336
; %bb.335:
	v_mov_b32_e32 v255, 19
	ds_write2_b32 v254, v160, v161 offset0:20 offset1:21
	ds_write2_b32 v254, v162, v163 offset0:22 offset1:23
	ds_write2_b32 v254, v164, v165 offset0:24 offset1:25
	ds_write2_b32 v254, v166, v167 offset0:26 offset1:27
.LBB54_336:
	s_or_b64 exec, exec, s[0:1]
	v_cmp_lt_i32_e32 vcc, 19, v255
	s_waitcnt lgkmcnt(0)
	s_barrier
	s_and_saveexec_b64 s[0:1], vcc
	s_cbranch_execz .LBB54_338
; %bb.337:
	scratch_load_dwordx4 v[32:35], off, off offset:1412 ; 16-byte Folded Reload
	scratch_load_dwordx4 v[36:39], off, off offset:1428 ; 16-byte Folded Reload
	;; [unrolled: 1-line block ×8, first 2 shown]
	ds_read2_b32 v[2:3], v254 offset0:20 offset1:21
	ds_read2_b32 v[6:7], v254 offset0:22 offset1:23
	;; [unrolled: 1-line block ×4, first 2 shown]
	v_mov_b32_e32 v4, v160
	v_mov_b32_e32 v5, v161
	s_waitcnt vmcnt(3)
	v_mul_f32_e32 v0, v51, v30
	s_waitcnt lgkmcnt(3)
	v_pk_fma_f32 v[192:193], v[0:1], v[2:3], v[4:5] op_sel_hi:[0,1,1] neg_lo:[1,0,0] neg_hi:[1,0,0]
	v_mov_b32_e32 v2, v162
	v_mov_b32_e32 v3, v163
	s_waitcnt lgkmcnt(2)
	v_pk_fma_f32 v[242:243], v[0:1], v[6:7], v[2:3] op_sel_hi:[0,1,1] neg_lo:[1,0,0] neg_hi:[1,0,0]
	v_mov_b32_e32 v2, v164
	v_mov_b32_e32 v3, v165
	;; [unrolled: 4-line block ×3, first 2 shown]
	s_waitcnt lgkmcnt(0)
	v_pk_fma_f32 v[48:49], v[0:1], v[10:11], v[2:3] op_sel_hi:[0,1,1] neg_lo:[1,0,0] neg_hi:[1,0,0]
	scratch_load_dwordx4 v[2:5], off, off offset:1540 ; 16-byte Folded Reload
	scratch_load_dwordx4 v[6:9], off, off offset:1556 ; 16-byte Folded Reload
	;; [unrolled: 1-line block ×8, first 2 shown]
	v_mov_b32_e32 v41, v0
	v_mov_b32_e32 v42, v192
	;; [unrolled: 1-line block ×3, first 2 shown]
	s_waitcnt vmcnt(3)
	v_mov_b32_e32 v21, v0
	v_mov_b32_e32 v75, v0
	;; [unrolled: 1-line block ×17, first 2 shown]
	s_waitcnt vmcnt(2)
	v_mov_b32_e32 v22, v2
	v_mov_b32_e32 v23, v3
	v_mov_b32_e32 v24, v4
	v_mov_b32_e32 v25, v5
	s_waitcnt vmcnt(1)
	v_mov_b32_e32 v26, v6
	v_mov_b32_e32 v27, v7
	v_mov_b32_e32 v28, v8
	v_mov_b32_e32 v29, v9
	s_waitcnt vmcnt(0)
	v_mov_b32_e32 v30, v10
	v_mov_b32_e32 v31, v11
	v_mov_b32_e32 v32, v12
	v_mov_b32_e32 v33, v13
	v_mov_b32_e32 v34, v14
	v_mov_b32_e32 v35, v15
	;; [unrolled: 1-line block ×7, first 2 shown]
	scratch_store_dwordx4 off, v[22:25], off offset:1284 ; 16-byte Folded Spill
	s_nop 0
	scratch_store_dwordx4 off, v[26:29], off offset:1300 ; 16-byte Folded Spill
	scratch_store_dwordx4 off, v[30:33], off offset:1316 ; 16-byte Folded Spill
	;; [unrolled: 1-line block ×7, first 2 shown]
	v_mov_b32_e32 v44, v242
	v_mov_b32_e32 v45, v243
	;; [unrolled: 1-line block ×51, first 2 shown]
	scratch_store_dwordx4 off, v[22:25], off offset:1028 ; 16-byte Folded Spill
	s_nop 0
	scratch_store_dwordx4 off, v[26:29], off offset:1044 ; 16-byte Folded Spill
	scratch_store_dwordx4 off, v[30:33], off offset:1060 ; 16-byte Folded Spill
	;; [unrolled: 1-line block ×7, first 2 shown]
	v_mov_b32_e32 v231, v13
	v_mov_b32_e32 v232, v14
	;; [unrolled: 1-line block ×27, first 2 shown]
	scratch_store_dwordx4 off, v[56:59], off offset:900 ; 16-byte Folded Spill
	s_nop 0
	scratch_store_dwordx4 off, v[60:63], off offset:916 ; 16-byte Folded Spill
	scratch_store_dwordx4 off, v[64:67], off offset:932 ; 16-byte Folded Spill
	;; [unrolled: 1-line block ×7, first 2 shown]
	v_mov_b32_e32 v46, v138
	v_mov_b32_e32 v47, v139
	scratch_store_dwordx4 off, v[2:5], off offset:1668 ; 16-byte Folded Spill
	s_nop 0
	scratch_store_dwordx4 off, v[6:9], off offset:1684 ; 16-byte Folded Spill
	scratch_store_dwordx4 off, v[10:13], off offset:1700 ; 16-byte Folded Spill
	;; [unrolled: 1-line block ×7, first 2 shown]
	v_mov_b32_e32 v20, v192
	v_mov_b32_e32 v253, v48
	;; [unrolled: 1-line block ×3, first 2 shown]
	v_mov_b64_e32 v[170:171], v[52:53]
	v_mov_b64_e32 v[168:169], v[50:51]
	;; [unrolled: 1-line block ×16, first 2 shown]
	scratch_store_dwordx4 off, v[0:3], off offset:260 ; 16-byte Folded Spill
	s_nop 0
	scratch_store_dwordx4 off, v[4:7], off offset:276 ; 16-byte Folded Spill
	scratch_store_dwordx4 off, v[8:11], off offset:292 ; 16-byte Folded Spill
	;; [unrolled: 1-line block ×8, first 2 shown]
	s_nop 0
	scratch_store_dwordx4 off, v[176:179], off offset:1172 ; 16-byte Folded Spill
	scratch_store_dwordx4 off, v[180:183], off offset:1188 ; 16-byte Folded Spill
	;; [unrolled: 1-line block ×7, first 2 shown]
	v_mov_b32_e32 v22, v242
	v_mov_b32_e32 v176, v138
	;; [unrolled: 1-line block ×3, first 2 shown]
	scratch_store_dwordx4 off, v[0:3], off offset:516 ; 16-byte Folded Spill
	s_nop 0
	scratch_store_dwordx4 off, v[4:7], off offset:532 ; 16-byte Folded Spill
	scratch_store_dwordx4 off, v[8:11], off offset:548 ; 16-byte Folded Spill
	;; [unrolled: 1-line block ×8, first 2 shown]
	s_nop 0
	scratch_store_dwordx4 off, v[118:121], off offset:660 ; 16-byte Folded Spill
	scratch_store_dwordx4 off, v[122:125], off offset:676 ; 16-byte Folded Spill
	;; [unrolled: 1-line block ×7, first 2 shown]
	v_mov_b32_e32 v173, v193
	v_mov_b32_e32 v37, v139
.LBB54_338:
	s_or_b64 exec, exec, s[0:1]
	s_waitcnt vmcnt(63) expcnt(7) lgkmcnt(15)
	s_barrier
	scratch_load_dwordx4 v[38:41], off, off offset:260 ; 16-byte Folded Reload
	scratch_load_dwordx4 v[42:45], off, off offset:276 ; 16-byte Folded Reload
	;; [unrolled: 1-line block ×8, first 2 shown]
	v_lshl_add_u32 v28, v255, 2, v254
	s_cmp_lt_i32 s22, 22
	s_waitcnt vmcnt(2)
	ds_write_b32 v28, v58
	s_waitcnt lgkmcnt(0)
	s_barrier
	ds_read_b32 v30, v254 offset:80
	v_mov_b32_e32 v28, 20
	s_cbranch_scc1 .LBB54_341
; %bb.339:
	v_add_u32_e32 v29, 0x54, v254
	v_mov_b32_e32 v28, 20
	s_mov_b32 s0, 21
.LBB54_340:                             ; =>This Inner Loop Header: Depth=1
	ds_read_b32 v31, v29
	v_mov_b32_e32 v56, s0
	s_add_i32 s0, s0, 1
	v_add_u32_e32 v29, 4, v29
	s_cmp_lg_u32 s22, s0
	s_waitcnt lgkmcnt(0)
	v_cmp_lt_f32_e64 vcc, |v30|, |v31|
	s_nop 1
	v_cndmask_b32_e32 v30, v30, v31, vcc
	v_cndmask_b32_e32 v28, v28, v56, vcc
	s_cbranch_scc1 .LBB54_340
.LBB54_341:
	s_waitcnt lgkmcnt(0)
	v_cmp_eq_f32_e32 vcc, 0, v30
	s_and_saveexec_b64 s[0:1], vcc
	s_xor_b64 s[0:1], exec, s[0:1]
	s_cbranch_execz .LBB54_343
; %bb.342:
	scratch_load_dword v0, off, off offset:132 ; 4-byte Folded Reload
	s_waitcnt vmcnt(0)
	v_cmp_ne_u32_e32 vcc, 0, v0
	s_nop 1
	v_cndmask_b32_e32 v0, 21, v0, vcc
	scratch_store_dword off, v0, off offset:132 ; 4-byte Folded Spill
.LBB54_343:
	s_andn2_saveexec_b64 s[0:1], s[0:1]
	s_cbranch_execz .LBB54_345
; %bb.344:
	v_div_scale_f32 v29, s[2:3], v30, v30, 1.0
	v_rcp_f32_e32 v31, v29
	v_div_scale_f32 v56, vcc, 1.0, v30, 1.0
	v_fma_f32 v57, -v29, v31, 1.0
	v_fmac_f32_e32 v31, v57, v31
	v_mul_f32_e32 v57, v56, v31
	v_fma_f32 v58, -v29, v57, v56
	v_fmac_f32_e32 v57, v58, v31
	v_fma_f32 v29, -v29, v57, v56
	v_div_fmas_f32 v29, v29, v31, v57
	v_div_fixup_f32 v30, v29, v30, 1.0
.LBB54_345:
	s_or_b64 exec, exec, s[0:1]
	v_cmp_ne_u32_e32 vcc, v255, v28
	s_and_saveexec_b64 s[0:1], vcc
	s_xor_b64 s[0:1], exec, s[0:1]
	s_cbranch_execz .LBB54_351
; %bb.346:
	v_cmp_eq_u32_e32 vcc, 20, v255
	s_and_saveexec_b64 s[2:3], vcc
	s_cbranch_execz .LBB54_350
; %bb.347:
	v_cmp_ne_u32_e32 vcc, 20, v28
	s_xor_b64 s[18:19], s[16:17], -1
	s_and_b64 s[20:21], s[18:19], vcc
	s_and_saveexec_b64 s[18:19], s[20:21]
	s_cbranch_execz .LBB54_349
; %bb.348:
	s_movk_i32 s20, 0x118c
	scratch_load_dwordx2 v[58:59], off, s20 ; 8-byte Folded Reload
	v_ashrrev_i32_e32 v29, 31, v28
	s_waitcnt vmcnt(0)
	v_lshl_add_u64 v[56:57], v[28:29], 2, v[58:59]
	global_load_dword v29, v[56:57], off
	global_load_dword v31, v[58:59], off offset:80
	s_waitcnt vmcnt(1)
	global_store_dword v[58:59], v29, off offset:80
	s_waitcnt vmcnt(1)
	global_store_dword v[56:57], v31, off
.LBB54_349:
	s_or_b64 exec, exec, s[18:19]
	v_mov_b32_e32 v29, v28
	v_mov_b32_e32 v255, v28
	scratch_store_dword off, v29, off offset:3080 ; 4-byte Folded Spill
.LBB54_350:
	s_or_b64 exec, exec, s[2:3]
.LBB54_351:
	s_andn2_saveexec_b64 s[0:1], s[0:1]
	s_cbranch_execz .LBB54_353
; %bb.352:
	v_mov_b32_e32 v255, 20
	ds_write2_b32 v254, v161, v162 offset0:21 offset1:22
	ds_write2_b32 v254, v163, v164 offset0:23 offset1:24
	;; [unrolled: 1-line block ×3, first 2 shown]
	ds_write_b32 v254, v81 offset:108
.LBB54_353:
	s_or_b64 exec, exec, s[0:1]
	v_cmp_lt_i32_e32 vcc, 20, v255
	s_waitcnt lgkmcnt(0)
	s_barrier
	s_and_saveexec_b64 s[0:1], vcc
	s_cbranch_execz .LBB54_355
; %bb.354:
	scratch_load_dwordx4 v[188:191], off, off offset:1668 ; 16-byte Folded Reload
	scratch_load_dwordx4 v[192:195], off, off offset:1684 ; 16-byte Folded Reload
	;; [unrolled: 1-line block ×16, first 2 shown]
	ds_read2_b32 v[0:1], v254 offset0:21 offset1:22
	ds_read2_b32 v[4:5], v254 offset0:23 offset1:24
	;; [unrolled: 1-line block ×3, first 2 shown]
	ds_read_b32 v8, v254 offset:108
	v_mov_b32_e32 v3, v162
	v_mov_b32_e32 v2, v161
	s_waitcnt vmcnt(15)
	v_mov_b32_e32 v220, v188
	s_waitcnt vmcnt(14)
	v_mov_b32_e32 v9, v193
	v_mov_b32_e32 v10, v194
	v_mov_b32_e32 v11, v195
	s_waitcnt vmcnt(13)
	v_mov_b32_e32 v12, v196
	v_mov_b32_e32 v13, v197
	v_mov_b32_e32 v14, v198
	v_mov_b32_e32 v15, v199
	s_waitcnt vmcnt(12)
	v_mov_b32_e32 v16, v200
	;; [unrolled: 5-line block ×3, first 2 shown]
	s_waitcnt vmcnt(2)
	v_mul_f32_e32 v208, v52, v30
	s_waitcnt lgkmcnt(3)
	v_pk_fma_f32 v[0:1], v[208:209], v[0:1], v[2:3] op_sel_hi:[0,1,1] neg_lo:[1,0,0] neg_hi:[1,0,0]
	v_mov_b32_e32 v3, v164
	v_mov_b32_e32 v2, v163
	s_waitcnt lgkmcnt(2)
	v_pk_fma_f32 v[2:3], v[208:209], v[4:5], v[2:3] op_sel_hi:[0,1,1] neg_lo:[1,0,0] neg_hi:[1,0,0]
	v_mov_b32_e32 v5, v166
	v_mov_b32_e32 v4, v165
	s_waitcnt lgkmcnt(1)
	v_pk_fma_f32 v[252:253], v[208:209], v[6:7], v[4:5] op_sel_hi:[0,1,1] neg_lo:[1,0,0] neg_hi:[1,0,0]
	s_waitcnt lgkmcnt(0)
	v_fma_f32 v81, -v208, v8, v81
	v_mov_b32_e32 v4, v188
	v_mov_b32_e32 v5, v189
	;; [unrolled: 1-line block ×12, first 2 shown]
	scratch_store_dwordx4 off, v[4:7], off offset:1028 ; 16-byte Folded Spill
	s_nop 0
	scratch_store_dwordx4 off, v[8:11], off offset:1044 ; 16-byte Folded Spill
	scratch_store_dwordx4 off, v[12:15], off offset:1060 ; 16-byte Folded Spill
	;; [unrolled: 1-line block ×7, first 2 shown]
	v_mov_b32_e32 v209, v0
	v_mov_b32_e32 v28, v3
	;; [unrolled: 1-line block ×26, first 2 shown]
	s_waitcnt vmcnt(9)
	v_mov_b32_e32 v56, v190
	v_mov_b32_e32 v57, v191
	;; [unrolled: 1-line block ×4, first 2 shown]
	s_waitcnt vmcnt(8)
	v_mov_b32_e32 v60, v194
	v_mov_b32_e32 v61, v195
	v_mov_b32_e32 v62, v196
	v_mov_b32_e32 v63, v197
	v_mov_b32_e32 v64, v198
	v_mov_b32_e32 v65, v199
	v_mov_b32_e32 v66, v200
	v_mov_b32_e32 v67, v201
	v_mov_b32_e32 v68, v202
	v_mov_b32_e32 v69, v203
	v_mov_b32_e32 v70, v204
	v_mov_b32_e32 v71, v205
	v_mov_b32_e32 v72, v206
	v_mov_b32_e32 v73, v207
	v_mov_b32_e32 v74, v208
	v_mov_b32_e32 v75, v0
	v_mov_b32_e32 v76, v1
	v_mov_b32_e32 v77, v2
	v_mov_b32_e32 v78, v3
	v_mov_b32_e32 v173, v0
	v_mov_b32_e32 v79, v252
	v_mov_b32_e32 v80, v253
	v_mov_b64_e32 v[170:171], v[84:85]
	v_mov_b64_e32 v[166:167], v[80:81]
	;; [unrolled: 1-line block ×3, first 2 shown]
	scratch_store_dwordx4 off, v[4:7], off offset:644 ; 16-byte Folded Spill
	s_nop 0
	scratch_store_dwordx4 off, v[8:11], off offset:660 ; 16-byte Folded Spill
	scratch_store_dwordx4 off, v[12:15], off offset:676 ; 16-byte Folded Spill
	;; [unrolled: 1-line block ×7, first 2 shown]
	s_nop 0
	v_mov_b32_e32 v29, v252
	v_mov_b64_e32 v[162:163], v[76:77]
	v_mov_b64_e32 v[160:161], v[74:75]
	;; [unrolled: 1-line block ×12, first 2 shown]
	v_mov_b32_e32 v37, v252
	v_mov_b64_e32 v[168:169], v[82:83]
	scratch_store_dwordx4 off, v[4:7], off offset:900 ; 16-byte Folded Spill
	s_nop 0
	scratch_store_dwordx4 off, v[8:11], off offset:916 ; 16-byte Folded Spill
	scratch_store_dwordx4 off, v[12:15], off offset:932 ; 16-byte Folded Spill
	;; [unrolled: 1-line block ×7, first 2 shown]
	v_mov_b32_e32 v22, v1
	scratch_store_dwordx4 off, v[188:191], off offset:1284 ; 16-byte Folded Spill
	s_nop 0
	scratch_store_dwordx4 off, v[192:195], off offset:1300 ; 16-byte Folded Spill
	scratch_store_dwordx4 off, v[196:199], off offset:1316 ; 16-byte Folded Spill
	scratch_store_dwordx4 off, v[200:203], off offset:1332 ; 16-byte Folded Spill
	scratch_store_dwordx4 off, v[204:207], off offset:1348 ; 16-byte Folded Spill
	scratch_store_dwordx4 off, v[208:211], off offset:1364 ; 16-byte Folded Spill
	scratch_store_dwordx4 off, v[212:215], off offset:1380 ; 16-byte Folded Spill
	scratch_store_dwordx4 off, v[216:219], off offset:1396 ; 16-byte Folded Spill
	scratch_store_dwordx4 off, v[188:191], off offset:1156 ; 16-byte Folded Spill
	s_nop 0
	scratch_store_dwordx4 off, v[192:195], off offset:1172 ; 16-byte Folded Spill
	scratch_store_dwordx4 off, v[196:199], off offset:1188 ; 16-byte Folded Spill
	scratch_store_dwordx4 off, v[200:203], off offset:1204 ; 16-byte Folded Spill
	scratch_store_dwordx4 off, v[204:207], off offset:1220 ; 16-byte Folded Spill
	scratch_store_dwordx4 off, v[208:211], off offset:1236 ; 16-byte Folded Spill
	scratch_store_dwordx4 off, v[212:215], off offset:1252 ; 16-byte Folded Spill
	scratch_store_dwordx4 off, v[216:219], off offset:1268 ; 16-byte Folded Spill
	;; [unrolled: 9-line block ×3, first 2 shown]
	v_mov_b32_e32 v177, v2
	v_mov_b32_e32 v176, v3
.LBB54_355:
	s_or_b64 exec, exec, s[0:1]
	v_lshl_add_u32 v28, v255, 2, v254
	s_barrier
	ds_write_b32 v28, v173
	s_waitcnt lgkmcnt(0)
	s_barrier
	ds_read_b32 v30, v254 offset:84
	s_cmp_lt_i32 s22, 23
	v_mov_b32_e32 v28, 21
	s_cbranch_scc1 .LBB54_358
; %bb.356:
	v_add_u32_e32 v29, 0x58, v254
	v_mov_b32_e32 v28, 21
	s_mov_b32 s0, 22
.LBB54_357:                             ; =>This Inner Loop Header: Depth=1
	ds_read_b32 v31, v29
	v_mov_b32_e32 v56, s0
	s_add_i32 s0, s0, 1
	v_add_u32_e32 v29, 4, v29
	s_cmp_lg_u32 s22, s0
	s_waitcnt lgkmcnt(0)
	v_cmp_lt_f32_e64 vcc, |v30|, |v31|
	s_nop 1
	v_cndmask_b32_e32 v30, v30, v31, vcc
	v_cndmask_b32_e32 v28, v28, v56, vcc
	s_cbranch_scc1 .LBB54_357
.LBB54_358:
	s_waitcnt lgkmcnt(0)
	v_cmp_eq_f32_e32 vcc, 0, v30
	s_and_saveexec_b64 s[0:1], vcc
	s_xor_b64 s[0:1], exec, s[0:1]
	s_cbranch_execz .LBB54_360
; %bb.359:
	scratch_load_dword v0, off, off offset:132 ; 4-byte Folded Reload
	s_waitcnt vmcnt(0)
	v_cmp_ne_u32_e32 vcc, 0, v0
	s_nop 1
	v_cndmask_b32_e32 v0, 22, v0, vcc
	scratch_store_dword off, v0, off offset:132 ; 4-byte Folded Spill
.LBB54_360:
	s_andn2_saveexec_b64 s[0:1], s[0:1]
	s_cbranch_execz .LBB54_362
; %bb.361:
	v_div_scale_f32 v29, s[2:3], v30, v30, 1.0
	v_rcp_f32_e32 v31, v29
	v_div_scale_f32 v56, vcc, 1.0, v30, 1.0
	v_fma_f32 v57, -v29, v31, 1.0
	v_fmac_f32_e32 v31, v57, v31
	v_mul_f32_e32 v57, v56, v31
	v_fma_f32 v58, -v29, v57, v56
	v_fmac_f32_e32 v57, v58, v31
	v_fma_f32 v29, -v29, v57, v56
	v_div_fmas_f32 v29, v29, v31, v57
	v_div_fixup_f32 v30, v29, v30, 1.0
.LBB54_362:
	s_or_b64 exec, exec, s[0:1]
	v_cmp_ne_u32_e32 vcc, v255, v28
	s_and_saveexec_b64 s[0:1], vcc
	s_xor_b64 s[0:1], exec, s[0:1]
	s_cbranch_execz .LBB54_368
; %bb.363:
	v_cmp_eq_u32_e32 vcc, 21, v255
	s_and_saveexec_b64 s[2:3], vcc
	s_cbranch_execz .LBB54_367
; %bb.364:
	v_cmp_ne_u32_e32 vcc, 21, v28
	s_xor_b64 s[18:19], s[16:17], -1
	s_and_b64 s[20:21], s[18:19], vcc
	s_and_saveexec_b64 s[18:19], s[20:21]
	s_cbranch_execz .LBB54_366
; %bb.365:
	s_movk_i32 s20, 0x118c
	scratch_load_dwordx2 v[58:59], off, s20 ; 8-byte Folded Reload
	v_ashrrev_i32_e32 v29, 31, v28
	s_waitcnt vmcnt(0)
	v_lshl_add_u64 v[56:57], v[28:29], 2, v[58:59]
	global_load_dword v29, v[56:57], off
	global_load_dword v31, v[58:59], off offset:84
	s_waitcnt vmcnt(1)
	global_store_dword v[58:59], v29, off offset:84
	s_waitcnt vmcnt(1)
	global_store_dword v[56:57], v31, off
.LBB54_366:
	s_or_b64 exec, exec, s[18:19]
	v_mov_b32_e32 v29, v28
	v_mov_b32_e32 v255, v28
	scratch_store_dword off, v29, off offset:3080 ; 4-byte Folded Spill
.LBB54_367:
	s_or_b64 exec, exec, s[2:3]
.LBB54_368:
	s_andn2_saveexec_b64 s[0:1], s[0:1]
	s_cbranch_execz .LBB54_370
; %bb.369:
	v_mov_b32_e32 v255, 21
	ds_write2_b32 v254, v162, v163 offset0:22 offset1:23
	ds_write2_b32 v254, v164, v165 offset0:24 offset1:25
	;; [unrolled: 1-line block ×3, first 2 shown]
.LBB54_370:
	s_or_b64 exec, exec, s[0:1]
	v_cmp_lt_i32_e32 vcc, 21, v255
	s_waitcnt lgkmcnt(0)
	s_barrier
	s_and_saveexec_b64 s[0:1], vcc
	s_cbranch_execz .LBB54_372
; %bb.371:
	v_mul_f32_e32 v0, v173, v30
	ds_read2_b32 v[2:3], v254 offset0:22 offset1:23
	ds_read2_b32 v[6:7], v254 offset0:24 offset1:25
	;; [unrolled: 1-line block ×3, first 2 shown]
	scratch_load_dwordx4 v[28:31], off, off offset:1156 ; 16-byte Folded Reload
	scratch_load_dwordx4 v[32:35], off, off offset:1172 ; 16-byte Folded Reload
	;; [unrolled: 1-line block ×8, first 2 shown]
	v_mov_b32_e32 v4, v162
	v_mov_b32_e32 v5, v163
	s_waitcnt lgkmcnt(2)
	v_pk_fma_f32 v[242:243], v[0:1], v[2:3], v[4:5] op_sel_hi:[0,1,1] neg_lo:[1,0,0] neg_hi:[1,0,0]
	v_mov_b32_e32 v2, v164
	v_mov_b32_e32 v3, v165
	s_waitcnt lgkmcnt(1)
	v_pk_fma_f32 v[138:139], v[0:1], v[6:7], v[2:3] op_sel_hi:[0,1,1] neg_lo:[1,0,0] neg_hi:[1,0,0]
	v_mov_b32_e32 v2, v166
	v_mov_b32_e32 v3, v167
	s_waitcnt lgkmcnt(0)
	v_pk_fma_f32 v[80:81], v[0:1], v[8:9], v[2:3] op_sel_hi:[0,1,1] neg_lo:[1,0,0] neg_hi:[1,0,0]
	v_mov_b32_e32 v23, v0
	v_mov_b32_e32 v24, v242
	;; [unrolled: 1-line block ×3, first 2 shown]
	s_waitcnt vmcnt(2)
	v_mov_b32_e32 v49, v0
	v_mov_b32_e32 v75, v0
	v_mov_b32_e32 v76, v242
	v_mov_b32_e32 v77, v243
	v_mov_b32_e32 v78, v138
	v_mov_b32_e32 v79, v139
	v_mov_b32_e32 v135, v0
	v_mov_b32_e32 v136, v242
	v_mov_b32_e32 v137, v243
	v_mov_b32_e32 v241, v0
	v_mov_b32_e32 v176, v138
	v_mov_b32_e32 v253, v80
	v_mov_b32_e32 v177, v243
	v_mov_b32_e32 v2, v28
	v_mov_b32_e32 v3, v29
	v_mov_b32_e32 v4, v30
	v_mov_b32_e32 v5, v31
	v_mov_b32_e32 v6, v32
	v_mov_b32_e32 v7, v33
	v_mov_b32_e32 v8, v34
	v_mov_b32_e32 v9, v35
	v_mov_b32_e32 v10, v36
	v_mov_b32_e32 v11, v37
	v_mov_b32_e32 v12, v38
	v_mov_b32_e32 v13, v39
	v_mov_b32_e32 v14, v40
	v_mov_b32_e32 v15, v41
	v_mov_b32_e32 v16, v42
	v_mov_b32_e32 v17, v43
	v_mov_b32_e32 v18, v44
	v_mov_b32_e32 v19, v45
	v_mov_b32_e32 v20, v46
	v_mov_b32_e32 v21, v47
	v_mov_b32_e32 v22, v48
	v_mov_b32_e32 v220, v28
	v_mov_b32_e32 v221, v29
	v_mov_b32_e32 v222, v30
	v_mov_b32_e32 v223, v31
	v_mov_b32_e32 v224, v32
	v_mov_b32_e32 v225, v33
	scratch_store_dwordx4 off, v[2:5], off offset:1028 ; 16-byte Folded Spill
	s_nop 0
	scratch_store_dwordx4 off, v[6:9], off offset:1044 ; 16-byte Folded Spill
	scratch_store_dwordx4 off, v[10:13], off offset:1060 ; 16-byte Folded Spill
	;; [unrolled: 1-line block ×7, first 2 shown]
	v_mov_b32_e32 v60, v34
	v_mov_b32_e32 v26, v138
	v_mov_b32_e32 v27, v139
	v_mov_b32_e32 v61, v35
	v_mov_b32_e32 v62, v36
	v_mov_b32_e32 v63, v37
	v_mov_b32_e32 v64, v38
	v_mov_b32_e32 v65, v39
	v_mov_b32_e32 v66, v40
	v_mov_b32_e32 v67, v41
	v_mov_b32_e32 v68, v42
	v_mov_b32_e32 v69, v43
	v_mov_b32_e32 v70, v44
	v_mov_b32_e32 v71, v45
	v_mov_b32_e32 v72, v46
	v_mov_b32_e32 v73, v47
	v_mov_b32_e32 v74, v48
	v_mov_b32_e32 v226, v34
	v_mov_b32_e32 v227, v35
	v_mov_b32_e32 v228, v36
	v_mov_b32_e32 v229, v37
	v_mov_b32_e32 v230, v38
	v_mov_b32_e32 v231, v39
	v_mov_b32_e32 v232, v40
	v_mov_b32_e32 v233, v41
	v_mov_b32_e32 v234, v42
	v_mov_b32_e32 v235, v43
	v_mov_b32_e32 v236, v44
	v_mov_b32_e32 v237, v45
	v_mov_b32_e32 v238, v46
	v_mov_b32_e32 v239, v47
	v_mov_b32_e32 v240, v48
	v_mov_b32_e32 v120, v34
	v_mov_b32_e32 v121, v35
	v_mov_b32_e32 v122, v36
	v_mov_b32_e32 v123, v37
	v_mov_b32_e32 v124, v38
	v_mov_b32_e32 v125, v39
	v_mov_b32_e32 v126, v40
	v_mov_b32_e32 v127, v41
	v_mov_b32_e32 v128, v42
	v_mov_b32_e32 v129, v43
	v_mov_b32_e32 v130, v44
	v_mov_b32_e32 v131, v45
	v_mov_b32_e32 v132, v46
	v_mov_b32_e32 v133, v47
	v_mov_b32_e32 v134, v48
	v_mov_b32_e32 v114, v28
	v_mov_b32_e32 v115, v29
	v_mov_b32_e32 v116, v30
	v_mov_b32_e32 v117, v31
	v_mov_b32_e32 v118, v32
	v_mov_b32_e32 v119, v33
	scratch_store_dwordx4 off, v[2:5], off offset:900 ; 16-byte Folded Spill
	s_nop 0
	scratch_store_dwordx4 off, v[6:9], off offset:916 ; 16-byte Folded Spill
	scratch_store_dwordx4 off, v[10:13], off offset:932 ; 16-byte Folded Spill
	;; [unrolled: 1-line block ×7, first 2 shown]
	v_mov_b32_e32 v22, v242
	s_waitcnt vmcnt(17)
	v_mov_b32_e32 v54, v28
	v_mov_b32_e32 v55, v29
	s_waitcnt vmcnt(16)
	v_mov_b32_e32 v56, v30
	v_mov_b32_e32 v57, v31
	;; [unrolled: 1-line block ×4, first 2 shown]
	v_mov_b64_e32 v[170:171], v[84:85]
	v_mov_b64_e32 v[168:169], v[82:83]
	;; [unrolled: 1-line block ×16, first 2 shown]
	scratch_store_dwordx4 off, v[28:31], off offset:1284 ; 16-byte Folded Spill
	s_nop 0
	scratch_store_dwordx4 off, v[32:35], off offset:1300 ; 16-byte Folded Spill
	scratch_store_dwordx4 off, v[36:39], off offset:1316 ; 16-byte Folded Spill
	scratch_store_dwordx4 off, v[40:43], off offset:1332 ; 16-byte Folded Spill
	scratch_store_dwordx4 off, v[44:47], off offset:1348 ; 16-byte Folded Spill
	scratch_store_dwordx4 off, v[48:51], off offset:1364 ; 16-byte Folded Spill
	scratch_store_dwordx4 off, v[52:55], off offset:1380 ; 16-byte Folded Spill
	scratch_store_dwordx4 off, v[56:59], off offset:1396 ; 16-byte Folded Spill
	scratch_store_dwordx4 off, v[0:3], off offset:516 ; 16-byte Folded Spill
	s_nop 0
	scratch_store_dwordx4 off, v[4:7], off offset:532 ; 16-byte Folded Spill
	scratch_store_dwordx4 off, v[8:11], off offset:548 ; 16-byte Folded Spill
	scratch_store_dwordx4 off, v[12:15], off offset:564 ; 16-byte Folded Spill
	scratch_store_dwordx4 off, v[16:19], off offset:580 ; 16-byte Folded Spill
	scratch_store_dwordx4 off, v[20:23], off offset:596 ; 16-byte Folded Spill
	scratch_store_dwordx4 off, v[24:27], off offset:612 ; 16-byte Folded Spill
	scratch_store_dwordx4 off, v[28:31], off offset:628 ; 16-byte Folded Spill
	;; [unrolled: 9-line block ×3, first 2 shown]
	v_mov_b32_e32 v37, v139
.LBB54_372:
	s_or_b64 exec, exec, s[0:1]
	v_mov_b64_e32 v[0:1], v[140:141]
	v_mov_b64_e32 v[2:3], v[142:143]
	;; [unrolled: 1-line block ×8, first 2 shown]
	s_barrier
	scratch_load_dwordx4 v[114:117], off, off offset:516 ; 16-byte Folded Reload
	scratch_load_dwordx4 v[118:121], off, off offset:532 ; 16-byte Folded Reload
	;; [unrolled: 1-line block ×8, first 2 shown]
	v_lshl_add_u32 v28, v255, 2, v254
	v_mov_b64_e32 v[16:17], v[156:157]
	v_mov_b64_e32 v[18:19], v[158:159]
	;; [unrolled: 1-line block ×6, first 2 shown]
	s_cmp_lt_i32 s22, 24
	s_waitcnt vmcnt(2)
	ds_write_b32 v28, v136
	s_waitcnt lgkmcnt(0)
	s_barrier
	ds_read_b32 v30, v254 offset:88
	v_mov_b32_e32 v28, 22
	s_cbranch_scc1 .LBB54_479
; %bb.373:
	scratch_load_dwordx4 v[144:147], off, off offset:900 ; 16-byte Folded Reload
	scratch_load_dwordx4 v[148:151], off, off offset:916 ; 16-byte Folded Reload
	;; [unrolled: 1-line block ×16, first 2 shown]
	v_add_u32_e32 v29, 0x5c, v254
	v_mov_b32_e32 v28, 22
	s_mov_b32 s0, 23
.LBB54_374:                             ; =>This Inner Loop Header: Depth=1
	ds_read_b32 v31, v29
	v_mov_b32_e32 v56, s0
	s_add_i32 s0, s0, 1
	v_add_u32_e32 v29, 4, v29
	s_cmp_lg_u32 s22, s0
	s_waitcnt lgkmcnt(0)
	v_cmp_lt_f32_e64 vcc, |v30|, |v31|
	s_nop 1
	v_cndmask_b32_e32 v30, v30, v31, vcc
	v_cndmask_b32_e32 v28, v28, v56, vcc
	s_cbranch_scc1 .LBB54_374
; %bb.375:
	v_cmp_eq_f32_e32 vcc, 0, v30
	s_and_saveexec_b64 s[0:1], vcc
	s_xor_b64 s[0:1], exec, s[0:1]
	s_cbranch_execz .LBB54_377
.LBB54_376:
	scratch_load_dword v29, off, off offset:132 ; 4-byte Folded Reload
	s_waitcnt vmcnt(0)
	v_cmp_ne_u32_e32 vcc, 0, v29
	s_nop 1
	v_cndmask_b32_e32 v29, 23, v29, vcc
	scratch_store_dword off, v29, off offset:132 ; 4-byte Folded Spill
.LBB54_377:
	s_andn2_saveexec_b64 s[0:1], s[0:1]
	s_cbranch_execz .LBB54_379
; %bb.378:
	v_div_scale_f32 v29, s[2:3], v30, v30, 1.0
	v_rcp_f32_e32 v31, v29
	v_div_scale_f32 v56, vcc, 1.0, v30, 1.0
	v_fma_f32 v57, -v29, v31, 1.0
	v_fmac_f32_e32 v31, v57, v31
	v_mul_f32_e32 v57, v56, v31
	v_fma_f32 v58, -v29, v57, v56
	v_fmac_f32_e32 v57, v58, v31
	v_fma_f32 v29, -v29, v57, v56
	v_div_fmas_f32 v29, v29, v31, v57
	v_div_fixup_f32 v30, v29, v30, 1.0
.LBB54_379:
	s_or_b64 exec, exec, s[0:1]
	v_cmp_ne_u32_e32 vcc, v255, v28
	s_and_saveexec_b64 s[0:1], vcc
	s_xor_b64 s[0:1], exec, s[0:1]
	s_cbranch_execz .LBB54_385
; %bb.380:
	v_cmp_eq_u32_e32 vcc, 22, v255
	s_and_saveexec_b64 s[2:3], vcc
	s_cbranch_execz .LBB54_384
; %bb.381:
	v_cmp_ne_u32_e32 vcc, 22, v28
	s_xor_b64 s[18:19], s[16:17], -1
	s_and_b64 s[20:21], s[18:19], vcc
	s_and_saveexec_b64 s[18:19], s[20:21]
	s_cbranch_execz .LBB54_383
; %bb.382:
	s_movk_i32 s20, 0x118c
	scratch_load_dwordx2 v[58:59], off, s20 ; 8-byte Folded Reload
	v_ashrrev_i32_e32 v29, 31, v28
	s_waitcnt vmcnt(0)
	v_lshl_add_u64 v[56:57], v[28:29], 2, v[58:59]
	global_load_dword v29, v[56:57], off
	global_load_dword v31, v[58:59], off offset:88
	s_waitcnt vmcnt(1)
	global_store_dword v[58:59], v29, off offset:88
	s_waitcnt vmcnt(1)
	global_store_dword v[56:57], v31, off
.LBB54_383:
	s_or_b64 exec, exec, s[18:19]
	v_mov_b32_e32 v29, v28
	v_mov_b32_e32 v255, v28
	scratch_store_dword off, v29, off offset:3080 ; 4-byte Folded Spill
.LBB54_384:
	s_or_b64 exec, exec, s[2:3]
.LBB54_385:
	s_andn2_saveexec_b64 s[0:1], s[0:1]
	s_cbranch_execz .LBB54_387
; %bb.386:
	s_waitcnt vmcnt(17)
	v_mov_b64_e32 v[140:141], v[26:27]
	v_mov_b64_e32 v[138:139], v[24:25]
	;; [unrolled: 1-line block ×3, first 2 shown]
	v_mov_b32_e32 v255, 22
	v_mov_b64_e32 v[134:135], v[20:21]
	v_mov_b64_e32 v[132:133], v[18:19]
	;; [unrolled: 1-line block ×3, first 2 shown]
	ds_write2_b32 v254, v137, v138 offset0:23 offset1:24
	ds_write2_b32 v254, v139, v140 offset0:25 offset1:26
	ds_write_b32 v254, v81 offset:108
.LBB54_387:
	s_or_b64 exec, exec, s[0:1]
	v_cmp_lt_i32_e32 vcc, 22, v255
	s_waitcnt lgkmcnt(0)
	s_barrier
	s_and_saveexec_b64 s[0:1], vcc
	s_cbranch_execz .LBB54_389
; %bb.388:
	scratch_load_dwordx4 v[220:223], off, off offset:1284 ; 16-byte Folded Reload
	scratch_load_dwordx4 v[224:227], off, off offset:1300 ; 16-byte Folded Reload
	;; [unrolled: 1-line block ×16, first 2 shown]
	ds_read2_b32 v[0:1], v254 offset0:23 offset1:24
	ds_read2_b32 v[4:5], v254 offset0:25 offset1:26
	ds_read_b32 v6, v254 offset:108
	v_mov_b32_e32 v3, v24
	v_mov_b32_e32 v2, v23
	;; [unrolled: 1-line block ×3, first 2 shown]
	s_waitcnt vmcnt(15)
	v_mov_b32_e32 v144, v220
	s_waitcnt vmcnt(14)
	v_mov_b32_e32 v7, v227
	;; [unrolled: 2-line block ×3, first 2 shown]
	v_mov_b32_e32 v9, v229
	v_mov_b32_e32 v10, v230
	;; [unrolled: 1-line block ×3, first 2 shown]
	s_waitcnt vmcnt(12)
	v_mov_b32_e32 v12, v232
	v_mov_b32_e32 v13, v233
	;; [unrolled: 1-line block ×4, first 2 shown]
	s_waitcnt vmcnt(11)
	v_mov_b32_e32 v16, v236
	v_mov_b32_e32 v17, v237
	;; [unrolled: 1-line block ×3, first 2 shown]
	s_waitcnt vmcnt(2)
	v_mul_f32_e32 v242, v54, v30
	s_waitcnt lgkmcnt(2)
	v_pk_fma_f32 v[118:119], v[242:243], v[0:1], v[2:3] op_sel_hi:[0,1,1] neg_lo:[1,0,0] neg_hi:[1,0,0]
	v_mov_b32_e32 v1, v26
	v_mov_b32_e32 v0, v25
	s_waitcnt lgkmcnt(1)
	v_pk_fma_f32 v[252:253], v[242:243], v[4:5], v[0:1] op_sel_hi:[0,1,1] neg_lo:[1,0,0] neg_hi:[1,0,0]
	s_waitcnt lgkmcnt(0)
	v_fma_f32 v27, -v242, v6, v27
	v_mov_b32_e32 v0, v220
	v_mov_b32_e32 v1, v221
	;; [unrolled: 1-line block ×13, first 2 shown]
	scratch_store_dwordx4 off, v[0:3], off offset:644 ; 16-byte Folded Spill
	s_nop 0
	scratch_store_dwordx4 off, v[4:7], off offset:660 ; 16-byte Folded Spill
	scratch_store_dwordx4 off, v[8:11], off offset:676 ; 16-byte Folded Spill
	;; [unrolled: 1-line block ×7, first 2 shown]
	v_mov_b32_e32 v243, v118
	v_mov_b64_e32 v[178:179], v[220:221]
	v_mov_b32_e32 v145, v221
	v_mov_b32_e32 v146, v222
	;; [unrolled: 1-line block ×27, first 2 shown]
	v_mov_b64_e32 v[180:181], v[222:223]
	v_mov_b64_e32 v[182:183], v[224:225]
	;; [unrolled: 1-line block ×15, first 2 shown]
	v_mov_b32_e32 v177, v118
	v_mov_b32_e32 v176, v119
	;; [unrolled: 1-line block ×4, first 2 shown]
.LBB54_389:
	s_or_b64 exec, exec, s[0:1]
	v_lshl_add_u32 v28, v255, 2, v254
	s_barrier
	ds_write_b32 v28, v177
	s_waitcnt lgkmcnt(0)
	s_barrier
	ds_read_b32 v30, v254 offset:92
	s_cmp_lt_i32 s22, 25
	v_mov_b32_e32 v28, 23
	s_cbranch_scc1 .LBB54_392
; %bb.390:
	v_add_u32_e32 v29, 0x60, v254
	v_mov_b32_e32 v28, 23
	s_mov_b32 s0, 24
.LBB54_391:                             ; =>This Inner Loop Header: Depth=1
	ds_read_b32 v31, v29
	s_waitcnt vmcnt(9)
	v_mov_b32_e32 v56, s0
	s_add_i32 s0, s0, 1
	v_add_u32_e32 v29, 4, v29
	s_cmp_lg_u32 s22, s0
	s_waitcnt lgkmcnt(0)
	v_cmp_lt_f32_e64 vcc, |v30|, |v31|
	s_nop 1
	v_cndmask_b32_e32 v30, v30, v31, vcc
	v_cndmask_b32_e32 v28, v28, v56, vcc
	s_cbranch_scc1 .LBB54_391
.LBB54_392:
	s_waitcnt lgkmcnt(0)
	v_cmp_eq_f32_e32 vcc, 0, v30
	s_and_saveexec_b64 s[0:1], vcc
	s_xor_b64 s[0:1], exec, s[0:1]
	s_cbranch_execz .LBB54_394
; %bb.393:
	scratch_load_dword v29, off, off offset:132 ; 4-byte Folded Reload
	s_waitcnt vmcnt(0)
	v_cmp_ne_u32_e32 vcc, 0, v29
	s_nop 1
	v_cndmask_b32_e32 v29, 24, v29, vcc
	scratch_store_dword off, v29, off offset:132 ; 4-byte Folded Spill
.LBB54_394:
	s_andn2_saveexec_b64 s[0:1], s[0:1]
	s_cbranch_execz .LBB54_396
; %bb.395:
	v_div_scale_f32 v29, s[2:3], v30, v30, 1.0
	v_rcp_f32_e32 v31, v29
	s_waitcnt vmcnt(9)
	v_div_scale_f32 v56, vcc, 1.0, v30, 1.0
	v_fma_f32 v57, -v29, v31, 1.0
	v_fmac_f32_e32 v31, v57, v31
	v_mul_f32_e32 v57, v56, v31
	v_fma_f32 v58, -v29, v57, v56
	v_fmac_f32_e32 v57, v58, v31
	v_fma_f32 v29, -v29, v57, v56
	v_div_fmas_f32 v29, v29, v31, v57
	v_div_fixup_f32 v30, v29, v30, 1.0
.LBB54_396:
	s_or_b64 exec, exec, s[0:1]
	v_cmp_ne_u32_e32 vcc, v255, v28
	s_and_saveexec_b64 s[0:1], vcc
	s_xor_b64 s[0:1], exec, s[0:1]
	s_cbranch_execz .LBB54_402
; %bb.397:
	v_cmp_eq_u32_e32 vcc, 23, v255
	s_and_saveexec_b64 s[2:3], vcc
	s_cbranch_execz .LBB54_401
; %bb.398:
	v_cmp_ne_u32_e32 vcc, 23, v28
	s_xor_b64 s[18:19], s[16:17], -1
	s_and_b64 s[20:21], s[18:19], vcc
	s_and_saveexec_b64 s[18:19], s[20:21]
	s_cbranch_execz .LBB54_400
; %bb.399:
	s_movk_i32 s20, 0x118c
	scratch_load_dwordx2 v[58:59], off, s20 ; 8-byte Folded Reload
	v_ashrrev_i32_e32 v29, 31, v28
	s_waitcnt vmcnt(0)
	v_lshl_add_u64 v[56:57], v[28:29], 2, v[58:59]
	global_load_dword v29, v[56:57], off
	global_load_dword v31, v[58:59], off offset:92
	s_waitcnt vmcnt(1)
	global_store_dword v[58:59], v29, off offset:92
	s_waitcnt vmcnt(1)
	global_store_dword v[56:57], v31, off
.LBB54_400:
	s_or_b64 exec, exec, s[18:19]
	v_mov_b32_e32 v29, v28
	v_mov_b32_e32 v255, v28
	scratch_store_dword off, v29, off offset:3080 ; 4-byte Folded Spill
.LBB54_401:
	s_or_b64 exec, exec, s[2:3]
.LBB54_402:
	s_andn2_saveexec_b64 s[0:1], s[0:1]
	s_cbranch_execz .LBB54_404
; %bb.403:
	s_waitcnt vmcnt(17)
	v_mov_b64_e32 v[140:141], v[26:27]
	v_mov_b64_e32 v[138:139], v[24:25]
	v_mov_b32_e32 v255, 23
	v_mov_b64_e32 v[136:137], v[22:23]
	v_mov_b64_e32 v[134:135], v[20:21]
	;; [unrolled: 1-line block ×4, first 2 shown]
	ds_write2_b32 v254, v138, v139 offset0:24 offset1:25
	ds_write2_b32 v254, v140, v141 offset0:26 offset1:27
.LBB54_404:
	s_or_b64 exec, exec, s[0:1]
	v_cmp_lt_i32_e32 vcc, 23, v255
	s_waitcnt lgkmcnt(0)
	s_barrier
	s_and_saveexec_b64 s[0:1], vcc
	s_cbranch_execz .LBB54_406
; %bb.405:
	ds_read2_b32 v[0:1], v254 offset0:24 offset1:25
	ds_read2_b32 v[6:7], v254 offset0:26 offset1:27
	v_mul_f32_e32 v2, v177, v30
	v_mov_b32_e32 v4, v24
	v_mov_b32_e32 v5, v25
	s_waitcnt vmcnt(17) lgkmcnt(1)
	v_pk_fma_f32 v[138:139], v[2:3], v[0:1], v[4:5] op_sel_hi:[0,1,1] neg_lo:[1,0,0] neg_hi:[1,0,0]
	v_mov_b32_e32 v114, v220
	v_mov_b32_e32 v115, v221
	;; [unrolled: 1-line block ×24, first 2 shown]
	s_waitcnt vmcnt(15)
	v_mov_b32_e32 v144, v220
	v_mov_b32_e32 v145, v221
	s_waitcnt vmcnt(9)
	v_mov_b32_e32 v168, v138
	v_mov_b32_e32 v169, v139
	;; [unrolled: 1-line block ×5, first 2 shown]
	scratch_store_dwordx4 off, v[114:117], off offset:644 ; 16-byte Folded Spill
	s_nop 0
	scratch_store_dwordx4 off, v[118:121], off offset:660 ; 16-byte Folded Spill
	scratch_store_dwordx4 off, v[122:125], off offset:676 ; 16-byte Folded Spill
	;; [unrolled: 1-line block ×7, first 2 shown]
	v_mov_b32_e32 v0, v26
	v_mov_b32_e32 v1, v27
	s_waitcnt lgkmcnt(0)
	v_pk_fma_f32 v[32:33], v[2:3], v[6:7], v[0:1] op_sel_hi:[0,1,1] neg_lo:[1,0,0] neg_hi:[1,0,0]
	v_mov_b32_e32 v6, v220
	v_mov_b32_e32 v7, v221
	;; [unrolled: 1-line block ×26, first 2 shown]
	v_mov_b64_e32 v[0:1], v[6:7]
	s_waitcnt vmcnt(8)
	v_mov_b64_e32 v[178:179], v[220:221]
	v_mov_b32_e32 v146, v222
	v_mov_b32_e32 v147, v223
	;; [unrolled: 1-line block ×21, first 2 shown]
	v_mov_b64_e32 v[2:3], v[8:9]
	v_mov_b64_e32 v[4:5], v[10:11]
	;; [unrolled: 1-line block ×30, first 2 shown]
	v_mov_b32_e32 v37, v139
	v_mov_b32_e32 v81, v33
	;; [unrolled: 1-line block ×3, first 2 shown]
.LBB54_406:
	s_or_b64 exec, exec, s[0:1]
	v_lshl_add_u32 v28, v255, 2, v254
	s_barrier
	ds_write_b32 v28, v176
	s_waitcnt lgkmcnt(0)
	s_barrier
	ds_read_b32 v30, v254 offset:96
	s_cmp_lt_i32 s22, 26
	v_mov_b32_e32 v28, 24
	s_cbranch_scc1 .LBB54_409
; %bb.407:
	v_add_u32_e32 v29, 0x64, v254
	v_mov_b32_e32 v28, 24
	s_mov_b32 s0, 25
.LBB54_408:                             ; =>This Inner Loop Header: Depth=1
	ds_read_b32 v31, v29
	s_waitcnt vmcnt(9)
	v_mov_b32_e32 v56, s0
	s_add_i32 s0, s0, 1
	v_add_u32_e32 v29, 4, v29
	s_cmp_lg_u32 s22, s0
	s_waitcnt lgkmcnt(0)
	v_cmp_lt_f32_e64 vcc, |v30|, |v31|
	s_nop 1
	v_cndmask_b32_e32 v30, v30, v31, vcc
	v_cndmask_b32_e32 v28, v28, v56, vcc
	s_cbranch_scc1 .LBB54_408
.LBB54_409:
	s_waitcnt lgkmcnt(0)
	v_cmp_eq_f32_e32 vcc, 0, v30
	s_and_saveexec_b64 s[0:1], vcc
	s_xor_b64 s[0:1], exec, s[0:1]
	s_cbranch_execz .LBB54_411
; %bb.410:
	scratch_load_dword v29, off, off offset:132 ; 4-byte Folded Reload
	s_waitcnt vmcnt(0)
	v_cmp_ne_u32_e32 vcc, 0, v29
	s_nop 1
	v_cndmask_b32_e32 v29, 25, v29, vcc
	scratch_store_dword off, v29, off offset:132 ; 4-byte Folded Spill
.LBB54_411:
	s_andn2_saveexec_b64 s[0:1], s[0:1]
	s_cbranch_execz .LBB54_413
; %bb.412:
	v_div_scale_f32 v29, s[2:3], v30, v30, 1.0
	v_rcp_f32_e32 v31, v29
	s_waitcnt vmcnt(9)
	v_div_scale_f32 v56, vcc, 1.0, v30, 1.0
	v_fma_f32 v57, -v29, v31, 1.0
	v_fmac_f32_e32 v31, v57, v31
	v_mul_f32_e32 v57, v56, v31
	v_fma_f32 v58, -v29, v57, v56
	v_fmac_f32_e32 v57, v58, v31
	v_fma_f32 v29, -v29, v57, v56
	v_div_fmas_f32 v29, v29, v31, v57
	v_div_fixup_f32 v30, v29, v30, 1.0
.LBB54_413:
	s_or_b64 exec, exec, s[0:1]
	v_cmp_ne_u32_e32 vcc, v255, v28
	s_and_saveexec_b64 s[0:1], vcc
	s_xor_b64 s[0:1], exec, s[0:1]
	s_cbranch_execz .LBB54_419
; %bb.414:
	v_cmp_eq_u32_e32 vcc, 24, v255
	s_and_saveexec_b64 s[2:3], vcc
	s_cbranch_execz .LBB54_418
; %bb.415:
	v_cmp_ne_u32_e32 vcc, 24, v28
	s_xor_b64 s[18:19], s[16:17], -1
	s_and_b64 s[20:21], s[18:19], vcc
	s_and_saveexec_b64 s[18:19], s[20:21]
	s_cbranch_execz .LBB54_417
; %bb.416:
	s_movk_i32 s20, 0x118c
	scratch_load_dwordx2 v[58:59], off, s20 ; 8-byte Folded Reload
	v_ashrrev_i32_e32 v29, 31, v28
	s_waitcnt vmcnt(0)
	v_lshl_add_u64 v[56:57], v[28:29], 2, v[58:59]
	global_load_dword v29, v[56:57], off
	global_load_dword v31, v[58:59], off offset:96
	s_waitcnt vmcnt(1)
	global_store_dword v[58:59], v29, off offset:96
	s_waitcnt vmcnt(1)
	global_store_dword v[56:57], v31, off
.LBB54_417:
	s_or_b64 exec, exec, s[18:19]
	v_mov_b32_e32 v29, v28
	v_mov_b32_e32 v255, v28
	scratch_store_dword off, v29, off offset:3080 ; 4-byte Folded Spill
.LBB54_418:
	s_or_b64 exec, exec, s[2:3]
.LBB54_419:
	s_andn2_saveexec_b64 s[0:1], s[0:1]
	s_cbranch_execz .LBB54_421
; %bb.420:
	v_mov_b32_e32 v255, 24
	ds_write2_b32 v254, v25, v26 offset0:25 offset1:26
	ds_write_b32 v254, v81 offset:108
.LBB54_421:
	s_or_b64 exec, exec, s[0:1]
	v_cmp_lt_i32_e32 vcc, 24, v255
	s_waitcnt lgkmcnt(0)
	s_barrier
	s_and_saveexec_b64 s[0:1], vcc
	s_cbranch_execz .LBB54_423
; %bb.422:
	ds_read2_b32 v[0:1], v254 offset0:25 offset1:26
	ds_read_b32 v4, v254 offset:108
	s_waitcnt vmcnt(1)
	v_mul_f32_e32 v202, v176, v30
	v_mov_b32_e32 v3, v26
	v_mov_b32_e32 v2, v25
	s_waitcnt lgkmcnt(1)
	v_pk_fma_f32 v[252:253], v[202:203], v[0:1], v[2:3] op_sel_hi:[0,1,1] neg_lo:[1,0,0] neg_hi:[1,0,0]
	v_mov_b32_e32 v27, v81
	s_waitcnt lgkmcnt(0)
	v_fma_f32 v27, -v202, v4, v27
	v_mov_b32_e32 v203, v252
	s_waitcnt vmcnt(0)
	v_mov_b64_e32 v[144:145], v[178:179]
	v_mov_b32_e32 v0, v178
	v_mov_b32_e32 v1, v179
	;; [unrolled: 1-line block ×28, first 2 shown]
	v_mov_b64_e32 v[146:147], v[180:181]
	v_mov_b64_e32 v[148:149], v[182:183]
	;; [unrolled: 1-line block ×14, first 2 shown]
	v_mov_b32_e32 v37, v252
	v_mov_b64_e32 v[170:171], v[204:205]
	scratch_store_dwordx4 off, v[178:181], off offset:644 ; 16-byte Folded Spill
	s_nop 0
	scratch_store_dwordx4 off, v[182:185], off offset:660 ; 16-byte Folded Spill
	scratch_store_dwordx4 off, v[186:189], off offset:676 ; 16-byte Folded Spill
	;; [unrolled: 1-line block ×7, first 2 shown]
.LBB54_423:
	s_or_b64 exec, exec, s[0:1]
	v_lshl_add_u32 v28, v255, 2, v254
	s_barrier
	ds_write_b32 v28, v37
	s_waitcnt lgkmcnt(0)
	s_barrier
	ds_read_b32 v30, v254 offset:100
	s_cmp_lt_i32 s22, 27
	v_mov_b32_e32 v28, 25
	s_cbranch_scc1 .LBB54_480
; %bb.424:
	v_add_u32_e32 v29, 0x68, v254
	v_mov_b32_e32 v28, 25
	s_mov_b32 s0, 26
	v_mov_b32_e32 v39, v81
.LBB54_425:                             ; =>This Inner Loop Header: Depth=1
	ds_read_b32 v31, v29
	v_mov_b32_e32 v32, s0
	s_add_i32 s0, s0, 1
	v_add_u32_e32 v29, 4, v29
	s_cmp_lg_u32 s22, s0
	s_waitcnt lgkmcnt(0)
	v_cmp_lt_f32_e64 vcc, |v30|, |v31|
	s_nop 1
	v_cndmask_b32_e32 v30, v30, v31, vcc
	v_cndmask_b32_e32 v28, v28, v32, vcc
	s_cbranch_scc1 .LBB54_425
; %bb.426:
	v_cmp_eq_f32_e32 vcc, 0, v30
	s_and_saveexec_b64 s[0:1], vcc
	s_xor_b64 s[0:1], exec, s[0:1]
	s_cbranch_execz .LBB54_428
.LBB54_427:
	scratch_load_dword v29, off, off offset:132 ; 4-byte Folded Reload
	s_waitcnt vmcnt(0)
	v_cmp_ne_u32_e32 vcc, 0, v29
	s_nop 1
	v_cndmask_b32_e32 v29, 26, v29, vcc
	scratch_store_dword off, v29, off offset:132 ; 4-byte Folded Spill
.LBB54_428:
	s_andn2_saveexec_b64 s[0:1], s[0:1]
	s_cbranch_execz .LBB54_430
; %bb.429:
	v_div_scale_f32 v29, s[2:3], v30, v30, 1.0
	v_rcp_f32_e32 v31, v29
	v_div_scale_f32 v32, vcc, 1.0, v30, 1.0
	v_fma_f32 v33, -v29, v31, 1.0
	v_fmac_f32_e32 v31, v33, v31
	v_mul_f32_e32 v33, v32, v31
	v_fma_f32 v34, -v29, v33, v32
	v_fmac_f32_e32 v33, v34, v31
	v_fma_f32 v29, -v29, v33, v32
	v_div_fmas_f32 v29, v29, v31, v33
	v_div_fixup_f32 v30, v29, v30, 1.0
.LBB54_430:
	s_or_b64 exec, exec, s[0:1]
	v_cmp_ne_u32_e32 vcc, v255, v28
	s_and_saveexec_b64 s[0:1], vcc
	s_xor_b64 s[0:1], exec, s[0:1]
	s_cbranch_execz .LBB54_436
; %bb.431:
	v_cmp_eq_u32_e32 vcc, 25, v255
	s_and_saveexec_b64 s[2:3], vcc
	s_cbranch_execz .LBB54_435
; %bb.432:
	v_cmp_ne_u32_e32 vcc, 25, v28
	s_xor_b64 s[18:19], s[16:17], -1
	s_and_b64 s[20:21], s[18:19], vcc
	s_and_saveexec_b64 s[18:19], s[20:21]
	s_cbranch_execz .LBB54_434
; %bb.433:
	s_movk_i32 s20, 0x118c
	scratch_load_dwordx2 v[34:35], off, s20 ; 8-byte Folded Reload
	v_ashrrev_i32_e32 v29, 31, v28
	s_waitcnt vmcnt(0)
	v_lshl_add_u64 v[32:33], v[28:29], 2, v[34:35]
	global_load_dword v29, v[32:33], off
	global_load_dword v31, v[34:35], off offset:100
	s_waitcnt vmcnt(1)
	global_store_dword v[34:35], v29, off offset:100
	s_waitcnt vmcnt(1)
	global_store_dword v[32:33], v31, off
.LBB54_434:
	s_or_b64 exec, exec, s[18:19]
	v_mov_b32_e32 v29, v28
	v_mov_b32_e32 v255, v28
	scratch_store_dword off, v29, off offset:3080 ; 4-byte Folded Spill
.LBB54_435:
	s_or_b64 exec, exec, s[2:3]
.LBB54_436:
	s_andn2_saveexec_b64 s[0:1], s[0:1]
; %bb.437:
	v_mov_b32_e32 v255, 25
	ds_write2_b32 v254, v26, v27 offset0:26 offset1:27
; %bb.438:
	s_or_b64 exec, exec, s[0:1]
	v_cmp_lt_i32_e32 vcc, 25, v255
	s_waitcnt lgkmcnt(0)
	s_barrier
	s_and_saveexec_b64 s[0:1], vcc
	s_cbranch_execz .LBB54_440
; %bb.439:
	ds_read2_b32 v[0:1], v254 offset0:26 offset1:27
	scratch_load_dwordx4 v[144:147], off, off offset:644 ; 16-byte Folded Reload
	scratch_load_dwordx4 v[148:151], off, off offset:660 ; 16-byte Folded Reload
	;; [unrolled: 1-line block ×8, first 2 shown]
	v_mul_f32_e32 v2, v37, v30
	v_mov_b32_e32 v4, v26
	v_mov_b32_e32 v5, v27
	s_waitcnt vmcnt(1)
	v_mov_b32_e32 v169, v2
	s_waitcnt lgkmcnt(0)
	v_pk_fma_f32 v[38:39], v[2:3], v[0:1], v[4:5] op_sel_hi:[0,1,1] neg_lo:[1,0,0] neg_hi:[1,0,0]
	v_mov_b32_e32 v37, v2
	v_mov_b32_e32 v253, v38
	;; [unrolled: 1-line block ×27, first 2 shown]
	v_mov_b64_e32 v[0:1], v[12:13]
	v_mov_b64_e32 v[2:3], v[14:15]
	;; [unrolled: 1-line block ×16, first 2 shown]
.LBB54_440:
	s_or_b64 exec, exec, s[0:1]
	v_lshl_add_u32 v28, v255, 2, v254
	s_barrier
	ds_write_b32 v28, v253
	s_waitcnt lgkmcnt(0)
	s_barrier
	ds_read_b32 v30, v254 offset:104
	s_cmp_lt_i32 s22, 28
	v_mov_b32_e32 v28, 26
	s_cbranch_scc1 .LBB54_443
; %bb.441:
	v_add_u32_e32 v29, 0x6c, v254
	v_mov_b32_e32 v28, 26
	s_mov_b32 s0, 27
.LBB54_442:                             ; =>This Inner Loop Header: Depth=1
	ds_read_b32 v31, v29
	v_mov_b32_e32 v32, s0
	s_add_i32 s0, s0, 1
	v_add_u32_e32 v29, 4, v29
	s_cmp_lg_u32 s22, s0
	s_waitcnt lgkmcnt(0)
	v_cmp_lt_f32_e64 vcc, |v30|, |v31|
	s_nop 1
	v_cndmask_b32_e32 v30, v30, v31, vcc
	v_cndmask_b32_e32 v28, v28, v32, vcc
	s_cbranch_scc1 .LBB54_442
.LBB54_443:
	s_waitcnt lgkmcnt(0)
	v_cmp_eq_f32_e32 vcc, 0, v30
	s_and_saveexec_b64 s[0:1], vcc
	s_xor_b64 s[0:1], exec, s[0:1]
	s_cbranch_execz .LBB54_445
; %bb.444:
	scratch_load_dword v29, off, off offset:132 ; 4-byte Folded Reload
	s_waitcnt vmcnt(0)
	v_cmp_ne_u32_e32 vcc, 0, v29
	s_nop 1
	v_cndmask_b32_e32 v29, 27, v29, vcc
	scratch_store_dword off, v29, off offset:132 ; 4-byte Folded Spill
.LBB54_445:
	s_andn2_saveexec_b64 s[0:1], s[0:1]
	s_cbranch_execz .LBB54_447
; %bb.446:
	v_div_scale_f32 v29, s[2:3], v30, v30, 1.0
	v_rcp_f32_e32 v31, v29
	v_div_scale_f32 v32, vcc, 1.0, v30, 1.0
	v_fma_f32 v33, -v29, v31, 1.0
	v_fmac_f32_e32 v31, v33, v31
	v_mul_f32_e32 v33, v32, v31
	v_fma_f32 v34, -v29, v33, v32
	v_fmac_f32_e32 v33, v34, v31
	v_fma_f32 v29, -v29, v33, v32
	v_div_fmas_f32 v29, v29, v31, v33
	v_div_fixup_f32 v30, v29, v30, 1.0
.LBB54_447:
	s_or_b64 exec, exec, s[0:1]
	v_cmp_ne_u32_e32 vcc, v255, v28
	s_and_saveexec_b64 s[0:1], vcc
	s_xor_b64 s[0:1], exec, s[0:1]
	s_cbranch_execz .LBB54_453
; %bb.448:
	v_cmp_eq_u32_e32 vcc, 26, v255
	s_and_saveexec_b64 s[2:3], vcc
	s_cbranch_execz .LBB54_452
; %bb.449:
	v_cmp_ne_u32_e32 vcc, 26, v28
	s_xor_b64 s[18:19], s[16:17], -1
	s_and_b64 s[20:21], s[18:19], vcc
	s_and_saveexec_b64 s[18:19], s[20:21]
	s_cbranch_execz .LBB54_451
; %bb.450:
	s_movk_i32 s20, 0x118c
	scratch_load_dwordx2 v[34:35], off, s20 ; 8-byte Folded Reload
	v_ashrrev_i32_e32 v29, 31, v28
	s_waitcnt vmcnt(0)
	v_lshl_add_u64 v[32:33], v[28:29], 2, v[34:35]
	global_load_dword v29, v[32:33], off
	global_load_dword v31, v[34:35], off offset:104
	s_waitcnt vmcnt(1)
	global_store_dword v[34:35], v29, off offset:104
	s_waitcnt vmcnt(1)
	global_store_dword v[32:33], v31, off
.LBB54_451:
	s_or_b64 exec, exec, s[18:19]
	v_mov_b32_e32 v29, v28
	v_mov_b32_e32 v255, v28
	scratch_store_dword off, v29, off offset:3080 ; 4-byte Folded Spill
.LBB54_452:
	s_or_b64 exec, exec, s[2:3]
.LBB54_453:
	s_andn2_saveexec_b64 s[0:1], s[0:1]
; %bb.454:
	v_mov_b32_e32 v255, 26
	ds_write_b32 v254, v39 offset:108
; %bb.455:
	s_or_b64 exec, exec, s[0:1]
	v_cmp_lt_i32_e32 vcc, 26, v255
	s_waitcnt lgkmcnt(0)
	s_barrier
	s_and_saveexec_b64 s[0:1], vcc
	s_cbranch_execz .LBB54_457
; %bb.456:
	ds_read_b32 v0, v254 offset:108
	s_waitcnt vmcnt(9)
	v_mul_f32_e32 v170, v253, v30
	s_waitcnt lgkmcnt(0)
	v_fma_f32 v171, -v170, v0, v39
	s_waitcnt vmcnt(0)
	v_mov_b64_e32 v[0:1], v[144:145]
	v_mov_b64_e32 v[2:3], v[146:147]
	;; [unrolled: 1-line block ×14, first 2 shown]
	v_mov_b32_e32 v39, v171
	v_mov_b64_e32 v[28:29], v[172:173]
	v_mov_b64_e32 v[30:31], v[174:175]
.LBB54_457:
	s_or_b64 exec, exec, s[0:1]
	v_lshl_add_u32 v28, v255, 2, v254
	s_barrier
	ds_write_b32 v28, v39
	s_waitcnt lgkmcnt(0)
	s_barrier
	ds_read_b32 v32, v254 offset:108
	s_cmp_lt_i32 s22, 29
	v_mov_b32_e32 v28, 27
	s_cbranch_scc1 .LBB54_460
; %bb.458:
	v_add_u32_e32 v29, 0x70, v254
	v_mov_b32_e32 v28, 27
	s_mov_b32 s0, 28
.LBB54_459:                             ; =>This Inner Loop Header: Depth=1
	ds_read_b32 v30, v29
	v_mov_b32_e32 v31, s0
	s_add_i32 s0, s0, 1
	v_add_u32_e32 v29, 4, v29
	s_cmp_lg_u32 s22, s0
	s_waitcnt lgkmcnt(0)
	v_cmp_lt_f32_e64 vcc, |v32|, |v30|
	s_nop 1
	v_cndmask_b32_e32 v32, v32, v30, vcc
	v_cndmask_b32_e32 v28, v28, v31, vcc
	s_cbranch_scc1 .LBB54_459
.LBB54_460:
	s_waitcnt lgkmcnt(0)
	v_cmp_eq_f32_e32 vcc, 0, v32
	s_and_saveexec_b64 s[0:1], vcc
	s_xor_b64 s[0:1], exec, s[0:1]
	s_cbranch_execz .LBB54_462
; %bb.461:
	scratch_load_dword v29, off, off offset:132 ; 4-byte Folded Reload
	s_waitcnt vmcnt(0)
	v_cmp_ne_u32_e32 vcc, 0, v29
	s_nop 1
	v_cndmask_b32_e32 v29, 28, v29, vcc
	scratch_store_dword off, v29, off offset:132 ; 4-byte Folded Spill
.LBB54_462:
	s_andn2_saveexec_b64 s[0:1], s[0:1]
	s_cbranch_execz .LBB54_464
; %bb.463:
	v_div_scale_f32 v29, s[2:3], v32, v32, 1.0
	v_rcp_f32_e32 v30, v29
	v_div_scale_f32 v31, vcc, 1.0, v32, 1.0
	v_fma_f32 v33, -v29, v30, 1.0
	v_fmac_f32_e32 v30, v33, v30
	v_mul_f32_e32 v33, v31, v30
	v_fma_f32 v34, -v29, v33, v31
	v_fmac_f32_e32 v33, v34, v30
	v_fma_f32 v29, -v29, v33, v31
	v_div_fmas_f32 v29, v29, v30, v33
	v_div_fixup_f32 v32, v29, v32, 1.0
.LBB54_464:
	s_or_b64 exec, exec, s[0:1]
	v_cmp_ne_u32_e32 vcc, v255, v28
	v_mov_b32_e32 v30, 27
	s_and_saveexec_b64 s[0:1], vcc
	s_cbranch_execz .LBB54_470
; %bb.465:
	v_cmp_eq_u32_e32 vcc, 27, v255
	s_and_saveexec_b64 s[2:3], vcc
	s_cbranch_execz .LBB54_469
; %bb.466:
	v_cmp_ne_u32_e32 vcc, 27, v28
	s_xor_b64 s[16:17], s[16:17], -1
	s_and_b64 s[18:19], s[16:17], vcc
	s_and_saveexec_b64 s[16:17], s[18:19]
	s_cbranch_execz .LBB54_468
; %bb.467:
	s_movk_i32 s18, 0x118c
	scratch_load_dwordx2 v[34:35], off, s18 ; 8-byte Folded Reload
	v_ashrrev_i32_e32 v29, 31, v28
	s_waitcnt vmcnt(0)
	v_lshl_add_u64 v[30:31], v[28:29], 2, v[34:35]
	global_load_dword v29, v[30:31], off
	global_load_dword v33, v[34:35], off offset:108
	s_waitcnt vmcnt(1)
	global_store_dword v[34:35], v29, off offset:108
	s_waitcnt vmcnt(1)
	global_store_dword v[30:31], v33, off
.LBB54_468:
	s_or_b64 exec, exec, s[16:17]
	v_mov_b32_e32 v29, v28
	v_mov_b32_e32 v255, v28
	scratch_store_dword off, v29, off offset:3080 ; 4-byte Folded Spill
.LBB54_469:
	s_or_b64 exec, exec, s[2:3]
	v_mov_b32_e32 v30, v255
.LBB54_470:
	s_or_b64 exec, exec, s[0:1]
	v_cmp_gt_i32_e32 vcc, 28, v30
	v_ashrrev_i32_e32 v31, 31, v30
	s_barrier
	s_barrier
	s_and_saveexec_b64 s[0:1], vcc
	s_cbranch_execz .LBB54_472
; %bb.471:
	s_movk_i32 s2, 0x141c
	scratch_load_dwordx2 v[34:35], off, s2  ; 8-byte Folded Reload
	v_mov_b32_e32 v28, s6
	v_mov_b32_e32 v29, s7
	s_waitcnt vmcnt(0)
	v_mul_lo_u32 v33, s11, v34
	v_mul_lo_u32 v36, s10, v35
	v_mad_u64_u32 v[34:35], s[2:3], s10, v34, 0
	v_add3_u32 v35, v35, v36, v33
	scratch_load_dword v33, off, off offset:3080 ; 4-byte Folded Reload
	v_lshl_add_u64 v[28:29], v[34:35], 2, v[28:29]
	v_lshl_add_u64 v[28:29], s[8:9], 2, v[28:29]
	;; [unrolled: 1-line block ×3, first 2 shown]
	s_waitcnt vmcnt(0)
	v_add3_u32 v33, v33, s15, 1
	global_store_dword v[28:29], v33, off
.LBB54_472:
	s_or_b64 exec, exec, s[0:1]
	v_cmp_eq_u32_e32 vcc, 0, v30
	s_and_saveexec_b64 s[2:3], vcc
	s_cbranch_execz .LBB54_475
; %bb.473:
	s_movk_i32 s0, 0x141c
	scratch_load_dwordx2 v[34:35], off, s0  ; 8-byte Folded Reload
	v_mov_b32_e32 v28, s4
	v_mov_b32_e32 v29, s5
	s_waitcnt vmcnt(0)
	v_lshl_add_u64 v[28:29], v[34:35], 2, v[28:29]
	global_load_dword v33, v[28:29], off
	s_waitcnt vmcnt(0)
	v_cmp_eq_u32_e32 vcc, 0, v33
	scratch_load_dword v33, off, off offset:132 ; 4-byte Folded Reload
	s_waitcnt vmcnt(0)
	v_cmp_ne_u32_e64 s[0:1], 0, v33
	s_and_b64 s[0:1], vcc, s[0:1]
	s_and_b64 exec, exec, s[0:1]
	s_cbranch_execz .LBB54_475
; %bb.474:
	scratch_load_dword v33, off, off offset:132 ; 4-byte Folded Reload
	s_waitcnt vmcnt(0)
	v_add_u32_e32 v33, s15, v33
	global_store_dword v[28:29], v33, off
.LBB54_475:
	s_or_b64 exec, exec, s[2:3]
	s_movk_i32 s0, 0x1414
	v_mul_f32_e32 v28, v39, v32
	scratch_load_dwordx2 v[32:33], off, s0  ; 8-byte Folded Reload
	v_cmp_lt_i32_e32 vcc, 27, v30
	s_nop 1
	v_cndmask_b32_e32 v27, v27, v28, vcc
	s_waitcnt vmcnt(0)
	v_lshl_add_u64 v[28:29], v[30:31], 2, v[32:33]
	global_store_dword v[28:29], v0, off
	v_lshl_add_u64 v[28:29], s[12:13], 2, v[28:29]
	v_add_u32_e32 v0, s14, v30
	global_store_dword v[28:29], v1, off
	v_ashrrev_i32_e32 v1, 31, v0
	v_lshl_add_u64 v[28:29], v[0:1], 2, v[32:33]
	v_add_u32_e32 v0, s12, v0
	v_ashrrev_i32_e32 v1, 31, v0
	global_store_dword v[28:29], v2, off
	v_lshl_add_u64 v[28:29], v[0:1], 2, v[32:33]
	v_add_u32_e32 v0, s12, v0
	v_ashrrev_i32_e32 v1, 31, v0
	global_store_dword v[28:29], v3, off
	;; [unrolled: 4-line block ×24, first 2 shown]
	v_lshl_add_u64 v[2:3], v[0:1], 2, v[32:33]
	v_add_u32_e32 v0, s12, v0
	v_ashrrev_i32_e32 v1, 31, v0
	v_lshl_add_u64 v[0:1], v[0:1], 2, v[32:33]
	global_store_dword v[2:3], v26, off
	global_store_dword v[0:1], v27, off
.LBB54_476:
	s_endpgm
.LBB54_477:
	scratch_load_dwordx4 v[38:41], off, off offset:2436 ; 16-byte Folded Reload
	scratch_load_dwordx4 v[42:45], off, off offset:2452 ; 16-byte Folded Reload
	;; [unrolled: 1-line block ×8, first 2 shown]
	s_waitcnt vmcnt(1)
	v_mov_b32_e32 v81, v65
	s_waitcnt lgkmcnt(0)
	v_cmp_eq_f32_e32 vcc, 0, v30
	s_and_saveexec_b64 s[0:1], vcc
	s_xor_b64 s[0:1], exec, s[0:1]
	s_cbranch_execnz .LBB54_87
	s_branch .LBB54_88
.LBB54_478:
	v_mov_b64_e32 v[234:235], v[128:129]
	v_mov_b32_e32 v242, v136
	v_mov_b64_e32 v[232:233], v[126:127]
	v_mov_b64_e32 v[230:231], v[124:125]
	;; [unrolled: 1-line block ×7, first 2 shown]
	v_mov_b32_e32 v241, v135
	v_mov_b32_e32 v240, v134
	;; [unrolled: 1-line block ×6, first 2 shown]
	s_waitcnt lgkmcnt(0)
	v_cmp_eq_f32_e32 vcc, 0, v30
	s_and_saveexec_b64 s[0:1], vcc
	s_xor_b64 s[0:1], exec, s[0:1]
	s_cbranch_execnz .LBB54_240
	s_branch .LBB54_241
.LBB54_479:
	scratch_load_dwordx4 v[144:147], off, off offset:900 ; 16-byte Folded Reload
	scratch_load_dwordx4 v[148:151], off, off offset:916 ; 16-byte Folded Reload
	;; [unrolled: 1-line block ×16, first 2 shown]
	s_waitcnt lgkmcnt(0)
	v_cmp_eq_f32_e32 vcc, 0, v30
	s_and_saveexec_b64 s[0:1], vcc
	s_xor_b64 s[0:1], exec, s[0:1]
	s_cbranch_execnz .LBB54_376
	s_branch .LBB54_377
.LBB54_480:
	v_mov_b32_e32 v39, v81
	s_waitcnt lgkmcnt(0)
	v_cmp_eq_f32_e32 vcc, 0, v30
	s_and_saveexec_b64 s[0:1], vcc
	s_xor_b64 s[0:1], exec, s[0:1]
	s_cbranch_execnz .LBB54_427
	s_branch .LBB54_428
	.section	.rodata,"a",@progbits
	.p2align	6, 0x0
	.amdhsa_kernel _ZN9rocsolver6v33100L18getf2_small_kernelILi28EfiiPfEEvT1_T3_lS3_lPS3_llPT2_S3_S3_S5_l
		.amdhsa_group_segment_fixed_size 0
		.amdhsa_private_segment_fixed_size 5156
		.amdhsa_kernarg_size 352
		.amdhsa_user_sgpr_count 2
		.amdhsa_user_sgpr_dispatch_ptr 0
		.amdhsa_user_sgpr_queue_ptr 0
		.amdhsa_user_sgpr_kernarg_segment_ptr 1
		.amdhsa_user_sgpr_dispatch_id 0
		.amdhsa_user_sgpr_kernarg_preload_length 0
		.amdhsa_user_sgpr_kernarg_preload_offset 0
		.amdhsa_user_sgpr_private_segment_size 0
		.amdhsa_uses_dynamic_stack 0
		.amdhsa_enable_private_segment 1
		.amdhsa_system_sgpr_workgroup_id_x 1
		.amdhsa_system_sgpr_workgroup_id_y 1
		.amdhsa_system_sgpr_workgroup_id_z 0
		.amdhsa_system_sgpr_workgroup_info 0
		.amdhsa_system_vgpr_workitem_id 1
		.amdhsa_next_free_vgpr 256
		.amdhsa_next_free_sgpr 28
		.amdhsa_accum_offset 256
		.amdhsa_reserve_vcc 1
		.amdhsa_float_round_mode_32 0
		.amdhsa_float_round_mode_16_64 0
		.amdhsa_float_denorm_mode_32 3
		.amdhsa_float_denorm_mode_16_64 3
		.amdhsa_dx10_clamp 1
		.amdhsa_ieee_mode 1
		.amdhsa_fp16_overflow 0
		.amdhsa_tg_split 0
		.amdhsa_exception_fp_ieee_invalid_op 0
		.amdhsa_exception_fp_denorm_src 0
		.amdhsa_exception_fp_ieee_div_zero 0
		.amdhsa_exception_fp_ieee_overflow 0
		.amdhsa_exception_fp_ieee_underflow 0
		.amdhsa_exception_fp_ieee_inexact 0
		.amdhsa_exception_int_div_zero 0
	.end_amdhsa_kernel
	.section	.text._ZN9rocsolver6v33100L18getf2_small_kernelILi28EfiiPfEEvT1_T3_lS3_lPS3_llPT2_S3_S3_S5_l,"axG",@progbits,_ZN9rocsolver6v33100L18getf2_small_kernelILi28EfiiPfEEvT1_T3_lS3_lPS3_llPT2_S3_S3_S5_l,comdat
.Lfunc_end54:
	.size	_ZN9rocsolver6v33100L18getf2_small_kernelILi28EfiiPfEEvT1_T3_lS3_lPS3_llPT2_S3_S3_S5_l, .Lfunc_end54-_ZN9rocsolver6v33100L18getf2_small_kernelILi28EfiiPfEEvT1_T3_lS3_lPS3_llPT2_S3_S3_S5_l
                                        ; -- End function
	.set _ZN9rocsolver6v33100L18getf2_small_kernelILi28EfiiPfEEvT1_T3_lS3_lPS3_llPT2_S3_S3_S5_l.num_vgpr, 256
	.set _ZN9rocsolver6v33100L18getf2_small_kernelILi28EfiiPfEEvT1_T3_lS3_lPS3_llPT2_S3_S3_S5_l.num_agpr, 0
	.set _ZN9rocsolver6v33100L18getf2_small_kernelILi28EfiiPfEEvT1_T3_lS3_lPS3_llPT2_S3_S3_S5_l.numbered_sgpr, 28
	.set _ZN9rocsolver6v33100L18getf2_small_kernelILi28EfiiPfEEvT1_T3_lS3_lPS3_llPT2_S3_S3_S5_l.num_named_barrier, 0
	.set _ZN9rocsolver6v33100L18getf2_small_kernelILi28EfiiPfEEvT1_T3_lS3_lPS3_llPT2_S3_S3_S5_l.private_seg_size, 5156
	.set _ZN9rocsolver6v33100L18getf2_small_kernelILi28EfiiPfEEvT1_T3_lS3_lPS3_llPT2_S3_S3_S5_l.uses_vcc, 1
	.set _ZN9rocsolver6v33100L18getf2_small_kernelILi28EfiiPfEEvT1_T3_lS3_lPS3_llPT2_S3_S3_S5_l.uses_flat_scratch, 0
	.set _ZN9rocsolver6v33100L18getf2_small_kernelILi28EfiiPfEEvT1_T3_lS3_lPS3_llPT2_S3_S3_S5_l.has_dyn_sized_stack, 0
	.set _ZN9rocsolver6v33100L18getf2_small_kernelILi28EfiiPfEEvT1_T3_lS3_lPS3_llPT2_S3_S3_S5_l.has_recursion, 0
	.set _ZN9rocsolver6v33100L18getf2_small_kernelILi28EfiiPfEEvT1_T3_lS3_lPS3_llPT2_S3_S3_S5_l.has_indirect_call, 0
	.section	.AMDGPU.csdata,"",@progbits
; Kernel info:
; codeLenInByte = 94548
; TotalNumSgprs: 34
; NumVgprs: 256
; NumAgprs: 0
; TotalNumVgprs: 256
; ScratchSize: 5156
; MemoryBound: 0
; FloatMode: 240
; IeeeMode: 1
; LDSByteSize: 0 bytes/workgroup (compile time only)
; SGPRBlocks: 4
; VGPRBlocks: 31
; NumSGPRsForWavesPerEU: 34
; NumVGPRsForWavesPerEU: 256
; AccumOffset: 256
; Occupancy: 2
; WaveLimiterHint : 0
; COMPUTE_PGM_RSRC2:SCRATCH_EN: 1
; COMPUTE_PGM_RSRC2:USER_SGPR: 2
; COMPUTE_PGM_RSRC2:TRAP_HANDLER: 0
; COMPUTE_PGM_RSRC2:TGID_X_EN: 1
; COMPUTE_PGM_RSRC2:TGID_Y_EN: 1
; COMPUTE_PGM_RSRC2:TGID_Z_EN: 0
; COMPUTE_PGM_RSRC2:TIDIG_COMP_CNT: 1
; COMPUTE_PGM_RSRC3_GFX90A:ACCUM_OFFSET: 63
; COMPUTE_PGM_RSRC3_GFX90A:TG_SPLIT: 0
	.section	.text._ZN9rocsolver6v33100L23getf2_npvt_small_kernelILi28EfiiPfEEvT1_T3_lS3_lPT2_S3_S3_,"axG",@progbits,_ZN9rocsolver6v33100L23getf2_npvt_small_kernelILi28EfiiPfEEvT1_T3_lS3_lPT2_S3_S3_,comdat
	.globl	_ZN9rocsolver6v33100L23getf2_npvt_small_kernelILi28EfiiPfEEvT1_T3_lS3_lPT2_S3_S3_ ; -- Begin function _ZN9rocsolver6v33100L23getf2_npvt_small_kernelILi28EfiiPfEEvT1_T3_lS3_lPT2_S3_S3_
	.p2align	8
	.type	_ZN9rocsolver6v33100L23getf2_npvt_small_kernelILi28EfiiPfEEvT1_T3_lS3_lPT2_S3_S3_,@function
_ZN9rocsolver6v33100L23getf2_npvt_small_kernelILi28EfiiPfEEvT1_T3_lS3_lPT2_S3_S3_: ; @_ZN9rocsolver6v33100L23getf2_npvt_small_kernelILi28EfiiPfEEvT1_T3_lS3_lPT2_S3_S3_
; %bb.0:
	s_load_dword s2, s[0:1], 0x44
	s_load_dwordx2 s[8:9], s[0:1], 0x30
	v_bfe_u32 v1, v0, 10, 10
	s_waitcnt lgkmcnt(0)
	s_lshr_b32 s10, s2, 16
	s_mul_i32 s3, s3, s10
	v_add_u32_e32 v4, s3, v1
	v_cmp_gt_i32_e32 vcc, s8, v4
	s_and_saveexec_b64 s[2:3], vcc
	s_cbranch_execz .LBB55_145
; %bb.1:
	s_load_dwordx4 s[12:15], s[0:1], 0x8
	s_load_dword s2, s[0:1], 0x18
	s_load_dwordx4 s[4:7], s[0:1], 0x20
	v_ashrrev_i32_e32 v5, 31, v4
	s_movk_i32 s0, 0x166c
	v_and_b32_e32 v255, 0x3ff, v0
	scratch_store_dwordx2 off, v[4:5], s0   ; 8-byte Folded Spill
	s_waitcnt lgkmcnt(0)
	v_mul_lo_u32 v0, s5, v4
	v_mul_lo_u32 v6, s4, v5
	v_mad_u64_u32 v[4:5], s[0:1], s4, v4, 0
	v_mov_b32_e32 v2, s12
	v_mov_b32_e32 v3, s13
	v_add3_u32 v5, v5, v6, v0
	v_lshl_add_u64 v[2:3], v[4:5], 2, v[2:3]
	v_lshl_add_u64 v[2:3], s[14:15], 2, v[2:3]
	v_lshlrev_b32_e32 v4, 2, v255
	v_mov_b32_e32 v5, 0
	s_add_i32 s0, s2, s2
	v_lshl_add_u64 v[28:29], v[2:3], 0, v[4:5]
	v_add_u32_e32 v4, s0, v255
	v_ashrrev_i32_e32 v5, 31, v4
	v_lshl_add_u64 v[24:25], v[4:5], 2, v[2:3]
	v_add_u32_e32 v4, s2, v4
	v_ashrrev_i32_e32 v5, 31, v4
	v_lshl_add_u64 v[26:27], v[4:5], 2, v[2:3]
	v_add_u32_e32 v4, s2, v4
	v_ashrrev_i32_e32 v5, 31, v4
	v_lshl_add_u64 v[30:31], v[4:5], 2, v[2:3]
	v_add_u32_e32 v4, s2, v4
	v_ashrrev_i32_e32 v5, 31, v4
	v_lshl_add_u64 v[32:33], v[4:5], 2, v[2:3]
	v_add_u32_e32 v4, s2, v4
	v_ashrrev_i32_e32 v5, 31, v4
	v_lshl_add_u64 v[34:35], v[4:5], 2, v[2:3]
	v_add_u32_e32 v4, s2, v4
	v_ashrrev_i32_e32 v5, 31, v4
	v_lshl_add_u64 v[36:37], v[4:5], 2, v[2:3]
	v_add_u32_e32 v4, s2, v4
	v_ashrrev_i32_e32 v5, 31, v4
	v_lshl_add_u64 v[20:21], v[4:5], 2, v[2:3]
	v_add_u32_e32 v4, s2, v4
	v_ashrrev_i32_e32 v5, 31, v4
	v_lshl_add_u64 v[14:15], v[4:5], 2, v[2:3]
	v_add_u32_e32 v4, s2, v4
	v_ashrrev_i32_e32 v5, 31, v4
	v_lshl_add_u64 v[16:17], v[4:5], 2, v[2:3]
	v_add_u32_e32 v4, s2, v4
	v_ashrrev_i32_e32 v5, 31, v4
	v_lshl_add_u64 v[18:19], v[4:5], 2, v[2:3]
	v_add_u32_e32 v4, s2, v4
	v_ashrrev_i32_e32 v5, 31, v4
	v_lshl_add_u64 v[22:23], v[4:5], 2, v[2:3]
	v_add_u32_e32 v4, s2, v4
	v_ashrrev_i32_e32 v5, 31, v4
	v_lshl_add_u64 v[38:39], v[4:5], 2, v[2:3]
	v_add_u32_e32 v4, s2, v4
	v_ashrrev_i32_e32 v5, 31, v4
	v_lshl_add_u64 v[40:41], v[4:5], 2, v[2:3]
	v_add_u32_e32 v4, s2, v4
	v_ashrrev_i32_e32 v5, 31, v4
	v_lshl_add_u64 v[42:43], v[4:5], 2, v[2:3]
	v_add_u32_e32 v4, s2, v4
	v_ashrrev_i32_e32 v5, 31, v4
	v_lshl_add_u64 v[12:13], v[4:5], 2, v[2:3]
	v_add_u32_e32 v4, s2, v4
	v_ashrrev_i32_e32 v5, 31, v4
	v_lshl_add_u64 v[6:7], v[4:5], 2, v[2:3]
	v_add_u32_e32 v4, s2, v4
	v_ashrrev_i32_e32 v5, 31, v4
	v_lshl_add_u64 v[8:9], v[4:5], 2, v[2:3]
	v_add_u32_e32 v4, s2, v4
	v_ashrrev_i32_e32 v5, 31, v4
	v_lshl_add_u64 v[44:45], v[4:5], 2, v[2:3]
	v_add_u32_e32 v4, s2, v4
	v_ashrrev_i32_e32 v5, 31, v4
	v_lshl_add_u64 v[46:47], v[4:5], 2, v[2:3]
	v_add_u32_e32 v4, s2, v4
	v_ashrrev_i32_e32 v5, 31, v4
	v_lshl_add_u64 v[48:49], v[4:5], 2, v[2:3]
	v_add_u32_e32 v4, s2, v4
	v_ashrrev_i32_e32 v5, 31, v4
	v_lshl_add_u64 v[50:51], v[4:5], 2, v[2:3]
	v_add_u32_e32 v4, s2, v4
	v_ashrrev_i32_e32 v5, 31, v4
	v_lshl_add_u64 v[52:53], v[4:5], 2, v[2:3]
	v_add_u32_e32 v4, s2, v4
	v_ashrrev_i32_e32 v5, 31, v4
	v_lshl_add_u64 v[10:11], v[4:5], 2, v[2:3]
	v_add_u32_e32 v4, s2, v4
	v_ashrrev_i32_e32 v5, 31, v4
	v_lshl_add_u64 v[54:55], v[4:5], 2, v[2:3]
	v_add_u32_e32 v4, s2, v4
	v_ashrrev_i32_e32 v5, 31, v4
	v_lshl_add_u64 v[56:57], v[4:5], 2, v[2:3]
	v_add_u32_e32 v4, s2, v4
	v_ashrrev_i32_e32 v5, 31, v4
	v_lshl_add_u64 v[4:5], v[4:5], 2, v[2:3]
	s_movk_i32 s0, 0x15c4
	scratch_store_dwordx2 off, v[54:55], s0 ; 8-byte Folded Spill
	global_load_dword v2, v[54:55], off
	global_load_dword v3, v[56:57], off
	s_ashr_i32 s3, s2, 31
	global_load_dword v55, v[4:5], off
	s_movk_i32 s0, 0x15cc
	v_lshl_add_u64 v[58:59], s[2:3], 2, v[28:29]
	scratch_store_dwordx2 off, v[56:57], s0 ; 8-byte Folded Spill
	s_movk_i32 s0, 0x15d4
	scratch_store_dwordx2 off, v[4:5], s0   ; 8-byte Folded Spill
	s_movk_i32 s0, 0x15bc
	s_mulk_i32 s10, 0x70
	s_add_i32 s1, s10, 0
	v_lshl_add_u32 v250, v1, 2, s1
	v_cmp_ne_u32_e64 s[2:3], 0, v255
	scratch_store_dwordx4 off, v[28:31], off offset:132 ; 16-byte Folded Spill
	s_nop 0
	scratch_store_dwordx4 off, v[32:35], off offset:148 ; 16-byte Folded Spill
	scratch_store_dwordx4 off, v[36:39], off offset:164 ; 16-byte Folded Spill
	;; [unrolled: 1-line block ×5, first 2 shown]
	s_waitcnt vmcnt(8)
	scratch_store_dwordx4 off, v[52:55], off offset:228 ; 16-byte Folded Spill
	scratch_store_dwordx4 off, v[56:59], off offset:244 ; 16-byte Folded Spill
	scratch_store_dwordx2 off, v[10:11], s0 ; 8-byte Folded Spill
	s_movk_i32 s0, 0x1584
	scratch_store_dwordx2 off, v[6:7], s0   ; 8-byte Folded Spill
	s_movk_i32 s0, 0x158c
	scratch_store_dwordx2 off, v[8:9], s0   ; 8-byte Folded Spill
	s_movk_i32 s0, 0x1594
	global_load_dword v5, v[10:11], off
	global_load_dword v4, v[52:53], off
	s_nop 0
	scratch_store_dwordx2 off, v[44:45], s0 ; 8-byte Folded Spill
	s_movk_i32 s0, 0x159c
	scratch_store_dwordx2 off, v[46:47], s0 ; 8-byte Folded Spill
	s_movk_i32 s0, 0x15a4
	;; [unrolled: 2-line block ×16, first 2 shown]
	global_load_dword v13, v[12:13], off
	s_nop 0
	global_load_dword v196, v[28:29], off
	s_nop 0
	global_load_dword v14, v[14:15], off
	s_nop 0
	global_load_dword v21, v[20:21], off
	s_nop 0
	global_load_dword v10, v[6:7], off
	global_load_dword v11, v[8:9], off
	;; [unrolled: 1-line block ×5, first 2 shown]
	s_nop 0
	global_load_dword v6, v[44:45], off
	global_load_dword v16, v[18:19], off
	;; [unrolled: 1-line block ×6, first 2 shown]
	s_nop 0
	global_load_dword v19, v[40:41], off
	global_load_dword v22, v[58:59], off
	;; [unrolled: 1-line block ×4, first 2 shown]
	s_nop 0
	scratch_store_dwordx2 off, v[26:27], s0 ; 8-byte Folded Spill
	global_load_dword v24, v[26:27], off
	global_load_dword v25, v[30:31], off
	s_movk_i32 s0, 0x151c
	global_load_dword v26, v[32:33], off
	global_load_dword v27, v[34:35], off
	s_nop 0
	scratch_store_dwordx2 off, v[30:31], s0 ; 8-byte Folded Spill
	s_movk_i32 s0, 0x1524
	scratch_store_dwordx2 off, v[32:33], s0 ; 8-byte Folded Spill
	s_movk_i32 s0, 0x152c
	;; [unrolled: 2-line block ×5, first 2 shown]
	v_mad_u32_u24 v254, v1, s0, 0
	v_cmp_eq_u32_e64 s[0:1], 0, v255
	s_and_saveexec_b64 s[4:5], s[0:1]
	s_cbranch_execz .LBB55_4
; %bb.2:
	s_waitcnt vmcnt(27)
	ds_write_b32 v250, v196
	s_waitcnt vmcnt(10)
	ds_write2_b32 v254, v22, v23 offset0:1 offset1:2
	s_waitcnt vmcnt(7)
	ds_write2_b32 v254, v24, v25 offset0:3 offset1:4
	;; [unrolled: 2-line block ×3, first 2 shown]
	ds_write2_b32 v254, v20, v21 offset0:7 offset1:8
	ds_write2_b32 v254, v14, v15 offset0:9 offset1:10
	;; [unrolled: 1-line block ×10, first 2 shown]
	scratch_load_dwordx4 v[28:31], off, off offset:132 ; 16-byte Folded Reload
	scratch_load_dwordx4 v[32:35], off, off offset:148 ; 16-byte Folded Reload
	;; [unrolled: 1-line block ×8, first 2 shown]
	s_waitcnt vmcnt(1)
	ds_write_b32 v254, v55 offset:108
	ds_read_b32 v1, v250
	s_waitcnt lgkmcnt(0)
	v_cmp_neq_f32_e32 vcc, 0, v1
	s_and_b64 exec, exec, vcc
	s_cbranch_execz .LBB55_4
; %bb.3:
	v_div_scale_f32 v28, s[10:11], v1, v1, 1.0
	v_rcp_f32_e32 v29, v28
	v_div_scale_f32 v30, vcc, 1.0, v1, 1.0
	v_fma_f32 v31, -v28, v29, 1.0
	v_fmac_f32_e32 v29, v31, v29
	v_mul_f32_e32 v31, v30, v29
	v_fma_f32 v32, -v28, v31, v30
	v_fmac_f32_e32 v31, v32, v29
	v_fma_f32 v28, -v28, v31, v30
	v_div_fmas_f32 v28, v28, v29, v31
	v_div_fixup_f32 v1, v28, v1, 1.0
	ds_write_b32 v250, v1
.LBB55_4:
	s_or_b64 exec, exec, s[4:5]
	s_waitcnt lgkmcnt(0)
	s_barrier
	ds_read_b32 v1, v250
	s_movk_i32 s4, 0x15e4
                                        ; implicit-def: $vgpr91
                                        ; implicit-def: $vgpr160
                                        ; implicit-def: $vgpr85
                                        ; implicit-def: $vgpr28
                                        ; implicit-def: $vgpr34
                                        ; implicit-def: $vgpr149
                                        ; implicit-def: $vgpr64
                                        ; implicit-def: $vgpr65
                                        ; implicit-def: $vgpr76
                                        ; implicit-def: $vgpr67
                                        ; implicit-def: $vgpr74
                                        ; implicit-def: $vgpr69
                                        ; implicit-def: $vgpr32
                                        ; implicit-def: $vgpr71
                                        ; implicit-def: $vgpr78
                                        ; implicit-def: $vgpr73
                                        ; implicit-def: $vgpr66
                                        ; implicit-def: $vgpr75
                                        ; implicit-def: $vgpr68
                                        ; implicit-def: $vgpr77
                                        ; implicit-def: $vgpr70
                                        ; implicit-def: $vgpr79
                                        ; implicit-def: $vgpr72
                                        ; implicit-def: $vgpr31
                                        ; implicit-def: $vgpr30
	s_waitcnt lgkmcnt(0)
	scratch_store_dword off, v1, s4         ; 4-byte Folded Spill
	s_and_saveexec_b64 s[4:5], s[2:3]
	s_xor_b64 s[2:3], exec, s[4:5]
	s_cbranch_execz .LBB55_6
; %bb.5:
	s_movk_i32 s4, 0x15e4
	ds_read2_b32 v[28:29], v254 offset0:1 offset1:2
	ds_read2_b32 v[30:31], v254 offset0:3 offset1:4
	;; [unrolled: 1-line block ×3, first 2 shown]
	scratch_load_dword v1, off, s4          ; 4-byte Folded Reload
	ds_read2_b32 v[34:35], v254 offset0:7 offset1:8
	s_waitcnt vmcnt(0)
	v_mul_f32_e32 v196, v196, v1
	s_waitcnt lgkmcnt(3)
	v_pk_fma_f32 v[28:29], v[196:197], v[28:29], v[22:23] op_sel_hi:[0,1,1] neg_lo:[1,0,0] neg_hi:[1,0,0]
	s_waitcnt lgkmcnt(2)
	v_pk_fma_f32 v[30:31], v[196:197], v[30:31], v[24:25] op_sel_hi:[0,1,1] neg_lo:[1,0,0] neg_hi:[1,0,0]
	;; [unrolled: 2-line block ×3, first 2 shown]
	ds_read2_b32 v[22:23], v254 offset0:9 offset1:10
	ds_read2_b32 v[24:25], v254 offset0:11 offset1:12
	;; [unrolled: 1-line block ×3, first 2 shown]
	s_waitcnt lgkmcnt(3)
	v_pk_fma_f32 v[34:35], v[196:197], v[34:35], v[20:21] op_sel_hi:[0,1,1] neg_lo:[1,0,0] neg_hi:[1,0,0]
	ds_read2_b32 v[20:21], v254 offset0:15 offset1:16
	s_waitcnt lgkmcnt(3)
	v_pk_fma_f32 v[36:37], v[196:197], v[22:23], v[14:15] op_sel_hi:[0,1,1] neg_lo:[1,0,0] neg_hi:[1,0,0]
	ds_read2_b32 v[14:15], v254 offset0:17 offset1:18
	s_waitcnt lgkmcnt(3)
	v_pk_fma_f32 v[38:39], v[196:197], v[24:25], v[16:17] op_sel_hi:[0,1,1] neg_lo:[1,0,0] neg_hi:[1,0,0]
	s_waitcnt lgkmcnt(2)
	v_pk_fma_f32 v[40:41], v[196:197], v[26:27], v[18:19] op_sel_hi:[0,1,1] neg_lo:[1,0,0] neg_hi:[1,0,0]
	;; [unrolled: 2-line block ×3, first 2 shown]
	ds_read2_b32 v[12:13], v254 offset0:19 offset1:20
	ds_read2_b32 v[16:17], v254 offset0:21 offset1:22
	ds_read2_b32 v[18:19], v254 offset0:23 offset1:24
	s_waitcnt lgkmcnt(3)
	v_pk_fma_f32 v[44:45], v[196:197], v[14:15], v[10:11] op_sel_hi:[0,1,1] neg_lo:[1,0,0] neg_hi:[1,0,0]
	ds_read2_b32 v[10:11], v254 offset0:25 offset1:26
	ds_read_b32 v1, v254 offset:108
	scratch_load_dwordx4 v[54:57], off, off offset:132 ; 16-byte Folded Reload
	scratch_load_dwordx4 v[58:61], off, off offset:148 ; 16-byte Folded Reload
	;; [unrolled: 1-line block ×8, first 2 shown]
	s_waitcnt lgkmcnt(4)
	v_pk_fma_f32 v[46:47], v[196:197], v[12:13], v[6:7] op_sel_hi:[0,1,1] neg_lo:[1,0,0] neg_hi:[1,0,0]
	s_waitcnt lgkmcnt(3)
	v_pk_fma_f32 v[48:49], v[196:197], v[16:17], v[8:9] op_sel_hi:[0,1,1] neg_lo:[1,0,0] neg_hi:[1,0,0]
	;; [unrolled: 2-line block ×3, first 2 shown]
	v_mov_b32_e32 v26, v53
	v_pk_fma_f32 v[50:51], v[196:197], v[18:19], v[4:5] op_sel_hi:[0,1,1] neg_lo:[1,0,0] neg_hi:[1,0,0]
	v_mov_b32_e32 v91, v52
	v_mov_b32_e32 v160, v51
	s_waitcnt vmcnt(0)
	v_mov_b32_e32 v85, v50
	v_mov_b32_e32 v149, v48
	;; [unrolled: 1-line block ×20, first 2 shown]
	s_waitcnt lgkmcnt(0)
	v_fma_f32 v27, -v196, v1, v27
	scratch_store_dwordx4 off, v[0:3], off offset:132 ; 16-byte Folded Spill
	s_nop 0
	scratch_store_dwordx4 off, v[4:7], off offset:148 ; 16-byte Folded Spill
	scratch_store_dwordx4 off, v[8:11], off offset:164 ; 16-byte Folded Spill
	;; [unrolled: 1-line block ×7, first 2 shown]
                                        ; implicit-def: $vgpr22
                                        ; implicit-def: $vgpr24
                                        ; implicit-def: $vgpr26
                                        ; implicit-def: $vgpr20
                                        ; implicit-def: $vgpr14
                                        ; implicit-def: $vgpr16
                                        ; implicit-def: $vgpr18
                                        ; implicit-def: $vgpr12
                                        ; implicit-def: $vgpr10
                                        ; implicit-def: $vgpr6
                                        ; implicit-def: $vgpr8
                                        ; implicit-def: $vgpr4
                                        ; implicit-def: $vgpr2
	v_mov_b32_e32 v72, v31
	s_nop 0
	v_mov_b32_e32 v31, v30
	v_mov_b32_e32 v30, v29
.LBB55_6:
	s_or_saveexec_b64 s[2:3], s[2:3]
	v_mov_b32_e32 v197, v28
	s_xor_b64 exec, exec, s[2:3]
	s_cbranch_execz .LBB55_8
; %bb.7:
	scratch_load_dwordx4 v[32:35], off, off offset:132 ; 16-byte Folded Reload
	scratch_load_dwordx4 v[36:39], off, off offset:148 ; 16-byte Folded Reload
	;; [unrolled: 1-line block ×8, first 2 shown]
	s_waitcnt vmcnt(1)
	v_mov_b32_e32 v58, v3
	v_mov_b32_e32 v197, v22
	;; [unrolled: 1-line block ×24, first 2 shown]
	scratch_store_dwordx4 off, v[32:35], off offset:132 ; 16-byte Folded Spill
	s_nop 0
	scratch_store_dwordx4 off, v[36:39], off offset:148 ; 16-byte Folded Spill
	scratch_store_dwordx4 off, v[40:43], off offset:164 ; 16-byte Folded Spill
	scratch_store_dwordx4 off, v[44:47], off offset:180 ; 16-byte Folded Spill
	scratch_store_dwordx4 off, v[48:51], off offset:196 ; 16-byte Folded Spill
	scratch_store_dwordx4 off, v[52:55], off offset:212 ; 16-byte Folded Spill
	scratch_store_dwordx4 off, v[56:59], off offset:228 ; 16-byte Folded Spill
	s_waitcnt vmcnt(7)
	scratch_store_dwordx4 off, v[60:63], off offset:244 ; 16-byte Folded Spill
	v_mov_b32_e32 v32, v19
	v_mov_b32_e32 v34, v9
.LBB55_8:
	s_or_b64 exec, exec, s[2:3]
	v_mov_b32_e32 v210, v32
	v_mov_b32_e32 v148, v64
	;; [unrolled: 1-line block ×4, first 2 shown]
	s_waitcnt vmcnt(13)
	v_mov_b32_e32 v22, v34
	v_mov_b32_e32 v64, v32
	scratch_load_dwordx4 v[32:35], off, off offset:132 ; 16-byte Folded Reload
	scratch_load_dwordx4 v[36:39], off, off offset:148 ; 16-byte Folded Reload
	;; [unrolled: 1-line block ×8, first 2 shown]
	v_mov_b32_e32 v198, v30
	v_mov_b32_e32 v3, v31
	;; [unrolled: 1-line block ×30, first 2 shown]
	s_waitcnt vmcnt(16)
	v_mov_b32_e32 v25, v85
	v_mov_b32_e32 v219, v85
	v_mov_b32_e32 v220, v160
	v_mov_b32_e32 v221, v91
	v_mov_b32_e32 v248, v160
	v_cmp_eq_u32_e32 vcc, 1, v255
	s_barrier
	s_waitcnt vmcnt(1)
	v_mov_b64_e32 v[26:27], v[58:59]
	v_mov_b32_e32 v222, v26
	v_mov_b32_e32 v223, v27
	s_and_saveexec_b64 s[2:3], vcc
	s_cbranch_execz .LBB55_11
; %bb.9:
	v_mov_b32_e32 v17, v3
	v_mov_b32_e32 v28, v4
	;; [unrolled: 1-line block ×3, first 2 shown]
	ds_write_b32 v250, v197
	ds_write2_b64 v254, v[16:17], v[28:29] offset0:1 offset1:2
	v_mov_b32_e32 v6, v8
	v_mov_b32_e32 v7, v179
	;; [unrolled: 1-line block ×4, first 2 shown]
	ds_write2_b64 v254, v[6:7], v[28:29] offset0:3 offset1:4
	v_mov_b32_e32 v10, v30
	v_mov_b32_e32 v11, v73
	v_mov_b32_e32 v28, v12
	v_mov_b32_e32 v29, v79
	ds_write2_b64 v254, v[10:11], v[28:29] offset0:5 offset1:6
	v_mov_b32_e32 v65, v93
	v_mov_b32_e32 v28, v74
	v_mov_b32_e32 v29, v67
	ds_write2_b64 v254, v[64:65], v[28:29] offset0:7 offset1:8
	v_mov_b32_e32 v77, v103
	v_mov_b32_e32 v28, v148
	v_mov_b32_e32 v29, v149
	;; [unrolled: 4-line block ×3, first 2 shown]
	ds_write2_b64 v254, v[22:23], v[28:29] offset0:11 offset1:12
	scratch_load_dwordx4 v[32:35], off, off offset:132 ; 16-byte Folded Reload
	scratch_load_dwordx4 v[36:39], off, off offset:148 ; 16-byte Folded Reload
	;; [unrolled: 1-line block ×8, first 2 shown]
	s_waitcnt vmcnt(1)
	ds_write_b64 v254, v[58:59] offset:104
	ds_read_b32 v28, v250
	s_waitcnt lgkmcnt(0)
	v_cmp_neq_f32_e32 vcc, 0, v28
	s_and_b64 exec, exec, vcc
	s_cbranch_execz .LBB55_11
; %bb.10:
	v_div_scale_f32 v29, s[4:5], v28, v28, 1.0
	v_rcp_f32_e32 v31, v29
	v_div_scale_f32 v32, vcc, 1.0, v28, 1.0
	v_fma_f32 v33, -v29, v31, 1.0
	v_fmac_f32_e32 v31, v33, v31
	v_mul_f32_e32 v33, v32, v31
	v_fma_f32 v34, -v29, v33, v32
	v_fmac_f32_e32 v33, v34, v31
	v_fma_f32 v29, -v29, v33, v32
	v_div_fmas_f32 v29, v29, v31, v33
	v_div_fixup_f32 v28, v29, v28, 1.0
	ds_write_b32 v250, v28
.LBB55_11:
	s_or_b64 exec, exec, s[2:3]
	scratch_store_dwordx4 off, v[0:3], off offset:772 ; 16-byte Folded Spill
	s_nop 0
	scratch_store_dwordx4 off, v[4:7], off offset:788 ; 16-byte Folded Spill
	scratch_store_dwordx4 off, v[8:11], off offset:804 ; 16-byte Folded Spill
	;; [unrolled: 1-line block ×7, first 2 shown]
	v_mov_b32_e32 v18, v196
	v_mov_b32_e32 v26, v196
	;; [unrolled: 1-line block ×20, first 2 shown]
	v_mov_b64_e32 v[246:247], v[222:223]
	v_mov_b64_e32 v[244:245], v[220:221]
	;; [unrolled: 1-line block ×7, first 2 shown]
	v_mov_b32_e32 v172, v196
	v_mov_b32_e32 v173, v197
	v_mov_b64_e32 v[232:233], v[208:209]
	v_mov_b64_e32 v[230:231], v[206:207]
	;; [unrolled: 1-line block ×7, first 2 shown]
	v_mov_b32_e32 v14, v196
	v_mov_b32_e32 v15, v197
	;; [unrolled: 1-line block ×14, first 2 shown]
	s_movk_i32 s2, 0x1204
	v_mov_b32_e32 v162, v220
	v_mov_b32_e32 v163, v221
	v_cmp_lt_u32_e32 vcc, 1, v255
	v_mov_b32_e32 v29, v3
	v_mov_b32_e32 v28, v16
	;; [unrolled: 1-line block ×5, first 2 shown]
	v_mov_b64_e32 v[6:7], v[26:27]
	v_mov_b32_e32 v20, v16
	v_mov_b32_e32 v21, v3
	v_mov_b64_e32 v[86:87], v[22:23]
	v_mov_b64_e32 v[8:9], v[28:29]
	v_mov_b32_e32 v34, v16
	v_mov_b32_e32 v35, v9
	;; [unrolled: 1-line block ×5, first 2 shown]
	s_waitcnt vmcnt(8)
	v_mov_b32_e32 v62, v40
	v_mov_b64_e32 v[70:71], v[8:9]
	v_mov_b32_e32 v2, v16
	v_mov_b64_e32 v[84:85], v[20:21]
	v_mov_b64_e32 v[82:83], v[18:19]
	v_mov_b32_e32 v61, v39
	v_mov_b32_e32 v60, v38
	;; [unrolled: 1-line block ×10, first 2 shown]
	v_mov_b64_e32 v[68:69], v[6:7]
	v_mov_b64_e32 v[108:109], v[86:87]
	v_mov_b32_e32 v175, v9
	v_mov_b32_e32 v153, v9
	;; [unrolled: 1-line block ×14, first 2 shown]
	v_mov_b64_e32 v[106:107], v[84:85]
	v_mov_b64_e32 v[104:105], v[82:83]
	v_mov_b32_e32 v89, v71
	scratch_store_dwordx4 off, v[54:57], off offset:2308 ; 16-byte Folded Spill
	s_nop 0
	scratch_store_dwordx4 off, v[58:61], off offset:2324 ; 16-byte Folded Spill
	scratch_store_dwordx4 off, v[62:65], off offset:2340 ; 16-byte Folded Spill
	;; [unrolled: 1-line block ×7, first 2 shown]
	v_mov_b32_e32 v178, v24
	v_mov_b32_e32 v174, v16
	;; [unrolled: 1-line block ×9, first 2 shown]
	v_mov_b64_e32 v[204:205], v[178:179]
	v_mov_b32_e32 v154, v4
	v_mov_b32_e32 v44, v16
	;; [unrolled: 1-line block ×20, first 2 shown]
	v_mov_b64_e32 v[216:217], v[120:121]
	v_mov_b64_e32 v[218:219], v[122:123]
	;; [unrolled: 1-line block ×7, first 2 shown]
	v_mov_b32_e32 v152, v16
	v_mov_b32_e32 v155, v87
	;; [unrolled: 1-line block ×3, first 2 shown]
	v_mov_b64_e32 v[214:215], v[118:119]
	v_mov_b64_e32 v[212:213], v[116:117]
	;; [unrolled: 1-line block ×5, first 2 shown]
	v_mov_b32_e32 v110, v220
	v_mov_b32_e32 v111, v221
	;; [unrolled: 1-line block ×10, first 2 shown]
	v_mov_b64_e32 v[142:143], v[8:9]
	v_mov_b64_e32 v[140:141], v[6:7]
	;; [unrolled: 1-line block ×5, first 2 shown]
	v_mov_b32_e32 v146, v12
	v_mov_b32_e32 v98, v12
	;; [unrolled: 1-line block ×3, first 2 shown]
	v_mov_b64_e32 v[178:179], v[50:51]
	v_mov_b64_e32 v[176:177], v[48:49]
	;; [unrolled: 1-line block ×5, first 2 shown]
	v_mov_b32_e32 v5, v109
	scratch_store_dwordx4 off, v[126:129], off offset:2564 ; 16-byte Folded Spill
	s_nop 0
	scratch_store_dwordx4 off, v[130:133], off offset:2580 ; 16-byte Folded Spill
	scratch_store_dwordx4 off, v[134:137], off offset:2596 ; 16-byte Folded Spill
	;; [unrolled: 1-line block ×8, first 2 shown]
	s_nop 0
	scratch_store_dwordx4 off, v[174:177], off offset:2452 ; 16-byte Folded Spill
	scratch_store_dwordx4 off, v[178:181], off offset:2468 ; 16-byte Folded Spill
	;; [unrolled: 1-line block ×7, first 2 shown]
	v_mov_b32_e32 v161, v25
	v_mov_b32_e32 v94, v62
	;; [unrolled: 1-line block ×5, first 2 shown]
	scratch_store_dwordx4 off, v[86:89], off offset:260 ; 16-byte Folded Spill
	s_nop 0
	scratch_store_dwordx4 off, v[90:93], off offset:276 ; 16-byte Folded Spill
	scratch_store_dwordx4 off, v[94:97], off offset:292 ; 16-byte Folded Spill
	;; [unrolled: 1-line block ×7, first 2 shown]
	v_mov_b64_e32 v[22:23], v[68:69]
	v_mov_b64_e32 v[24:25], v[70:71]
	scratch_store_dwordx4 off, v[22:25], s2 ; 16-byte Folded Spill
	s_nop 0
	scratch_store_dwordx4 off, v[26:29], s2 offset:16 ; 16-byte Folded Spill
	scratch_store_dwordx4 off, v[30:33], s2 offset:32 ; 16-byte Folded Spill
	;; [unrolled: 1-line block ×7, first 2 shown]
	v_mov_b32_e32 v19, v15
	v_mov_b32_e32 v18, v14
	;; [unrolled: 1-line block ×27, first 2 shown]
	scratch_store_dwordx4 off, v[104:107], off offset:3844 ; 16-byte Folded Spill
	s_nop 0
	scratch_store_dwordx4 off, v[108:111], off offset:3860 ; 16-byte Folded Spill
	scratch_store_dwordx4 off, v[112:115], off offset:3876 ; 16-byte Folded Spill
	;; [unrolled: 1-line block ×7, first 2 shown]
	scratch_load_dwordx4 v[58:61], off, off offset:2308 ; 16-byte Folded Reload
	scratch_load_dwordx4 v[62:65], off, off offset:2324 ; 16-byte Folded Reload
	;; [unrolled: 1-line block ×8, first 2 shown]
	v_mov_b32_e32 v166, v30
	v_mov_b32_e32 v171, v41
	;; [unrolled: 1-line block ×4, first 2 shown]
	s_waitcnt vmcnt(3)
	v_mov_b32_e32 v76, v102
	v_mov_b32_e32 v61, v25
	;; [unrolled: 1-line block ×3, first 2 shown]
	scratch_store_dwordx4 off, v[134:137], off offset:516 ; 16-byte Folded Spill
	s_nop 0
	scratch_store_dwordx4 off, v[138:141], off offset:532 ; 16-byte Folded Spill
	scratch_store_dwordx4 off, v[142:145], off offset:548 ; 16-byte Folded Spill
	;; [unrolled: 1-line block ×8, first 2 shown]
	s_nop 0
	scratch_store_dwordx4 off, v[210:213], off offset:404 ; 16-byte Folded Spill
	scratch_store_dwordx4 off, v[214:217], off offset:420 ; 16-byte Folded Spill
	scratch_store_dwordx4 off, v[218:221], off offset:436 ; 16-byte Folded Spill
	scratch_store_dwordx4 off, v[222:225], off offset:452 ; 16-byte Folded Spill
	scratch_store_dwordx4 off, v[226:229], off offset:468 ; 16-byte Folded Spill
	scratch_store_dwordx4 off, v[230:233], off offset:484 ; 16-byte Folded Spill
	scratch_store_dwordx4 off, v[234:237], off offset:500 ; 16-byte Folded Spill
	v_mov_b32_e32 v168, v132
	v_mov_b32_e32 v170, v66
	;; [unrolled: 1-line block ×3, first 2 shown]
	v_mov_b64_e32 v[142:143], v[178:179]
	scratch_store_dwordx4 off, v[90:93], off offset:2948 ; 16-byte Folded Spill
	s_nop 0
	scratch_store_dwordx4 off, v[94:97], off offset:2964 ; 16-byte Folded Spill
	scratch_store_dwordx4 off, v[98:101], off offset:2980 ; 16-byte Folded Spill
	;; [unrolled: 1-line block ×8, first 2 shown]
	s_nop 0
	scratch_store_dwordx4 off, v[30:33], off offset:3732 ; 16-byte Folded Spill
	scratch_store_dwordx4 off, v[34:37], off offset:3748 ; 16-byte Folded Spill
	;; [unrolled: 1-line block ×7, first 2 shown]
	v_mov_b64_e32 v[22:23], v[198:199]
	v_mov_b64_e32 v[24:25], v[200:201]
	;; [unrolled: 1-line block ×4, first 2 shown]
	v_mov_b32_e32 v54, v122
	v_mov_b32_e32 v55, v123
	;; [unrolled: 1-line block ×5, first 2 shown]
	v_mov_b64_e32 v[126:127], v[162:163]
	v_mov_b64_e32 v[128:129], v[164:165]
	;; [unrolled: 1-line block ×22, first 2 shown]
	scratch_load_dwordx4 v[206:209], off, off offset:2564 ; 16-byte Folded Reload
	scratch_load_dwordx4 v[210:213], off, off offset:2580 ; 16-byte Folded Reload
	scratch_load_dwordx4 v[214:217], off, off offset:2596 ; 16-byte Folded Reload
	scratch_load_dwordx4 v[218:221], off, off offset:2612 ; 16-byte Folded Reload
	scratch_load_dwordx4 v[222:225], off, off offset:2628 ; 16-byte Folded Reload
	scratch_load_dwordx4 v[226:229], off, off offset:2644 ; 16-byte Folded Reload
	scratch_load_dwordx4 v[230:233], off, off offset:2660 ; 16-byte Folded Reload
	scratch_load_dwordx4 v[234:237], off, off offset:2676 ; 16-byte Folded Reload
	v_mov_b32_e32 v62, v30
	scratch_store_dwordx4 off, v[22:25], off offset:2820 ; 16-byte Folded Spill
	s_nop 0
	scratch_store_dwordx4 off, v[26:29], off offset:2836 ; 16-byte Folded Spill
	scratch_store_dwordx4 off, v[30:33], off offset:2852 ; 16-byte Folded Spill
	scratch_store_dwordx4 off, v[34:37], off offset:2868 ; 16-byte Folded Spill
	scratch_store_dwordx4 off, v[38:41], off offset:2884 ; 16-byte Folded Spill
	scratch_store_dwordx4 off, v[42:45], off offset:2900 ; 16-byte Folded Spill
	scratch_store_dwordx4 off, v[46:49], off offset:2916 ; 16-byte Folded Spill
	scratch_store_dwordx4 off, v[50:53], off offset:2932 ; 16-byte Folded Spill
	v_mov_b64_e32 v[42:43], v[110:111]
	v_mov_b32_e32 v63, v109
	v_mov_b64_e32 v[44:45], v[112:113]
	v_mov_b64_e32 v[46:47], v[114:115]
	;; [unrolled: 1-line block ×5, first 2 shown]
	v_mov_b32_e32 v58, v170
	v_mov_b32_e32 v59, v171
	;; [unrolled: 1-line block ×10, first 2 shown]
	s_waitcnt vmcnt(9)
	v_mov_b32_e32 v232, v160
	v_mov_b32_e32 v64, v212
	scratch_load_dwordx4 v[198:201], off, off offset:2308 ; 16-byte Folded Reload
	scratch_load_dwordx4 v[202:205], off, off offset:2324 ; 16-byte Folded Reload
	;; [unrolled: 1-line block ×8, first 2 shown]
	v_mov_b32_e32 v65, v29
	v_mov_b32_e32 v94, v30
	;; [unrolled: 1-line block ×3, first 2 shown]
	v_mov_b64_e32 v[28:29], v[32:33]
	v_mov_b64_e32 v[30:31], v[34:35]
	;; [unrolled: 1-line block ×5, first 2 shown]
	v_mov_b32_e32 v67, v41
	s_waitcnt vmcnt(5)
	v_mov_b32_e32 v78, v198
	v_mov_b32_e32 v79, v199
	;; [unrolled: 1-line block ×9, first 2 shown]
	scratch_load_dwordx4 v[198:201], off, off offset:2436 ; 16-byte Folded Reload
	scratch_load_dwordx4 v[202:205], off, off offset:2452 ; 16-byte Folded Reload
	;; [unrolled: 1-line block ×8, first 2 shown]
	v_mov_b32_e32 v66, v86
	v_mov_b32_e32 v98, v86
	s_waitcnt vmcnt(5)
	v_mov_b32_e32 v69, v209
	scratch_load_dwordx4 v[198:201], off, off offset:516 ; 16-byte Folded Reload
	scratch_load_dwordx4 v[202:205], off, off offset:532 ; 16-byte Folded Reload
	scratch_load_dwordx4 v[206:209], off, off offset:548 ; 16-byte Folded Reload
	scratch_load_dwordx4 v[210:213], off, off offset:564 ; 16-byte Folded Reload
	scratch_load_dwordx4 v[214:217], off, off offset:580 ; 16-byte Folded Reload
	scratch_load_dwordx4 v[218:221], off, off offset:596 ; 16-byte Folded Reload
	scratch_load_dwordx4 v[222:225], off, off offset:612 ; 16-byte Folded Reload
	scratch_load_dwordx4 v[226:229], off, off offset:628 ; 16-byte Folded Reload
	s_waitcnt vmcnt(4)
	v_mov_b32_e32 v70, v210
	scratch_load_dwordx4 v[198:201], off, off offset:388 ; 16-byte Folded Reload
	scratch_load_dwordx4 v[202:205], off, off offset:404 ; 16-byte Folded Reload
	scratch_load_dwordx4 v[206:209], off, off offset:420 ; 16-byte Folded Reload
	scratch_load_dwordx4 v[210:213], off, off offset:436 ; 16-byte Folded Reload
	scratch_load_dwordx4 v[214:217], off, off offset:452 ; 16-byte Folded Reload
	scratch_load_dwordx4 v[218:221], off, off offset:468 ; 16-byte Folded Reload
	scratch_load_dwordx4 v[222:225], off, off offset:484 ; 16-byte Folded Reload
	scratch_load_dwordx4 v[226:229], off, off offset:500 ; 16-byte Folded Reload
	;; [unrolled: 10-line block ×3, first 2 shown]
	s_waitcnt vmcnt(4)
	v_mov_b64_e32 v[104:105], v[198:199]
	v_mov_b64_e32 v[106:107], v[200:201]
	;; [unrolled: 1-line block ×8, first 2 shown]
	scratch_load_dwordx4 v[198:201], off, s2 ; 16-byte Folded Reload
	scratch_load_dwordx4 v[202:205], off, s2 offset:16 ; 16-byte Folded Reload
	scratch_load_dwordx4 v[206:209], off, s2 offset:32 ; 16-byte Folded Reload
	;; [unrolled: 1-line block ×7, first 2 shown]
	v_mov_b32_e32 v73, v119
	v_mov_b32_e32 v105, v119
	;; [unrolled: 1-line block ×6, first 2 shown]
	s_waitcnt vmcnt(7)
	v_mov_b32_e32 v93, v201
	scratch_load_dwordx4 v[198:201], off, off offset:3844 ; 16-byte Folded Reload
	scratch_load_dwordx4 v[202:205], off, off offset:3860 ; 16-byte Folded Reload
	;; [unrolled: 1-line block ×8, first 2 shown]
	s_waitcnt vmcnt(6)
	v_mov_b32_e32 v95, v203
	scratch_load_dwordx4 v[200:203], off, off offset:2564 ; 16-byte Folded Reload
	scratch_load_dwordx4 v[204:207], off, off offset:2580 ; 16-byte Folded Reload
	;; [unrolled: 1-line block ×8, first 2 shown]
	s_nop 0
	scratch_store_dwordx4 off, v[28:31], off offset:1540 ; 16-byte Folded Spill
	s_nop 0
	scratch_store_dwordx4 off, v[32:35], off offset:1556 ; 16-byte Folded Spill
	scratch_store_dwordx4 off, v[36:39], off offset:1572 ; 16-byte Folded Spill
	;; [unrolled: 1-line block ×7, first 2 shown]
	v_mov_b32_e32 v34, v74
	v_mov_b32_e32 v35, v75
	;; [unrolled: 1-line block ×3, first 2 shown]
	s_waitcnt vmcnt(14)
	v_mov_b32_e32 v96, v206
	scratch_load_dwordx4 v[198:201], off, off offset:2436 ; 16-byte Folded Reload
	scratch_load_dwordx4 v[202:205], off, off offset:2452 ; 16-byte Folded Reload
	;; [unrolled: 1-line block ×8, first 2 shown]
	v_mov_b32_e32 v104, v56
	v_mov_b32_e32 v99, v37
	s_waitcnt vmcnt(5)
	v_mov_b32_e32 v101, v209
	scratch_load_dwordx4 v[200:203], off, off offset:516 ; 16-byte Folded Reload
	scratch_load_dwordx4 v[204:207], off, off offset:532 ; 16-byte Folded Reload
	;; [unrolled: 1-line block ×8, first 2 shown]
	s_waitcnt vmcnt(0)
	v_mov_b32_e32 v231, v37
	v_mov_b32_e32 v102, v212
	scratch_load_dwordx4 v[198:201], off, off offset:388 ; 16-byte Folded Reload
	scratch_load_dwordx4 v[202:205], off, off offset:404 ; 16-byte Folded Reload
	;; [unrolled: 1-line block ×8, first 2 shown]
	s_nop 0
	scratch_store_dwordx4 off, v[42:45], off offset:1028 ; 16-byte Folded Spill
	s_nop 0
	scratch_store_dwordx4 off, v[46:49], off offset:1044 ; 16-byte Folded Spill
	scratch_store_dwordx4 off, v[50:53], off offset:1060 ; 16-byte Folded Spill
	;; [unrolled: 1-line block ×7, first 2 shown]
	s_waitcnt vmcnt(10)
	v_mov_b64_e32 v[218:219], v[108:109]
	v_mov_b64_e32 v[216:217], v[106:107]
	s_waitcnt vmcnt(9)
	v_mov_b32_e32 v222, v170
	v_mov_b32_e32 v223, v171
	;; [unrolled: 1-line block ×3, first 2 shown]
	v_mov_b64_e32 v[18:19], v[58:59]
	v_mov_b64_e32 v[20:21], v[60:61]
	;; [unrolled: 1-line block ×8, first 2 shown]
	scratch_load_dwordx4 v[38:41], off, off offset:2948 ; 16-byte Folded Reload
	scratch_load_dwordx4 v[42:45], off, off offset:2964 ; 16-byte Folded Reload
	;; [unrolled: 1-line block ×8, first 2 shown]
	v_mov_b32_e32 v103, v211
	v_mov_b64_e32 v[214:215], v[104:105]
	v_mov_b64_e32 v[212:213], v[102:103]
	;; [unrolled: 1-line block ×16, first 2 shown]
	s_waitcnt vmcnt(7)
	v_mov_b32_e32 v224, v40
	scratch_load_dwordx4 v[38:41], off, s2  ; 16-byte Folded Reload
	scratch_load_dwordx4 v[42:45], off, s2 offset:16 ; 16-byte Folded Reload
	scratch_load_dwordx4 v[46:49], off, s2 offset:32 ; 16-byte Folded Reload
	;; [unrolled: 1-line block ×7, first 2 shown]
	s_movk_i32 s2, 0x1184
	s_waitcnt vmcnt(7)
	v_mov_b32_e32 v225, v41
	scratch_load_dwordx4 v[38:41], off, off offset:3716 ; 16-byte Folded Reload
	scratch_load_dwordx4 v[42:45], off, off offset:3732 ; 16-byte Folded Reload
	scratch_load_dwordx4 v[46:49], off, off offset:3748 ; 16-byte Folded Reload
	scratch_load_dwordx4 v[50:53], off, off offset:3764 ; 16-byte Folded Reload
	scratch_load_dwordx4 v[54:57], off, off offset:3780 ; 16-byte Folded Reload
	scratch_load_dwordx4 v[58:61], off, off offset:3796 ; 16-byte Folded Reload
	scratch_load_dwordx4 v[62:65], off, off offset:3812 ; 16-byte Folded Reload
	scratch_load_dwordx4 v[66:69], off, off offset:3828 ; 16-byte Folded Reload
	s_waitcnt vmcnt(6)
	v_mov_b32_e32 v226, v42
	scratch_load_dwordx4 v[38:41], off, off offset:3844 ; 16-byte Folded Reload
	scratch_load_dwordx4 v[42:45], off, off offset:3860 ; 16-byte Folded Reload
	scratch_load_dwordx4 v[46:49], off, off offset:3876 ; 16-byte Folded Reload
	scratch_load_dwordx4 v[50:53], off, off offset:3892 ; 16-byte Folded Reload
	scratch_load_dwordx4 v[54:57], off, off offset:3908 ; 16-byte Folded Reload
	scratch_load_dwordx4 v[58:61], off, off offset:3924 ; 16-byte Folded Reload
	scratch_load_dwordx4 v[62:65], off, off offset:3940 ; 16-byte Folded Reload
	scratch_load_dwordx4 v[66:69], off, off offset:3956 ; 16-byte Folded Reload
	;; [unrolled: 10-line block ×5, first 2 shown]
	scratch_load_dwordx4 v[50:53], off, off offset:2436 ; 16-byte Folded Reload
	scratch_load_dwordx4 v[54:57], off, off offset:2452 ; 16-byte Folded Reload
	;; [unrolled: 1-line block ×16, first 2 shown]
	s_waitcnt vmcnt(21)
	v_mov_b32_e32 v230, v46
	s_waitcnt vmcnt(13)
	v_mov_b64_e32 v[38:39], v[50:51]
	v_mov_b64_e32 v[40:41], v[52:53]
	s_waitcnt vmcnt(4)
	v_mov_b32_e32 v234, v74
	scratch_load_dwordx4 v[62:65], off, off offset:388 ; 16-byte Folded Reload
	scratch_load_dwordx4 v[66:69], off, off offset:404 ; 16-byte Folded Reload
	;; [unrolled: 1-line block ×8, first 2 shown]
	v_mov_b64_e32 v[42:43], v[54:55]
	v_mov_b64_e32 v[44:45], v[56:57]
	v_mov_b64_e32 v[46:47], v[58:59]
	v_mov_b64_e32 v[48:49], v[60:61]
	v_mov_b32_e32 v233, v49
	s_waitcnt vmcnt(4)
	v_mov_b32_e32 v235, v75
	scratch_load_dwordx4 v[62:65], off, off offset:1028 ; 16-byte Folded Reload
	scratch_load_dwordx4 v[66:69], off, off offset:1044 ; 16-byte Folded Reload
	;; [unrolled: 1-line block ×8, first 2 shown]
	s_waitcnt vmcnt(4)
	v_mov_b32_e32 v236, v76
	scratch_load_dwordx4 v[64:67], off, off offset:260 ; 16-byte Folded Reload
	scratch_load_dwordx4 v[68:71], off, off offset:276 ; 16-byte Folded Reload
	;; [unrolled: 1-line block ×8, first 2 shown]
	s_nop 0
	scratch_store_dwordx4 off, v[126:129], s2 ; 16-byte Folded Spill
	s_nop 0
	scratch_store_dwordx4 off, v[130:133], s2 offset:16 ; 16-byte Folded Spill
	scratch_store_dwordx4 off, v[134:137], s2 offset:32 ; 16-byte Folded Spill
	;; [unrolled: 1-line block ×7, first 2 shown]
	scratch_store_dwordx4 off, v[0:3], off offset:3332 ; 16-byte Folded Spill
	s_nop 0
	scratch_store_dwordx4 off, v[4:7], off offset:3348 ; 16-byte Folded Spill
	scratch_store_dwordx4 off, v[8:11], off offset:3364 ; 16-byte Folded Spill
	;; [unrolled: 1-line block ×7, first 2 shown]
	scratch_load_dwordx4 v[0:3], off, off offset:2948 ; 16-byte Folded Reload
	s_nop 0
	scratch_load_dwordx4 v[4:7], off, off offset:2964 ; 16-byte Folded Reload
	scratch_load_dwordx4 v[8:11], off, off offset:2980 ; 16-byte Folded Reload
	;; [unrolled: 1-line block ×7, first 2 shown]
	s_movk_i32 s2, 0x1204
	v_mov_b32_e32 v128, v170
	v_mov_b32_e32 v129, v171
	v_mov_b64_e32 v[162:163], v[170:171]
	v_mov_b64_e32 v[164:165], v[172:173]
	v_mov_b64_e32 v[166:167], v[174:175]
	v_mov_b64_e32 v[168:169], v[176:177]
	v_mov_b64_e32 v[170:171], v[178:179]
	v_mov_b64_e32 v[172:173], v[180:181]
	v_mov_b64_e32 v[174:175], v[182:183]
	v_mov_b64_e32 v[176:177], v[184:185]
	v_mov_b64_e32 v[178:179], v[186:187]
	v_mov_b64_e32 v[180:181], v[188:189]
	v_mov_b64_e32 v[182:183], v[190:191]
	v_mov_b64_e32 v[184:185], v[192:193]
	v_mov_b64_e32 v[186:187], v[194:195]
	v_mov_b64_e32 v[188:189], v[196:197]
	v_mov_b32_e32 v126, v36
	v_mov_b32_e32 v125, v35
	;; [unrolled: 1-line block ×9, first 2 shown]
	s_waitcnt vmcnt(7)
	v_mov_b32_e32 v130, v2
	scratch_load_dwordx4 v[0:3], off, s2    ; 16-byte Folded Reload
	scratch_load_dwordx4 v[4:7], off, s2 offset:16 ; 16-byte Folded Reload
	scratch_load_dwordx4 v[8:11], off, s2 offset:32 ; 16-byte Folded Reload
	;; [unrolled: 1-line block ×7, first 2 shown]
	v_mov_b32_e32 v237, v79
	s_movk_i32 s2, 0x1184
	s_waitcnt vmcnt(7)
	v_mov_b32_e32 v131, v3
	scratch_load_dwordx4 v[0:3], off, off offset:3716 ; 16-byte Folded Reload
	scratch_load_dwordx4 v[4:7], off, off offset:3732 ; 16-byte Folded Reload
	scratch_load_dwordx4 v[8:11], off, off offset:3748 ; 16-byte Folded Reload
	scratch_load_dwordx4 v[12:15], off, off offset:3764 ; 16-byte Folded Reload
	scratch_load_dwordx4 v[16:19], off, off offset:3780 ; 16-byte Folded Reload
	scratch_load_dwordx4 v[20:23], off, off offset:3796 ; 16-byte Folded Reload
	scratch_load_dwordx4 v[24:27], off, off offset:3812 ; 16-byte Folded Reload
	scratch_load_dwordx4 v[28:31], off, off offset:3828 ; 16-byte Folded Reload
	s_waitcnt vmcnt(6)
	v_mov_b32_e32 v132, v4
	scratch_load_dwordx4 v[0:3], off, off offset:3844 ; 16-byte Folded Reload
	scratch_load_dwordx4 v[4:7], off, off offset:3860 ; 16-byte Folded Reload
	scratch_load_dwordx4 v[8:11], off, off offset:3876 ; 16-byte Folded Reload
	scratch_load_dwordx4 v[12:15], off, off offset:3892 ; 16-byte Folded Reload
	scratch_load_dwordx4 v[16:19], off, off offset:3908 ; 16-byte Folded Reload
	scratch_load_dwordx4 v[20:23], off, off offset:3924 ; 16-byte Folded Reload
	scratch_load_dwordx4 v[24:27], off, off offset:3940 ; 16-byte Folded Reload
	scratch_load_dwordx4 v[28:31], off, off offset:3956 ; 16-byte Folded Reload
	s_waitcnt vmcnt(6)
	v_mov_b64_e32 v[194:195], v[4:5]
	v_mov_b64_e32 v[192:193], v[2:3]
	v_mov_b64_e32 v[190:191], v[0:1]
	scratch_load_dwordx4 v[0:3], off, off offset:2564 ; 16-byte Folded Reload
	scratch_load_dwordx4 v[4:7], off, off offset:2580 ; 16-byte Folded Reload
	;; [unrolled: 1-line block ×8, first 2 shown]
	v_mov_b32_e32 v133, v195
	s_waitcnt vmcnt(6)
	v_mov_b32_e32 v134, v6
	scratch_load_dwordx4 v[0:3], off, off offset:2820 ; 16-byte Folded Reload
	scratch_load_dwordx4 v[4:7], off, off offset:2836 ; 16-byte Folded Reload
	;; [unrolled: 1-line block ×8, first 2 shown]
	s_waitcnt vmcnt(6)
	v_mov_b32_e32 v135, v7
	scratch_load_dwordx4 v[0:3], off, off offset:2308 ; 16-byte Folded Reload
	scratch_load_dwordx4 v[4:7], off, off offset:2324 ; 16-byte Folded Reload
	;; [unrolled: 1-line block ×8, first 2 shown]
	s_waitcnt vmcnt(5)
	v_mov_b32_e32 v104, v8
	v_mov_b32_e32 v103, v7
	;; [unrolled: 1-line block ×9, first 2 shown]
	scratch_load_dwordx4 v[0:3], off, off offset:1540 ; 16-byte Folded Reload
	scratch_load_dwordx4 v[4:7], off, off offset:1556 ; 16-byte Folded Reload
	;; [unrolled: 1-line block ×16, first 2 shown]
	v_mov_b32_e32 v136, v104
	s_waitcnt vmcnt(13)
	v_mov_b32_e32 v137, v9
	scratch_load_dwordx4 v[0:3], off, off offset:388 ; 16-byte Folded Reload
	scratch_load_dwordx4 v[4:7], off, off offset:404 ; 16-byte Folded Reload
	;; [unrolled: 1-line block ×8, first 2 shown]
	s_waitcnt vmcnt(12)
	v_mov_b32_e32 v140, v44
	s_waitcnt vmcnt(4)
	v_mov_b64_e32 v[62:63], v[12:13]
	scratch_load_dwordx4 v[0:3], off, off offset:1028 ; 16-byte Folded Reload
	scratch_load_dwordx4 v[4:7], off, off offset:1044 ; 16-byte Folded Reload
	;; [unrolled: 1-line block ×16, first 2 shown]
	s_waitcnt vmcnt(4)
	v_mov_b32_e32 v76, v44
	v_mov_b32_e32 v141, v63
	;; [unrolled: 1-line block ×3, first 2 shown]
	scratch_load_dwordx4 v[0:3], off, off offset:3332 ; 16-byte Folded Reload
	scratch_load_dwordx4 v[4:7], off, off offset:3348 ; 16-byte Folded Reload
	;; [unrolled: 1-line block ×8, first 2 shown]
	v_mov_b32_e32 v143, v79
	s_waitcnt vmcnt(3)
	v_mov_b32_e32 v144, v16
	scratch_load_dwordx4 v[0:3], off, s2    ; 16-byte Folded Reload
	scratch_load_dwordx4 v[4:7], off, s2 offset:16 ; 16-byte Folded Reload
	scratch_load_dwordx4 v[8:11], off, s2 offset:32 ; 16-byte Folded Reload
	;; [unrolled: 1-line block ×7, first 2 shown]
	s_waitcnt vmcnt(0)
	v_mov_b32_e32 v30, v96
	s_movk_i32 s2, 0x1104
	scratch_store_dwordx4 off, v[108:111], off offset:644 ; 16-byte Folded Spill
	s_nop 0
	scratch_store_dwordx4 off, v[112:115], off offset:660 ; 16-byte Folded Spill
	scratch_store_dwordx4 off, v[116:119], off offset:676 ; 16-byte Folded Spill
	;; [unrolled: 1-line block ×7, first 2 shown]
	v_mov_b32_e32 v31, v97
	scratch_store_dwordx4 off, v[150:153], s2 ; 16-byte Folded Spill
	s_nop 0
	scratch_store_dwordx4 off, v[154:157], s2 offset:16 ; 16-byte Folded Spill
	scratch_store_dwordx4 off, v[158:161], s2 offset:32 ; 16-byte Folded Spill
	;; [unrolled: 1-line block ×7, first 2 shown]
	s_movk_i32 s2, 0x1204
	v_mov_b32_e32 v32, v98
	v_mov_b32_e32 v33, v99
	v_mov_b32_e32 v34, v100
	v_mov_b32_e32 v35, v101
	v_mov_b32_e32 v36, v102
	v_mov_b32_e32 v37, v103
	v_mov_b32_e32 v38, v104
	v_mov_b64_e32 v[150:151], v[190:191]
	v_mov_b64_e32 v[152:153], v[192:193]
	;; [unrolled: 1-line block ×3, first 2 shown]
	v_mov_b32_e32 v191, v219
	v_mov_b32_e32 v192, v242
	v_mov_b64_e32 v[108:109], v[128:129]
	v_mov_b32_e32 v145, v17
	scratch_load_dwordx4 v[0:3], off, s2    ; 16-byte Folded Reload
	scratch_load_dwordx4 v[4:7], off, s2 offset:16 ; 16-byte Folded Reload
	scratch_load_dwordx4 v[8:11], off, s2 offset:32 ; 16-byte Folded Reload
	;; [unrolled: 1-line block ×7, first 2 shown]
	v_mov_b64_e32 v[110:111], v[130:131]
	v_mov_b64_e32 v[112:113], v[132:133]
	;; [unrolled: 1-line block ×10, first 2 shown]
	s_movk_i32 s2, 0x1184
	v_mov_b32_e32 v193, v129
	v_mov_b32_e32 v195, v161
	s_waitcnt vmcnt(7)
	v_mov_b64_e32 v[106:107], v[2:3]
	v_mov_b64_e32 v[104:105], v[0:1]
	scratch_load_dwordx4 v[0:3], off, off offset:3716 ; 16-byte Folded Reload
	scratch_load_dwordx4 v[4:7], off, off offset:3732 ; 16-byte Folded Reload
	scratch_load_dwordx4 v[8:11], off, off offset:3748 ; 16-byte Folded Reload
	scratch_load_dwordx4 v[12:15], off, off offset:3764 ; 16-byte Folded Reload
	scratch_load_dwordx4 v[16:19], off, off offset:3780 ; 16-byte Folded Reload
	scratch_load_dwordx4 v[20:23], off, off offset:3796 ; 16-byte Folded Reload
	scratch_load_dwordx4 v[24:27], off, off offset:3812 ; 16-byte Folded Reload
	scratch_load_dwordx4 v[28:31], off, off offset:3828 ; 16-byte Folded Reload
	v_mov_b64_e32 v[100:101], v[104:105]
	v_mov_b64_e32 v[102:103], v[106:107]
	s_waitcnt vmcnt(6)
	v_mov_b32_e32 v48, v4
	v_mov_b32_e32 v47, v3
	;; [unrolled: 1-line block ×5, first 2 shown]
	scratch_load_dwordx4 v[0:3], off, off offset:772 ; 16-byte Folded Reload
	scratch_load_dwordx4 v[4:7], off, off offset:788 ; 16-byte Folded Reload
	;; [unrolled: 1-line block ×8, first 2 shown]
	s_waitcnt vmcnt(4)
	v_mov_b64_e32 v[0:1], v[162:163]
	v_mov_b64_e32 v[2:3], v[164:165]
	;; [unrolled: 1-line block ×8, first 2 shown]
	v_mov_b32_e32 v172, v0
	v_mov_b32_e32 v173, v1
	;; [unrolled: 1-line block ×11, first 2 shown]
	s_waitcnt vmcnt(2)
	v_mov_b32_e32 v194, v22
	s_waitcnt vmcnt(1)
	v_mov_b64_e32 v[16:17], v[178:179]
	v_mov_b64_e32 v[18:19], v[180:181]
	;; [unrolled: 1-line block ×6, first 2 shown]
	scratch_store_dwordx4 off, v[0:3], off offset:4 ; 16-byte Folded Spill
	s_nop 0
	scratch_store_dwordx4 off, v[4:7], off offset:20 ; 16-byte Folded Spill
	scratch_store_dwordx4 off, v[8:11], off offset:36 ; 16-byte Folded Spill
	;; [unrolled: 1-line block ×6, first 2 shown]
	s_waitcnt vmcnt(7)
	scratch_store_dwordx4 off, v[28:31], off offset:116 ; 16-byte Folded Spill
	scratch_load_dwordx4 v[4:7], off, off offset:2948 ; 16-byte Folded Reload
	s_nop 0
	scratch_load_dwordx4 v[8:11], off, off offset:2964 ; 16-byte Folded Reload
	scratch_load_dwordx4 v[12:15], off, off offset:2980 ; 16-byte Folded Reload
	;; [unrolled: 1-line block ×7, first 2 shown]
	v_mov_b32_e32 v184, v76
	v_mov_b32_e32 v185, v63
	;; [unrolled: 1-line block ×4, first 2 shown]
	s_waitcnt vmcnt(7)
	v_mov_b32_e32 v174, v6
	scratch_load_dwordx4 v[0:3], off, off offset:2564 ; 16-byte Folded Reload
	scratch_load_dwordx4 v[4:7], off, off offset:2580 ; 16-byte Folded Reload
	scratch_load_dwordx4 v[8:11], off, off offset:2596 ; 16-byte Folded Reload
	scratch_load_dwordx4 v[12:15], off, off offset:2612 ; 16-byte Folded Reload
	scratch_load_dwordx4 v[16:19], off, off offset:2628 ; 16-byte Folded Reload
	scratch_load_dwordx4 v[20:23], off, off offset:2644 ; 16-byte Folded Reload
	scratch_load_dwordx4 v[24:27], off, off offset:2660 ; 16-byte Folded Reload
	scratch_load_dwordx4 v[28:31], off, off offset:2676 ; 16-byte Folded Reload
	s_waitcnt vmcnt(6)
	v_mov_b32_e32 v178, v6
	scratch_load_dwordx4 v[0:3], off, off offset:2820 ; 16-byte Folded Reload
	scratch_load_dwordx4 v[4:7], off, off offset:2836 ; 16-byte Folded Reload
	scratch_load_dwordx4 v[8:11], off, off offset:2852 ; 16-byte Folded Reload
	scratch_load_dwordx4 v[12:15], off, off offset:2868 ; 16-byte Folded Reload
	scratch_load_dwordx4 v[16:19], off, off offset:2884 ; 16-byte Folded Reload
	scratch_load_dwordx4 v[20:23], off, off offset:2900 ; 16-byte Folded Reload
	scratch_load_dwordx4 v[24:27], off, off offset:2916 ; 16-byte Folded Reload
	scratch_load_dwordx4 v[28:31], off, off offset:2932 ; 16-byte Folded Reload
	;; [unrolled: 10-line block ×3, first 2 shown]
	s_waitcnt vmcnt(5)
	v_mov_b64_e32 v[144:145], v[8:9]
	v_mov_b64_e32 v[142:143], v[6:7]
	;; [unrolled: 1-line block ×5, first 2 shown]
	scratch_load_dwordx4 v[0:3], off, off offset:2436 ; 16-byte Folded Reload
	scratch_load_dwordx4 v[4:7], off, off offset:2452 ; 16-byte Folded Reload
	;; [unrolled: 1-line block ×8, first 2 shown]
	v_mov_b32_e32 v181, v145
	s_waitcnt vmcnt(5)
	v_mov_b32_e32 v183, v11
	scratch_load_dwordx4 v[0:3], off, off offset:1028 ; 16-byte Folded Reload
	scratch_load_dwordx4 v[4:7], off, off offset:1044 ; 16-byte Folded Reload
	;; [unrolled: 1-line block ×16, first 2 shown]
	s_waitcnt vmcnt(13)
	v_mov_b64_e32 v[140:141], v[10:11]
	s_waitcnt vmcnt(12)
	v_mov_b32_e32 v144, v14
	v_mov_b64_e32 v[138:139], v[8:9]
	v_mov_b64_e32 v[136:137], v[6:7]
	;; [unrolled: 1-line block ×5, first 2 shown]
	v_mov_b32_e32 v143, v13
	v_mov_b32_e32 v142, v12
	scratch_load_dwordx4 v[0:3], off, off offset:3332 ; 16-byte Folded Reload
	scratch_load_dwordx4 v[4:7], off, off offset:3348 ; 16-byte Folded Reload
	;; [unrolled: 1-line block ×8, first 2 shown]
	v_mov_b32_e32 v186, v144
	s_waitcnt vmcnt(12)
	v_mov_b32_e32 v187, v65
	s_waitcnt vmcnt(3)
	v_mov_b32_e32 v188, v16
	scratch_load_dwordx4 v[0:3], off, s2    ; 16-byte Folded Reload
	scratch_load_dwordx4 v[4:7], off, s2 offset:16 ; 16-byte Folded Reload
	scratch_load_dwordx4 v[8:11], off, s2 offset:32 ; 16-byte Folded Reload
	;; [unrolled: 1-line block ×7, first 2 shown]
	s_movk_i32 s2, 0x1104
	s_waitcnt vmcnt(3)
	v_mov_b64_e32 v[98:99], v[16:17]
	scratch_load_dwordx4 v[0:3], off, off offset:644 ; 16-byte Folded Reload
	scratch_load_dwordx4 v[4:7], off, off offset:660 ; 16-byte Folded Reload
	;; [unrolled: 1-line block ×8, first 2 shown]
	s_nop 0
	scratch_store_dwordx4 off, v[108:111], off offset:1156 ; 16-byte Folded Spill
	s_nop 0
	scratch_store_dwordx4 off, v[112:115], off offset:1172 ; 16-byte Folded Spill
	scratch_store_dwordx4 off, v[116:119], off offset:1188 ; 16-byte Folded Spill
	;; [unrolled: 1-line block ×7, first 2 shown]
	scratch_load_dwordx4 v[28:31], off, off offset:4 ; 16-byte Folded Reload
	scratch_load_dwordx4 v[32:35], off, off offset:20 ; 16-byte Folded Reload
	;; [unrolled: 1-line block ×8, first 2 shown]
	v_mov_b32_e32 v189, v99
	v_mov_b32_e32 v116, v142
	;; [unrolled: 1-line block ×4, first 2 shown]
	v_mov_b64_e32 v[130:131], v[102:103]
	v_mov_b64_e32 v[128:129], v[100:101]
	s_waitcnt vmcnt(19)
	v_mov_b32_e32 v190, v18
	v_mov_b64_e32 v[4:5], v[172:173]
	v_mov_b64_e32 v[6:7], v[174:175]
	;; [unrolled: 1-line block ×8, first 2 shown]
	s_waitcnt vmcnt(7)
	v_mov_b32_e32 v172, v28
	v_mov_b32_e32 v173, v29
	scratch_load_dwordx4 v[28:31], off, off offset:2948 ; 16-byte Folded Reload
	scratch_load_dwordx4 v[32:35], off, off offset:2964 ; 16-byte Folded Reload
	;; [unrolled: 1-line block ×8, first 2 shown]
	v_mov_b32_e32 v20, v188
	v_mov_b32_e32 v21, v189
	;; [unrolled: 1-line block ×12, first 2 shown]
	v_mov_b64_e32 v[0:1], v[4:5]
	v_mov_b64_e32 v[2:3], v[6:7]
	v_mov_b64_e32 v[4:5], v[8:9]
	v_mov_b64_e32 v[6:7], v[10:11]
	v_mov_b64_e32 v[8:9], v[12:13]
	v_mov_b64_e32 v[10:11], v[14:15]
	v_mov_b64_e32 v[12:13], v[16:17]
	v_mov_b64_e32 v[14:15], v[18:19]
	v_mov_b32_e32 v16, v20
	v_mov_b32_e32 v17, v21
	;; [unrolled: 1-line block ×7, first 2 shown]
	s_waitcnt vmcnt(7)
	v_mov_b32_e32 v174, v30
	scratch_load_dwordx4 v[28:31], off, off offset:2564 ; 16-byte Folded Reload
	scratch_load_dwordx4 v[32:35], off, off offset:2580 ; 16-byte Folded Reload
	;; [unrolled: 1-line block ×16, first 2 shown]
	s_waitcnt vmcnt(14)
	v_mov_b32_e32 v178, v34
	s_waitcnt vmcnt(6)
	v_mov_b32_e32 v179, v57
	scratch_load_dwordx4 v[50:53], off, off offset:2308 ; 16-byte Folded Reload
	scratch_load_dwordx4 v[54:57], off, off offset:2324 ; 16-byte Folded Reload
	;; [unrolled: 1-line block ×8, first 2 shown]
	s_waitcnt vmcnt(5)
	v_mov_b32_e32 v180, v58
	scratch_load_dwordx4 v[50:53], off, s2  ; 16-byte Folded Reload
	scratch_load_dwordx4 v[54:57], off, s2 offset:16 ; 16-byte Folded Reload
	scratch_load_dwordx4 v[58:61], off, s2 offset:32 ; 16-byte Folded Reload
	;; [unrolled: 1-line block ×7, first 2 shown]
	scratch_load_dwordx4 v[28:31], off, off offset:2436 ; 16-byte Folded Reload
	scratch_load_dwordx4 v[32:35], off, off offset:2452 ; 16-byte Folded Reload
	;; [unrolled: 1-line block ×8, first 2 shown]
	s_waitcnt vmcnt(13)
	v_mov_b32_e32 v182, v60
	scratch_load_dwordx4 v[50:53], off, off offset:516 ; 16-byte Folded Reload
	scratch_load_dwordx4 v[54:57], off, off offset:532 ; 16-byte Folded Reload
	;; [unrolled: 1-line block ×8, first 2 shown]
	s_waitcnt vmcnt(13)
	v_mov_b32_e32 v183, v39
	s_waitcnt vmcnt(4)
	v_mov_b32_e32 v184, v62
	scratch_load_dwordx4 v[50:53], off, off offset:388 ; 16-byte Folded Reload
	scratch_load_dwordx4 v[54:57], off, off offset:404 ; 16-byte Folded Reload
	;; [unrolled: 1-line block ×8, first 2 shown]
	s_waitcnt vmcnt(4)
	v_mov_b32_e32 v185, v63
	scratch_load_dwordx4 v[50:53], off, off offset:260 ; 16-byte Folded Reload
	scratch_load_dwordx4 v[54:57], off, off offset:276 ; 16-byte Folded Reload
	;; [unrolled: 1-line block ×16, first 2 shown]
	s_waitcnt vmcnt(12)
	v_mov_b32_e32 v187, v65
	s_waitcnt vmcnt(3)
	v_mov_b32_e32 v188, v44
	scratch_load_dwordx4 v[28:31], off, off offset:644 ; 16-byte Folded Reload
	scratch_load_dwordx4 v[32:35], off, off offset:660 ; 16-byte Folded Reload
	;; [unrolled: 1-line block ×16, first 2 shown]
	s_waitcnt vmcnt(11)
	v_mov_b32_e32 v190, v46
	scratch_load_dwordx4 v[28:31], off, off offset:4 ; 16-byte Folded Reload
	scratch_load_dwordx4 v[32:35], off, off offset:20 ; 16-byte Folded Reload
	scratch_load_dwordx4 v[36:39], off, off offset:36 ; 16-byte Folded Reload
	scratch_load_dwordx4 v[40:43], off, off offset:52 ; 16-byte Folded Reload
	scratch_load_dwordx4 v[44:47], off, off offset:68 ; 16-byte Folded Reload
	scratch_load_dwordx4 v[48:51], off, off offset:84 ; 16-byte Folded Reload
	scratch_load_dwordx4 v[52:55], off, off offset:100 ; 16-byte Folded Reload
	scratch_load_dwordx4 v[56:59], off, off offset:116 ; 16-byte Folded Reload
	s_waitcnt vmcnt(10)
	v_mov_b32_e32 v193, v71
	scratch_store_dwordx4 off, v[172:175], off offset:900 ; 16-byte Folded Spill
	s_nop 0
	scratch_store_dwordx4 off, v[176:179], off offset:916 ; 16-byte Folded Spill
	scratch_store_dwordx4 off, v[180:183], off offset:932 ; 16-byte Folded Spill
	;; [unrolled: 1-line block ×7, first 2 shown]
	s_waitcnt vmcnt(8)
	v_mov_b64_e32 v[64:65], v[42:43]
	v_mov_b64_e32 v[62:63], v[40:41]
	;; [unrolled: 1-line block ×4, first 2 shown]
	scratch_load_dwordx4 v[58:61], off, off offset:4 ; 16-byte Folded Reload
	scratch_load_dwordx4 v[62:65], off, off offset:20 ; 16-byte Folded Reload
	scratch_load_dwordx4 v[66:69], off, off offset:36 ; 16-byte Folded Reload
	scratch_load_dwordx4 v[70:73], off, off offset:52 ; 16-byte Folded Reload
	scratch_load_dwordx4 v[74:77], off, off offset:68 ; 16-byte Folded Reload
	scratch_load_dwordx4 v[78:81], off, off offset:84 ; 16-byte Folded Reload
	scratch_load_dwordx4 v[82:85], off, off offset:100 ; 16-byte Folded Reload
	scratch_load_dwordx4 v[86:89], off, off offset:116 ; 16-byte Folded Reload
	v_mov_b64_e32 v[56:57], v[34:35]
	v_mov_b64_e32 v[54:55], v[32:33]
	v_mov_b64_e32 v[52:53], v[30:31]
	v_mov_b64_e32 v[50:51], v[28:29]
	v_mov_b32_e32 v37, v155
	v_mov_b32_e32 v35, v103
	;; [unrolled: 1-line block ×11, first 2 shown]
	s_waitcnt vmcnt(7)
	v_mov_b32_e32 v32, v58
	scratch_load_dwordx4 v[58:61], off, off offset:4 ; 16-byte Folded Reload
	scratch_load_dwordx4 v[62:65], off, off offset:20 ; 16-byte Folded Reload
	;; [unrolled: 1-line block ×8, first 2 shown]
	s_waitcnt vmcnt(7)
	v_mov_b32_e32 v33, v59
	scratch_load_dwordx4 v[58:61], off, off offset:2948 ; 16-byte Folded Reload
	scratch_load_dwordx4 v[62:65], off, off offset:2964 ; 16-byte Folded Reload
	;; [unrolled: 1-line block ×16, first 2 shown]
	s_waitcnt vmcnt(1)
	v_mov_b32_e32 v158, v104
	s_waitcnt vmcnt(0)
	v_mov_b32_e32 v163, v219
	v_mov_b32_e32 v34, v60
	scratch_load_dwordx4 v[58:61], off, off offset:2820 ; 16-byte Folded Reload
	scratch_load_dwordx4 v[62:65], off, off offset:2836 ; 16-byte Folded Reload
	;; [unrolled: 1-line block ×8, first 2 shown]
	v_mov_b32_e32 v150, v138
	v_mov_b32_e32 v144, v132
	;; [unrolled: 1-line block ×10, first 2 shown]
	s_waitcnt vmcnt(6)
	v_mov_b32_e32 v39, v65
	scratch_load_dwordx4 v[58:61], off, off offset:2308 ; 16-byte Folded Reload
	scratch_load_dwordx4 v[62:65], off, off offset:2324 ; 16-byte Folded Reload
	;; [unrolled: 1-line block ×8, first 2 shown]
	s_waitcnt vmcnt(5)
	v_mov_b32_e32 v40, v66
	scratch_load_dwordx4 v[58:61], off, off offset:1540 ; 16-byte Folded Reload
	scratch_load_dwordx4 v[62:65], off, off offset:1556 ; 16-byte Folded Reload
	;; [unrolled: 1-line block ×8, first 2 shown]
	s_waitcnt vmcnt(5)
	v_mov_b32_e32 v41, v67
	scratch_load_dwordx4 v[58:61], off, s2  ; 16-byte Folded Reload
	scratch_load_dwordx4 v[62:65], off, s2 offset:16 ; 16-byte Folded Reload
	scratch_load_dwordx4 v[66:69], off, s2 offset:32 ; 16-byte Folded Reload
	;; [unrolled: 1-line block ×7, first 2 shown]
	s_movk_i32 s2, 0x1184
	s_waitcnt vmcnt(5)
	v_mov_b32_e32 v42, v68
	scratch_load_dwordx4 v[58:61], off, off offset:2436 ; 16-byte Folded Reload
	scratch_load_dwordx4 v[62:65], off, off offset:2452 ; 16-byte Folded Reload
	scratch_load_dwordx4 v[66:69], off, off offset:2468 ; 16-byte Folded Reload
	scratch_load_dwordx4 v[70:73], off, off offset:2484 ; 16-byte Folded Reload
	scratch_load_dwordx4 v[74:77], off, off offset:2500 ; 16-byte Folded Reload
	scratch_load_dwordx4 v[78:81], off, off offset:2516 ; 16-byte Folded Reload
	scratch_load_dwordx4 v[82:85], off, off offset:2532 ; 16-byte Folded Reload
	scratch_load_dwordx4 v[86:89], off, off offset:2548 ; 16-byte Folded Reload
	s_waitcnt vmcnt(5)
	v_mov_b32_e32 v43, v69
	scratch_load_dwordx4 v[58:61], off, off offset:516 ; 16-byte Folded Reload
	scratch_load_dwordx4 v[62:65], off, off offset:532 ; 16-byte Folded Reload
	scratch_load_dwordx4 v[66:69], off, off offset:548 ; 16-byte Folded Reload
	scratch_load_dwordx4 v[70:73], off, off offset:564 ; 16-byte Folded Reload
	scratch_load_dwordx4 v[74:77], off, off offset:580 ; 16-byte Folded Reload
	scratch_load_dwordx4 v[78:81], off, off offset:596 ; 16-byte Folded Reload
	scratch_load_dwordx4 v[82:85], off, off offset:612 ; 16-byte Folded Reload
	scratch_load_dwordx4 v[86:89], off, off offset:628 ; 16-byte Folded Reload
	;; [unrolled: 10-line block ×5, first 2 shown]
	s_waitcnt vmcnt(3)
	v_mov_b32_e32 v48, v74
	scratch_load_dwordx4 v[58:61], off, s2  ; 16-byte Folded Reload
	scratch_load_dwordx4 v[62:65], off, s2 offset:16 ; 16-byte Folded Reload
	scratch_load_dwordx4 v[66:69], off, s2 offset:32 ; 16-byte Folded Reload
	;; [unrolled: 1-line block ×7, first 2 shown]
	s_movk_i32 s2, 0x1104
	s_waitcnt vmcnt(3)
	v_mov_b32_e32 v49, v75
	scratch_load_dwordx4 v[58:61], off, off offset:644 ; 16-byte Folded Reload
	scratch_load_dwordx4 v[62:65], off, off offset:660 ; 16-byte Folded Reload
	;; [unrolled: 1-line block ×8, first 2 shown]
	s_waitcnt vmcnt(4)
	v_mov_b64_e32 v[186:187], v[72:73]
	s_waitcnt vmcnt(3)
	v_mov_b32_e32 v190, v76
	v_mov_b64_e32 v[184:185], v[70:71]
	v_mov_b64_e32 v[182:183], v[68:69]
	;; [unrolled: 1-line block ×7, first 2 shown]
	v_mov_b32_e32 v189, v75
	v_mov_b32_e32 v188, v74
	scratch_load_dwordx4 v[58:61], off, off offset:1156 ; 16-byte Folded Reload
	scratch_load_dwordx4 v[62:65], off, off offset:1172 ; 16-byte Folded Reload
	scratch_load_dwordx4 v[66:69], off, off offset:1188 ; 16-byte Folded Reload
	scratch_load_dwordx4 v[70:73], off, off offset:1204 ; 16-byte Folded Reload
	scratch_load_dwordx4 v[74:77], off, off offset:1220 ; 16-byte Folded Reload
	scratch_load_dwordx4 v[78:81], off, off offset:1236 ; 16-byte Folded Reload
	scratch_load_dwordx4 v[82:85], off, off offset:1252 ; 16-byte Folded Reload
	scratch_load_dwordx4 v[86:89], off, off offset:1268 ; 16-byte Folded Reload
	v_mov_b32_e32 v162, v190
	v_mov_b32_e32 v50, v190
	s_waitcnt vmcnt(2)
	v_mov_b32_e32 v53, v79
	scratch_load_dwordx4 v[58:61], off, off offset:900 ; 16-byte Folded Reload
	scratch_load_dwordx4 v[62:65], off, off offset:916 ; 16-byte Folded Reload
	scratch_load_dwordx4 v[66:69], off, off offset:932 ; 16-byte Folded Reload
	scratch_load_dwordx4 v[70:73], off, off offset:948 ; 16-byte Folded Reload
	scratch_load_dwordx4 v[74:77], off, off offset:964 ; 16-byte Folded Reload
	scratch_load_dwordx4 v[78:81], off, off offset:980 ; 16-byte Folded Reload
	scratch_load_dwordx4 v[82:85], off, off offset:996 ; 16-byte Folded Reload
	scratch_load_dwordx4 v[86:89], off, off offset:1012 ; 16-byte Folded Reload
	s_waitcnt vmcnt(2)
	v_mov_b32_e32 v55, v81
	scratch_load_dwordx4 v[58:61], off, off offset:4 ; 16-byte Folded Reload
	scratch_load_dwordx4 v[62:65], off, off offset:20 ; 16-byte Folded Reload
	scratch_load_dwordx4 v[66:69], off, off offset:36 ; 16-byte Folded Reload
	scratch_load_dwordx4 v[70:73], off, off offset:52 ; 16-byte Folded Reload
	scratch_load_dwordx4 v[74:77], off, off offset:68 ; 16-byte Folded Reload
	scratch_load_dwordx4 v[78:81], off, off offset:84 ; 16-byte Folded Reload
	scratch_load_dwordx4 v[82:85], off, off offset:100 ; 16-byte Folded Reload
	scratch_load_dwordx4 v[86:89], off, off offset:116 ; 16-byte Folded Reload
	;; [unrolled: 10-line block ×9, first 2 shown]
	s_waitcnt vmcnt(5)
	v_mov_b32_e32 v153, v67
	scratch_load_dwordx4 v[58:61], off, s2  ; 16-byte Folded Reload
	scratch_load_dwordx4 v[62:65], off, s2 offset:16 ; 16-byte Folded Reload
	scratch_load_dwordx4 v[66:69], off, s2 offset:32 ; 16-byte Folded Reload
	scratch_load_dwordx4 v[70:73], off, s2 offset:48 ; 16-byte Folded Reload
	scratch_load_dwordx4 v[74:77], off, s2 offset:64 ; 16-byte Folded Reload
	scratch_load_dwordx4 v[78:81], off, s2 offset:80 ; 16-byte Folded Reload
	scratch_load_dwordx4 v[82:85], off, s2 offset:96 ; 16-byte Folded Reload
	scratch_load_dwordx4 v[86:89], off, s2 offset:112 ; 16-byte Folded Reload
	s_movk_i32 s2, 0x1184
	s_waitcnt vmcnt(5)
	v_mov_b32_e32 v154, v68
	scratch_load_dwordx4 v[58:61], off, off offset:2436 ; 16-byte Folded Reload
	scratch_load_dwordx4 v[62:65], off, off offset:2452 ; 16-byte Folded Reload
	scratch_load_dwordx4 v[66:69], off, off offset:2468 ; 16-byte Folded Reload
	scratch_load_dwordx4 v[70:73], off, off offset:2484 ; 16-byte Folded Reload
	scratch_load_dwordx4 v[74:77], off, off offset:2500 ; 16-byte Folded Reload
	scratch_load_dwordx4 v[78:81], off, off offset:2516 ; 16-byte Folded Reload
	scratch_load_dwordx4 v[82:85], off, off offset:2532 ; 16-byte Folded Reload
	scratch_load_dwordx4 v[86:89], off, off offset:2548 ; 16-byte Folded Reload
	s_waitcnt vmcnt(5)
	v_mov_b32_e32 v155, v69
	scratch_load_dwordx4 v[58:61], off, off offset:516 ; 16-byte Folded Reload
	scratch_load_dwordx4 v[62:65], off, off offset:532 ; 16-byte Folded Reload
	scratch_load_dwordx4 v[66:69], off, off offset:548 ; 16-byte Folded Reload
	scratch_load_dwordx4 v[70:73], off, off offset:564 ; 16-byte Folded Reload
	scratch_load_dwordx4 v[74:77], off, off offset:580 ; 16-byte Folded Reload
	scratch_load_dwordx4 v[78:81], off, off offset:596 ; 16-byte Folded Reload
	scratch_load_dwordx4 v[82:85], off, off offset:612 ; 16-byte Folded Reload
	scratch_load_dwordx4 v[86:89], off, off offset:628 ; 16-byte Folded Reload
	;; [unrolled: 10-line block ×5, first 2 shown]
	s_waitcnt vmcnt(3)
	v_mov_b32_e32 v160, v74
	scratch_load_dwordx4 v[58:61], off, s2  ; 16-byte Folded Reload
	scratch_load_dwordx4 v[62:65], off, s2 offset:16 ; 16-byte Folded Reload
	scratch_load_dwordx4 v[66:69], off, s2 offset:32 ; 16-byte Folded Reload
	;; [unrolled: 1-line block ×7, first 2 shown]
	scratch_load_dwordx4 v[96:99], off, off offset:1156 ; 16-byte Folded Reload
	scratch_load_dwordx4 v[100:103], off, off offset:1172 ; 16-byte Folded Reload
	;; [unrolled: 1-line block ×8, first 2 shown]
	s_waitcnt vmcnt(4)
	v_mov_b64_e32 v[110:111], v[14:15]
	v_mov_b64_e32 v[108:109], v[12:13]
	;; [unrolled: 1-line block ×8, first 2 shown]
	s_movk_i32 s2, 0x15e8
	v_mov_b64_e32 v[92:93], v[72:73]
	v_mov_b64_e32 v[94:95], v[74:75]
	v_mov_b32_e32 v161, v95
	s_waitcnt vmcnt(2)
	v_mov_b32_e32 v165, v117
	v_mov_b32_e32 v118, v22
	;; [unrolled: 1-line block ×8, first 2 shown]
	scratch_load_dwordx4 v[0:3], off, off offset:900 ; 16-byte Folded Reload
	scratch_load_dwordx4 v[4:7], off, off offset:916 ; 16-byte Folded Reload
	;; [unrolled: 1-line block ×8, first 2 shown]
	s_waitcnt lgkmcnt(0)
	s_barrier
	s_waitcnt vmcnt(0)
	ds_read_b32 v31, v250
	v_mov_b64_e32 v[90:91], v[70:71]
	v_mov_b64_e32 v[88:89], v[68:69]
	v_mov_b64_e32 v[86:87], v[66:67]
	v_mov_b64_e32 v[84:85], v[64:65]
	v_mov_b64_e32 v[82:83], v[62:63]
	v_mov_b64_e32 v[80:81], v[60:61]
	v_mov_b64_e32 v[78:79], v[58:59]
	v_mov_b64_e32 v[58:59], v[172:173]
	v_mov_b32_e32 v166, v118
	v_mov_b64_e32 v[0:1], v[144:145]
	v_mov_b64_e32 v[60:61], v[174:175]
	;; [unrolled: 1-line block ×10, first 2 shown]
	v_mov_b32_e32 v25, v249
	v_mov_b32_e32 v24, v56
	s_waitcnt lgkmcnt(0)
	scratch_store_dword off, v31, s2        ; 4-byte Folded Spill
	v_mov_b64_e32 v[72:73], v[186:187]
	v_mov_b64_e32 v[64:65], v[178:179]
	;; [unrolled: 1-line block ×5, first 2 shown]
	s_movk_i32 s2, 0x1484
	v_mov_b32_e32 v152, v118
	v_mov_b32_e32 v74, v188
	v_mov_b32_e32 v75, v189
	v_mov_b32_e32 v76, v190
	v_mov_b64_e32 v[196:197], v[92:93]
	v_mov_b64_e32 v[194:195], v[90:91]
	;; [unrolled: 1-line block ×8, first 2 shown]
	v_mov_b32_e32 v89, v249
	v_mov_b32_e32 v172, v76
	;; [unrolled: 1-line block ×5, first 2 shown]
	v_mov_b64_e32 v[198:199], v[94:95]
	v_mov_b32_e32 v143, v199
	v_mov_b32_e32 v167, v23
	v_mov_b64_e32 v[16:17], v[160:161]
	v_mov_b64_e32 v[18:19], v[162:163]
	;; [unrolled: 1-line block ×4, first 2 shown]
	scratch_store_dwordx4 off, v[0:3], off offset:644 ; 16-byte Folded Spill
	s_nop 0
	scratch_store_dwordx4 off, v[4:7], off offset:660 ; 16-byte Folded Spill
	scratch_store_dwordx4 off, v[8:11], off offset:676 ; 16-byte Folded Spill
	;; [unrolled: 1-line block ×8, first 2 shown]
	s_nop 0
	scratch_store_dwordx4 off, v[36:39], off offset:788 ; 16-byte Folded Spill
	scratch_store_dwordx4 off, v[40:43], off offset:804 ; 16-byte Folded Spill
	;; [unrolled: 1-line block ×7, first 2 shown]
	v_mov_b64_e32 v[168:169], v[72:73]
	v_mov_b64_e32 v[166:167], v[70:71]
	;; [unrolled: 1-line block ×8, first 2 shown]
	scratch_load_dwordx4 v[32:35], off, off offset:4 ; 16-byte Folded Reload
	scratch_load_dwordx4 v[36:39], off, off offset:20 ; 16-byte Folded Reload
	;; [unrolled: 1-line block ×8, first 2 shown]
	s_waitcnt vmcnt(4)
	v_mov_b64_e32 v[0:1], v[32:33]
	v_mov_b64_e32 v[2:3], v[34:35]
	;; [unrolled: 1-line block ×3, first 2 shown]
	s_waitcnt vmcnt(1)
	v_mov_b64_e32 v[16:17], v[48:49]
	v_mov_b64_e32 v[6:7], v[38:39]
	;; [unrolled: 1-line block ×11, first 2 shown]
	scratch_load_dwordx4 v[28:31], off, off offset:900 ; 16-byte Folded Reload
	scratch_load_dwordx4 v[32:35], off, off offset:916 ; 16-byte Folded Reload
	;; [unrolled: 1-line block ×8, first 2 shown]
	s_waitcnt vmcnt(2)
	v_mov_b32_e32 v153, v51
	scratch_store_dwordx4 off, v[28:31], off offset:900 ; 16-byte Folded Spill
	s_nop 0
	scratch_store_dwordx4 off, v[32:35], off offset:916 ; 16-byte Folded Spill
	scratch_store_dwordx4 off, v[36:39], off offset:932 ; 16-byte Folded Spill
	;; [unrolled: 1-line block ×5, first 2 shown]
	s_waitcnt vmcnt(7)
	scratch_store_dwordx4 off, v[52:55], off offset:996 ; 16-byte Folded Spill
	s_waitcnt vmcnt(7)
	scratch_store_dwordx4 off, v[56:59], off offset:1012 ; 16-byte Folded Spill
	scratch_store_dwordx4 off, v[96:99], s2 ; 16-byte Folded Spill
	s_nop 0
	scratch_store_dwordx4 off, v[100:103], s2 offset:16 ; 16-byte Folded Spill
	scratch_store_dwordx4 off, v[104:107], s2 offset:32 ; 16-byte Folded Spill
	;; [unrolled: 1-line block ×7, first 2 shown]
	scratch_load_dwordx4 v[32:35], off, off offset:1156 ; 16-byte Folded Reload
	scratch_load_dwordx4 v[36:39], off, off offset:1172 ; 16-byte Folded Reload
	;; [unrolled: 1-line block ×8, first 2 shown]
	v_mov_b64_e32 v[104:105], v[14:15]
	v_mov_b64_e32 v[102:103], v[12:13]
	;; [unrolled: 1-line block ×14, first 2 shown]
	s_movk_i32 s2, 0x1104
	s_waitcnt vmcnt(2)
	v_mov_b32_e32 v135, v53
	scratch_store_dwordx4 off, v[32:35], off offset:1284 ; 16-byte Folded Spill
	s_nop 0
	scratch_store_dwordx4 off, v[36:39], off offset:1300 ; 16-byte Folded Spill
	scratch_store_dwordx4 off, v[40:43], off offset:1316 ; 16-byte Folded Spill
	;; [unrolled: 1-line block ×5, first 2 shown]
	s_waitcnt vmcnt(7)
	scratch_store_dwordx4 off, v[56:59], off offset:1380 ; 16-byte Folded Spill
	s_waitcnt vmcnt(7)
	scratch_store_dwordx4 off, v[60:63], off offset:1396 ; 16-byte Folded Spill
	v_mov_b32_e32 v32, v242
	scratch_store_dwordx4 off, v[222:225], off offset:1412 ; 16-byte Folded Spill
	s_nop 0
	scratch_store_dwordx4 off, v[226:229], off offset:1428 ; 16-byte Folded Spill
	scratch_store_dwordx4 off, v[230:233], off offset:1444 ; 16-byte Folded Spill
	;; [unrolled: 1-line block ×7, first 2 shown]
	v_mov_b32_e32 v33, v219
	scratch_store_dwordx4 off, v[200:203], off offset:1668 ; 16-byte Folded Spill
	s_nop 0
	scratch_store_dwordx4 off, v[204:207], off offset:1684 ; 16-byte Folded Spill
	scratch_store_dwordx4 off, v[208:211], off offset:1700 ; 16-byte Folded Spill
	scratch_store_dwordx4 off, v[212:215], off offset:1716 ; 16-byte Folded Spill
	scratch_store_dwordx4 off, v[216:219], off offset:1732 ; 16-byte Folded Spill
	scratch_store_dwordx4 off, v[220:223], off offset:1748 ; 16-byte Folded Spill
	scratch_store_dwordx4 off, v[224:227], off offset:1764 ; 16-byte Folded Spill
	scratch_store_dwordx4 off, v[228:231], off offset:1780 ; 16-byte Folded Spill
	scratch_store_dwordx4 off, v[154:157], off offset:1796 ; 16-byte Folded Spill
	s_nop 0
	scratch_store_dwordx4 off, v[158:161], off offset:1812 ; 16-byte Folded Spill
	scratch_store_dwordx4 off, v[162:165], off offset:1828 ; 16-byte Folded Spill
	scratch_store_dwordx4 off, v[166:169], off offset:1844 ; 16-byte Folded Spill
	scratch_store_dwordx4 off, v[170:173], off offset:1860 ; 16-byte Folded Spill
	scratch_store_dwordx4 off, v[174:177], off offset:1876 ; 16-byte Folded Spill
	scratch_store_dwordx4 off, v[178:181], off offset:1892 ; 16-byte Folded Spill
	scratch_store_dwordx4 off, v[182:185], off offset:1908 ; 16-byte Folded Spill
	;; [unrolled: 9-line block ×3, first 2 shown]
	scratch_load_dwordx4 v[34:37], off, off offset:3332 ; 16-byte Folded Reload
	scratch_load_dwordx4 v[38:41], off, off offset:3348 ; 16-byte Folded Reload
	;; [unrolled: 1-line block ×8, first 2 shown]
	s_waitcnt vmcnt(3)
	v_mov_b32_e32 v146, v50
	scratch_store_dwordx4 off, v[34:37], off offset:1156 ; 16-byte Folded Spill
	s_nop 0
	scratch_store_dwordx4 off, v[38:41], off offset:1172 ; 16-byte Folded Spill
	scratch_store_dwordx4 off, v[42:45], off offset:1188 ; 16-byte Folded Spill
	;; [unrolled: 1-line block ×4, first 2 shown]
	s_waitcnt vmcnt(7)
	scratch_store_dwordx4 off, v[54:57], off offset:1236 ; 16-byte Folded Spill
	s_waitcnt vmcnt(7)
	scratch_store_dwordx4 off, v[58:61], off offset:1252 ; 16-byte Folded Spill
	;; [unrolled: 2-line block ×3, first 2 shown]
	scratch_load_dwordx4 v[34:37], off, off offset:260 ; 16-byte Folded Reload
	s_nop 0
	scratch_load_dwordx4 v[38:41], off, off offset:276 ; 16-byte Folded Reload
	scratch_load_dwordx4 v[42:45], off, off offset:292 ; 16-byte Folded Reload
	;; [unrolled: 1-line block ×7, first 2 shown]
	s_waitcnt vmcnt(4)
	v_mov_b64_e32 v[0:1], v[34:35]
	v_mov_b64_e32 v[2:3], v[36:37]
	;; [unrolled: 1-line block ×8, first 2 shown]
	scratch_store_dwordx4 off, v[0:3], off offset:2180 ; 16-byte Folded Spill
	s_nop 0
	scratch_store_dwordx4 off, v[4:7], off offset:2196 ; 16-byte Folded Spill
	scratch_store_dwordx4 off, v[8:11], off offset:2212 ; 16-byte Folded Spill
	;; [unrolled: 1-line block ×7, first 2 shown]
	scratch_load_dwordx4 v[0:3], off, off offset:1028 ; 16-byte Folded Reload
	s_nop 0
	scratch_load_dwordx4 v[4:7], off, off offset:1044 ; 16-byte Folded Reload
	scratch_load_dwordx4 v[8:11], off, off offset:1060 ; 16-byte Folded Reload
	;; [unrolled: 1-line block ×7, first 2 shown]
	s_waitcnt vmcnt(7)
	scratch_store_dwordx4 off, v[0:3], off offset:2052 ; 16-byte Folded Spill
	s_waitcnt vmcnt(7)
	scratch_store_dwordx4 off, v[4:7], off offset:2068 ; 16-byte Folded Spill
	;; [unrolled: 2-line block ×8, first 2 shown]
	scratch_load_dwordx4 v[34:37], off, off offset:388 ; 16-byte Folded Reload
	scratch_load_dwordx4 v[38:41], off, off offset:404 ; 16-byte Folded Reload
	;; [unrolled: 1-line block ×8, first 2 shown]
	s_waitcnt vmcnt(5)
	v_mov_b64_e32 v[0:1], v[34:35]
	v_mov_b64_e32 v[2:3], v[36:37]
	;; [unrolled: 1-line block ×6, first 2 shown]
	s_waitcnt vmcnt(4)
	v_mov_b64_e32 v[12:13], v[46:47]
	scratch_store_dwordx4 off, v[0:3], off offset:2692 ; 16-byte Folded Spill
	s_nop 0
	scratch_store_dwordx4 off, v[4:7], off offset:2708 ; 16-byte Folded Spill
	scratch_store_dwordx4 off, v[8:11], off offset:2724 ; 16-byte Folded Spill
	;; [unrolled: 1-line block ×7, first 2 shown]
	scratch_load_dwordx4 v[156:159], off, off offset:516 ; 16-byte Folded Reload
	scratch_load_dwordx4 v[160:163], off, off offset:532 ; 16-byte Folded Reload
	scratch_load_dwordx4 v[164:167], off, off offset:548 ; 16-byte Folded Reload
	scratch_load_dwordx4 v[168:171], off, off offset:564 ; 16-byte Folded Reload
	scratch_load_dwordx4 v[172:175], off, off offset:580 ; 16-byte Folded Reload
	scratch_load_dwordx4 v[176:179], off, off offset:596 ; 16-byte Folded Reload
	scratch_load_dwordx4 v[180:183], off, off offset:612 ; 16-byte Folded Reload
	scratch_load_dwordx4 v[184:187], off, off offset:628 ; 16-byte Folded Reload
	s_waitcnt vmcnt(7)
	scratch_store_dwordx4 off, v[156:159], off offset:3076 ; 16-byte Folded Spill
	s_waitcnt vmcnt(7)
	scratch_store_dwordx4 off, v[160:163], off offset:3092 ; 16-byte Folded Spill
	;; [unrolled: 2-line block ×8, first 2 shown]
	scratch_load_dwordx4 v[34:37], off, off offset:2436 ; 16-byte Folded Reload
	scratch_load_dwordx4 v[38:41], off, off offset:2452 ; 16-byte Folded Reload
	;; [unrolled: 1-line block ×8, first 2 shown]
	s_waitcnt vmcnt(5)
	v_mov_b64_e32 v[0:1], v[34:35]
	v_mov_b64_e32 v[2:3], v[36:37]
	;; [unrolled: 1-line block ×6, first 2 shown]
	v_mov_b32_e32 v181, v11
	scratch_store_dwordx4 off, v[0:3], off offset:3204 ; 16-byte Folded Spill
	s_nop 0
	scratch_store_dwordx4 off, v[4:7], off offset:3220 ; 16-byte Folded Spill
	scratch_store_dwordx4 off, v[8:11], off offset:3236 ; 16-byte Folded Spill
	;; [unrolled: 1-line block ×7, first 2 shown]
	scratch_load_dwordx4 v[34:37], off, s2  ; 16-byte Folded Reload
	scratch_load_dwordx4 v[38:41], off, s2 offset:16 ; 16-byte Folded Reload
	scratch_load_dwordx4 v[42:45], off, s2 offset:32 ; 16-byte Folded Reload
	;; [unrolled: 1-line block ×7, first 2 shown]
	s_movk_i32 s2, 0x1084
	s_waitcnt vmcnt(5)
	v_mov_b32_e32 v0, v34
	v_mov_b32_e32 v1, v35
	;; [unrolled: 1-line block ×11, first 2 shown]
	scratch_store_dwordx4 off, v[0:3], off offset:3460 ; 16-byte Folded Spill
	s_nop 0
	scratch_store_dwordx4 off, v[4:7], off offset:3476 ; 16-byte Folded Spill
	scratch_store_dwordx4 off, v[8:11], off offset:3492 ; 16-byte Folded Spill
	;; [unrolled: 1-line block ×7, first 2 shown]
	scratch_load_dwordx4 v[34:37], off, off offset:1540 ; 16-byte Folded Reload
	scratch_load_dwordx4 v[38:41], off, off offset:1556 ; 16-byte Folded Reload
	;; [unrolled: 1-line block ×8, first 2 shown]
	s_waitcnt vmcnt(5)
	v_mov_b64_e32 v[0:1], v[34:35]
	v_mov_b64_e32 v[2:3], v[36:37]
	;; [unrolled: 1-line block ×5, first 2 shown]
	scratch_store_dwordx4 off, v[0:3], off offset:3588 ; 16-byte Folded Spill
	s_nop 0
	scratch_store_dwordx4 off, v[4:7], off offset:3604 ; 16-byte Folded Spill
	scratch_store_dwordx4 off, v[8:11], off offset:3620 ; 16-byte Folded Spill
	;; [unrolled: 1-line block ×7, first 2 shown]
	scratch_load_dwordx4 v[50:53], off, off offset:2308 ; 16-byte Folded Reload
	scratch_load_dwordx4 v[54:57], off, off offset:2324 ; 16-byte Folded Reload
	;; [unrolled: 1-line block ×8, first 2 shown]
	s_waitcnt vmcnt(7)
	scratch_store_dwordx4 off, v[50:53], off offset:3972 ; 16-byte Folded Spill
	s_waitcnt vmcnt(7)
	scratch_store_dwordx4 off, v[54:57], off offset:3988 ; 16-byte Folded Spill
	;; [unrolled: 2-line block ×8, first 2 shown]
	scratch_load_dwordx4 v[182:185], off, off offset:2820 ; 16-byte Folded Reload
	scratch_load_dwordx4 v[186:189], off, off offset:2836 ; 16-byte Folded Reload
	;; [unrolled: 1-line block ×8, first 2 shown]
	s_waitcnt vmcnt(6)
	v_mov_b64_e32 v[0:1], v[182:183]
	v_mov_b64_e32 v[2:3], v[184:185]
	;; [unrolled: 1-line block ×4, first 2 shown]
	v_mov_b32_e32 v49, v7
	scratch_store_dwordx4 off, v[0:3], s2   ; 16-byte Folded Spill
	s_nop 0
	scratch_store_dwordx4 off, v[4:7], s2 offset:16 ; 16-byte Folded Spill
	scratch_store_dwordx4 off, v[8:11], s2 offset:32 ; 16-byte Folded Spill
	;; [unrolled: 1-line block ×7, first 2 shown]
	scratch_load_dwordx4 v[182:185], off, off offset:2564 ; 16-byte Folded Reload
	scratch_load_dwordx4 v[186:189], off, off offset:2580 ; 16-byte Folded Reload
	;; [unrolled: 1-line block ×8, first 2 shown]
	s_movk_i32 s2, 0x1004
	s_waitcnt vmcnt(6)
	v_mov_b32_e32 v0, v182
	v_mov_b32_e32 v1, v183
	;; [unrolled: 1-line block ×8, first 2 shown]
	scratch_store_dwordx4 off, v[0:3], s2   ; 16-byte Folded Spill
	s_nop 0
	scratch_store_dwordx4 off, v[4:7], s2 offset:16 ; 16-byte Folded Spill
	scratch_store_dwordx4 off, v[8:11], s2 offset:32 ; 16-byte Folded Spill
	;; [unrolled: 1-line block ×7, first 2 shown]
	scratch_load_dwordx4 v[182:185], off, off offset:3844 ; 16-byte Folded Reload
	scratch_load_dwordx4 v[186:189], off, off offset:3860 ; 16-byte Folded Reload
	;; [unrolled: 1-line block ×8, first 2 shown]
	s_movk_i32 s2, 0x1284
	s_waitcnt vmcnt(6)
	v_mov_b64_e32 v[0:1], v[182:183]
	v_mov_b64_e32 v[2:3], v[184:185]
	;; [unrolled: 1-line block ×3, first 2 shown]
	v_mov_b32_e32 v229, v5
	scratch_store_dwordx4 off, v[0:3], s2   ; 16-byte Folded Spill
	s_nop 0
	scratch_store_dwordx4 off, v[4:7], s2 offset:16 ; 16-byte Folded Spill
	scratch_store_dwordx4 off, v[8:11], s2 offset:32 ; 16-byte Folded Spill
	;; [unrolled: 1-line block ×7, first 2 shown]
	scratch_load_dwordx4 v[182:185], off, off offset:3716 ; 16-byte Folded Reload
	scratch_load_dwordx4 v[186:189], off, off offset:3732 ; 16-byte Folded Reload
	;; [unrolled: 1-line block ×8, first 2 shown]
	s_movk_i32 s2, 0x1304
	s_waitcnt vmcnt(6)
	v_mov_b32_e32 v0, v182
	v_mov_b32_e32 v1, v183
	;; [unrolled: 1-line block ×6, first 2 shown]
	scratch_store_dwordx4 off, v[0:3], s2   ; 16-byte Folded Spill
	s_nop 0
	scratch_store_dwordx4 off, v[4:7], s2 offset:16 ; 16-byte Folded Spill
	scratch_store_dwordx4 off, v[8:11], s2 offset:32 ; 16-byte Folded Spill
	scratch_store_dwordx4 off, v[12:15], s2 offset:48 ; 16-byte Folded Spill
	scratch_store_dwordx4 off, v[16:19], s2 offset:64 ; 16-byte Folded Spill
	scratch_store_dwordx4 off, v[20:23], s2 offset:80 ; 16-byte Folded Spill
	scratch_store_dwordx4 off, v[24:27], s2 offset:96 ; 16-byte Folded Spill
	scratch_store_dwordx4 off, v[28:31], s2 offset:112 ; 16-byte Folded Spill
	v_mov_b64_e32 v[0:1], v[128:129]
	v_mov_b64_e32 v[2:3], v[130:131]
	s_movk_i32 s2, 0x1384
	v_mov_b32_e32 v87, v3
	scratch_store_dwordx4 off, v[0:3], s2   ; 16-byte Folded Spill
	s_nop 0
	scratch_store_dwordx4 off, v[4:7], s2 offset:16 ; 16-byte Folded Spill
	scratch_store_dwordx4 off, v[8:11], s2 offset:32 ; 16-byte Folded Spill
	;; [unrolled: 1-line block ×7, first 2 shown]
	scratch_load_dwordx4 v[182:185], off, off offset:2948 ; 16-byte Folded Reload
	scratch_load_dwordx4 v[186:189], off, off offset:2964 ; 16-byte Folded Reload
	;; [unrolled: 1-line block ×8, first 2 shown]
	s_movk_i32 s2, 0x1404
	s_waitcnt vmcnt(7)
	v_mov_b32_e32 v0, v182
	v_mov_b32_e32 v1, v183
	v_mov_b32_e32 v2, v184
	v_mov_b32_e32 v86, v2
	scratch_store_dwordx4 off, v[0:3], s2   ; 16-byte Folded Spill
	s_nop 0
	scratch_store_dwordx4 off, v[4:7], s2 offset:16 ; 16-byte Folded Spill
	scratch_store_dwordx4 off, v[8:11], s2 offset:32 ; 16-byte Folded Spill
	;; [unrolled: 1-line block ×7, first 2 shown]
	s_movk_i32 s2, 0x15ec
	scratch_store_dwordx4 off, v[90:93], s2 ; 16-byte Folded Spill
	s_nop 0
	scratch_store_dwordx4 off, v[94:97], s2 offset:16 ; 16-byte Folded Spill
	scratch_store_dwordx4 off, v[98:101], s2 offset:32 ; 16-byte Folded Spill
	scratch_store_dwordx4 off, v[102:105], s2 offset:48 ; 16-byte Folded Spill
	scratch_store_dwordx4 off, v[106:109], s2 offset:64 ; 16-byte Folded Spill
	scratch_store_dwordx4 off, v[110:113], s2 offset:80 ; 16-byte Folded Spill
	scratch_store_dwordx4 off, v[114:117], s2 offset:96 ; 16-byte Folded Spill
	scratch_store_dwordx4 off, v[118:121], s2 offset:112 ; 16-byte Folded Spill
	s_mov_b64 s[2:3], exec
	s_and_b64 s[4:5], s[2:3], vcc
	v_mov_b32_e32 v54, v10
	s_mov_b64 exec, s[4:5]
	s_cbranch_execz .LBB55_13
; %bb.12:
	scratch_load_dwordx4 v[182:185], off, off offset:1540 ; 16-byte Folded Reload
	scratch_load_dwordx4 v[186:189], off, off offset:1556 ; 16-byte Folded Reload
	;; [unrolled: 1-line block ×8, first 2 shown]
	v_mov_b32_e32 v55, v181
	scratch_load_dwordx4 v[154:157], off, off offset:516 ; 16-byte Folded Reload
	scratch_load_dwordx4 v[158:161], off, off offset:532 ; 16-byte Folded Reload
	;; [unrolled: 1-line block ×8, first 2 shown]
	s_movk_i32 s4, 0x15e8
	v_mov_b32_e32 v24, v228
	v_mov_b32_e32 v25, v229
	;; [unrolled: 1-line block ×11, first 2 shown]
	s_waitcnt vmcnt(13)
	v_mov_b32_e32 v59, v191
	s_waitcnt vmcnt(4)
	v_mov_b32_e32 v12, v166
	scratch_load_dwordx4 v[154:157], off, off offset:388 ; 16-byte Folded Reload
	scratch_load_dwordx4 v[158:161], off, off offset:404 ; 16-byte Folded Reload
	scratch_load_dwordx4 v[162:165], off, off offset:420 ; 16-byte Folded Reload
	scratch_load_dwordx4 v[166:169], off, off offset:436 ; 16-byte Folded Reload
	scratch_load_dwordx4 v[170:173], off, off offset:452 ; 16-byte Folded Reload
	scratch_load_dwordx4 v[174:177], off, off offset:468 ; 16-byte Folded Reload
	scratch_load_dwordx4 v[178:181], off, off offset:484 ; 16-byte Folded Reload
	scratch_load_dwordx4 v[182:185], off, off offset:500 ; 16-byte Folded Reload
	s_waitcnt vmcnt(4)
	v_mov_b32_e32 v13, v167
	scratch_load_dwordx4 v[154:157], off, off offset:1028 ; 16-byte Folded Reload
	scratch_load_dwordx4 v[158:161], off, off offset:1044 ; 16-byte Folded Reload
	scratch_load_dwordx4 v[162:165], off, off offset:1060 ; 16-byte Folded Reload
	scratch_load_dwordx4 v[166:169], off, off offset:1076 ; 16-byte Folded Reload
	scratch_load_dwordx4 v[170:173], off, off offset:1092 ; 16-byte Folded Reload
	scratch_load_dwordx4 v[174:177], off, off offset:1108 ; 16-byte Folded Reload
	scratch_load_dwordx4 v[178:181], off, off offset:1124 ; 16-byte Folded Reload
	scratch_load_dwordx4 v[182:185], off, off offset:1140 ; 16-byte Folded Reload
	;; [unrolled: 10-line block ×3, first 2 shown]
	scratch_load_dword v2, off, s4          ; 4-byte Folded Reload
	s_movk_i32 s4, 0x15ec
	s_waitcnt vmcnt(5)
	v_mov_b32_e32 v15, v169
	s_waitcnt vmcnt(0)
	v_mul_f32_e32 v26, v91, v2
	ds_read2_b64 v[2:5], v254 offset0:1 offset1:2
	ds_read2_b64 v[6:9], v254 offset0:3 offset1:4
	v_mov_b32_e32 v91, v26
	s_waitcnt lgkmcnt(1)
	v_pk_fma_f32 v[86:87], v[26:27], v[2:3], v[86:87] op_sel_hi:[0,1,1] neg_lo:[1,0,0] neg_hi:[1,0,0]
	v_pk_fma_f32 v[24:25], v[26:27], v[4:5], v[24:25] op_sel_hi:[0,1,1] neg_lo:[1,0,0] neg_hi:[1,0,0]
	s_waitcnt lgkmcnt(0)
	v_pk_fma_f32 v[22:23], v[26:27], v[6:7], v[22:23] op_sel_hi:[0,1,1] neg_lo:[1,0,0] neg_hi:[1,0,0]
	v_pk_fma_f32 v[58:59], v[26:27], v[8:9], v[58:59] op_sel_hi:[0,1,1] neg_lo:[1,0,0] neg_hi:[1,0,0]
	ds_read2_b64 v[2:5], v254 offset0:5 offset1:6
	ds_read2_b64 v[6:9], v254 offset0:7 offset1:8
	s_waitcnt lgkmcnt(1)
	v_pk_fma_f32 v[10:11], v[26:27], v[2:3], v[54:55] op_sel_hi:[0,1,1] neg_lo:[1,0,0] neg_hi:[1,0,0]
	v_pk_fma_f32 v[12:13], v[26:27], v[4:5], v[12:13] op_sel_hi:[0,1,1] neg_lo:[1,0,0] neg_hi:[1,0,0]
	s_waitcnt lgkmcnt(0)
	v_pk_fma_f32 v[14:15], v[26:27], v[6:7], v[14:15] op_sel_hi:[0,1,1] neg_lo:[1,0,0] neg_hi:[1,0,0]
	v_pk_fma_f32 v[142:143], v[26:27], v[8:9], v[142:143] op_sel_hi:[0,1,1] neg_lo:[1,0,0] neg_hi:[1,0,0]
	ds_read2_b64 v[2:5], v254 offset0:9 offset1:10
	ds_read2_b64 v[6:9], v254 offset0:11 offset1:12
	v_mov_b32_e32 v146, v142
	s_waitcnt lgkmcnt(1)
	v_pk_fma_f32 v[18:19], v[26:27], v[2:3], v[18:19] op_sel_hi:[0,1,1] neg_lo:[1,0,0] neg_hi:[1,0,0]
	s_waitcnt lgkmcnt(0)
	v_pk_fma_f32 v[226:227], v[26:27], v[8:9], v[226:227] op_sel_hi:[0,1,1] neg_lo:[1,0,0] neg_hi:[1,0,0]
	ds_read_b64 v[2:3], v254 offset:104
	v_mov_b64_e32 v[8:9], v[58:59]
	scratch_load_dwordx4 v[32:35], off, off offset:132 ; 16-byte Folded Reload
	scratch_load_dwordx4 v[36:39], off, off offset:148 ; 16-byte Folded Reload
	scratch_load_dwordx4 v[40:43], off, off offset:164 ; 16-byte Folded Reload
	scratch_load_dwordx4 v[44:47], off, off offset:180 ; 16-byte Folded Reload
	scratch_load_dwordx4 v[48:51], off, off offset:196 ; 16-byte Folded Reload
	scratch_load_dwordx4 v[52:55], off, off offset:212 ; 16-byte Folded Reload
	scratch_load_dwordx4 v[56:59], off, off offset:228 ; 16-byte Folded Reload
	scratch_load_dwordx4 v[60:63], off, off offset:244 ; 16-byte Folded Reload
	s_nop 0
	scratch_store_dwordx4 off, v[90:93], s4 ; 16-byte Folded Spill
	s_nop 0
	scratch_store_dwordx4 off, v[94:97], s4 offset:16 ; 16-byte Folded Spill
	scratch_store_dwordx4 off, v[98:101], s4 offset:32 ; 16-byte Folded Spill
	;; [unrolled: 1-line block ×7, first 2 shown]
	v_mov_b32_e32 v92, v86
	s_movk_i32 s4, 0x1404
	v_pk_fma_f32 v[20:21], v[26:27], v[4:5], v[20:21] op_sel_hi:[0,1,1] neg_lo:[1,0,0] neg_hi:[1,0,0]
	v_pk_fma_f32 v[152:153], v[26:27], v[6:7], v[152:153] op_sel_hi:[0,1,1] neg_lo:[1,0,0] neg_hi:[1,0,0]
	s_waitcnt vmcnt(10)
	v_mov_b64_e32 v[54:55], v[10:11]
	v_mov_b32_e32 v134, v226
	v_mov_b32_e32 v89, v227
	scratch_store_dwordx4 off, v[90:93], s4 ; 16-byte Folded Spill
	s_nop 0
	scratch_store_dwordx4 off, v[94:97], s4 offset:16 ; 16-byte Folded Spill
	scratch_store_dwordx4 off, v[98:101], s4 offset:32 ; 16-byte Folded Spill
	;; [unrolled: 1-line block ×7, first 2 shown]
	v_mov_b32_e32 v93, v87
	s_movk_i32 s4, 0x1384
	scratch_store_dwordx4 off, v[90:93], s4 ; 16-byte Folded Spill
	s_nop 0
	scratch_store_dwordx4 off, v[94:97], s4 offset:16 ; 16-byte Folded Spill
	scratch_store_dwordx4 off, v[98:101], s4 offset:32 ; 16-byte Folded Spill
	;; [unrolled: 1-line block ×7, first 2 shown]
	v_mov_b32_e32 v94, v24
	s_movk_i32 s4, 0x1304
	s_waitcnt vmcnt(25)
	v_mov_b64_e32 v[28:29], v[58:59]
	v_mov_b64_e32 v[58:59], v[8:9]
	s_waitcnt lgkmcnt(0)
	v_pk_fma_f32 v[28:29], v[26:27], v[2:3], v[28:29] op_sel_hi:[0,1,1] neg_lo:[1,0,0] neg_hi:[1,0,0]
	v_mov_b64_e32 v[26:27], v[28:29]
	scratch_store_dwordx4 off, v[90:93], s4 ; 16-byte Folded Spill
	s_nop 0
	scratch_store_dwordx4 off, v[94:97], s4 offset:16 ; 16-byte Folded Spill
	scratch_store_dwordx4 off, v[98:101], s4 offset:32 ; 16-byte Folded Spill
	scratch_store_dwordx4 off, v[102:105], s4 offset:48 ; 16-byte Folded Spill
	scratch_store_dwordx4 off, v[106:109], s4 offset:64 ; 16-byte Folded Spill
	scratch_store_dwordx4 off, v[110:113], s4 offset:80 ; 16-byte Folded Spill
	scratch_store_dwordx4 off, v[114:117], s4 offset:96 ; 16-byte Folded Spill
	scratch_store_dwordx4 off, v[118:121], s4 offset:112 ; 16-byte Folded Spill
	v_mov_b32_e32 v95, v25
	s_movk_i32 s4, 0x1284
	scratch_store_dwordx4 off, v[90:93], s4 ; 16-byte Folded Spill
	s_nop 0
	scratch_store_dwordx4 off, v[94:97], s4 offset:16 ; 16-byte Folded Spill
	scratch_store_dwordx4 off, v[98:101], s4 offset:32 ; 16-byte Folded Spill
	scratch_store_dwordx4 off, v[102:105], s4 offset:48 ; 16-byte Folded Spill
	scratch_store_dwordx4 off, v[106:109], s4 offset:64 ; 16-byte Folded Spill
	scratch_store_dwordx4 off, v[110:113], s4 offset:80 ; 16-byte Folded Spill
	scratch_store_dwordx4 off, v[114:117], s4 offset:96 ; 16-byte Folded Spill
	scratch_store_dwordx4 off, v[118:121], s4 offset:112 ; 16-byte Folded Spill
	v_mov_b32_e32 v96, v22
	s_movk_i32 s4, 0x1004
	;; [unrolled: 11-line block ×4, first 2 shown]
	scratch_store_dwordx4 off, v[90:93], off offset:3972 ; 16-byte Folded Spill
	s_nop 0
	scratch_store_dwordx4 off, v[94:97], off offset:3988 ; 16-byte Folded Spill
	scratch_store_dwordx4 off, v[98:101], off offset:4004 ; 16-byte Folded Spill
	scratch_store_dwordx4 off, v[102:105], off offset:4020 ; 16-byte Folded Spill
	scratch_store_dwordx4 off, v[106:109], off offset:4036 ; 16-byte Folded Spill
	scratch_store_dwordx4 off, v[110:113], off offset:4052 ; 16-byte Folded Spill
	scratch_store_dwordx4 off, v[114:117], off offset:4068 ; 16-byte Folded Spill
	scratch_store_dwordx4 off, v[118:121], off offset:4084 ; 16-byte Folded Spill
	v_mov_b32_e32 v99, v9
	scratch_store_dwordx4 off, v[90:93], off offset:3588 ; 16-byte Folded Spill
	s_nop 0
	scratch_store_dwordx4 off, v[94:97], off offset:3604 ; 16-byte Folded Spill
	scratch_store_dwordx4 off, v[98:101], off offset:3620 ; 16-byte Folded Spill
	scratch_store_dwordx4 off, v[102:105], off offset:3636 ; 16-byte Folded Spill
	scratch_store_dwordx4 off, v[106:109], off offset:3652 ; 16-byte Folded Spill
	scratch_store_dwordx4 off, v[110:113], off offset:3668 ; 16-byte Folded Spill
	scratch_store_dwordx4 off, v[114:117], off offset:3684 ; 16-byte Folded Spill
	scratch_store_dwordx4 off, v[118:121], off offset:3700 ; 16-byte Folded Spill
	v_mov_b32_e32 v100, v10
	scratch_store_dwordx4 off, v[90:93], off offset:3460 ; 16-byte Folded Spill
	s_nop 0
	scratch_store_dwordx4 off, v[94:97], off offset:3476 ; 16-byte Folded Spill
	scratch_store_dwordx4 off, v[98:101], off offset:3492 ; 16-byte Folded Spill
	scratch_store_dwordx4 off, v[102:105], off offset:3508 ; 16-byte Folded Spill
	scratch_store_dwordx4 off, v[106:109], off offset:3524 ; 16-byte Folded Spill
	scratch_store_dwordx4 off, v[110:113], off offset:3540 ; 16-byte Folded Spill
	scratch_store_dwordx4 off, v[114:117], off offset:3556 ; 16-byte Folded Spill
	scratch_store_dwordx4 off, v[118:121], off offset:3572 ; 16-byte Folded Spill
	v_mov_b32_e32 v101, v11
	scratch_store_dwordx4 off, v[90:93], off offset:3204 ; 16-byte Folded Spill
	s_nop 0
	scratch_store_dwordx4 off, v[94:97], off offset:3220 ; 16-byte Folded Spill
	scratch_store_dwordx4 off, v[98:101], off offset:3236 ; 16-byte Folded Spill
	scratch_store_dwordx4 off, v[102:105], off offset:3252 ; 16-byte Folded Spill
	scratch_store_dwordx4 off, v[106:109], off offset:3268 ; 16-byte Folded Spill
	scratch_store_dwordx4 off, v[110:113], off offset:3284 ; 16-byte Folded Spill
	scratch_store_dwordx4 off, v[114:117], off offset:3300 ; 16-byte Folded Spill
	scratch_store_dwordx4 off, v[118:121], off offset:3316 ; 16-byte Folded Spill
	v_mov_b32_e32 v102, v12
	scratch_store_dwordx4 off, v[90:93], off offset:3076 ; 16-byte Folded Spill
	s_nop 0
	scratch_store_dwordx4 off, v[94:97], off offset:3092 ; 16-byte Folded Spill
	scratch_store_dwordx4 off, v[98:101], off offset:3108 ; 16-byte Folded Spill
	scratch_store_dwordx4 off, v[102:105], off offset:3124 ; 16-byte Folded Spill
	scratch_store_dwordx4 off, v[106:109], off offset:3140 ; 16-byte Folded Spill
	scratch_store_dwordx4 off, v[110:113], off offset:3156 ; 16-byte Folded Spill
	scratch_store_dwordx4 off, v[114:117], off offset:3172 ; 16-byte Folded Spill
	scratch_store_dwordx4 off, v[118:121], off offset:3188 ; 16-byte Folded Spill
	v_mov_b32_e32 v103, v13
	scratch_store_dwordx4 off, v[90:93], off offset:2692 ; 16-byte Folded Spill
	s_nop 0
	scratch_store_dwordx4 off, v[94:97], off offset:2708 ; 16-byte Folded Spill
	scratch_store_dwordx4 off, v[98:101], off offset:2724 ; 16-byte Folded Spill
	scratch_store_dwordx4 off, v[102:105], off offset:2740 ; 16-byte Folded Spill
	scratch_store_dwordx4 off, v[106:109], off offset:2756 ; 16-byte Folded Spill
	scratch_store_dwordx4 off, v[110:113], off offset:2772 ; 16-byte Folded Spill
	scratch_store_dwordx4 off, v[114:117], off offset:2788 ; 16-byte Folded Spill
	scratch_store_dwordx4 off, v[118:121], off offset:2804 ; 16-byte Folded Spill
	v_mov_b32_e32 v104, v14
	scratch_store_dwordx4 off, v[90:93], off offset:2052 ; 16-byte Folded Spill
	s_nop 0
	scratch_store_dwordx4 off, v[94:97], off offset:2068 ; 16-byte Folded Spill
	scratch_store_dwordx4 off, v[98:101], off offset:2084 ; 16-byte Folded Spill
	scratch_store_dwordx4 off, v[102:105], off offset:2100 ; 16-byte Folded Spill
	scratch_store_dwordx4 off, v[106:109], off offset:2116 ; 16-byte Folded Spill
	scratch_store_dwordx4 off, v[110:113], off offset:2132 ; 16-byte Folded Spill
	scratch_store_dwordx4 off, v[114:117], off offset:2148 ; 16-byte Folded Spill
	scratch_store_dwordx4 off, v[118:121], off offset:2164 ; 16-byte Folded Spill
	v_mov_b32_e32 v105, v15
	scratch_store_dwordx4 off, v[90:93], off offset:2180 ; 16-byte Folded Spill
	s_nop 0
	scratch_store_dwordx4 off, v[94:97], off offset:2196 ; 16-byte Folded Spill
	scratch_store_dwordx4 off, v[98:101], off offset:2212 ; 16-byte Folded Spill
	scratch_store_dwordx4 off, v[102:105], off offset:2228 ; 16-byte Folded Spill
	scratch_store_dwordx4 off, v[106:109], off offset:2244 ; 16-byte Folded Spill
	scratch_store_dwordx4 off, v[110:113], off offset:2260 ; 16-byte Folded Spill
	scratch_store_dwordx4 off, v[114:117], off offset:2276 ; 16-byte Folded Spill
	scratch_store_dwordx4 off, v[118:121], off offset:2292 ; 16-byte Folded Spill
	v_mov_b32_e32 v106, v142
	scratch_store_dwordx4 off, v[90:93], off offset:1156 ; 16-byte Folded Spill
	s_nop 0
	scratch_store_dwordx4 off, v[94:97], off offset:1172 ; 16-byte Folded Spill
	scratch_store_dwordx4 off, v[98:101], off offset:1188 ; 16-byte Folded Spill
	scratch_store_dwordx4 off, v[102:105], off offset:1204 ; 16-byte Folded Spill
	scratch_store_dwordx4 off, v[106:109], off offset:1220 ; 16-byte Folded Spill
	scratch_store_dwordx4 off, v[110:113], off offset:1236 ; 16-byte Folded Spill
	scratch_store_dwordx4 off, v[114:117], off offset:1252 ; 16-byte Folded Spill
	scratch_store_dwordx4 off, v[118:121], off offset:1268 ; 16-byte Folded Spill
	v_mov_b32_e32 v107, v143
	scratch_store_dwordx4 off, v[90:93], off offset:1924 ; 16-byte Folded Spill
	s_nop 0
	scratch_store_dwordx4 off, v[94:97], off offset:1940 ; 16-byte Folded Spill
	scratch_store_dwordx4 off, v[98:101], off offset:1956 ; 16-byte Folded Spill
	scratch_store_dwordx4 off, v[102:105], off offset:1972 ; 16-byte Folded Spill
	scratch_store_dwordx4 off, v[106:109], off offset:1988 ; 16-byte Folded Spill
	scratch_store_dwordx4 off, v[110:113], off offset:2004 ; 16-byte Folded Spill
	scratch_store_dwordx4 off, v[114:117], off offset:2020 ; 16-byte Folded Spill
	scratch_store_dwordx4 off, v[118:121], off offset:2036 ; 16-byte Folded Spill
	v_mov_b32_e32 v108, v18
	scratch_store_dwordx4 off, v[90:93], off offset:1796 ; 16-byte Folded Spill
	s_nop 0
	scratch_store_dwordx4 off, v[94:97], off offset:1812 ; 16-byte Folded Spill
	scratch_store_dwordx4 off, v[98:101], off offset:1828 ; 16-byte Folded Spill
	scratch_store_dwordx4 off, v[102:105], off offset:1844 ; 16-byte Folded Spill
	scratch_store_dwordx4 off, v[106:109], off offset:1860 ; 16-byte Folded Spill
	scratch_store_dwordx4 off, v[110:113], off offset:1876 ; 16-byte Folded Spill
	scratch_store_dwordx4 off, v[114:117], off offset:1892 ; 16-byte Folded Spill
	scratch_store_dwordx4 off, v[118:121], off offset:1908 ; 16-byte Folded Spill
	v_mov_b32_e32 v109, v19
	scratch_store_dwordx4 off, v[90:93], off offset:1668 ; 16-byte Folded Spill
	s_nop 0
	scratch_store_dwordx4 off, v[94:97], off offset:1684 ; 16-byte Folded Spill
	scratch_store_dwordx4 off, v[98:101], off offset:1700 ; 16-byte Folded Spill
	scratch_store_dwordx4 off, v[102:105], off offset:1716 ; 16-byte Folded Spill
	scratch_store_dwordx4 off, v[106:109], off offset:1732 ; 16-byte Folded Spill
	scratch_store_dwordx4 off, v[110:113], off offset:1748 ; 16-byte Folded Spill
	scratch_store_dwordx4 off, v[114:117], off offset:1764 ; 16-byte Folded Spill
	scratch_store_dwordx4 off, v[118:121], off offset:1780 ; 16-byte Folded Spill
	v_mov_b32_e32 v110, v20
	scratch_store_dwordx4 off, v[90:93], off offset:1412 ; 16-byte Folded Spill
	s_nop 0
	scratch_store_dwordx4 off, v[94:97], off offset:1428 ; 16-byte Folded Spill
	scratch_store_dwordx4 off, v[98:101], off offset:1444 ; 16-byte Folded Spill
	scratch_store_dwordx4 off, v[102:105], off offset:1460 ; 16-byte Folded Spill
	scratch_store_dwordx4 off, v[106:109], off offset:1476 ; 16-byte Folded Spill
	scratch_store_dwordx4 off, v[110:113], off offset:1492 ; 16-byte Folded Spill
	scratch_store_dwordx4 off, v[114:117], off offset:1508 ; 16-byte Folded Spill
	scratch_store_dwordx4 off, v[118:121], off offset:1524 ; 16-byte Folded Spill
	v_mov_b32_e32 v111, v21
	scratch_store_dwordx4 off, v[90:93], off offset:1284 ; 16-byte Folded Spill
	s_nop 0
	scratch_store_dwordx4 off, v[94:97], off offset:1300 ; 16-byte Folded Spill
	scratch_store_dwordx4 off, v[98:101], off offset:1316 ; 16-byte Folded Spill
	scratch_store_dwordx4 off, v[102:105], off offset:1332 ; 16-byte Folded Spill
	scratch_store_dwordx4 off, v[106:109], off offset:1348 ; 16-byte Folded Spill
	scratch_store_dwordx4 off, v[110:113], off offset:1364 ; 16-byte Folded Spill
	scratch_store_dwordx4 off, v[114:117], off offset:1380 ; 16-byte Folded Spill
	scratch_store_dwordx4 off, v[118:121], off offset:1396 ; 16-byte Folded Spill
	v_mov_b32_e32 v98, v58
	v_mov_b32_e32 v99, v59
	v_mov_b32_e32 v100, v54
	;; [unrolled: 1-line block ×4, first 2 shown]
	scratch_store_dwordx4 off, v[90:93], s4 ; 16-byte Folded Spill
	s_nop 0
	scratch_store_dwordx4 off, v[94:97], s4 offset:16 ; 16-byte Folded Spill
	scratch_store_dwordx4 off, v[98:101], s4 offset:32 ; 16-byte Folded Spill
	;; [unrolled: 1-line block ×7, first 2 shown]
	v_mov_b32_e32 v113, v153
	scratch_store_dwordx4 off, v[90:93], off offset:900 ; 16-byte Folded Spill
	s_nop 0
	scratch_store_dwordx4 off, v[94:97], off offset:916 ; 16-byte Folded Spill
	scratch_store_dwordx4 off, v[98:101], off offset:932 ; 16-byte Folded Spill
	scratch_store_dwordx4 off, v[102:105], off offset:948 ; 16-byte Folded Spill
	scratch_store_dwordx4 off, v[106:109], off offset:964 ; 16-byte Folded Spill
	scratch_store_dwordx4 off, v[110:113], off offset:980 ; 16-byte Folded Spill
	scratch_store_dwordx4 off, v[114:117], off offset:996 ; 16-byte Folded Spill
	scratch_store_dwordx4 off, v[118:121], off offset:1012 ; 16-byte Folded Spill
	s_nop 0
	v_mov_b32_e32 v114, v226
	scratch_store_dwordx4 off, v[90:93], off offset:772 ; 16-byte Folded Spill
	s_nop 0
	scratch_store_dwordx4 off, v[94:97], off offset:788 ; 16-byte Folded Spill
	scratch_store_dwordx4 off, v[98:101], off offset:804 ; 16-byte Folded Spill
	scratch_store_dwordx4 off, v[102:105], off offset:820 ; 16-byte Folded Spill
	scratch_store_dwordx4 off, v[106:109], off offset:836 ; 16-byte Folded Spill
	scratch_store_dwordx4 off, v[110:113], off offset:852 ; 16-byte Folded Spill
	scratch_store_dwordx4 off, v[114:117], off offset:868 ; 16-byte Folded Spill
	scratch_store_dwordx4 off, v[118:121], off offset:884 ; 16-byte Folded Spill
	s_nop 0
	;; [unrolled: 11-line block ×3, first 2 shown]
	v_mov_b32_e32 v116, v28
	scratch_store_dwordx4 off, v[0:3], off offset:132 ; 16-byte Folded Spill
	s_nop 0
	scratch_store_dwordx4 off, v[4:7], off offset:148 ; 16-byte Folded Spill
	scratch_store_dwordx4 off, v[8:11], off offset:164 ; 16-byte Folded Spill
	;; [unrolled: 1-line block ×7, first 2 shown]
	v_mov_b32_e32 v50, v22
	v_mov_b32_e32 v117, v29
	;; [unrolled: 1-line block ×5, first 2 shown]
	scratch_store_dwordx4 off, v[50:53], off offset:1540 ; 16-byte Folded Spill
	s_nop 0
	scratch_store_dwordx4 off, v[54:57], off offset:1556 ; 16-byte Folded Spill
	s_waitcnt vmcnt(62)
	scratch_store_dwordx4 off, v[58:61], off offset:1572 ; 16-byte Folded Spill
	scratch_store_dwordx4 off, v[62:65], off offset:1588 ; 16-byte Folded Spill
	scratch_store_dwordx4 off, v[66:69], off offset:1604 ; 16-byte Folded Spill
	scratch_store_dwordx4 off, v[70:73], off offset:1620 ; 16-byte Folded Spill
	scratch_store_dwordx4 off, v[74:77], off offset:1636 ; 16-byte Folded Spill
	scratch_store_dwordx4 off, v[78:81], off offset:1652 ; 16-byte Folded Spill
	scratch_store_dwordx4 off, v[0:3], off offset:516 ; 16-byte Folded Spill
	s_nop 0
	scratch_store_dwordx4 off, v[4:7], off offset:532 ; 16-byte Folded Spill
	scratch_store_dwordx4 off, v[8:11], off offset:548 ; 16-byte Folded Spill
	scratch_store_dwordx4 off, v[12:15], off offset:564 ; 16-byte Folded Spill
	scratch_store_dwordx4 off, v[16:19], off offset:580 ; 16-byte Folded Spill
	scratch_store_dwordx4 off, v[20:23], off offset:596 ; 16-byte Folded Spill
	scratch_store_dwordx4 off, v[24:27], off offset:612 ; 16-byte Folded Spill
	scratch_store_dwordx4 off, v[28:31], off offset:628 ; 16-byte Folded Spill
	scratch_store_dwordx4 off, v[0:3], off offset:388 ; 16-byte Folded Spill
	s_nop 0
	scratch_store_dwordx4 off, v[4:7], off offset:404 ; 16-byte Folded Spill
	;; [unrolled: 9-line block ×4, first 2 shown]
	scratch_store_dwordx4 off, v[8:11], off offset:292 ; 16-byte Folded Spill
	scratch_store_dwordx4 off, v[12:15], off offset:308 ; 16-byte Folded Spill
	;; [unrolled: 1-line block ×6, first 2 shown]
	v_mov_b32_e32 v181, v55
	v_mov_b32_e32 v138, v18
	;; [unrolled: 1-line block ×5, first 2 shown]
.LBB55_13:
	s_or_b64 exec, exec, s[2:3]
	v_cmp_eq_u32_e32 vcc, 2, v255
	s_waitcnt vmcnt(63) expcnt(7) lgkmcnt(15)
	s_barrier
	s_and_saveexec_b64 s[2:3], vcc
	s_cbranch_execz .LBB55_16
; %bb.14:
	ds_write_b32 v250, v86
	ds_write2_b32 v254, v93, v94 offset0:3 offset1:4
	ds_write2_b32 v254, v95, v96 offset0:5 offset1:6
	;; [unrolled: 1-line block ×12, first 2 shown]
	v_mov_b32_e32 v10, v54
	v_mov_b32_e32 v8, v58
	scratch_load_dwordx4 v[54:57], off, off offset:132 ; 16-byte Folded Reload
	scratch_load_dwordx4 v[58:61], off, off offset:148 ; 16-byte Folded Reload
	;; [unrolled: 1-line block ×8, first 2 shown]
	s_waitcnt vmcnt(6)
	v_mov_b32_e32 v58, v8
	v_mov_b32_e32 v54, v10
	s_waitcnt vmcnt(1)
	ds_write_b32 v254, v81 offset:108
	ds_read_b32 v28, v250
	s_waitcnt lgkmcnt(0)
	v_cmp_neq_f32_e32 vcc, 0, v28
	s_and_b64 exec, exec, vcc
	s_cbranch_execz .LBB55_16
; %bb.15:
	v_div_scale_f32 v29, s[4:5], v28, v28, 1.0
	v_rcp_f32_e32 v31, v29
	v_div_scale_f32 v54, vcc, 1.0, v28, 1.0
	v_fma_f32 v55, -v29, v31, 1.0
	v_fmac_f32_e32 v31, v55, v31
	v_mul_f32_e32 v55, v54, v31
	v_fma_f32 v56, -v29, v55, v54
	v_fmac_f32_e32 v55, v56, v31
	v_fma_f32 v29, -v29, v55, v54
	v_div_fmas_f32 v29, v29, v31, v55
	v_mov_b32_e32 v54, v10
	v_div_fixup_f32 v28, v29, v28, 1.0
	ds_write_b32 v250, v28
.LBB55_16:
	s_or_b64 exec, exec, s[2:3]
	s_waitcnt lgkmcnt(0)
	s_barrier
	ds_read_b32 v0, v250
	v_cmp_lt_u32_e32 vcc, 2, v255
	s_waitcnt lgkmcnt(0)
	scratch_store_dword off, v0, off offset:2308 ; 4-byte Folded Spill
	s_mov_b64 s[2:3], exec
	s_movk_i32 s8, 0x1484
	scratch_load_dwordx4 v[188:191], off, s8 ; 16-byte Folded Reload
	scratch_load_dwordx4 v[192:195], off, s8 offset:16 ; 16-byte Folded Reload
	scratch_load_dwordx4 v[196:199], off, s8 offset:32 ; 16-byte Folded Reload
	;; [unrolled: 1-line block ×7, first 2 shown]
	s_and_b64 s[4:5], s[2:3], vcc
	s_mov_b64 exec, s[4:5]
	s_cbranch_execz .LBB55_18
; %bb.17:
	s_movk_i32 s4, 0x15ec
	scratch_load_dwordx4 v[32:35], off, s4  ; 16-byte Folded Reload
	scratch_load_dwordx4 v[36:39], off, s4 offset:16 ; 16-byte Folded Reload
	scratch_load_dwordx4 v[40:43], off, s4 offset:32 ; 16-byte Folded Reload
	;; [unrolled: 1-line block ×7, first 2 shown]
	scratch_load_dword v0, off, off offset:2308 ; 4-byte Folded Reload
	v_mov_b32_e32 v2, v93
	v_mov_b32_e32 v3, v94
	s_movk_i32 s4, 0x1304
	s_waitcnt vmcnt(8)
	v_mov_b64_e32 v[64:65], v[32:33]
	v_mov_b32_e32 v188, v64
	v_mov_b32_e32 v189, v65
	s_waitcnt vmcnt(0)
	v_mul_f32_e32 v66, v86, v0
	ds_read2_b32 v[0:1], v254 offset0:3 offset1:4
	ds_read2_b32 v[30:31], v254 offset0:5 offset1:6
	;; [unrolled: 1-line block ×4, first 2 shown]
	v_mov_b32_e32 v158, v66
	v_mov_b32_e32 v190, v66
	s_waitcnt lgkmcnt(3)
	v_pk_fma_f32 v[28:29], v[66:67], v[0:1], v[2:3] op_sel_hi:[0,1,1] neg_lo:[1,0,0] neg_hi:[1,0,0]
	v_mov_b32_e32 v0, v95
	v_mov_b32_e32 v1, v96
	s_waitcnt lgkmcnt(2)
	v_pk_fma_f32 v[30:31], v[66:67], v[30:31], v[0:1] op_sel_hi:[0,1,1] neg_lo:[1,0,0] neg_hi:[1,0,0]
	;; [unrolled: 4-line block ×4, first 2 shown]
	ds_read2_b32 v[0:1], v254 offset0:11 offset1:12
	ds_read2_b32 v[4:5], v254 offset0:13 offset1:14
	;; [unrolled: 1-line block ×4, first 2 shown]
	v_mov_b32_e32 v2, v101
	v_mov_b32_e32 v3, v102
	;; [unrolled: 1-line block ×3, first 2 shown]
	s_waitcnt lgkmcnt(3)
	v_pk_fma_f32 v[58:59], v[66:67], v[0:1], v[2:3] op_sel_hi:[0,1,1] neg_lo:[1,0,0] neg_hi:[1,0,0]
	v_mov_b32_e32 v0, v103
	v_mov_b32_e32 v1, v104
	s_waitcnt lgkmcnt(2)
	v_pk_fma_f32 v[60:61], v[66:67], v[4:5], v[0:1] op_sel_hi:[0,1,1] neg_lo:[1,0,0] neg_hi:[1,0,0]
	v_mov_b32_e32 v0, v105
	v_mov_b32_e32 v1, v106
	s_waitcnt lgkmcnt(1)
	v_pk_fma_f32 v[62:63], v[66:67], v[6:7], v[0:1] op_sel_hi:[0,1,1] neg_lo:[1,0,0] neg_hi:[1,0,0]
	v_mov_b32_e32 v0, v107
	v_mov_b32_e32 v1, v108
	s_waitcnt lgkmcnt(0)
	v_pk_fma_f32 v[88:89], v[66:67], v[8:9], v[0:1] op_sel_hi:[0,1,1] neg_lo:[1,0,0] neg_hi:[1,0,0]
	ds_read2_b32 v[0:1], v254 offset0:19 offset1:20
	v_mov_b32_e32 v2, v109
	v_mov_b32_e32 v3, v110
	ds_read2_b32 v[4:5], v254 offset0:21 offset1:22
	ds_read2_b32 v[6:7], v254 offset0:23 offset1:24
	ds_read2_b32 v[8:9], v254 offset0:25 offset1:26
	v_mov_b32_e32 v164, v55
	s_waitcnt lgkmcnt(3)
	v_pk_fma_f32 v[90:91], v[66:67], v[0:1], v[2:3] op_sel_hi:[0,1,1] neg_lo:[1,0,0] neg_hi:[1,0,0]
	ds_read_b32 v2, v254 offset:108
	scratch_load_dwordx4 v[126:129], off, off offset:132 ; 16-byte Folded Reload
	scratch_load_dwordx4 v[130:133], off, off offset:148 ; 16-byte Folded Reload
	;; [unrolled: 1-line block ×8, first 2 shown]
	v_mov_b32_e32 v0, v111
	v_mov_b32_e32 v1, v112
	s_waitcnt lgkmcnt(3)
	v_pk_fma_f32 v[92:93], v[66:67], v[4:5], v[0:1] op_sel_hi:[0,1,1] neg_lo:[1,0,0] neg_hi:[1,0,0]
	v_mov_b32_e32 v0, v113
	v_mov_b32_e32 v1, v114
	s_waitcnt lgkmcnt(2)
	v_pk_fma_f32 v[94:95], v[66:67], v[6:7], v[0:1] op_sel_hi:[0,1,1] neg_lo:[1,0,0] neg_hi:[1,0,0]
	;; [unrolled: 4-line block ×3, first 2 shown]
	v_mov_b32_e32 v0, v64
	v_mov_b32_e32 v1, v65
	;; [unrolled: 1-line block ×5, first 2 shown]
	s_waitcnt vmcnt(0)
	v_mov_b32_e32 v156, v64
	v_mov_b32_e32 v157, v65
	;; [unrolled: 1-line block ×22, first 2 shown]
	s_waitcnt lgkmcnt(0)
	v_fma_f32 v27, -v66, v2, v153
	v_mov_b32_e32 v2, v66
	scratch_store_dwordx4 off, v[0:3], s4   ; 16-byte Folded Spill
	s_nop 0
	scratch_store_dwordx4 off, v[4:7], s4 offset:16 ; 16-byte Folded Spill
	scratch_store_dwordx4 off, v[8:11], s4 offset:32 ; 16-byte Folded Spill
	;; [unrolled: 1-line block ×7, first 2 shown]
	s_movk_i32 s4, 0x1284
	v_mov_b32_e32 v5, v30
	scratch_store_dwordx4 off, v[0:3], s4   ; 16-byte Folded Spill
	s_nop 0
	scratch_store_dwordx4 off, v[4:7], s4 offset:16 ; 16-byte Folded Spill
	scratch_store_dwordx4 off, v[8:11], s4 offset:32 ; 16-byte Folded Spill
	;; [unrolled: 1-line block ×7, first 2 shown]
	s_movk_i32 s4, 0x1004
	v_mov_b32_e32 v6, v31
	scratch_store_dwordx4 off, v[0:3], s4   ; 16-byte Folded Spill
	s_nop 0
	scratch_store_dwordx4 off, v[4:7], s4 offset:16 ; 16-byte Folded Spill
	scratch_store_dwordx4 off, v[8:11], s4 offset:32 ; 16-byte Folded Spill
	;; [unrolled: 1-line block ×7, first 2 shown]
	v_mov_b32_e32 v7, v54
	s_movk_i32 s4, 0x1084
	scratch_store_dwordx4 off, v[0:3], s4   ; 16-byte Folded Spill
	s_nop 0
	scratch_store_dwordx4 off, v[4:7], s4 offset:16 ; 16-byte Folded Spill
	scratch_store_dwordx4 off, v[8:11], s4 offset:32 ; 16-byte Folded Spill
	;; [unrolled: 1-line block ×7, first 2 shown]
	v_mov_b32_e32 v8, v55
	s_movk_i32 s4, 0x1384
	scratch_store_dwordx4 off, v[0:3], off offset:3972 ; 16-byte Folded Spill
	s_nop 0
	scratch_store_dwordx4 off, v[4:7], off offset:3988 ; 16-byte Folded Spill
	scratch_store_dwordx4 off, v[8:11], off offset:4004 ; 16-byte Folded Spill
	scratch_store_dwordx4 off, v[12:15], off offset:4020 ; 16-byte Folded Spill
	scratch_store_dwordx4 off, v[16:19], off offset:4036 ; 16-byte Folded Spill
	scratch_store_dwordx4 off, v[20:23], off offset:4052 ; 16-byte Folded Spill
	scratch_store_dwordx4 off, v[24:27], off offset:4068 ; 16-byte Folded Spill
	scratch_store_dwordx4 off, v[28:31], off offset:4084 ; 16-byte Folded Spill
	v_mov_b32_e32 v9, v56
	scratch_store_dwordx4 off, v[0:3], off offset:3588 ; 16-byte Folded Spill
	s_nop 0
	scratch_store_dwordx4 off, v[4:7], off offset:3604 ; 16-byte Folded Spill
	scratch_store_dwordx4 off, v[8:11], off offset:3620 ; 16-byte Folded Spill
	scratch_store_dwordx4 off, v[12:15], off offset:3636 ; 16-byte Folded Spill
	scratch_store_dwordx4 off, v[16:19], off offset:3652 ; 16-byte Folded Spill
	scratch_store_dwordx4 off, v[20:23], off offset:3668 ; 16-byte Folded Spill
	scratch_store_dwordx4 off, v[24:27], off offset:3684 ; 16-byte Folded Spill
	scratch_store_dwordx4 off, v[28:31], off offset:3700 ; 16-byte Folded Spill
	v_mov_b32_e32 v10, v57
	;; [unrolled: 10-line block ×4, first 2 shown]
	v_mov_b32_e32 v13, v60
	v_mov_b32_e32 v159, v28
	;; [unrolled: 1-line block ×5, first 2 shown]
	scratch_store_dwordx4 off, v[156:159], off offset:3076 ; 16-byte Folded Spill
	s_nop 0
	scratch_store_dwordx4 off, v[160:163], off offset:3092 ; 16-byte Folded Spill
	scratch_store_dwordx4 off, v[164:167], off offset:3108 ; 16-byte Folded Spill
	;; [unrolled: 1-line block ×8, first 2 shown]
	s_nop 0
	scratch_store_dwordx4 off, v[4:7], off offset:2708 ; 16-byte Folded Spill
	scratch_store_dwordx4 off, v[8:11], off offset:2724 ; 16-byte Folded Spill
	scratch_store_dwordx4 off, v[12:15], off offset:2740 ; 16-byte Folded Spill
	scratch_store_dwordx4 off, v[16:19], off offset:2756 ; 16-byte Folded Spill
	scratch_store_dwordx4 off, v[20:23], off offset:2772 ; 16-byte Folded Spill
	scratch_store_dwordx4 off, v[24:27], off offset:2788 ; 16-byte Folded Spill
	scratch_store_dwordx4 off, v[28:31], off offset:2804 ; 16-byte Folded Spill
	v_mov_b32_e32 v14, v61
	scratch_store_dwordx4 off, v[0:3], off offset:2052 ; 16-byte Folded Spill
	s_nop 0
	scratch_store_dwordx4 off, v[4:7], off offset:2068 ; 16-byte Folded Spill
	scratch_store_dwordx4 off, v[8:11], off offset:2084 ; 16-byte Folded Spill
	scratch_store_dwordx4 off, v[12:15], off offset:2100 ; 16-byte Folded Spill
	scratch_store_dwordx4 off, v[16:19], off offset:2116 ; 16-byte Folded Spill
	scratch_store_dwordx4 off, v[20:23], off offset:2132 ; 16-byte Folded Spill
	scratch_store_dwordx4 off, v[24:27], off offset:2148 ; 16-byte Folded Spill
	scratch_store_dwordx4 off, v[28:31], off offset:2164 ; 16-byte Folded Spill
	v_mov_b32_e32 v15, v62
	scratch_store_dwordx4 off, v[0:3], off offset:2180 ; 16-byte Folded Spill
	;; [unrolled: 10-line block ×8, first 2 shown]
	s_nop 0
	scratch_store_dwordx4 off, v[4:7], off offset:1300 ; 16-byte Folded Spill
	scratch_store_dwordx4 off, v[8:11], off offset:1316 ; 16-byte Folded Spill
	;; [unrolled: 1-line block ×7, first 2 shown]
	v_mov_b32_e32 v22, v93
	v_mov_b32_e32 v23, v94
	;; [unrolled: 1-line block ×6, first 2 shown]
	scratch_store_dwordx4 off, v[0:3], off offset:900 ; 16-byte Folded Spill
	s_nop 0
	scratch_store_dwordx4 off, v[4:7], off offset:916 ; 16-byte Folded Spill
	scratch_store_dwordx4 off, v[8:11], off offset:932 ; 16-byte Folded Spill
	;; [unrolled: 1-line block ×7, first 2 shown]
	s_nop 0
	v_mov_b32_e32 v24, v95
	scratch_store_dwordx4 off, v[0:3], off offset:772 ; 16-byte Folded Spill
	s_nop 0
	scratch_store_dwordx4 off, v[4:7], off offset:788 ; 16-byte Folded Spill
	scratch_store_dwordx4 off, v[8:11], off offset:804 ; 16-byte Folded Spill
	scratch_store_dwordx4 off, v[12:15], off offset:820 ; 16-byte Folded Spill
	scratch_store_dwordx4 off, v[16:19], off offset:836 ; 16-byte Folded Spill
	scratch_store_dwordx4 off, v[20:23], off offset:852 ; 16-byte Folded Spill
	scratch_store_dwordx4 off, v[24:27], off offset:868 ; 16-byte Folded Spill
	scratch_store_dwordx4 off, v[28:31], off offset:884 ; 16-byte Folded Spill
	s_nop 0
	v_mov_b32_e32 v25, v122
	scratch_store_dwordx4 off, v[0:3], off offset:644 ; 16-byte Folded Spill
	s_nop 0
	scratch_store_dwordx4 off, v[4:7], off offset:660 ; 16-byte Folded Spill
	scratch_store_dwordx4 off, v[8:11], off offset:676 ; 16-byte Folded Spill
	;; [unrolled: 1-line block ×7, first 2 shown]
	scratch_store_dwordx4 off, v[64:67], s4 ; 16-byte Folded Spill
	s_nop 0
	scratch_store_dwordx4 off, v[68:71], s4 offset:16 ; 16-byte Folded Spill
	scratch_store_dwordx4 off, v[72:75], s4 offset:32 ; 16-byte Folded Spill
	;; [unrolled: 1-line block ×7, first 2 shown]
	s_movk_i32 s4, 0x1404
	v_mov_b32_e32 v26, v123
	scratch_store_dwordx4 off, v[64:67], s4 ; 16-byte Folded Spill
	s_nop 0
	scratch_store_dwordx4 off, v[68:71], s4 offset:16 ; 16-byte Folded Spill
	scratch_store_dwordx4 off, v[72:75], s4 offset:32 ; 16-byte Folded Spill
	;; [unrolled: 1-line block ×7, first 2 shown]
	v_mov_b32_e32 v64, v123
	v_mov_b32_e32 v65, v27
	;; [unrolled: 1-line block ×5, first 2 shown]
	scratch_store_dwordx4 off, v[38:41], off offset:132 ; 16-byte Folded Spill
	s_nop 0
	scratch_store_dwordx4 off, v[42:45], off offset:148 ; 16-byte Folded Spill
	scratch_store_dwordx4 off, v[46:49], off offset:164 ; 16-byte Folded Spill
	;; [unrolled: 1-line block ×7, first 2 shown]
	v_mov_b32_e32 v50, v31
	v_mov_b32_e32 v135, v92
	;; [unrolled: 1-line block ×11, first 2 shown]
	scratch_store_dwordx4 off, v[20:23], off offset:1540 ; 16-byte Folded Spill
	s_nop 0
	scratch_store_dwordx4 off, v[24:27], off offset:1556 ; 16-byte Folded Spill
	scratch_store_dwordx4 off, v[28:31], off offset:1572 ; 16-byte Folded Spill
	;; [unrolled: 1-line block ×7, first 2 shown]
	v_mov_b32_e32 v30, v59
	v_mov_b32_e32 v54, v57
	;; [unrolled: 1-line block ×5, first 2 shown]
	scratch_store_dwordx4 off, v[18:21], off offset:516 ; 16-byte Folded Spill
	s_nop 0
	scratch_store_dwordx4 off, v[22:25], off offset:532 ; 16-byte Folded Spill
	scratch_store_dwordx4 off, v[26:29], off offset:548 ; 16-byte Folded Spill
	scratch_store_dwordx4 off, v[30:33], off offset:564 ; 16-byte Folded Spill
	scratch_store_dwordx4 off, v[34:37], off offset:580 ; 16-byte Folded Spill
	scratch_store_dwordx4 off, v[38:41], off offset:596 ; 16-byte Folded Spill
	scratch_store_dwordx4 off, v[42:45], off offset:612 ; 16-byte Folded Spill
	scratch_store_dwordx4 off, v[46:49], off offset:628 ; 16-byte Folded Spill
	v_mov_b32_e32 v29, v60
	scratch_store_dwordx4 off, v[16:19], off offset:388 ; 16-byte Folded Spill
	s_nop 0
	scratch_store_dwordx4 off, v[20:23], off offset:404 ; 16-byte Folded Spill
	scratch_store_dwordx4 off, v[24:27], off offset:420 ; 16-byte Folded Spill
	scratch_store_dwordx4 off, v[28:31], off offset:436 ; 16-byte Folded Spill
	scratch_store_dwordx4 off, v[32:35], off offset:452 ; 16-byte Folded Spill
	scratch_store_dwordx4 off, v[36:39], off offset:468 ; 16-byte Folded Spill
	scratch_store_dwordx4 off, v[40:43], off offset:484 ; 16-byte Folded Spill
	scratch_store_dwordx4 off, v[44:47], off offset:500 ; 16-byte Folded Spill
	v_mov_b32_e32 v30, v61
	;; [unrolled: 10-line block ×4, first 2 shown]
	v_mov_b32_e32 v32, v91
	v_mov_b64_e32 v[104:105], v[14:15]
	v_mov_b64_e32 v[116:117], v[26:27]
	;; [unrolled: 1-line block ×14, first 2 shown]
.LBB55_18:
	s_or_b64 exec, exec, s[2:3]
	v_cmp_eq_u32_e32 vcc, 3, v255
	s_waitcnt vmcnt(63) expcnt(7) lgkmcnt(15)
	s_barrier
	s_and_saveexec_b64 s[2:3], vcc
	s_cbranch_execz .LBB55_21
; %bb.19:
	ds_write_b32 v250, v87
	ds_write2_b64 v254, v[94:95], v[96:97] offset0:2 offset1:3
	ds_write2_b64 v254, v[98:99], v[100:101] offset0:4 offset1:5
	;; [unrolled: 1-line block ×6, first 2 shown]
	ds_read_b32 v28, v250
	s_waitcnt lgkmcnt(0)
	v_cmp_neq_f32_e32 vcc, 0, v28
	s_and_b64 exec, exec, vcc
	s_cbranch_execz .LBB55_21
; %bb.20:
	v_div_scale_f32 v29, s[4:5], v28, v28, 1.0
	v_rcp_f32_e32 v30, v29
	v_mov_b32_e32 v10, v54
	v_div_scale_f32 v31, vcc, 1.0, v28, 1.0
	v_fma_f32 v54, -v29, v30, 1.0
	v_fmac_f32_e32 v30, v54, v30
	v_mul_f32_e32 v54, v31, v30
	v_fma_f32 v55, -v29, v54, v31
	v_fmac_f32_e32 v54, v55, v30
	v_fma_f32 v29, -v29, v54, v31
	v_div_fmas_f32 v29, v29, v30, v54
	v_mov_b32_e32 v54, v10
	v_div_fixup_f32 v28, v29, v28, 1.0
	ds_write_b32 v250, v28
.LBB55_21:
	s_or_b64 exec, exec, s[2:3]
	s_waitcnt lgkmcnt(0)
	s_barrier
	ds_read_b32 v124, v250
	v_cmp_lt_u32_e32 vcc, 3, v255
	s_and_saveexec_b64 s[2:3], vcc
	s_cbranch_execz .LBB55_23
; %bb.22:
	s_movk_i32 s4, 0x1404
	ds_read2_b64 v[32:35], v254 offset0:2 offset1:3
	ds_read2_b64 v[28:31], v254 offset0:4 offset1:5
	;; [unrolled: 1-line block ×3, first 2 shown]
	s_waitcnt lgkmcnt(3)
	v_mul_f32_e32 v54, v87, v124
	ds_read2_b64 v[4:7], v254 offset0:10 offset1:11
	scratch_load_dwordx4 v[56:59], off, s4  ; 16-byte Folded Reload
	scratch_load_dwordx4 v[60:63], off, s4 offset:16 ; 16-byte Folded Reload
	scratch_load_dwordx4 v[64:67], off, s4 offset:32 ; 16-byte Folded Reload
	;; [unrolled: 1-line block ×7, first 2 shown]
	s_waitcnt lgkmcnt(3)
	v_pk_fma_f32 v[8:9], v[54:55], v[32:33], v[94:95] op_sel_hi:[0,1,1] neg_lo:[1,0,0] neg_hi:[1,0,0]
	s_waitcnt lgkmcnt(2)
	v_pk_fma_f32 v[168:169], v[54:55], v[28:29], v[98:99] op_sel_hi:[0,1,1] neg_lo:[1,0,0] neg_hi:[1,0,0]
	v_mov_b64_e32 v[28:29], v[8:9]
	v_pk_fma_f32 v[22:23], v[54:55], v[34:35], v[96:97] op_sel_hi:[0,1,1] neg_lo:[1,0,0] neg_hi:[1,0,0]
	v_mov_b32_e32 v27, v54
	v_mov_b32_e32 v11, v54
	;; [unrolled: 1-line block ×4, first 2 shown]
	s_movk_i32 s4, 0x1284
	s_waitcnt vmcnt(7)
	v_mov_b32_e32 v59, v54
	s_waitcnt lgkmcnt(1)
	v_pk_fma_f32 v[116:117], v[54:55], v[2:3], v[116:117] op_sel_hi:[0,1,1] neg_lo:[1,0,0] neg_hi:[1,0,0]
	v_mov_b32_e32 v163, v54
	v_mov_b32_e32 v173, v54
	;; [unrolled: 1-line block ×10, first 2 shown]
	scratch_store_dwordx4 off, v[8:11], s4  ; 16-byte Folded Spill
	s_nop 0
	scratch_store_dwordx4 off, v[12:15], s4 offset:16 ; 16-byte Folded Spill
	scratch_store_dwordx4 off, v[16:19], s4 offset:32 ; 16-byte Folded Spill
	;; [unrolled: 1-line block ×7, first 2 shown]
	v_mov_b32_e32 v16, v56
	v_mov_b32_e32 v17, v57
	;; [unrolled: 1-line block ×4, first 2 shown]
	s_movk_i32 s4, 0x1084
	v_mov_b32_e32 v160, v56
	v_mov_b32_e32 v161, v57
	;; [unrolled: 1-line block ×10, first 2 shown]
	scratch_store_dwordx4 off, v[8:11], s4  ; 16-byte Folded Spill
	s_nop 0
	scratch_store_dwordx4 off, v[12:15], s4 offset:16 ; 16-byte Folded Spill
	scratch_store_dwordx4 off, v[16:19], s4 offset:32 ; 16-byte Folded Spill
	;; [unrolled: 1-line block ×7, first 2 shown]
	s_movk_i32 s4, 0x1004
	v_mov_b32_e32 v166, v22
	v_mov_b64_e32 v[38:39], v[28:29]
	v_mov_b32_e32 v167, v23
	v_mov_b64_e32 v[36:37], v[26:27]
	v_mov_b64_e32 v[34:35], v[24:25]
	;; [unrolled: 1-line block ×6, first 2 shown]
	v_mov_b32_e32 v16, v168
	v_mov_b32_e32 v17, v169
	;; [unrolled: 1-line block ×4, first 2 shown]
	scratch_store_dwordx4 off, v[8:11], off offset:3588 ; 16-byte Folded Spill
	s_nop 0
	scratch_store_dwordx4 off, v[12:15], off offset:3604 ; 16-byte Folded Spill
	scratch_store_dwordx4 off, v[16:19], off offset:3620 ; 16-byte Folded Spill
	;; [unrolled: 1-line block ×7, first 2 shown]
	v_mov_b32_e32 v28, v56
	v_mov_b32_e32 v29, v57
	v_mov_b64_e32 v[8:9], v[18:19]
	v_mov_b64_e32 v[14:15], v[24:25]
	v_pk_fma_f32 v[180:181], v[54:55], v[30:31], v[100:101] op_sel_hi:[0,1,1] neg_lo:[1,0,0] neg_hi:[1,0,0]
	v_mov_b64_e32 v[10:11], v[20:21]
	v_mov_b64_e32 v[12:13], v[22:23]
	;; [unrolled: 1-line block ×4, first 2 shown]
	v_mov_b32_e32 v174, v38
	v_mov_b32_e32 v175, v39
	;; [unrolled: 1-line block ×6, first 2 shown]
	v_mov_b64_e32 v[18:19], v[36:37]
	v_mov_b64_e32 v[20:21], v[38:39]
	v_mov_b32_e32 v34, v14
	v_mov_b32_e32 v35, v15
	v_mov_b64_e32 v[48:49], v[12:13]
	v_mov_b64_e32 v[46:47], v[10:11]
	;; [unrolled: 1-line block ×3, first 2 shown]
	v_mov_b32_e32 v36, v168
	v_mov_b32_e32 v37, v169
	;; [unrolled: 1-line block ×4, first 2 shown]
	scratch_store_dwordx4 off, v[28:31], off offset:3204 ; 16-byte Folded Spill
	s_nop 0
	scratch_store_dwordx4 off, v[32:35], off offset:3220 ; 16-byte Folded Spill
	scratch_store_dwordx4 off, v[36:39], off offset:3236 ; 16-byte Folded Spill
	;; [unrolled: 1-line block ×7, first 2 shown]
	ds_read2_b64 v[8:11], v254 offset0:6 offset1:7
	ds_read2_b64 v[28:31], v254 offset0:8 offset1:9
	v_mov_b64_e32 v[42:43], v[20:21]
	v_mov_b64_e32 v[40:41], v[18:19]
	;; [unrolled: 1-line block ×4, first 2 shown]
	v_mov_b32_e32 v16, v42
	v_mov_b32_e32 v17, v43
	;; [unrolled: 1-line block ×4, first 2 shown]
	v_mov_b64_e32 v[210:211], v[40:41]
	v_mov_b64_e32 v[208:209], v[38:39]
	v_mov_b32_e32 v40, v168
	v_mov_b32_e32 v41, v169
	;; [unrolled: 1-line block ×12, first 2 shown]
	s_waitcnt lgkmcnt(1)
	v_pk_fma_f32 v[24:25], v[54:55], v[8:9], v[102:103] op_sel_hi:[0,1,1] neg_lo:[1,0,0] neg_hi:[1,0,0]
	v_mov_b64_e32 v[194:195], v[24:25]
	v_mov_b64_e32 v[98:99], v[50:51]
	v_mov_b32_e32 v32, v56
	v_mov_b32_e32 v33, v57
	v_mov_b32_e32 v34, v58
	v_mov_b64_e32 v[24:25], v[56:57]
	v_mov_b32_e32 v35, v54
	v_mov_b32_e32 v38, v50
	;; [unrolled: 1-line block ×3, first 2 shown]
	v_mov_b64_e32 v[96:97], v[48:49]
	v_mov_b64_e32 v[94:95], v[46:47]
	;; [unrolled: 1-line block ×3, first 2 shown]
	v_mov_b32_e32 v44, v194
	v_mov_b32_e32 v45, v195
	;; [unrolled: 1-line block ×8, first 2 shown]
	v_mov_b64_e32 v[26:27], v[58:59]
	scratch_store_dwordx4 off, v[32:35], off offset:2692 ; 16-byte Folded Spill
	s_nop 0
	scratch_store_dwordx4 off, v[36:39], off offset:2708 ; 16-byte Folded Spill
	scratch_store_dwordx4 off, v[40:43], off offset:2724 ; 16-byte Folded Spill
	;; [unrolled: 1-line block ×6, first 2 shown]
	s_waitcnt vmcnt(45)
	scratch_store_dwordx4 off, v[60:63], off offset:2804 ; 16-byte Folded Spill
	scratch_store_dwordx4 off, v[90:93], off offset:4 ; 16-byte Folded Spill
	s_nop 0
	scratch_store_dwordx4 off, v[94:97], off offset:20 ; 16-byte Folded Spill
	scratch_store_dwordx4 off, v[98:101], off offset:36 ; 16-byte Folded Spill
	scratch_store_dwordx4 off, v[102:105], off offset:52 ; 16-byte Folded Spill
	scratch_store_dwordx4 off, v[106:109], off offset:68 ; 16-byte Folded Spill
	scratch_store_dwordx4 off, v[110:113], off offset:84 ; 16-byte Folded Spill
	scratch_store_dwordx4 off, v[114:117], off offset:100 ; 16-byte Folded Spill
	scratch_store_dwordx4 off, v[118:121], off offset:116 ; 16-byte Folded Spill
	scratch_load_dwordx4 v[56:59], off, off offset:4 ; 16-byte Folded Reload
	scratch_load_dwordx4 v[60:63], off, off offset:20 ; 16-byte Folded Reload
	;; [unrolled: 1-line block ×8, first 2 shown]
	v_mov_b64_e32 v[192:193], v[22:23]
	v_mov_b64_e32 v[190:191], v[20:21]
	;; [unrolled: 1-line block ×6, first 2 shown]
	v_mov_b32_e32 v8, v24
	v_mov_b32_e32 v9, v25
	;; [unrolled: 1-line block ×19, first 2 shown]
	v_mov_b64_e32 v[112:113], v[194:195]
	v_mov_b64_e32 v[100:101], v[182:183]
	;; [unrolled: 1-line block ×8, first 2 shown]
	s_waitcnt vmcnt(5)
	v_mov_b32_e32 v64, v168
	v_mov_b32_e32 v65, v169
	;; [unrolled: 1-line block ×4, first 2 shown]
	s_waitcnt vmcnt(4)
	v_mov_b32_e32 v68, v194
	v_mov_b32_e32 v69, v195
	;; [unrolled: 1-line block ×12, first 2 shown]
	v_pk_fma_f32 v[22:23], v[54:55], v[10:11], v[70:71] op_sel_hi:[0,1,1] neg_lo:[1,0,0] neg_hi:[1,0,0]
	v_mov_b32_e32 v10, v26
	v_mov_b32_e32 v11, v54
	s_waitcnt vmcnt(0)
	v_mov_b64_e32 v[90:91], v[22:23]
	v_mov_b32_e32 v46, v90
	v_mov_b32_e32 v47, v91
	scratch_store_dwordx4 off, v[32:35], off offset:2180 ; 16-byte Folded Spill
	s_nop 0
	scratch_store_dwordx4 off, v[36:39], off offset:2196 ; 16-byte Folded Spill
	scratch_store_dwordx4 off, v[40:43], off offset:2212 ; 16-byte Folded Spill
	;; [unrolled: 1-line block ×7, first 2 shown]
	scratch_load_dwordx4 v[126:129], off, off offset:4 ; 16-byte Folded Reload
	scratch_load_dwordx4 v[130:133], off, off offset:20 ; 16-byte Folded Reload
	;; [unrolled: 1-line block ×8, first 2 shown]
	v_mov_b64_e32 v[88:89], v[20:21]
	v_mov_b64_e32 v[86:87], v[18:19]
	;; [unrolled: 1-line block ×9, first 2 shown]
	v_mov_b32_e32 v44, v194
	v_mov_b32_e32 v45, v195
	;; [unrolled: 1-line block ×13, first 2 shown]
	s_waitcnt vmcnt(3) lgkmcnt(0)
	v_pk_fma_f32 v[24:25], v[54:55], v[28:29], v[142:143] op_sel_hi:[0,1,1] neg_lo:[1,0,0] neg_hi:[1,0,0]
	v_mov_b64_e32 v[28:29], v[10:11]
	v_mov_b64_e32 v[26:27], v[8:9]
	v_mov_b32_e32 v32, v26
	v_mov_b32_e32 v33, v27
	;; [unrolled: 1-line block ×6, first 2 shown]
	scratch_store_dwordx4 off, v[32:35], off offset:1924 ; 16-byte Folded Spill
	s_nop 0
	scratch_store_dwordx4 off, v[36:39], off offset:1940 ; 16-byte Folded Spill
	scratch_store_dwordx4 off, v[40:43], off offset:1956 ; 16-byte Folded Spill
	;; [unrolled: 1-line block ×7, first 2 shown]
	scratch_load_dwordx4 v[126:129], off, off offset:4 ; 16-byte Folded Reload
	scratch_load_dwordx4 v[130:133], off, off offset:20 ; 16-byte Folded Reload
	;; [unrolled: 1-line block ×8, first 2 shown]
	v_mov_b64_e32 v[120:121], v[28:29]
	v_mov_b64_e32 v[118:119], v[26:27]
	s_waitcnt vmcnt(3)
	v_mov_b64_e32 v[142:143], v[24:25]
	v_mov_b32_e32 v56, v118
	v_mov_b32_e32 v57, v119
	;; [unrolled: 1-line block ×19, first 2 shown]
	v_mov_b64_e32 v[140:141], v[22:23]
	v_mov_b32_e32 v72, v24
	v_mov_b32_e32 v73, v25
	v_mov_b64_e32 v[138:139], v[20:21]
	v_mov_b64_e32 v[136:137], v[18:19]
	;; [unrolled: 1-line block ×7, first 2 shown]
	v_mov_b32_e32 v198, v142
	v_mov_b32_e32 v199, v143
	;; [unrolled: 1-line block ×13, first 2 shown]
	v_pk_fma_f32 v[74:75], v[54:55], v[30:31], v[144:145] op_sel_hi:[0,1,1] neg_lo:[1,0,0] neg_hi:[1,0,0]
	v_mov_b32_e32 v30, v120
	v_mov_b32_e32 v31, v54
	;; [unrolled: 1-line block ×4, first 2 shown]
	scratch_store_dwordx4 off, v[28:31], off offset:1668 ; 16-byte Folded Spill
	s_nop 0
	scratch_store_dwordx4 off, v[32:35], off offset:1684 ; 16-byte Folded Spill
	scratch_store_dwordx4 off, v[36:39], off offset:1700 ; 16-byte Folded Spill
	scratch_store_dwordx4 off, v[40:43], off offset:1716 ; 16-byte Folded Spill
	scratch_store_dwordx4 off, v[44:47], off offset:1732 ; 16-byte Folded Spill
	scratch_store_dwordx4 off, v[48:51], off offset:1748 ; 16-byte Folded Spill
	scratch_store_dwordx4 off, v[52:55], off offset:1764 ; 16-byte Folded Spill
	scratch_store_dwordx4 off, v[56:59], off offset:1780 ; 16-byte Folded Spill
	scratch_load_dwordx4 v[8:11], off, off offset:4 ; 16-byte Folded Reload
	s_nop 0
	scratch_load_dwordx4 v[12:15], off, off offset:20 ; 16-byte Folded Reload
	scratch_load_dwordx4 v[16:19], off, off offset:36 ; 16-byte Folded Reload
	;; [unrolled: 1-line block ×7, first 2 shown]
	s_waitcnt vmcnt(7)
	v_mov_b32_e32 v8, v118
	v_mov_b32_e32 v9, v119
	v_mov_b32_e32 v10, v120
	s_waitcnt vmcnt(6)
	v_mov_b32_e32 v12, v212
	v_mov_b32_e32 v13, v213
	v_mov_b32_e32 v14, v98
	v_mov_b32_e32 v15, v99
	s_waitcnt vmcnt(5)
	v_mov_b32_e32 v16, v168
	;; [unrolled: 5-line block ×4, first 2 shown]
	v_mov_b32_e32 v25, v143
	v_mov_b32_e32 v26, v74
	;; [unrolled: 1-line block ×3, first 2 shown]
	scratch_store_dwordx4 off, v[126:129], off offset:1156 ; 16-byte Folded Spill
	s_nop 0
	scratch_store_dwordx4 off, v[130:133], off offset:1172 ; 16-byte Folded Spill
	scratch_store_dwordx4 off, v[134:137], off offset:1188 ; 16-byte Folded Spill
	;; [unrolled: 1-line block ×7, first 2 shown]
	v_mov_b64_e32 v[46:47], v[208:209]
	v_mov_b64_e32 v[50:51], v[212:213]
	;; [unrolled: 1-line block ×3, first 2 shown]
	v_mov_b32_e32 v210, v98
	v_mov_b32_e32 v211, v99
	;; [unrolled: 1-line block ×13, first 2 shown]
	s_waitcnt vmcnt(10)
	v_pk_fma_f32 v[202:203], v[54:55], v[4:5], v[28:29] op_sel_hi:[0,1,1] neg_lo:[1,0,0] neg_hi:[1,0,0]
	v_mov_b32_e32 v28, v202
	v_mov_b32_e32 v29, v203
	scratch_store_dwordx4 off, v[8:11], off offset:1284 ; 16-byte Folded Spill
	s_nop 0
	scratch_store_dwordx4 off, v[12:15], off offset:1300 ; 16-byte Folded Spill
	scratch_store_dwordx4 off, v[16:19], off offset:1316 ; 16-byte Folded Spill
	;; [unrolled: 1-line block ×5, first 2 shown]
	s_waitcnt vmcnt(15)
	scratch_store_dwordx4 off, v[32:35], off offset:1380 ; 16-byte Folded Spill
	s_waitcnt vmcnt(15)
	scratch_store_dwordx4 off, v[36:39], off offset:1396 ; 16-byte Folded Spill
	scratch_load_dwordx4 v[126:129], off, off offset:4 ; 16-byte Folded Reload
	scratch_load_dwordx4 v[130:133], off, off offset:20 ; 16-byte Folded Reload
	;; [unrolled: 1-line block ×8, first 2 shown]
	v_mov_b64_e32 v[14:15], v[194:195]
	v_mov_b32_e32 v216, v14
	v_mov_b32_e32 v217, v15
	v_mov_b64_e32 v[26:27], v[92:93]
	v_mov_b64_e32 v[32:33], v[98:99]
	;; [unrolled: 1-line block ×4, first 2 shown]
	v_mov_b32_e32 v92, v118
	v_mov_b32_e32 v93, v119
	;; [unrolled: 1-line block ×10, first 2 shown]
	s_waitcnt vmcnt(2)
	v_pk_fma_f32 v[226:227], v[54:55], v[6:7], v[148:149] op_sel_hi:[0,1,1] neg_lo:[1,0,0] neg_hi:[1,0,0]
	scratch_load_dwordx4 v[126:129], off, off offset:1156 ; 16-byte Folded Reload
	scratch_load_dwordx4 v[130:133], off, off offset:1172 ; 16-byte Folded Reload
	;; [unrolled: 1-line block ×8, first 2 shown]
	v_mov_b64_e32 v[2:3], v[100:101]
	v_mov_b64_e32 v[12:13], v[110:111]
	v_mov_b64_e32 v[4:5], v[102:103]
	v_mov_b64_e32 v[6:7], v[104:105]
	v_mov_b64_e32 v[8:9], v[106:107]
	v_mov_b64_e32 v[10:11], v[108:109]
	v_mov_b64_e32 v[114:115], v[12:13]
	v_mov_b64_e32 v[112:113], v[10:11]
	v_mov_b64_e32 v[110:111], v[8:9]
	v_mov_b64_e32 v[108:109], v[6:7]
	v_mov_b64_e32 v[106:107], v[4:5]
	v_mov_b64_e32 v[104:105], v[2:3]
	v_mov_b32_e32 v100, v168
	v_mov_b32_e32 v101, v169
	v_mov_b32_e32 v102, v180
	v_mov_b32_e32 v103, v181
	s_waitcnt vmcnt(4)
	v_mov_b64_e32 v[2:3], v[126:127]
	v_mov_b64_e32 v[4:5], v[128:129]
	;; [unrolled: 1-line block ×10, first 2 shown]
	s_waitcnt vmcnt(3)
	v_mov_b64_e32 v[18:19], v[142:143]
	v_mov_b64_e32 v[4:5], v[106:107]
	;; [unrolled: 1-line block ×6, first 2 shown]
	v_mov_b32_e32 v104, v14
	v_mov_b32_e32 v105, v15
	;; [unrolled: 1-line block ×14, first 2 shown]
	scratch_store_dwordx4 off, v[2:5], off offset:3076 ; 16-byte Folded Spill
	s_nop 0
	scratch_store_dwordx4 off, v[6:9], off offset:3092 ; 16-byte Folded Spill
	scratch_store_dwordx4 off, v[10:13], off offset:3108 ; 16-byte Folded Spill
	scratch_store_dwordx4 off, v[14:17], off offset:3124 ; 16-byte Folded Spill
	scratch_store_dwordx4 off, v[18:21], off offset:3140 ; 16-byte Folded Spill
	scratch_store_dwordx4 off, v[22:25], off offset:3156 ; 16-byte Folded Spill
	scratch_store_dwordx4 off, v[26:29], off offset:3172 ; 16-byte Folded Spill
	scratch_store_dwordx4 off, v[30:33], off offset:3188 ; 16-byte Folded Spill
	scratch_store_dwordx4 off, v[92:95], off offset:900 ; 16-byte Folded Spill
	s_nop 0
	scratch_store_dwordx4 off, v[96:99], off offset:916 ; 16-byte Folded Spill
	scratch_store_dwordx4 off, v[100:103], off offset:932 ; 16-byte Folded Spill
	;; [unrolled: 1-line block ×7, first 2 shown]
	scratch_load_dwordx4 v[126:129], off, off offset:4 ; 16-byte Folded Reload
	scratch_load_dwordx4 v[130:133], off, off offset:20 ; 16-byte Folded Reload
	;; [unrolled: 1-line block ×8, first 2 shown]
	v_mov_b32_e32 v3, v54
	v_mov_b32_e32 v95, v54
	v_mov_b32_e32 v4, v50
	v_mov_b32_e32 v5, v51
	v_mov_b32_e32 v96, v50
	v_mov_b32_e32 v97, v51
	v_mov_b32_e32 v100, v168
	v_mov_b32_e32 v101, v169
	v_mov_b32_e32 v102, v180
	v_mov_b32_e32 v14, v90
	v_mov_b32_e32 v15, v91
	v_mov_b32_e32 v18, v74
	v_mov_b32_e32 v19, v75
	v_mov_b32_e32 v8, v168
	v_mov_b32_e32 v9, v169
	v_mov_b32_e32 v10, v180
	v_mov_b32_e32 v11, v181
	v_mov_b32_e32 v20, v202
	v_mov_b32_e32 v21, v203
	v_mov_b32_e32 v22, v226
	v_mov_b32_e32 v23, v227
	v_mov_b32_e32 v6, v32
	v_mov_b32_e32 v7, v33
	v_mov_b32_e32 v92, v118
	v_mov_b32_e32 v93, v119
	v_mov_b32_e32 v94, v120
	v_mov_b32_e32 v2, v120
	s_waitcnt vmcnt(1)
	v_pk_fma_f32 v[24:25], v[54:55], v[0:1], v[150:151] op_sel_hi:[0,1,1] neg_lo:[1,0,0] neg_hi:[1,0,0]
	scratch_load_dwordx4 v[126:129], off, off offset:3076 ; 16-byte Folded Reload
	scratch_load_dwordx4 v[130:133], off, off offset:3092 ; 16-byte Folded Reload
	;; [unrolled: 1-line block ×8, first 2 shown]
	v_mov_b32_e32 v0, v118
	v_mov_b32_e32 v1, v119
	s_waitcnt vmcnt(5)
	v_mov_b64_e32 v[104:105], v[126:127]
	v_mov_b64_e32 v[106:107], v[128:129]
	;; [unrolled: 1-line block ×6, first 2 shown]
	s_waitcnt vmcnt(4)
	v_mov_b64_e32 v[116:117], v[138:139]
	scratch_load_dwordx4 v[126:129], off, off offset:1156 ; 16-byte Folded Reload
	scratch_load_dwordx4 v[130:133], off, off offset:1172 ; 16-byte Folded Reload
	;; [unrolled: 1-line block ×8, first 2 shown]
	v_mov_b32_e32 v12, v116
	v_mov_b32_e32 v13, v117
	s_waitcnt vmcnt(3)
	v_mov_b32_e32 v16, v142
	v_mov_b32_e32 v17, v143
	scratch_load_dwordx4 v[126:129], off, off offset:4 ; 16-byte Folded Reload
	scratch_load_dwordx4 v[130:133], off, off offset:20 ; 16-byte Folded Reload
	;; [unrolled: 1-line block ×8, first 2 shown]
	s_waitcnt vmcnt(7)
	v_mov_b32_e32 v129, v54
	v_mov_b64_e32 v[52:53], v[118:119]
	v_mov_b64_e32 v[54:55], v[120:121]
	scratch_store_dwordx4 off, v[126:129], off offset:4 ; 16-byte Folded Spill
	s_waitcnt vmcnt(7)
	scratch_store_dwordx4 off, v[130:133], off offset:20 ; 16-byte Folded Spill
	s_waitcnt vmcnt(7)
	;; [unrolled: 2-line block ×7, first 2 shown]
	scratch_store_dwordx4 off, v[154:157], off offset:116 ; 16-byte Folded Spill
	scratch_store_dwordx4 off, v[26:29], s4 ; 16-byte Folded Spill
	s_nop 0
	scratch_store_dwordx4 off, v[30:33], s4 offset:16 ; 16-byte Folded Spill
	scratch_store_dwordx4 off, v[34:37], s4 offset:32 ; 16-byte Folded Spill
	;; [unrolled: 1-line block ×7, first 2 shown]
	scratch_load_dwordx4 v[126:129], off, off offset:1156 ; 16-byte Folded Reload
	scratch_load_dwordx4 v[130:133], off, off offset:1172 ; 16-byte Folded Reload
	;; [unrolled: 1-line block ×8, first 2 shown]
	v_mov_b64_e32 v[44:45], v[116:117]
	v_mov_b32_e32 v116, v24
	v_mov_b32_e32 v117, v25
	;; [unrolled: 1-line block ×3, first 2 shown]
	v_mov_b64_e32 v[32:33], v[104:105]
	v_mov_b64_e32 v[34:35], v[106:107]
	v_mov_b64_e32 v[36:37], v[108:109]
	v_mov_b64_e32 v[38:39], v[110:111]
	v_mov_b64_e32 v[40:41], v[112:113]
	v_mov_b64_e32 v[42:43], v[114:115]
	v_mov_b32_e32 v104, v44
	v_mov_b32_e32 v105, v45
	v_mov_b32_e32 v106, v90
	v_mov_b32_e32 v107, v91
	s_waitcnt vmcnt(3)
	v_mov_b32_e32 v108, v142
	v_mov_b32_e32 v109, v143
	;; [unrolled: 1-line block ×8, first 2 shown]
	scratch_store_dwordx4 off, v[92:95], off offset:644 ; 16-byte Folded Spill
	s_nop 0
	scratch_store_dwordx4 off, v[96:99], off offset:660 ; 16-byte Folded Spill
	scratch_store_dwordx4 off, v[100:103], off offset:676 ; 16-byte Folded Spill
	;; [unrolled: 1-line block ×7, first 2 shown]
	scratch_load_dwordx4 v[126:129], off, off offset:4 ; 16-byte Folded Reload
	scratch_load_dwordx4 v[130:133], off, off offset:20 ; 16-byte Folded Reload
	;; [unrolled: 1-line block ×8, first 2 shown]
	s_waitcnt vmcnt(7)
	v_mov_b32_e32 v126, v52
	scratch_store_dwordx4 off, v[126:129], off offset:4 ; 16-byte Folded Spill
	s_waitcnt vmcnt(7)
	scratch_store_dwordx4 off, v[130:133], off offset:20 ; 16-byte Folded Spill
	s_waitcnt vmcnt(7)
	scratch_store_dwordx4 off, v[134:137], off offset:36 ; 16-byte Folded Spill
	s_waitcnt vmcnt(7)
	scratch_store_dwordx4 off, v[138:141], off offset:52 ; 16-byte Folded Spill
	s_waitcnt vmcnt(7)
	scratch_store_dwordx4 off, v[142:145], off offset:68 ; 16-byte Folded Spill
	s_waitcnt vmcnt(7)
	scratch_store_dwordx4 off, v[146:149], off offset:84 ; 16-byte Folded Spill
	s_waitcnt vmcnt(7)
	scratch_store_dwordx4 off, v[150:153], off offset:100 ; 16-byte Folded Spill
	s_waitcnt vmcnt(7)
	scratch_store_dwordx4 off, v[154:157], off offset:116 ; 16-byte Folded Spill
	scratch_load_dwordx4 v[126:129], off, off offset:4 ; 16-byte Folded Reload
	s_nop 0
	scratch_load_dwordx4 v[130:133], off, off offset:20 ; 16-byte Folded Reload
	scratch_load_dwordx4 v[134:137], off, off offset:36 ; 16-byte Folded Reload
	scratch_load_dwordx4 v[138:141], off, off offset:52 ; 16-byte Folded Reload
	scratch_load_dwordx4 v[142:145], off, off offset:68 ; 16-byte Folded Reload
	scratch_load_dwordx4 v[146:149], off, off offset:84 ; 16-byte Folded Reload
	scratch_load_dwordx4 v[150:153], off, off offset:100 ; 16-byte Folded Reload
	scratch_load_dwordx4 v[154:157], off, off offset:116 ; 16-byte Folded Reload
	s_waitcnt vmcnt(7)
	v_mov_b32_e32 v127, v53
	scratch_store_dwordx4 off, v[126:129], off offset:4 ; 16-byte Folded Spill
	s_waitcnt vmcnt(7)
	scratch_store_dwordx4 off, v[130:133], off offset:20 ; 16-byte Folded Spill
	s_waitcnt vmcnt(7)
	scratch_store_dwordx4 off, v[134:137], off offset:36 ; 16-byte Folded Spill
	s_waitcnt vmcnt(7)
	scratch_store_dwordx4 off, v[138:141], off offset:52 ; 16-byte Folded Spill
	s_waitcnt vmcnt(7)
	scratch_store_dwordx4 off, v[142:145], off offset:68 ; 16-byte Folded Spill
	s_waitcnt vmcnt(7)
	scratch_store_dwordx4 off, v[146:149], off offset:84 ; 16-byte Folded Spill
	s_waitcnt vmcnt(7)
	scratch_store_dwordx4 off, v[150:153], off offset:100 ; 16-byte Folded Spill
	s_waitcnt vmcnt(7)
	scratch_store_dwordx4 off, v[154:157], off offset:116 ; 16-byte Folded Spill
	scratch_load_dwordx4 v[126:129], off, off offset:4 ; 16-byte Folded Reload
	s_nop 0
	scratch_load_dwordx4 v[130:133], off, off offset:20 ; 16-byte Folded Reload
	scratch_load_dwordx4 v[134:137], off, off offset:36 ; 16-byte Folded Reload
	scratch_load_dwordx4 v[138:141], off, off offset:52 ; 16-byte Folded Reload
	scratch_load_dwordx4 v[142:145], off, off offset:68 ; 16-byte Folded Reload
	scratch_load_dwordx4 v[146:149], off, off offset:84 ; 16-byte Folded Reload
	scratch_load_dwordx4 v[150:153], off, off offset:100 ; 16-byte Folded Reload
	scratch_load_dwordx4 v[154:157], off, off offset:116 ; 16-byte Folded Reload
	;; [unrolled: 26-line block ×3, first 2 shown]
	s_waitcnt vmcnt(6)
	v_mov_b32_e32 v130, v50
	scratch_store_dwordx4 off, v[126:129], off offset:4 ; 16-byte Folded Spill
	s_nop 0
	scratch_store_dwordx4 off, v[130:133], off offset:20 ; 16-byte Folded Spill
	s_waitcnt vmcnt(7)
	scratch_store_dwordx4 off, v[134:137], off offset:36 ; 16-byte Folded Spill
	s_waitcnt vmcnt(7)
	;; [unrolled: 2-line block ×6, first 2 shown]
	scratch_store_dwordx4 off, v[154:157], off offset:116 ; 16-byte Folded Spill
	scratch_load_dwordx4 v[126:129], off, off offset:4 ; 16-byte Folded Reload
	s_nop 0
	scratch_load_dwordx4 v[130:133], off, off offset:20 ; 16-byte Folded Reload
	scratch_load_dwordx4 v[134:137], off, off offset:36 ; 16-byte Folded Reload
	scratch_load_dwordx4 v[138:141], off, off offset:52 ; 16-byte Folded Reload
	scratch_load_dwordx4 v[142:145], off, off offset:68 ; 16-byte Folded Reload
	scratch_load_dwordx4 v[146:149], off, off offset:84 ; 16-byte Folded Reload
	scratch_load_dwordx4 v[150:153], off, off offset:100 ; 16-byte Folded Reload
	scratch_load_dwordx4 v[154:157], off, off offset:116 ; 16-byte Folded Reload
	s_waitcnt vmcnt(6)
	v_mov_b32_e32 v131, v51
	scratch_store_dwordx4 off, v[126:129], off offset:4 ; 16-byte Folded Spill
	s_nop 0
	scratch_store_dwordx4 off, v[130:133], off offset:20 ; 16-byte Folded Spill
	s_waitcnt vmcnt(7)
	scratch_store_dwordx4 off, v[134:137], off offset:36 ; 16-byte Folded Spill
	s_waitcnt vmcnt(7)
	;; [unrolled: 2-line block ×6, first 2 shown]
	scratch_store_dwordx4 off, v[154:157], off offset:116 ; 16-byte Folded Spill
	scratch_load_dwordx4 v[126:129], off, off offset:4 ; 16-byte Folded Reload
	s_nop 0
	scratch_load_dwordx4 v[130:133], off, off offset:20 ; 16-byte Folded Reload
	scratch_load_dwordx4 v[134:137], off, off offset:36 ; 16-byte Folded Reload
	scratch_load_dwordx4 v[138:141], off, off offset:52 ; 16-byte Folded Reload
	scratch_load_dwordx4 v[142:145], off, off offset:68 ; 16-byte Folded Reload
	scratch_load_dwordx4 v[146:149], off, off offset:84 ; 16-byte Folded Reload
	scratch_load_dwordx4 v[150:153], off, off offset:100 ; 16-byte Folded Reload
	scratch_load_dwordx4 v[154:157], off, off offset:116 ; 16-byte Folded Reload
	scratch_load_dwordx4 v[92:95], off, s4  ; 16-byte Folded Reload
	scratch_load_dwordx4 v[96:99], off, s4 offset:16 ; 16-byte Folded Reload
	scratch_load_dwordx4 v[100:103], off, s4 offset:32 ; 16-byte Folded Reload
	;; [unrolled: 1-line block ×7, first 2 shown]
	s_movk_i32 s4, 0x1384
	s_waitcnt vmcnt(6)
	v_mov_b32_e32 v132, v98
	scratch_store_dwordx4 off, v[126:129], off offset:4 ; 16-byte Folded Spill
	s_nop 0
	scratch_store_dwordx4 off, v[130:133], off offset:20 ; 16-byte Folded Spill
	scratch_store_dwordx4 off, v[134:137], off offset:36 ; 16-byte Folded Spill
	;; [unrolled: 1-line block ×7, first 2 shown]
	scratch_load_dwordx4 v[126:129], off, off offset:4 ; 16-byte Folded Reload
	s_nop 0
	scratch_load_dwordx4 v[130:133], off, off offset:20 ; 16-byte Folded Reload
	scratch_load_dwordx4 v[134:137], off, off offset:36 ; 16-byte Folded Reload
	;; [unrolled: 1-line block ×7, first 2 shown]
	s_waitcnt vmcnt(6)
	v_mov_b32_e32 v133, v99
	scratch_store_dwordx4 off, v[126:129], off offset:4 ; 16-byte Folded Spill
	s_nop 0
	scratch_store_dwordx4 off, v[130:133], off offset:20 ; 16-byte Folded Spill
	s_waitcnt vmcnt(7)
	scratch_store_dwordx4 off, v[134:137], off offset:36 ; 16-byte Folded Spill
	s_waitcnt vmcnt(7)
	;; [unrolled: 2-line block ×6, first 2 shown]
	scratch_store_dwordx4 off, v[154:157], off offset:116 ; 16-byte Folded Spill
	scratch_load_dwordx4 v[126:129], off, off offset:4 ; 16-byte Folded Reload
	s_nop 0
	scratch_load_dwordx4 v[130:133], off, off offset:20 ; 16-byte Folded Reload
	scratch_load_dwordx4 v[134:137], off, off offset:36 ; 16-byte Folded Reload
	scratch_load_dwordx4 v[138:141], off, off offset:52 ; 16-byte Folded Reload
	scratch_load_dwordx4 v[142:145], off, off offset:68 ; 16-byte Folded Reload
	scratch_load_dwordx4 v[146:149], off, off offset:84 ; 16-byte Folded Reload
	scratch_load_dwordx4 v[150:153], off, off offset:100 ; 16-byte Folded Reload
	scratch_load_dwordx4 v[154:157], off, off offset:116 ; 16-byte Folded Reload
	s_waitcnt vmcnt(5)
	v_mov_b32_e32 v134, v168
	scratch_store_dwordx4 off, v[126:129], off offset:4 ; 16-byte Folded Spill
	s_nop 0
	scratch_store_dwordx4 off, v[130:133], off offset:20 ; 16-byte Folded Spill
	scratch_store_dwordx4 off, v[134:137], off offset:36 ; 16-byte Folded Spill
	s_waitcnt vmcnt(7)
	scratch_store_dwordx4 off, v[138:141], off offset:52 ; 16-byte Folded Spill
	s_waitcnt vmcnt(7)
	scratch_store_dwordx4 off, v[142:145], off offset:68 ; 16-byte Folded Spill
	s_waitcnt vmcnt(7)
	scratch_store_dwordx4 off, v[146:149], off offset:84 ; 16-byte Folded Spill
	s_waitcnt vmcnt(7)
	scratch_store_dwordx4 off, v[150:153], off offset:100 ; 16-byte Folded Spill
	s_waitcnt vmcnt(7)
	scratch_store_dwordx4 off, v[154:157], off offset:116 ; 16-byte Folded Spill
	scratch_load_dwordx4 v[126:129], off, off offset:4 ; 16-byte Folded Reload
	s_nop 0
	scratch_load_dwordx4 v[130:133], off, off offset:20 ; 16-byte Folded Reload
	scratch_load_dwordx4 v[134:137], off, off offset:36 ; 16-byte Folded Reload
	scratch_load_dwordx4 v[138:141], off, off offset:52 ; 16-byte Folded Reload
	scratch_load_dwordx4 v[142:145], off, off offset:68 ; 16-byte Folded Reload
	scratch_load_dwordx4 v[146:149], off, off offset:84 ; 16-byte Folded Reload
	scratch_load_dwordx4 v[150:153], off, off offset:100 ; 16-byte Folded Reload
	scratch_load_dwordx4 v[154:157], off, off offset:116 ; 16-byte Folded Reload
	s_waitcnt vmcnt(5)
	v_mov_b32_e32 v135, v169
	scratch_store_dwordx4 off, v[126:129], off offset:4 ; 16-byte Folded Spill
	s_nop 0
	scratch_store_dwordx4 off, v[130:133], off offset:20 ; 16-byte Folded Spill
	scratch_store_dwordx4 off, v[134:137], off offset:36 ; 16-byte Folded Spill
	s_waitcnt vmcnt(7)
	scratch_store_dwordx4 off, v[138:141], off offset:52 ; 16-byte Folded Spill
	s_waitcnt vmcnt(7)
	scratch_store_dwordx4 off, v[142:145], off offset:68 ; 16-byte Folded Spill
	s_waitcnt vmcnt(7)
	scratch_store_dwordx4 off, v[146:149], off offset:84 ; 16-byte Folded Spill
	s_waitcnt vmcnt(7)
	scratch_store_dwordx4 off, v[150:153], off offset:100 ; 16-byte Folded Spill
	s_waitcnt vmcnt(7)
	;; [unrolled: 25-line block ×4, first 2 shown]
	scratch_store_dwordx4 off, v[154:157], off offset:116 ; 16-byte Folded Spill
	scratch_load_dwordx4 v[126:129], off, off offset:4 ; 16-byte Folded Reload
	s_nop 0
	scratch_load_dwordx4 v[130:133], off, off offset:20 ; 16-byte Folded Reload
	scratch_load_dwordx4 v[134:137], off, off offset:36 ; 16-byte Folded Reload
	;; [unrolled: 1-line block ×7, first 2 shown]
	s_waitcnt vmcnt(4)
	v_mov_b32_e32 v138, v44
	scratch_store_dwordx4 off, v[126:129], off offset:4 ; 16-byte Folded Spill
	s_nop 0
	scratch_store_dwordx4 off, v[130:133], off offset:20 ; 16-byte Folded Spill
	scratch_store_dwordx4 off, v[134:137], off offset:36 ; 16-byte Folded Spill
	;; [unrolled: 1-line block ×3, first 2 shown]
	s_waitcnt vmcnt(7)
	scratch_store_dwordx4 off, v[142:145], off offset:68 ; 16-byte Folded Spill
	s_waitcnt vmcnt(7)
	scratch_store_dwordx4 off, v[146:149], off offset:84 ; 16-byte Folded Spill
	;; [unrolled: 2-line block ×4, first 2 shown]
	scratch_load_dwordx4 v[126:129], off, off offset:4 ; 16-byte Folded Reload
	s_nop 0
	scratch_load_dwordx4 v[130:133], off, off offset:20 ; 16-byte Folded Reload
	scratch_load_dwordx4 v[134:137], off, off offset:36 ; 16-byte Folded Reload
	scratch_load_dwordx4 v[138:141], off, off offset:52 ; 16-byte Folded Reload
	scratch_load_dwordx4 v[142:145], off, off offset:68 ; 16-byte Folded Reload
	scratch_load_dwordx4 v[146:149], off, off offset:84 ; 16-byte Folded Reload
	scratch_load_dwordx4 v[150:153], off, off offset:100 ; 16-byte Folded Reload
	scratch_load_dwordx4 v[154:157], off, off offset:116 ; 16-byte Folded Reload
	s_waitcnt vmcnt(4)
	v_mov_b32_e32 v139, v45
	scratch_store_dwordx4 off, v[126:129], off offset:4 ; 16-byte Folded Spill
	s_nop 0
	scratch_store_dwordx4 off, v[130:133], off offset:20 ; 16-byte Folded Spill
	scratch_store_dwordx4 off, v[134:137], off offset:36 ; 16-byte Folded Spill
	;; [unrolled: 1-line block ×3, first 2 shown]
	s_waitcnt vmcnt(7)
	scratch_store_dwordx4 off, v[142:145], off offset:68 ; 16-byte Folded Spill
	s_waitcnt vmcnt(7)
	scratch_store_dwordx4 off, v[146:149], off offset:84 ; 16-byte Folded Spill
	;; [unrolled: 2-line block ×4, first 2 shown]
	scratch_load_dwordx4 v[126:129], off, off offset:4 ; 16-byte Folded Reload
	s_nop 0
	scratch_load_dwordx4 v[130:133], off, off offset:20 ; 16-byte Folded Reload
	scratch_load_dwordx4 v[134:137], off, off offset:36 ; 16-byte Folded Reload
	;; [unrolled: 1-line block ×7, first 2 shown]
	v_mov_b64_e32 v[114:115], v[98:99]
	v_mov_b64_e32 v[112:113], v[96:97]
	;; [unrolled: 1-line block ×4, first 2 shown]
	scratch_store_dwordx4 off, v[76:79], off offset:2052 ; 16-byte Folded Spill
	s_nop 0
	scratch_store_dwordx4 off, v[80:83], off offset:2068 ; 16-byte Folded Spill
	scratch_store_dwordx4 off, v[84:87], off offset:2084 ; 16-byte Folded Spill
	;; [unrolled: 1-line block ×7, first 2 shown]
	s_waitcnt vmcnt(12)
	v_mov_b32_e32 v140, v90
	scratch_store_dwordx4 off, v[126:129], off offset:4 ; 16-byte Folded Spill
	s_nop 0
	scratch_store_dwordx4 off, v[130:133], off offset:20 ; 16-byte Folded Spill
	scratch_store_dwordx4 off, v[134:137], off offset:36 ; 16-byte Folded Spill
	;; [unrolled: 1-line block ×3, first 2 shown]
	s_waitcnt vmcnt(15)
	scratch_store_dwordx4 off, v[142:145], off offset:68 ; 16-byte Folded Spill
	s_waitcnt vmcnt(15)
	scratch_store_dwordx4 off, v[146:149], off offset:84 ; 16-byte Folded Spill
	;; [unrolled: 2-line block ×4, first 2 shown]
	scratch_load_dwordx4 v[126:129], off, off offset:4 ; 16-byte Folded Reload
	s_nop 0
	scratch_load_dwordx4 v[130:133], off, off offset:20 ; 16-byte Folded Reload
	scratch_load_dwordx4 v[134:137], off, off offset:36 ; 16-byte Folded Reload
	;; [unrolled: 1-line block ×7, first 2 shown]
	s_waitcnt vmcnt(4)
	v_mov_b32_e32 v141, v91
	scratch_store_dwordx4 off, v[126:129], off offset:4 ; 16-byte Folded Spill
	s_nop 0
	scratch_store_dwordx4 off, v[130:133], off offset:20 ; 16-byte Folded Spill
	scratch_store_dwordx4 off, v[134:137], off offset:36 ; 16-byte Folded Spill
	;; [unrolled: 1-line block ×3, first 2 shown]
	s_waitcnt vmcnt(7)
	scratch_store_dwordx4 off, v[142:145], off offset:68 ; 16-byte Folded Spill
	s_waitcnt vmcnt(7)
	scratch_store_dwordx4 off, v[146:149], off offset:84 ; 16-byte Folded Spill
	;; [unrolled: 2-line block ×4, first 2 shown]
	scratch_load_dwordx4 v[126:129], off, off offset:4 ; 16-byte Folded Reload
	s_nop 0
	scratch_load_dwordx4 v[130:133], off, off offset:20 ; 16-byte Folded Reload
	scratch_load_dwordx4 v[134:137], off, off offset:36 ; 16-byte Folded Reload
	;; [unrolled: 1-line block ×15, first 2 shown]
	s_waitcnt vmcnt(3)
	v_mov_b32_e32 v142, v92
	scratch_store_dwordx4 off, v[126:129], off offset:4 ; 16-byte Folded Spill
	s_nop 0
	scratch_store_dwordx4 off, v[130:133], off offset:20 ; 16-byte Folded Spill
	scratch_store_dwordx4 off, v[134:137], off offset:36 ; 16-byte Folded Spill
	scratch_store_dwordx4 off, v[138:141], off offset:52 ; 16-byte Folded Spill
	scratch_store_dwordx4 off, v[142:145], off offset:68 ; 16-byte Folded Spill
	scratch_store_dwordx4 off, v[146:149], off offset:84 ; 16-byte Folded Spill
	scratch_store_dwordx4 off, v[150:153], off offset:100 ; 16-byte Folded Spill
	scratch_store_dwordx4 off, v[154:157], off offset:116 ; 16-byte Folded Spill
	scratch_load_dwordx4 v[126:129], off, off offset:4 ; 16-byte Folded Reload
	s_nop 0
	scratch_load_dwordx4 v[130:133], off, off offset:20 ; 16-byte Folded Reload
	scratch_load_dwordx4 v[134:137], off, off offset:36 ; 16-byte Folded Reload
	;; [unrolled: 1-line block ×15, first 2 shown]
	s_waitcnt vmcnt(3)
	v_mov_b32_e32 v143, v93
	scratch_store_dwordx4 off, v[126:129], off offset:4 ; 16-byte Folded Spill
	s_nop 0
	scratch_store_dwordx4 off, v[130:133], off offset:20 ; 16-byte Folded Spill
	scratch_store_dwordx4 off, v[134:137], off offset:36 ; 16-byte Folded Spill
	;; [unrolled: 1-line block ×7, first 2 shown]
	scratch_load_dwordx4 v[126:129], off, off offset:4 ; 16-byte Folded Reload
	s_nop 0
	scratch_load_dwordx4 v[130:133], off, off offset:20 ; 16-byte Folded Reload
	scratch_load_dwordx4 v[134:137], off, off offset:36 ; 16-byte Folded Reload
	;; [unrolled: 1-line block ×7, first 2 shown]
	s_waitcnt vmcnt(3)
	v_mov_b32_e32 v144, v74
	scratch_store_dwordx4 off, v[126:129], off offset:4 ; 16-byte Folded Spill
	s_nop 0
	scratch_store_dwordx4 off, v[130:133], off offset:20 ; 16-byte Folded Spill
	scratch_store_dwordx4 off, v[134:137], off offset:36 ; 16-byte Folded Spill
	scratch_store_dwordx4 off, v[138:141], off offset:52 ; 16-byte Folded Spill
	scratch_store_dwordx4 off, v[142:145], off offset:68 ; 16-byte Folded Spill
	s_waitcnt vmcnt(7)
	scratch_store_dwordx4 off, v[146:149], off offset:84 ; 16-byte Folded Spill
	s_waitcnt vmcnt(7)
	scratch_store_dwordx4 off, v[150:153], off offset:100 ; 16-byte Folded Spill
	;; [unrolled: 2-line block ×3, first 2 shown]
	scratch_load_dwordx4 v[126:129], off, off offset:4 ; 16-byte Folded Reload
	s_nop 0
	scratch_load_dwordx4 v[130:133], off, off offset:20 ; 16-byte Folded Reload
	scratch_load_dwordx4 v[134:137], off, off offset:36 ; 16-byte Folded Reload
	;; [unrolled: 1-line block ×7, first 2 shown]
	s_waitcnt vmcnt(3)
	v_mov_b32_e32 v145, v75
	scratch_store_dwordx4 off, v[126:129], off offset:4 ; 16-byte Folded Spill
	s_nop 0
	scratch_store_dwordx4 off, v[130:133], off offset:20 ; 16-byte Folded Spill
	scratch_store_dwordx4 off, v[134:137], off offset:36 ; 16-byte Folded Spill
	;; [unrolled: 1-line block ×4, first 2 shown]
	s_waitcnt vmcnt(7)
	scratch_store_dwordx4 off, v[146:149], off offset:84 ; 16-byte Folded Spill
	s_waitcnt vmcnt(7)
	scratch_store_dwordx4 off, v[150:153], off offset:100 ; 16-byte Folded Spill
	;; [unrolled: 2-line block ×3, first 2 shown]
	scratch_load_dwordx4 v[126:129], off, off offset:4 ; 16-byte Folded Reload
	s_nop 0
	scratch_load_dwordx4 v[130:133], off, off offset:20 ; 16-byte Folded Reload
	scratch_load_dwordx4 v[134:137], off, off offset:36 ; 16-byte Folded Reload
	scratch_load_dwordx4 v[138:141], off, off offset:52 ; 16-byte Folded Reload
	scratch_load_dwordx4 v[142:145], off, off offset:68 ; 16-byte Folded Reload
	scratch_load_dwordx4 v[146:149], off, off offset:84 ; 16-byte Folded Reload
	scratch_load_dwordx4 v[150:153], off, off offset:100 ; 16-byte Folded Reload
	scratch_load_dwordx4 v[154:157], off, off offset:116 ; 16-byte Folded Reload
	s_waitcnt vmcnt(2)
	v_mov_b32_e32 v146, v202
	scratch_store_dwordx4 off, v[126:129], off offset:4 ; 16-byte Folded Spill
	s_nop 0
	scratch_store_dwordx4 off, v[130:133], off offset:20 ; 16-byte Folded Spill
	scratch_store_dwordx4 off, v[134:137], off offset:36 ; 16-byte Folded Spill
	scratch_store_dwordx4 off, v[138:141], off offset:52 ; 16-byte Folded Spill
	scratch_store_dwordx4 off, v[142:145], off offset:68 ; 16-byte Folded Spill
	scratch_store_dwordx4 off, v[146:149], off offset:84 ; 16-byte Folded Spill
	s_waitcnt vmcnt(7)
	scratch_store_dwordx4 off, v[150:153], off offset:100 ; 16-byte Folded Spill
	s_waitcnt vmcnt(7)
	scratch_store_dwordx4 off, v[154:157], off offset:116 ; 16-byte Folded Spill
	scratch_load_dwordx4 v[126:129], off, off offset:4 ; 16-byte Folded Reload
	s_nop 0
	scratch_load_dwordx4 v[130:133], off, off offset:20 ; 16-byte Folded Reload
	scratch_load_dwordx4 v[134:137], off, off offset:36 ; 16-byte Folded Reload
	scratch_load_dwordx4 v[138:141], off, off offset:52 ; 16-byte Folded Reload
	scratch_load_dwordx4 v[142:145], off, off offset:68 ; 16-byte Folded Reload
	scratch_load_dwordx4 v[146:149], off, off offset:84 ; 16-byte Folded Reload
	scratch_load_dwordx4 v[150:153], off, off offset:100 ; 16-byte Folded Reload
	scratch_load_dwordx4 v[154:157], off, off offset:116 ; 16-byte Folded Reload
	s_waitcnt vmcnt(2)
	v_mov_b32_e32 v147, v203
	scratch_store_dwordx4 off, v[126:129], off offset:4 ; 16-byte Folded Spill
	s_nop 0
	scratch_store_dwordx4 off, v[130:133], off offset:20 ; 16-byte Folded Spill
	scratch_store_dwordx4 off, v[134:137], off offset:36 ; 16-byte Folded Spill
	scratch_store_dwordx4 off, v[138:141], off offset:52 ; 16-byte Folded Spill
	scratch_store_dwordx4 off, v[142:145], off offset:68 ; 16-byte Folded Spill
	scratch_store_dwordx4 off, v[146:149], off offset:84 ; 16-byte Folded Spill
	s_waitcnt vmcnt(7)
	scratch_store_dwordx4 off, v[150:153], off offset:100 ; 16-byte Folded Spill
	s_waitcnt vmcnt(7)
	scratch_store_dwordx4 off, v[154:157], off offset:116 ; 16-byte Folded Spill
	scratch_load_dwordx4 v[126:129], off, off offset:4 ; 16-byte Folded Reload
	s_nop 0
	scratch_load_dwordx4 v[130:133], off, off offset:20 ; 16-byte Folded Reload
	scratch_load_dwordx4 v[134:137], off, off offset:36 ; 16-byte Folded Reload
	scratch_load_dwordx4 v[138:141], off, off offset:52 ; 16-byte Folded Reload
	scratch_load_dwordx4 v[142:145], off, off offset:68 ; 16-byte Folded Reload
	scratch_load_dwordx4 v[146:149], off, off offset:84 ; 16-byte Folded Reload
	scratch_load_dwordx4 v[150:153], off, off offset:100 ; 16-byte Folded Reload
	scratch_load_dwordx4 v[154:157], off, off offset:116 ; 16-byte Folded Reload
	s_waitcnt vmcnt(2)
	v_mov_b32_e32 v148, v226
	scratch_store_dwordx4 off, v[126:129], off offset:4 ; 16-byte Folded Spill
	s_nop 0
	scratch_store_dwordx4 off, v[130:133], off offset:20 ; 16-byte Folded Spill
	scratch_store_dwordx4 off, v[134:137], off offset:36 ; 16-byte Folded Spill
	scratch_store_dwordx4 off, v[138:141], off offset:52 ; 16-byte Folded Spill
	scratch_store_dwordx4 off, v[142:145], off offset:68 ; 16-byte Folded Spill
	scratch_store_dwordx4 off, v[146:149], off offset:84 ; 16-byte Folded Spill
	s_waitcnt vmcnt(7)
	scratch_store_dwordx4 off, v[150:153], off offset:100 ; 16-byte Folded Spill
	s_waitcnt vmcnt(7)
	scratch_store_dwordx4 off, v[154:157], off offset:116 ; 16-byte Folded Spill
	scratch_load_dwordx4 v[126:129], off, off offset:4 ; 16-byte Folded Reload
	s_nop 0
	scratch_load_dwordx4 v[130:133], off, off offset:20 ; 16-byte Folded Reload
	scratch_load_dwordx4 v[134:137], off, off offset:36 ; 16-byte Folded Reload
	scratch_load_dwordx4 v[138:141], off, off offset:52 ; 16-byte Folded Reload
	scratch_load_dwordx4 v[142:145], off, off offset:68 ; 16-byte Folded Reload
	scratch_load_dwordx4 v[146:149], off, off offset:84 ; 16-byte Folded Reload
	scratch_load_dwordx4 v[150:153], off, off offset:100 ; 16-byte Folded Reload
	scratch_load_dwordx4 v[154:157], off, off offset:116 ; 16-byte Folded Reload
	s_waitcnt vmcnt(2)
	v_mov_b32_e32 v149, v227
	scratch_store_dwordx4 off, v[126:129], off offset:4 ; 16-byte Folded Spill
	s_nop 0
	scratch_store_dwordx4 off, v[130:133], off offset:20 ; 16-byte Folded Spill
	scratch_store_dwordx4 off, v[134:137], off offset:36 ; 16-byte Folded Spill
	scratch_store_dwordx4 off, v[138:141], off offset:52 ; 16-byte Folded Spill
	scratch_store_dwordx4 off, v[142:145], off offset:68 ; 16-byte Folded Spill
	scratch_store_dwordx4 off, v[146:149], off offset:84 ; 16-byte Folded Spill
	s_waitcnt vmcnt(7)
	scratch_store_dwordx4 off, v[150:153], off offset:100 ; 16-byte Folded Spill
	s_waitcnt vmcnt(7)
	scratch_store_dwordx4 off, v[154:157], off offset:116 ; 16-byte Folded Spill
	scratch_load_dwordx4 v[126:129], off, off offset:4 ; 16-byte Folded Reload
	s_nop 0
	scratch_load_dwordx4 v[130:133], off, off offset:20 ; 16-byte Folded Reload
	scratch_load_dwordx4 v[134:137], off, off offset:36 ; 16-byte Folded Reload
	;; [unrolled: 1-line block ×7, first 2 shown]
	s_waitcnt vmcnt(1)
	v_mov_b32_e32 v150, v24
	scratch_store_dwordx4 off, v[126:129], off offset:4 ; 16-byte Folded Spill
	s_nop 0
	scratch_store_dwordx4 off, v[130:133], off offset:20 ; 16-byte Folded Spill
	scratch_store_dwordx4 off, v[134:137], off offset:36 ; 16-byte Folded Spill
	;; [unrolled: 1-line block ×6, first 2 shown]
	s_waitcnt vmcnt(7)
	scratch_store_dwordx4 off, v[154:157], off offset:116 ; 16-byte Folded Spill
	scratch_load_dwordx4 v[126:129], off, off offset:4 ; 16-byte Folded Reload
	s_nop 0
	scratch_load_dwordx4 v[130:133], off, off offset:20 ; 16-byte Folded Reload
	scratch_load_dwordx4 v[134:137], off, off offset:36 ; 16-byte Folded Reload
	;; [unrolled: 1-line block ×7, first 2 shown]
	s_waitcnt vmcnt(1)
	v_mov_b32_e32 v151, v25
	scratch_store_dwordx4 off, v[126:129], off offset:4 ; 16-byte Folded Spill
	s_nop 0
	scratch_store_dwordx4 off, v[130:133], off offset:20 ; 16-byte Folded Spill
	scratch_store_dwordx4 off, v[134:137], off offset:36 ; 16-byte Folded Spill
	;; [unrolled: 1-line block ×6, first 2 shown]
	s_waitcnt vmcnt(7)
	scratch_store_dwordx4 off, v[154:157], off offset:116 ; 16-byte Folded Spill
	scratch_store_dwordx4 off, v[52:55], s4 ; 16-byte Folded Spill
	s_nop 0
	scratch_store_dwordx4 off, v[56:59], s4 offset:16 ; 16-byte Folded Spill
	scratch_store_dwordx4 off, v[60:63], s4 offset:32 ; 16-byte Folded Spill
	;; [unrolled: 1-line block ×7, first 2 shown]
	scratch_load_dwordx4 v[128:131], off, off offset:4 ; 16-byte Folded Reload
	scratch_load_dwordx4 v[132:135], off, off offset:20 ; 16-byte Folded Reload
	;; [unrolled: 1-line block ×8, first 2 shown]
	s_movk_i32 s4, 0x1304
	s_waitcnt vmcnt(1)
	v_mov_b32_e32 v26, v154
	scratch_load_dwordx4 v[128:131], off, off offset:4 ; 16-byte Folded Reload
	scratch_load_dwordx4 v[132:135], off, off offset:20 ; 16-byte Folded Reload
	;; [unrolled: 1-line block ×8, first 2 shown]
	s_waitcnt vmcnt(1)
	v_mov_b32_e32 v144, v160
	v_mov_b32_e32 v145, v161
	;; [unrolled: 1-line block ×10, first 2 shown]
	scratch_store_dwordx4 off, v[0:3], off offset:132 ; 16-byte Folded Spill
	s_nop 0
	scratch_store_dwordx4 off, v[4:7], off offset:148 ; 16-byte Folded Spill
	scratch_store_dwordx4 off, v[8:11], off offset:164 ; 16-byte Folded Spill
	;; [unrolled: 1-line block ×7, first 2 shown]
	s_nop 0
	v_mov_b64_e32 v[26:27], v[46:47]
	v_mov_b64_e32 v[28:29], v[48:49]
	;; [unrolled: 1-line block ×3, first 2 shown]
	v_mov_b32_e32 v228, v30
	scratch_store_dwordx4 off, v[26:29], s4 ; 16-byte Folded Spill
	s_nop 0
	scratch_store_dwordx4 off, v[30:33], s4 offset:16 ; 16-byte Folded Spill
	scratch_store_dwordx4 off, v[34:37], s4 offset:32 ; 16-byte Folded Spill
	scratch_store_dwordx4 off, v[38:41], s4 offset:48 ; 16-byte Folded Spill
	scratch_store_dwordx4 off, v[42:45], s4 offset:64 ; 16-byte Folded Spill
	scratch_store_dwordx4 off, v[46:49], s4 offset:80 ; 16-byte Folded Spill
	scratch_store_dwordx4 off, v[50:53], s4 offset:96 ; 16-byte Folded Spill
	scratch_store_dwordx4 off, v[54:57], s4 offset:112 ; 16-byte Folded Spill
	v_mov_b32_e32 v26, v168
	scratch_store_dwordx4 off, v[144:147], off offset:3972 ; 16-byte Folded Spill
	s_nop 0
	scratch_store_dwordx4 off, v[148:151], off offset:3988 ; 16-byte Folded Spill
	scratch_store_dwordx4 off, v[152:155], off offset:4004 ; 16-byte Folded Spill
	s_waitcnt vmcnt(19)
	scratch_store_dwordx4 off, v[156:159], off offset:4020 ; 16-byte Folded Spill
	scratch_store_dwordx4 off, v[160:163], off offset:4036 ; 16-byte Folded Spill
	;; [unrolled: 1-line block ×6, first 2 shown]
	s_nop 0
	scratch_store_dwordx4 off, v[164:167], off offset:1556 ; 16-byte Folded Spill
	scratch_store_dwordx4 off, v[168:171], off offset:1572 ; 16-byte Folded Spill
	scratch_store_dwordx4 off, v[172:175], off offset:1588 ; 16-byte Folded Spill
	scratch_store_dwordx4 off, v[176:179], off offset:1604 ; 16-byte Folded Spill
	scratch_store_dwordx4 off, v[180:183], off offset:1620 ; 16-byte Folded Spill
	scratch_store_dwordx4 off, v[184:187], off offset:1636 ; 16-byte Folded Spill
	scratch_store_dwordx4 off, v[188:191], off offset:1652 ; 16-byte Folded Spill
	v_mov_b64_e32 v[46:47], v[108:109]
	v_mov_b64_e32 v[48:49], v[110:111]
	v_mov_b64_e32 v[50:51], v[112:113]
	v_mov_b64_e32 v[52:53], v[114:115]
	v_mov_b32_e32 v50, v52
	v_mov_b32_e32 v49, v53
	v_mov_b64_e32 v[166:167], v[42:43]
	v_mov_b64_e32 v[168:169], v[44:45]
	v_mov_b32_e32 v54, v180
	scratch_store_dwordx4 off, v[170:173], off offset:3460 ; 16-byte Folded Spill
	s_nop 0
	scratch_store_dwordx4 off, v[174:177], off offset:3476 ; 16-byte Folded Spill
	scratch_store_dwordx4 off, v[178:181], off offset:3492 ; 16-byte Folded Spill
	;; [unrolled: 1-line block ×7, first 2 shown]
	v_mov_b64_e32 v[164:165], v[40:41]
	v_mov_b64_e32 v[162:163], v[38:39]
	v_mov_b64_e32 v[160:161], v[36:37]
	v_mov_b64_e32 v[158:159], v[34:35]
	v_mov_b64_e32 v[156:157], v[32:33]
	v_mov_b32_e32 v28, v168
	v_mov_b32_e32 v229, v31
	scratch_store_dwordx4 off, v[16:19], off offset:516 ; 16-byte Folded Spill
	s_nop 0
	scratch_store_dwordx4 off, v[20:23], off offset:532 ; 16-byte Folded Spill
	scratch_store_dwordx4 off, v[24:27], off offset:548 ; 16-byte Folded Spill
	;; [unrolled: 1-line block ×8, first 2 shown]
	s_nop 0
	scratch_store_dwordx4 off, v[160:163], off offset:404 ; 16-byte Folded Spill
	scratch_store_dwordx4 off, v[164:167], off offset:420 ; 16-byte Folded Spill
	;; [unrolled: 1-line block ×7, first 2 shown]
	scratch_load_dwordx4 v[76:79], off, off offset:2052 ; 16-byte Folded Reload
	scratch_load_dwordx4 v[80:83], off, off offset:2068 ; 16-byte Folded Reload
	;; [unrolled: 1-line block ×8, first 2 shown]
	s_waitcnt vmcnt(4)
	v_mov_b32_e32 v28, v90
	scratch_store_dwordx4 off, v[14:17], off offset:1028 ; 16-byte Folded Spill
	s_nop 0
	scratch_store_dwordx4 off, v[18:21], off offset:1044 ; 16-byte Folded Spill
	scratch_store_dwordx4 off, v[22:25], off offset:1060 ; 16-byte Folded Spill
	;; [unrolled: 1-line block ×7, first 2 shown]
	v_mov_b32_e32 v27, v91
	scratch_store_dwordx4 off, v[12:15], off offset:260 ; 16-byte Folded Spill
	s_nop 0
	scratch_store_dwordx4 off, v[16:19], off offset:276 ; 16-byte Folded Spill
	scratch_store_dwordx4 off, v[20:23], off offset:292 ; 16-byte Folded Spill
	;; [unrolled: 1-line block ×7, first 2 shown]
	scratch_load_dwordx4 v[90:93], off, off offset:4 ; 16-byte Folded Reload
	scratch_load_dwordx4 v[94:97], off, off offset:20 ; 16-byte Folded Reload
	;; [unrolled: 1-line block ×16, first 2 shown]
	s_waitcnt vmcnt(4)
	v_mov_b32_e32 v138, v74
	scratch_store_dwordx4 off, v[56:59], off offset:1796 ; 16-byte Folded Spill
	s_nop 0
	scratch_store_dwordx4 off, v[60:63], off offset:1812 ; 16-byte Folded Spill
	scratch_store_dwordx4 off, v[64:67], off offset:1828 ; 16-byte Folded Spill
	;; [unrolled: 1-line block ×7, first 2 shown]
	v_mov_b32_e32 v32, v202
	scratch_store_dwordx4 off, v[182:185], off offset:1412 ; 16-byte Folded Spill
	s_nop 0
	scratch_store_dwordx4 off, v[186:189], off offset:1428 ; 16-byte Folded Spill
	scratch_store_dwordx4 off, v[190:193], off offset:1444 ; 16-byte Folded Spill
	scratch_store_dwordx4 off, v[194:197], off offset:1460 ; 16-byte Folded Spill
	scratch_store_dwordx4 off, v[198:201], off offset:1476 ; 16-byte Folded Spill
	scratch_store_dwordx4 off, v[202:205], off offset:1492 ; 16-byte Folded Spill
	scratch_store_dwordx4 off, v[206:209], off offset:1508 ; 16-byte Folded Spill
	scratch_store_dwordx4 off, v[210:213], off offset:1524 ; 16-byte Folded Spill
	v_mov_b32_e32 v58, v26
	v_mov_b32_e32 v134, v24
	scratch_store_dwordx4 off, v[0:3], off offset:772 ; 16-byte Folded Spill
	s_nop 0
	scratch_store_dwordx4 off, v[4:7], off offset:788 ; 16-byte Folded Spill
	scratch_store_dwordx4 off, v[8:11], off offset:804 ; 16-byte Folded Spill
	;; [unrolled: 1-line block ×7, first 2 shown]
	v_mov_b32_e32 v33, v75
	v_mov_b32_e32 v135, v203
	v_mov_b64_e32 v[188:189], v[204:205]
	v_mov_b64_e32 v[190:191], v[206:207]
	;; [unrolled: 1-line block ×10, first 2 shown]
	s_waitcnt vmcnt(26)
	v_mov_b32_e32 v146, v142
	v_mov_b64_e32 v[206:207], v[222:223]
	v_mov_b64_e32 v[208:209], v[224:225]
	s_waitcnt vmcnt(25)
	v_mov_b32_e32 v152, v210
	v_mov_b32_e32 v153, v211
	;; [unrolled: 1-line block ×3, first 2 shown]
.LBB55_23:
	s_or_b64 exec, exec, s[2:3]
	v_cmp_eq_u32_e32 vcc, 4, v255
	s_waitcnt lgkmcnt(0)
	s_barrier
	s_and_saveexec_b64 s[2:3], vcc
	s_cbranch_execz .LBB55_26
; %bb.24:
	ds_write_b32 v250, v228
	ds_write2_b32 v254, v95, v96 offset0:5 offset1:6
	ds_write2_b32 v254, v97, v98 offset0:7 offset1:8
	;; [unrolled: 1-line block ×11, first 2 shown]
	scratch_load_dwordx4 v[0:3], off, off offset:132 ; 16-byte Folded Reload
	scratch_load_dwordx4 v[4:7], off, off offset:148 ; 16-byte Folded Reload
	;; [unrolled: 1-line block ×8, first 2 shown]
	s_waitcnt vmcnt(1)
	ds_write_b32 v254, v27 offset:108
	s_waitcnt vmcnt(0)
	ds_read_b32 v28, v250
	s_waitcnt lgkmcnt(0)
	v_cmp_neq_f32_e32 vcc, 0, v28
	s_and_b64 exec, exec, vcc
	s_cbranch_execz .LBB55_26
; %bb.25:
	v_div_scale_f32 v29, s[4:5], v28, v28, 1.0
	v_rcp_f32_e32 v30, v29
	v_mov_b32_e32 v10, v54
	v_div_scale_f32 v31, vcc, 1.0, v28, 1.0
	v_fma_f32 v54, -v29, v30, 1.0
	v_fmac_f32_e32 v30, v54, v30
	v_mul_f32_e32 v54, v31, v30
	v_fma_f32 v55, -v29, v54, v31
	v_fmac_f32_e32 v54, v55, v30
	v_fma_f32 v29, -v29, v54, v31
	v_div_fmas_f32 v29, v29, v30, v54
	v_mov_b32_e32 v54, v10
	v_div_fixup_f32 v28, v29, v28, 1.0
	ds_write_b32 v250, v28
.LBB55_26:
	s_or_b64 exec, exec, s[2:3]
	s_waitcnt lgkmcnt(0)
	s_barrier
	ds_read_b32 v123, v250
	v_cmp_lt_u32_e32 vcc, 4, v255
	s_and_saveexec_b64 s[2:3], vcc
	s_cbranch_execz .LBB55_28
; %bb.27:
	s_movk_i32 s4, 0x1384
	scratch_load_dwordx4 v[0:3], off, s4    ; 16-byte Folded Reload
	scratch_load_dwordx4 v[4:7], off, s4 offset:16 ; 16-byte Folded Reload
	scratch_load_dwordx4 v[8:11], off, s4 offset:32 ; 16-byte Folded Reload
	;; [unrolled: 1-line block ×7, first 2 shown]
	s_waitcnt lgkmcnt(0)
	v_mul_f32_e32 v68, v228, v123
	s_movk_i32 s4, 0x1004
	v_mov_b32_e32 v160, v68
	s_waitcnt vmcnt(14)
	v_mov_b32_e32 v192, v68
	s_waitcnt vmcnt(7)
	v_mov_b64_e32 v[66:67], v[2:3]
	v_mov_b64_e32 v[64:65], v[0:1]
	ds_read2_b32 v[0:1], v254 offset0:5 offset1:6
	s_waitcnt vmcnt(6)
	ds_read2_b32 v[4:5], v254 offset0:7 offset1:8
	ds_read2_b32 v[32:33], v254 offset0:9 offset1:10
	;; [unrolled: 1-line block ×3, first 2 shown]
	v_mov_b32_e32 v2, v95
	v_mov_b32_e32 v3, v96
	;; [unrolled: 1-line block ×3, first 2 shown]
	s_waitcnt vmcnt(0) lgkmcnt(3)
	v_pk_fma_f32 v[28:29], v[68:69], v[0:1], v[2:3] op_sel_hi:[0,1,1] neg_lo:[1,0,0] neg_hi:[1,0,0]
	v_mov_b32_e32 v0, v97
	v_mov_b32_e32 v1, v98
	s_waitcnt lgkmcnt(2)
	v_pk_fma_f32 v[30:31], v[68:69], v[4:5], v[0:1] op_sel_hi:[0,1,1] neg_lo:[1,0,0] neg_hi:[1,0,0]
	v_mov_b32_e32 v0, v99
	v_mov_b32_e32 v1, v100
	s_waitcnt lgkmcnt(1)
	;; [unrolled: 4-line block ×3, first 2 shown]
	v_pk_fma_f32 v[56:57], v[68:69], v[34:35], v[0:1] op_sel_hi:[0,1,1] neg_lo:[1,0,0] neg_hi:[1,0,0]
	ds_read2_b32 v[0:1], v254 offset0:13 offset1:14
	ds_read2_b32 v[4:5], v254 offset0:15 offset1:16
	;; [unrolled: 1-line block ×4, first 2 shown]
	v_mov_b32_e32 v2, v103
	v_mov_b32_e32 v3, v104
	;; [unrolled: 1-line block ×3, first 2 shown]
	s_waitcnt lgkmcnt(3)
	v_pk_fma_f32 v[58:59], v[68:69], v[0:1], v[2:3] op_sel_hi:[0,1,1] neg_lo:[1,0,0] neg_hi:[1,0,0]
	v_mov_b32_e32 v0, v105
	v_mov_b32_e32 v1, v106
	s_waitcnt lgkmcnt(2)
	v_pk_fma_f32 v[60:61], v[68:69], v[4:5], v[0:1] op_sel_hi:[0,1,1] neg_lo:[1,0,0] neg_hi:[1,0,0]
	v_mov_b32_e32 v0, v107
	v_mov_b32_e32 v1, v108
	;; [unrolled: 4-line block ×3, first 2 shown]
	s_waitcnt lgkmcnt(0)
	v_pk_fma_f32 v[88:89], v[68:69], v[8:9], v[0:1] op_sel_hi:[0,1,1] neg_lo:[1,0,0] neg_hi:[1,0,0]
	ds_read2_b32 v[0:1], v254 offset0:21 offset1:22
	ds_read2_b32 v[4:5], v254 offset0:23 offset1:24
	;; [unrolled: 1-line block ×3, first 2 shown]
	ds_read_b32 v8, v254 offset:108
	scratch_load_dwordx4 v[126:129], off, off offset:132 ; 16-byte Folded Reload
	scratch_load_dwordx4 v[130:133], off, off offset:148 ; 16-byte Folded Reload
	;; [unrolled: 1-line block ×8, first 2 shown]
	v_mov_b32_e32 v2, v111
	v_mov_b32_e32 v3, v112
	s_waitcnt lgkmcnt(3)
	v_pk_fma_f32 v[90:91], v[68:69], v[0:1], v[2:3] op_sel_hi:[0,1,1] neg_lo:[1,0,0] neg_hi:[1,0,0]
	v_mov_b32_e32 v0, v113
	v_mov_b32_e32 v1, v114
	s_waitcnt lgkmcnt(2)
	v_pk_fma_f32 v[92:93], v[68:69], v[4:5], v[0:1] op_sel_hi:[0,1,1] neg_lo:[1,0,0] neg_hi:[1,0,0]
	;; [unrolled: 4-line block ×3, first 2 shown]
	v_mov_b32_e32 v0, v64
	v_mov_b32_e32 v1, v65
	;; [unrolled: 1-line block ×8, first 2 shown]
	s_waitcnt vmcnt(0)
	v_mov_b32_e32 v156, v64
	v_mov_b32_e32 v157, v65
	;; [unrolled: 1-line block ×24, first 2 shown]
	s_waitcnt lgkmcnt(0)
	v_fma_f32 v27, -v68, v8, v153
	scratch_store_dwordx4 off, v[0:3], s4   ; 16-byte Folded Spill
	s_nop 0
	scratch_store_dwordx4 off, v[4:7], s4 offset:16 ; 16-byte Folded Spill
	scratch_store_dwordx4 off, v[8:11], s4 offset:32 ; 16-byte Folded Spill
	;; [unrolled: 1-line block ×7, first 2 shown]
	s_movk_i32 s4, 0x1084
	v_mov_b32_e32 v7, v30
	scratch_store_dwordx4 off, v[0:3], s4   ; 16-byte Folded Spill
	s_nop 0
	scratch_store_dwordx4 off, v[4:7], s4 offset:16 ; 16-byte Folded Spill
	scratch_store_dwordx4 off, v[8:11], s4 offset:32 ; 16-byte Folded Spill
	;; [unrolled: 1-line block ×7, first 2 shown]
	s_movk_i32 s4, 0x1284
	v_mov_b32_e32 v8, v31
	scratch_store_dwordx4 off, v[0:3], off offset:3972 ; 16-byte Folded Spill
	s_nop 0
	scratch_store_dwordx4 off, v[4:7], off offset:3988 ; 16-byte Folded Spill
	scratch_store_dwordx4 off, v[8:11], off offset:4004 ; 16-byte Folded Spill
	scratch_store_dwordx4 off, v[12:15], off offset:4020 ; 16-byte Folded Spill
	scratch_store_dwordx4 off, v[16:19], off offset:4036 ; 16-byte Folded Spill
	scratch_store_dwordx4 off, v[20:23], off offset:4052 ; 16-byte Folded Spill
	scratch_store_dwordx4 off, v[24:27], off offset:4068 ; 16-byte Folded Spill
	scratch_store_dwordx4 off, v[28:31], off offset:4084 ; 16-byte Folded Spill
	v_mov_b32_e32 v9, v54
	scratch_store_dwordx4 off, v[0:3], off offset:3588 ; 16-byte Folded Spill
	s_nop 0
	scratch_store_dwordx4 off, v[4:7], off offset:3604 ; 16-byte Folded Spill
	scratch_store_dwordx4 off, v[8:11], off offset:3620 ; 16-byte Folded Spill
	scratch_store_dwordx4 off, v[12:15], off offset:3636 ; 16-byte Folded Spill
	scratch_store_dwordx4 off, v[16:19], off offset:3652 ; 16-byte Folded Spill
	scratch_store_dwordx4 off, v[20:23], off offset:3668 ; 16-byte Folded Spill
	scratch_store_dwordx4 off, v[24:27], off offset:3684 ; 16-byte Folded Spill
	scratch_store_dwordx4 off, v[28:31], off offset:3700 ; 16-byte Folded Spill
	;; [unrolled: 10-line block ×4, first 2 shown]
	v_mov_b32_e32 v12, v57
	v_mov_b32_e32 v13, v58
	;; [unrolled: 1-line block ×6, first 2 shown]
	scratch_store_dwordx4 off, v[156:159], off offset:3076 ; 16-byte Folded Spill
	s_nop 0
	scratch_store_dwordx4 off, v[160:163], off offset:3092 ; 16-byte Folded Spill
	scratch_store_dwordx4 off, v[164:167], off offset:3108 ; 16-byte Folded Spill
	;; [unrolled: 1-line block ×8, first 2 shown]
	s_nop 0
	scratch_store_dwordx4 off, v[4:7], off offset:2708 ; 16-byte Folded Spill
	scratch_store_dwordx4 off, v[8:11], off offset:2724 ; 16-byte Folded Spill
	scratch_store_dwordx4 off, v[12:15], off offset:2740 ; 16-byte Folded Spill
	scratch_store_dwordx4 off, v[16:19], off offset:2756 ; 16-byte Folded Spill
	scratch_store_dwordx4 off, v[20:23], off offset:2772 ; 16-byte Folded Spill
	scratch_store_dwordx4 off, v[24:27], off offset:2788 ; 16-byte Folded Spill
	scratch_store_dwordx4 off, v[28:31], off offset:2804 ; 16-byte Folded Spill
	v_mov_b32_e32 v14, v59
	scratch_store_dwordx4 off, v[0:3], off offset:2052 ; 16-byte Folded Spill
	s_nop 0
	scratch_store_dwordx4 off, v[4:7], off offset:2068 ; 16-byte Folded Spill
	scratch_store_dwordx4 off, v[8:11], off offset:2084 ; 16-byte Folded Spill
	scratch_store_dwordx4 off, v[12:15], off offset:2100 ; 16-byte Folded Spill
	scratch_store_dwordx4 off, v[16:19], off offset:2116 ; 16-byte Folded Spill
	scratch_store_dwordx4 off, v[20:23], off offset:2132 ; 16-byte Folded Spill
	scratch_store_dwordx4 off, v[24:27], off offset:2148 ; 16-byte Folded Spill
	scratch_store_dwordx4 off, v[28:31], off offset:2164 ; 16-byte Folded Spill
	v_mov_b32_e32 v15, v60
	scratch_store_dwordx4 off, v[0:3], off offset:2180 ; 16-byte Folded Spill
	;; [unrolled: 10-line block ×8, first 2 shown]
	s_nop 0
	scratch_store_dwordx4 off, v[4:7], off offset:1300 ; 16-byte Folded Spill
	scratch_store_dwordx4 off, v[8:11], off offset:1316 ; 16-byte Folded Spill
	;; [unrolled: 1-line block ×7, first 2 shown]
	v_mov_b32_e32 v22, v91
	v_mov_b32_e32 v23, v92
	;; [unrolled: 1-line block ×6, first 2 shown]
	scratch_store_dwordx4 off, v[0:3], off offset:900 ; 16-byte Folded Spill
	s_nop 0
	scratch_store_dwordx4 off, v[4:7], off offset:916 ; 16-byte Folded Spill
	scratch_store_dwordx4 off, v[8:11], off offset:932 ; 16-byte Folded Spill
	scratch_store_dwordx4 off, v[12:15], off offset:948 ; 16-byte Folded Spill
	scratch_store_dwordx4 off, v[16:19], off offset:964 ; 16-byte Folded Spill
	scratch_store_dwordx4 off, v[20:23], off offset:980 ; 16-byte Folded Spill
	scratch_store_dwordx4 off, v[24:27], off offset:996 ; 16-byte Folded Spill
	scratch_store_dwordx4 off, v[28:31], off offset:1012 ; 16-byte Folded Spill
	s_nop 0
	v_mov_b32_e32 v24, v93
	scratch_store_dwordx4 off, v[0:3], off offset:772 ; 16-byte Folded Spill
	s_nop 0
	scratch_store_dwordx4 off, v[4:7], off offset:788 ; 16-byte Folded Spill
	scratch_store_dwordx4 off, v[8:11], off offset:804 ; 16-byte Folded Spill
	scratch_store_dwordx4 off, v[12:15], off offset:820 ; 16-byte Folded Spill
	scratch_store_dwordx4 off, v[16:19], off offset:836 ; 16-byte Folded Spill
	scratch_store_dwordx4 off, v[20:23], off offset:852 ; 16-byte Folded Spill
	scratch_store_dwordx4 off, v[24:27], off offset:868 ; 16-byte Folded Spill
	scratch_store_dwordx4 off, v[28:31], off offset:884 ; 16-byte Folded Spill
	s_nop 0
	v_mov_b32_e32 v25, v94
	;; [unrolled: 11-line block ×3, first 2 shown]
	scratch_store_dwordx4 off, v[64:67], s4 ; 16-byte Folded Spill
	s_nop 0
	scratch_store_dwordx4 off, v[68:71], s4 offset:16 ; 16-byte Folded Spill
	scratch_store_dwordx4 off, v[72:75], s4 offset:32 ; 16-byte Folded Spill
	;; [unrolled: 1-line block ×7, first 2 shown]
	s_movk_i32 s4, 0x1304
	scratch_store_dwordx4 off, v[64:67], s4 ; 16-byte Folded Spill
	s_nop 0
	scratch_store_dwordx4 off, v[68:71], s4 offset:16 ; 16-byte Folded Spill
	scratch_store_dwordx4 off, v[72:75], s4 offset:32 ; 16-byte Folded Spill
	;; [unrolled: 1-line block ×7, first 2 shown]
	v_mov_b32_e32 v65, v27
	v_mov_b32_e32 v229, v28
	;; [unrolled: 1-line block ×4, first 2 shown]
	scratch_store_dwordx4 off, v[38:41], off offset:132 ; 16-byte Folded Spill
	s_nop 0
	scratch_store_dwordx4 off, v[42:45], off offset:148 ; 16-byte Folded Spill
	scratch_store_dwordx4 off, v[46:49], off offset:164 ; 16-byte Folded Spill
	;; [unrolled: 1-line block ×7, first 2 shown]
	v_mov_b32_e32 v50, v29
	v_mov_b32_e32 v49, v30
	;; [unrolled: 1-line block ×7, first 2 shown]
	scratch_store_dwordx4 off, v[20:23], off offset:1540 ; 16-byte Folded Spill
	s_nop 0
	scratch_store_dwordx4 off, v[24:27], off offset:1556 ; 16-byte Folded Spill
	scratch_store_dwordx4 off, v[28:31], off offset:1572 ; 16-byte Folded Spill
	;; [unrolled: 1-line block ×7, first 2 shown]
	v_mov_b32_e32 v30, v57
	v_mov_b32_e32 v54, v55
	;; [unrolled: 1-line block ×6, first 2 shown]
	scratch_store_dwordx4 off, v[18:21], off offset:516 ; 16-byte Folded Spill
	s_nop 0
	scratch_store_dwordx4 off, v[22:25], off offset:532 ; 16-byte Folded Spill
	scratch_store_dwordx4 off, v[26:29], off offset:548 ; 16-byte Folded Spill
	scratch_store_dwordx4 off, v[30:33], off offset:564 ; 16-byte Folded Spill
	scratch_store_dwordx4 off, v[34:37], off offset:580 ; 16-byte Folded Spill
	scratch_store_dwordx4 off, v[38:41], off offset:596 ; 16-byte Folded Spill
	scratch_store_dwordx4 off, v[42:45], off offset:612 ; 16-byte Folded Spill
	scratch_store_dwordx4 off, v[46:49], off offset:628 ; 16-byte Folded Spill
	v_mov_b32_e32 v29, v58
	scratch_store_dwordx4 off, v[16:19], off offset:388 ; 16-byte Folded Spill
	s_nop 0
	scratch_store_dwordx4 off, v[20:23], off offset:404 ; 16-byte Folded Spill
	scratch_store_dwordx4 off, v[24:27], off offset:420 ; 16-byte Folded Spill
	scratch_store_dwordx4 off, v[28:31], off offset:436 ; 16-byte Folded Spill
	scratch_store_dwordx4 off, v[32:35], off offset:452 ; 16-byte Folded Spill
	scratch_store_dwordx4 off, v[36:39], off offset:468 ; 16-byte Folded Spill
	scratch_store_dwordx4 off, v[40:43], off offset:484 ; 16-byte Folded Spill
	scratch_store_dwordx4 off, v[44:47], off offset:500 ; 16-byte Folded Spill
	v_mov_b32_e32 v30, v59
	;; [unrolled: 10-line block ×4, first 2 shown]
	v_mov_b32_e32 v89, v94
	v_mov_b32_e32 v33, v88
	v_mov_b64_e32 v[104:105], v[14:15]
	v_mov_b64_e32 v[116:117], v[26:27]
	v_mov_b32_e32 v58, v31
	v_mov_b64_e32 v[102:103], v[12:13]
	v_mov_b64_e32 v[100:101], v[10:11]
	;; [unrolled: 1-line block ×12, first 2 shown]
.LBB55_28:
	s_or_b64 exec, exec, s[2:3]
	v_cmp_eq_u32_e32 vcc, 5, v255
	s_waitcnt lgkmcnt(0)
	s_barrier
	s_and_saveexec_b64 s[2:3], vcc
	s_cbranch_execz .LBB55_31
; %bb.29:
	ds_write_b32 v250, v229
	ds_write2_b64 v254, v[96:97], v[98:99] offset0:3 offset1:4
	ds_write2_b64 v254, v[100:101], v[102:103] offset0:5 offset1:6
	;; [unrolled: 1-line block ×5, first 2 shown]
	ds_write_b64 v254, v[116:117] offset:104
	ds_read_b32 v28, v250
	s_waitcnt lgkmcnt(0)
	v_cmp_neq_f32_e32 vcc, 0, v28
	s_and_b64 exec, exec, vcc
	s_cbranch_execz .LBB55_31
; %bb.30:
	v_div_scale_f32 v29, s[4:5], v28, v28, 1.0
	v_rcp_f32_e32 v30, v29
	v_mov_b32_e32 v10, v54
	v_div_scale_f32 v31, vcc, 1.0, v28, 1.0
	v_fma_f32 v54, -v29, v30, 1.0
	v_fmac_f32_e32 v30, v54, v30
	v_mul_f32_e32 v54, v31, v30
	v_fma_f32 v55, -v29, v54, v31
	v_fmac_f32_e32 v54, v55, v30
	v_fma_f32 v29, -v29, v54, v31
	v_div_fmas_f32 v29, v29, v30, v54
	v_mov_b32_e32 v54, v10
	v_div_fixup_f32 v28, v29, v28, 1.0
	ds_write_b32 v250, v28
.LBB55_31:
	s_or_b64 exec, exec, s[2:3]
	s_waitcnt lgkmcnt(0)
	s_barrier
	ds_read_b32 v125, v250
	v_cmp_lt_u32_e32 vcc, 5, v255
	s_and_saveexec_b64 s[2:3], vcc
	s_cbranch_execz .LBB55_33
; %bb.32:
	ds_read2_b64 v[32:35], v254 offset0:3 offset1:4
	ds_read2_b64 v[0:3], v254 offset0:5 offset1:6
	ds_read_b64 v[30:31], v254 offset:104
	s_waitcnt lgkmcnt(3)
	v_mul_f32_e32 v28, v229, v125
	s_movk_i32 s4, 0x1304
	s_waitcnt lgkmcnt(2)
	v_pk_fma_f32 v[148:149], v[28:29], v[32:33], v[96:97] op_sel_hi:[0,1,1] neg_lo:[1,0,0] neg_hi:[1,0,0]
	v_pk_fma_f32 v[140:141], v[28:29], v[34:35], v[98:99] op_sel_hi:[0,1,1] neg_lo:[1,0,0] neg_hi:[1,0,0]
	ds_read2_b64 v[4:7], v254 offset0:11 offset1:12
	s_waitcnt lgkmcnt(1)
	v_pk_fma_f32 v[116:117], v[28:29], v[30:31], v[116:117] op_sel_hi:[0,1,1] neg_lo:[1,0,0] neg_hi:[1,0,0]
	scratch_load_dwordx4 v[30:33], off, s4  ; 16-byte Folded Reload
	scratch_load_dwordx4 v[34:37], off, s4 offset:16 ; 16-byte Folded Reload
	scratch_load_dwordx4 v[38:41], off, s4 offset:32 ; 16-byte Folded Reload
	;; [unrolled: 1-line block ×7, first 2 shown]
	v_mov_b32_e32 v13, v28
	v_mov_b32_e32 v14, v148
	;; [unrolled: 1-line block ×3, first 2 shown]
	s_movk_i32 s4, 0x1084
	v_pk_fma_f32 v[180:181], v[28:29], v[0:1], v[100:101] op_sel_hi:[0,1,1] neg_lo:[1,0,0] neg_hi:[1,0,0]
	v_mov_b32_e32 v131, v28
	v_mov_b32_e32 v147, v28
	s_waitcnt vmcnt(5)
	v_mov_b32_e32 v40, v180
	v_mov_b32_e32 v41, v181
	v_mov_b64_e32 v[248:249], v[116:117]
	v_mov_b64_e32 v[242:243], v[110:111]
	;; [unrolled: 1-line block ×4, first 2 shown]
	v_mov_b32_e32 v138, v148
	v_mov_b32_e32 v139, v149
	;; [unrolled: 1-line block ×50, first 2 shown]
	scratch_store_dwordx4 off, v[8:11], s4  ; 16-byte Folded Spill
	s_nop 0
	scratch_store_dwordx4 off, v[12:15], s4 offset:16 ; 16-byte Folded Spill
	scratch_store_dwordx4 off, v[16:19], s4 offset:32 ; 16-byte Folded Spill
	;; [unrolled: 1-line block ×7, first 2 shown]
	v_mov_b32_e32 v16, v140
	v_mov_b32_e32 v17, v141
	;; [unrolled: 1-line block ×27, first 2 shown]
	s_movk_i32 s4, 0x1284
	v_mov_b32_e32 v172, v128
	v_mov_b32_e32 v173, v129
	;; [unrolled: 1-line block ×19, first 2 shown]
	scratch_store_dwordx4 off, v[8:11], off offset:3588 ; 16-byte Folded Spill
	s_nop 0
	scratch_store_dwordx4 off, v[12:15], off offset:3604 ; 16-byte Folded Spill
	scratch_store_dwordx4 off, v[16:19], off offset:3620 ; 16-byte Folded Spill
	;; [unrolled: 1-line block ×7, first 2 shown]
	v_mov_b32_e32 v26, v248
	v_mov_b32_e32 v27, v249
	;; [unrolled: 1-line block ×7, first 2 shown]
	scratch_store_dwordx4 off, v[30:33], off offset:3204 ; 16-byte Folded Spill
	s_nop 0
	scratch_store_dwordx4 off, v[34:37], off offset:3220 ; 16-byte Folded Spill
	scratch_store_dwordx4 off, v[38:41], off offset:3236 ; 16-byte Folded Spill
	s_waitcnt vmcnt(23)
	scratch_store_dwordx4 off, v[42:45], off offset:3252 ; 16-byte Folded Spill
	s_waitcnt vmcnt(23)
	;; [unrolled: 2-line block ×5, first 2 shown]
	scratch_store_dwordx4 off, v[58:61], off offset:3316 ; 16-byte Folded Spill
	v_pk_fma_f32 v[168:169], v[28:29], v[2:3], v[102:103] op_sel_hi:[0,1,1] neg_lo:[1,0,0] neg_hi:[1,0,0]
	v_mov_b32_e32 v42, v168
	v_mov_b32_e32 v43, v169
	s_waitcnt lgkmcnt(0)
	v_pk_fma_f32 v[220:221], v[28:29], v[4:5], v[244:245] op_sel_hi:[0,1,1] neg_lo:[1,0,0] neg_hi:[1,0,0]
	v_mov_b32_e32 v101, v28
	v_mov_b32_e32 v102, v148
	;; [unrolled: 1-line block ×29, first 2 shown]
	scratch_store_dwordx4 off, v[30:33], off offset:2692 ; 16-byte Folded Spill
	s_nop 0
	scratch_store_dwordx4 off, v[34:37], off offset:2708 ; 16-byte Folded Spill
	scratch_store_dwordx4 off, v[38:41], off offset:2724 ; 16-byte Folded Spill
	;; [unrolled: 1-line block ×7, first 2 shown]
	ds_read2_b64 v[0:3], v254 offset0:7 offset1:8
	ds_read2_b64 v[8:11], v254 offset0:9 offset1:10
	s_waitcnt lgkmcnt(1)
	v_pk_fma_f32 v[196:197], v[28:29], v[0:1], v[104:105] op_sel_hi:[0,1,1] neg_lo:[1,0,0] neg_hi:[1,0,0]
	v_mov_b32_e32 v44, v196
	v_mov_b32_e32 v45, v197
	s_waitcnt lgkmcnt(0)
	v_pk_fma_f32 v[72:73], v[28:29], v[8:9], v[108:109] op_sel_hi:[0,1,1] neg_lo:[1,0,0] neg_hi:[1,0,0]
	v_pk_fma_f32 v[94:95], v[28:29], v[10:11], v[242:243] op_sel_hi:[0,1,1] neg_lo:[1,0,0] neg_hi:[1,0,0]
	v_mov_b32_e32 v104, v140
	v_mov_b32_e32 v105, v141
	;; [unrolled: 1-line block ×38, first 2 shown]
	scratch_store_dwordx4 off, v[30:33], off offset:2180 ; 16-byte Folded Spill
	s_nop 0
	scratch_store_dwordx4 off, v[34:37], off offset:2196 ; 16-byte Folded Spill
	scratch_store_dwordx4 off, v[38:41], off offset:2212 ; 16-byte Folded Spill
	;; [unrolled: 1-line block ×7, first 2 shown]
	v_pk_fma_f32 v[46:47], v[28:29], v[2:3], v[106:107] op_sel_hi:[0,1,1] neg_lo:[1,0,0] neg_hi:[1,0,0]
	v_mov_b64_e32 v[214:215], v[46:47]
	v_mov_b32_e32 v106, v180
	v_mov_b32_e32 v107, v181
	;; [unrolled: 1-line block ×8, first 2 shown]
	scratch_store_dwordx4 off, v[30:33], off offset:1924 ; 16-byte Folded Spill
	s_nop 0
	scratch_store_dwordx4 off, v[34:37], off offset:1940 ; 16-byte Folded Spill
	scratch_store_dwordx4 off, v[38:41], off offset:1956 ; 16-byte Folded Spill
	scratch_store_dwordx4 off, v[42:45], off offset:1972 ; 16-byte Folded Spill
	scratch_store_dwordx4 off, v[46:49], off offset:1988 ; 16-byte Folded Spill
	scratch_store_dwordx4 off, v[50:53], off offset:2004 ; 16-byte Folded Spill
	scratch_store_dwordx4 off, v[54:57], off offset:2020 ; 16-byte Folded Spill
	scratch_store_dwordx4 off, v[58:61], off offset:2036 ; 16-byte Folded Spill
	s_nop 0
	v_mov_b32_e32 v54, v126
	v_mov_b32_e32 v55, v127
	;; [unrolled: 1-line block ×10, first 2 shown]
	scratch_store_dwordx4 off, v[30:33], off offset:1668 ; 16-byte Folded Spill
	s_nop 0
	scratch_store_dwordx4 off, v[34:37], off offset:1684 ; 16-byte Folded Spill
	scratch_store_dwordx4 off, v[38:41], off offset:1700 ; 16-byte Folded Spill
	;; [unrolled: 1-line block ×7, first 2 shown]
	v_mov_b32_e32 v50, v94
	v_mov_b32_e32 v51, v95
	v_mov_b64_e32 v[24:25], v[46:47]
	scratch_store_dwordx4 off, v[30:33], off offset:1284 ; 16-byte Folded Spill
	s_nop 0
	scratch_store_dwordx4 off, v[34:37], off offset:1300 ; 16-byte Folded Spill
	scratch_store_dwordx4 off, v[38:41], off offset:1316 ; 16-byte Folded Spill
	;; [unrolled: 1-line block ×7, first 2 shown]
	v_mov_b32_e32 v214, v24
	v_mov_b32_e32 v215, v25
	v_pk_fma_f32 v[24:25], v[28:29], v[6:7], v[246:247] op_sel_hi:[0,1,1] neg_lo:[1,0,0] neg_hi:[1,0,0]
	v_mov_b32_e32 v6, v148
	v_mov_b32_e32 v7, v149
	;; [unrolled: 1-line block ×6, first 2 shown]
	scratch_store_dwordx4 off, v[96:99], off offset:900 ; 16-byte Folded Spill
	s_nop 0
	scratch_store_dwordx4 off, v[100:103], off offset:916 ; 16-byte Folded Spill
	scratch_store_dwordx4 off, v[104:107], off offset:932 ; 16-byte Folded Spill
	;; [unrolled: 1-line block ×7, first 2 shown]
	v_mov_b32_e32 v16, v46
	v_mov_b32_e32 v120, v24
	;; [unrolled: 1-line block ×8, first 2 shown]
	scratch_store_dwordx4 off, v[96:99], off offset:644 ; 16-byte Folded Spill
	s_nop 0
	scratch_store_dwordx4 off, v[100:103], off offset:660 ; 16-byte Folded Spill
	scratch_store_dwordx4 off, v[104:107], off offset:676 ; 16-byte Folded Spill
	;; [unrolled: 1-line block ×7, first 2 shown]
	v_mov_b32_e32 v222, v126
	v_mov_b32_e32 v223, v127
	scratch_store_dwordx4 off, v[126:129], s4 ; 16-byte Folded Spill
	s_nop 0
	scratch_store_dwordx4 off, v[130:133], s4 offset:16 ; 16-byte Folded Spill
	scratch_store_dwordx4 off, v[134:137], s4 offset:32 ; 16-byte Folded Spill
	scratch_store_dwordx4 off, v[138:141], s4 offset:48 ; 16-byte Folded Spill
	scratch_store_dwordx4 off, v[142:145], s4 offset:64 ; 16-byte Folded Spill
	scratch_store_dwordx4 off, v[146:149], s4 offset:80 ; 16-byte Folded Spill
	scratch_store_dwordx4 off, v[150:153], s4 offset:96 ; 16-byte Folded Spill
	scratch_store_dwordx4 off, v[154:157], s4 offset:112 ; 16-byte Folded Spill
	scratch_store_dwordx4 off, v[0:3], off offset:132 ; 16-byte Folded Spill
	s_nop 0
	scratch_store_dwordx4 off, v[4:7], off offset:148 ; 16-byte Folded Spill
	scratch_store_dwordx4 off, v[8:11], off offset:164 ; 16-byte Folded Spill
	;; [unrolled: 1-line block ×7, first 2 shown]
	s_movk_i32 s4, 0x1004
	v_mov_b32_e32 v26, v180
	v_mov_b32_e32 v96, v142
	;; [unrolled: 1-line block ×19, first 2 shown]
	scratch_store_dwordx4 off, v[96:99], s4 ; 16-byte Folded Spill
	s_nop 0
	scratch_store_dwordx4 off, v[100:103], s4 offset:16 ; 16-byte Folded Spill
	scratch_store_dwordx4 off, v[104:107], s4 offset:32 ; 16-byte Folded Spill
	;; [unrolled: 1-line block ×7, first 2 shown]
	v_mov_b32_e32 v28, v140
	scratch_store_dwordx4 off, v[144:147], off offset:3972 ; 16-byte Folded Spill
	s_nop 0
	scratch_store_dwordx4 off, v[148:151], off offset:3988 ; 16-byte Folded Spill
	scratch_store_dwordx4 off, v[152:155], off offset:4004 ; 16-byte Folded Spill
	;; [unrolled: 1-line block ×8, first 2 shown]
	s_nop 0
	scratch_store_dwordx4 off, v[136:139], off offset:1556 ; 16-byte Folded Spill
	scratch_store_dwordx4 off, v[140:143], off offset:1572 ; 16-byte Folded Spill
	;; [unrolled: 1-line block ×7, first 2 shown]
	v_mov_b64_e32 v[106:107], v[238:239]
	v_mov_b64_e32 v[108:109], v[240:241]
	;; [unrolled: 1-line block ×6, first 2 shown]
	scratch_store_dwordx4 off, v[170:173], off offset:3460 ; 16-byte Folded Spill
	s_nop 0
	scratch_store_dwordx4 off, v[174:177], off offset:3476 ; 16-byte Folded Spill
	scratch_store_dwordx4 off, v[178:181], off offset:3492 ; 16-byte Folded Spill
	;; [unrolled: 1-line block ×7, first 2 shown]
	v_mov_b32_e32 v48, v168
	scratch_store_dwordx4 off, v[36:39], off offset:516 ; 16-byte Folded Spill
	s_nop 0
	scratch_store_dwordx4 off, v[40:43], off offset:532 ; 16-byte Folded Spill
	scratch_store_dwordx4 off, v[44:47], off offset:548 ; 16-byte Folded Spill
	scratch_store_dwordx4 off, v[48:51], off offset:564 ; 16-byte Folded Spill
	scratch_store_dwordx4 off, v[52:55], off offset:580 ; 16-byte Folded Spill
	scratch_store_dwordx4 off, v[56:59], off offset:596 ; 16-byte Folded Spill
	scratch_store_dwordx4 off, v[60:63], off offset:612 ; 16-byte Folded Spill
	scratch_store_dwordx4 off, v[64:67], off offset:628 ; 16-byte Folded Spill
	scratch_store_dwordx4 off, v[156:159], off offset:3076 ; 16-byte Folded Spill
	s_nop 0
	scratch_store_dwordx4 off, v[160:163], off offset:3092 ; 16-byte Folded Spill
	scratch_store_dwordx4 off, v[164:167], off offset:3108 ; 16-byte Folded Spill
	scratch_store_dwordx4 off, v[168:171], off offset:3124 ; 16-byte Folded Spill
	scratch_store_dwordx4 off, v[172:175], off offset:3140 ; 16-byte Folded Spill
	scratch_store_dwordx4 off, v[176:179], off offset:3156 ; 16-byte Folded Spill
	scratch_store_dwordx4 off, v[180:183], off offset:3172 ; 16-byte Folded Spill
	scratch_store_dwordx4 off, v[184:187], off offset:3188 ; 16-byte Folded Spill
	;; [unrolled: 9-line block ×3, first 2 shown]
	v_mov_b32_e32 v48, v196
	scratch_store_dwordx4 off, v[34:37], off offset:1028 ; 16-byte Folded Spill
	s_nop 0
	scratch_store_dwordx4 off, v[38:41], off offset:1044 ; 16-byte Folded Spill
	scratch_store_dwordx4 off, v[42:45], off offset:1060 ; 16-byte Folded Spill
	scratch_store_dwordx4 off, v[46:49], off offset:1076 ; 16-byte Folded Spill
	scratch_store_dwordx4 off, v[50:53], off offset:1092 ; 16-byte Folded Spill
	scratch_store_dwordx4 off, v[54:57], off offset:1108 ; 16-byte Folded Spill
	scratch_store_dwordx4 off, v[58:61], off offset:1124 ; 16-byte Folded Spill
	scratch_store_dwordx4 off, v[62:65], off offset:1140 ; 16-byte Folded Spill
	scratch_store_dwordx4 off, v[182:185], off offset:2052 ; 16-byte Folded Spill
	s_nop 0
	scratch_store_dwordx4 off, v[186:189], off offset:2068 ; 16-byte Folded Spill
	scratch_store_dwordx4 off, v[190:193], off offset:2084 ; 16-byte Folded Spill
	scratch_store_dwordx4 off, v[194:197], off offset:2100 ; 16-byte Folded Spill
	scratch_store_dwordx4 off, v[198:201], off offset:2116 ; 16-byte Folded Spill
	scratch_store_dwordx4 off, v[202:205], off offset:2132 ; 16-byte Folded Spill
	scratch_store_dwordx4 off, v[206:209], off offset:2148 ; 16-byte Folded Spill
	scratch_store_dwordx4 off, v[210:213], off offset:2164 ; 16-byte Folded Spill
	;; [unrolled: 9-line block ×3, first 2 shown]
	v_mov_b64_e32 v[140:141], v[44:45]
	v_mov_b64_e32 v[142:143], v[46:47]
	;; [unrolled: 1-line block ×9, first 2 shown]
	v_mov_b32_e32 v146, v142
	scratch_store_dwordx4 off, v[126:129], off offset:1156 ; 16-byte Folded Spill
	s_nop 0
	scratch_store_dwordx4 off, v[130:133], off offset:1172 ; 16-byte Folded Spill
	scratch_store_dwordx4 off, v[134:137], off offset:1188 ; 16-byte Folded Spill
	;; [unrolled: 1-line block ×7, first 2 shown]
	v_mov_b32_e32 v138, v72
	scratch_store_dwordx4 off, v[54:57], off offset:1796 ; 16-byte Folded Spill
	s_nop 0
	scratch_store_dwordx4 off, v[58:61], off offset:1812 ; 16-byte Folded Spill
	scratch_store_dwordx4 off, v[62:65], off offset:1828 ; 16-byte Folded Spill
	;; [unrolled: 1-line block ×7, first 2 shown]
	v_mov_b32_e32 v32, v94
	v_mov_b32_e32 v58, v28
	;; [unrolled: 1-line block ×3, first 2 shown]
	v_mov_b64_e32 v[188:189], v[198:199]
	v_mov_b64_e32 v[190:191], v[200:201]
	;; [unrolled: 1-line block ×12, first 2 shown]
	v_mov_b32_e32 v54, v180
	v_mov_b32_e32 v152, v210
	;; [unrolled: 1-line block ×3, first 2 shown]
	scratch_store_dwordx4 off, v[74:77], off offset:1412 ; 16-byte Folded Spill
	s_nop 0
	scratch_store_dwordx4 off, v[78:81], off offset:1428 ; 16-byte Folded Spill
	scratch_store_dwordx4 off, v[82:85], off offset:1444 ; 16-byte Folded Spill
	scratch_store_dwordx4 off, v[86:89], off offset:1460 ; 16-byte Folded Spill
	scratch_store_dwordx4 off, v[90:93], off offset:1476 ; 16-byte Folded Spill
	scratch_store_dwordx4 off, v[94:97], off offset:1492 ; 16-byte Folded Spill
	scratch_store_dwordx4 off, v[98:101], off offset:1508 ; 16-byte Folded Spill
	scratch_store_dwordx4 off, v[102:105], off offset:1524 ; 16-byte Folded Spill
	scratch_store_dwordx4 off, v[0:3], off offset:772 ; 16-byte Folded Spill
	s_nop 0
	scratch_store_dwordx4 off, v[4:7], off offset:788 ; 16-byte Folded Spill
	scratch_store_dwordx4 off, v[8:11], off offset:804 ; 16-byte Folded Spill
	;; [unrolled: 1-line block ×7, first 2 shown]
	v_mov_b32_e32 v33, v73
	v_mov_b32_e32 v135, v95
	v_mov_b64_e32 v[90:91], v[222:223]
	v_mov_b64_e32 v[92:93], v[224:225]
	;; [unrolled: 1-line block ×8, first 2 shown]
	v_mov_b32_e32 v89, v25
.LBB55_33:
	s_or_b64 exec, exec, s[2:3]
	v_cmp_eq_u32_e32 vcc, 6, v255
	s_waitcnt lgkmcnt(0)
	s_barrier
	s_and_saveexec_b64 s[2:3], vcc
	s_cbranch_execz .LBB55_36
; %bb.34:
	ds_write_b32 v250, v50
	ds_write2_b32 v254, v97, v98 offset0:7 offset1:8
	ds_write2_b32 v254, v99, v100 offset0:9 offset1:10
	ds_write2_b32 v254, v101, v102 offset0:11 offset1:12
	ds_write2_b32 v254, v103, v104 offset0:13 offset1:14
	ds_write2_b32 v254, v105, v106 offset0:15 offset1:16
	ds_write2_b32 v254, v107, v108 offset0:17 offset1:18
	ds_write2_b32 v254, v109, v110 offset0:19 offset1:20
	ds_write2_b32 v254, v111, v112 offset0:21 offset1:22
	ds_write2_b32 v254, v113, v114 offset0:23 offset1:24
	ds_write2_b32 v254, v115, v116 offset0:25 offset1:26
	scratch_load_dwordx4 v[0:3], off, off offset:132 ; 16-byte Folded Reload
	scratch_load_dwordx4 v[4:7], off, off offset:148 ; 16-byte Folded Reload
	;; [unrolled: 1-line block ×8, first 2 shown]
	s_waitcnt vmcnt(1)
	ds_write_b32 v254, v27 offset:108
	s_waitcnt vmcnt(0)
	ds_read_b32 v28, v250
	s_waitcnt lgkmcnt(0)
	v_cmp_neq_f32_e32 vcc, 0, v28
	s_and_b64 exec, exec, vcc
	s_cbranch_execz .LBB55_36
; %bb.35:
	v_div_scale_f32 v29, s[4:5], v28, v28, 1.0
	v_rcp_f32_e32 v30, v29
	v_mov_b32_e32 v10, v54
	v_div_scale_f32 v31, vcc, 1.0, v28, 1.0
	v_fma_f32 v54, -v29, v30, 1.0
	v_fmac_f32_e32 v30, v54, v30
	v_mul_f32_e32 v54, v31, v30
	v_fma_f32 v55, -v29, v54, v31
	v_fmac_f32_e32 v54, v55, v30
	v_fma_f32 v29, -v29, v54, v31
	v_div_fmas_f32 v29, v29, v30, v54
	v_mov_b32_e32 v54, v10
	v_div_fixup_f32 v28, v29, v28, 1.0
	ds_write_b32 v250, v28
.LBB55_36:
	s_or_b64 exec, exec, s[2:3]
	s_waitcnt lgkmcnt(0)
	s_barrier
	ds_read_b32 v126, v250
	v_cmp_lt_u32_e32 vcc, 6, v255
	s_and_saveexec_b64 s[2:3], vcc
	s_cbranch_execz .LBB55_38
; %bb.37:
	s_movk_i32 s4, 0x1284
	scratch_load_dwordx4 v[64:67], off, s4  ; 16-byte Folded Reload
	scratch_load_dwordx4 v[68:71], off, s4 offset:16 ; 16-byte Folded Reload
	scratch_load_dwordx4 v[72:75], off, s4 offset:32 ; 16-byte Folded Reload
	;; [unrolled: 1-line block ×7, first 2 shown]
	ds_read2_b32 v[0:1], v254 offset0:7 offset1:8
	ds_read2_b32 v[4:5], v254 offset0:9 offset1:10
	;; [unrolled: 1-line block ×4, first 2 shown]
	s_waitcnt vmcnt(6) lgkmcnt(4)
	v_mul_f32_e32 v70, v50, v126
	v_mov_b32_e32 v2, v97
	v_mov_b32_e32 v3, v98
	;; [unrolled: 1-line block ×3, first 2 shown]
	s_movk_i32 s4, 0x1084
	v_mov_b32_e32 v194, v70
	v_mov_b32_e32 v188, v64
	s_waitcnt lgkmcnt(3)
	v_pk_fma_f32 v[28:29], v[70:71], v[0:1], v[2:3] op_sel_hi:[0,1,1] neg_lo:[1,0,0] neg_hi:[1,0,0]
	v_mov_b32_e32 v0, v99
	v_mov_b32_e32 v1, v100
	s_waitcnt lgkmcnt(2)
	v_pk_fma_f32 v[30:31], v[70:71], v[4:5], v[0:1] op_sel_hi:[0,1,1] neg_lo:[1,0,0] neg_hi:[1,0,0]
	;; [unrolled: 4-line block ×4, first 2 shown]
	ds_read2_b32 v[0:1], v254 offset0:15 offset1:16
	ds_read2_b32 v[4:5], v254 offset0:17 offset1:18
	;; [unrolled: 1-line block ×4, first 2 shown]
	v_mov_b32_e32 v2, v105
	v_mov_b32_e32 v3, v106
	;; [unrolled: 1-line block ×3, first 2 shown]
	s_waitcnt lgkmcnt(3)
	v_pk_fma_f32 v[58:59], v[70:71], v[0:1], v[2:3] op_sel_hi:[0,1,1] neg_lo:[1,0,0] neg_hi:[1,0,0]
	v_mov_b32_e32 v0, v107
	v_mov_b32_e32 v1, v108
	s_waitcnt lgkmcnt(2)
	v_pk_fma_f32 v[60:61], v[70:71], v[4:5], v[0:1] op_sel_hi:[0,1,1] neg_lo:[1,0,0] neg_hi:[1,0,0]
	v_mov_b32_e32 v0, v109
	v_mov_b32_e32 v1, v110
	s_waitcnt lgkmcnt(1)
	v_pk_fma_f32 v[62:63], v[70:71], v[6:7], v[0:1] op_sel_hi:[0,1,1] neg_lo:[1,0,0] neg_hi:[1,0,0]
	v_mov_b32_e32 v0, v111
	v_mov_b32_e32 v1, v112
	s_waitcnt vmcnt(1) lgkmcnt(0)
	v_pk_fma_f32 v[88:89], v[70:71], v[8:9], v[0:1] op_sel_hi:[0,1,1] neg_lo:[1,0,0] neg_hi:[1,0,0]
	ds_read2_b32 v[0:1], v254 offset0:23 offset1:24
	ds_read2_b32 v[4:5], v254 offset0:25 offset1:26
	ds_read_b32 v6, v254 offset:108
	scratch_load_dwordx4 v[128:131], off, off offset:132 ; 16-byte Folded Reload
	scratch_load_dwordx4 v[132:135], off, off offset:148 ; 16-byte Folded Reload
	;; [unrolled: 1-line block ×8, first 2 shown]
	v_mov_b32_e32 v2, v113
	v_mov_b32_e32 v3, v114
	s_waitcnt lgkmcnt(2)
	v_pk_fma_f32 v[90:91], v[70:71], v[0:1], v[2:3] op_sel_hi:[0,1,1] neg_lo:[1,0,0] neg_hi:[1,0,0]
	v_mov_b32_e32 v0, v115
	v_mov_b32_e32 v1, v116
	s_waitcnt vmcnt(8) lgkmcnt(1)
	v_pk_fma_f32 v[92:93], v[70:71], v[4:5], v[0:1] op_sel_hi:[0,1,1] neg_lo:[1,0,0] neg_hi:[1,0,0]
	v_mov_b32_e32 v0, v64
	v_mov_b32_e32 v1, v65
	v_mov_b32_e32 v2, v66
	v_mov_b32_e32 v3, v67
	v_mov_b32_e32 v4, v68
	v_mov_b32_e32 v5, v69
	v_mov_b32_e32 v7, v28
	v_mov_b32_e32 v8, v29
	v_mov_b32_e32 v71, v28
	s_waitcnt vmcnt(0)
	v_mov_b32_e32 v156, v64
	v_mov_b32_e32 v157, v65
	;; [unrolled: 1-line block ×24, first 2 shown]
	s_waitcnt lgkmcnt(0)
	v_fma_f32 v27, -v70, v6, v155
	v_mov_b32_e32 v6, v70
	scratch_store_dwordx4 off, v[0:3], off offset:3972 ; 16-byte Folded Spill
	s_nop 0
	scratch_store_dwordx4 off, v[4:7], off offset:3988 ; 16-byte Folded Spill
	scratch_store_dwordx4 off, v[8:11], off offset:4004 ; 16-byte Folded Spill
	scratch_store_dwordx4 off, v[12:15], off offset:4020 ; 16-byte Folded Spill
	scratch_store_dwordx4 off, v[16:19], off offset:4036 ; 16-byte Folded Spill
	scratch_store_dwordx4 off, v[20:23], off offset:4052 ; 16-byte Folded Spill
	scratch_store_dwordx4 off, v[24:27], off offset:4068 ; 16-byte Folded Spill
	scratch_store_dwordx4 off, v[28:31], off offset:4084 ; 16-byte Folded Spill
	v_mov_b32_e32 v9, v30
	scratch_store_dwordx4 off, v[0:3], off offset:3588 ; 16-byte Folded Spill
	s_nop 0
	scratch_store_dwordx4 off, v[4:7], off offset:3604 ; 16-byte Folded Spill
	scratch_store_dwordx4 off, v[8:11], off offset:3620 ; 16-byte Folded Spill
	scratch_store_dwordx4 off, v[12:15], off offset:3636 ; 16-byte Folded Spill
	scratch_store_dwordx4 off, v[16:19], off offset:3652 ; 16-byte Folded Spill
	scratch_store_dwordx4 off, v[20:23], off offset:3668 ; 16-byte Folded Spill
	scratch_store_dwordx4 off, v[24:27], off offset:3684 ; 16-byte Folded Spill
	scratch_store_dwordx4 off, v[28:31], off offset:3700 ; 16-byte Folded Spill
	;; [unrolled: 10-line block ×4, first 2 shown]
	v_mov_b32_e32 v12, v55
	v_mov_b32_e32 v13, v56
	;; [unrolled: 1-line block ×6, first 2 shown]
	scratch_store_dwordx4 off, v[156:159], off offset:3076 ; 16-byte Folded Spill
	s_nop 0
	scratch_store_dwordx4 off, v[160:163], off offset:3092 ; 16-byte Folded Spill
	scratch_store_dwordx4 off, v[164:167], off offset:3108 ; 16-byte Folded Spill
	;; [unrolled: 1-line block ×8, first 2 shown]
	s_nop 0
	scratch_store_dwordx4 off, v[4:7], off offset:2708 ; 16-byte Folded Spill
	scratch_store_dwordx4 off, v[8:11], off offset:2724 ; 16-byte Folded Spill
	scratch_store_dwordx4 off, v[12:15], off offset:2740 ; 16-byte Folded Spill
	scratch_store_dwordx4 off, v[16:19], off offset:2756 ; 16-byte Folded Spill
	scratch_store_dwordx4 off, v[20:23], off offset:2772 ; 16-byte Folded Spill
	scratch_store_dwordx4 off, v[24:27], off offset:2788 ; 16-byte Folded Spill
	scratch_store_dwordx4 off, v[28:31], off offset:2804 ; 16-byte Folded Spill
	v_mov_b32_e32 v14, v57
	scratch_store_dwordx4 off, v[0:3], off offset:2052 ; 16-byte Folded Spill
	s_nop 0
	scratch_store_dwordx4 off, v[4:7], off offset:2068 ; 16-byte Folded Spill
	scratch_store_dwordx4 off, v[8:11], off offset:2084 ; 16-byte Folded Spill
	scratch_store_dwordx4 off, v[12:15], off offset:2100 ; 16-byte Folded Spill
	scratch_store_dwordx4 off, v[16:19], off offset:2116 ; 16-byte Folded Spill
	scratch_store_dwordx4 off, v[20:23], off offset:2132 ; 16-byte Folded Spill
	scratch_store_dwordx4 off, v[24:27], off offset:2148 ; 16-byte Folded Spill
	scratch_store_dwordx4 off, v[28:31], off offset:2164 ; 16-byte Folded Spill
	v_mov_b32_e32 v15, v58
	scratch_store_dwordx4 off, v[0:3], off offset:2180 ; 16-byte Folded Spill
	;; [unrolled: 10-line block ×8, first 2 shown]
	s_nop 0
	scratch_store_dwordx4 off, v[4:7], off offset:1300 ; 16-byte Folded Spill
	scratch_store_dwordx4 off, v[8:11], off offset:1316 ; 16-byte Folded Spill
	;; [unrolled: 1-line block ×7, first 2 shown]
	v_mov_b32_e32 v22, v89
	v_mov_b32_e32 v23, v90
	;; [unrolled: 1-line block ×6, first 2 shown]
	scratch_store_dwordx4 off, v[0:3], off offset:900 ; 16-byte Folded Spill
	s_nop 0
	scratch_store_dwordx4 off, v[4:7], off offset:916 ; 16-byte Folded Spill
	scratch_store_dwordx4 off, v[8:11], off offset:932 ; 16-byte Folded Spill
	scratch_store_dwordx4 off, v[12:15], off offset:948 ; 16-byte Folded Spill
	scratch_store_dwordx4 off, v[16:19], off offset:964 ; 16-byte Folded Spill
	scratch_store_dwordx4 off, v[20:23], off offset:980 ; 16-byte Folded Spill
	scratch_store_dwordx4 off, v[24:27], off offset:996 ; 16-byte Folded Spill
	scratch_store_dwordx4 off, v[28:31], off offset:1012 ; 16-byte Folded Spill
	s_nop 0
	v_mov_b32_e32 v24, v91
	scratch_store_dwordx4 off, v[0:3], off offset:772 ; 16-byte Folded Spill
	s_nop 0
	scratch_store_dwordx4 off, v[4:7], off offset:788 ; 16-byte Folded Spill
	scratch_store_dwordx4 off, v[8:11], off offset:804 ; 16-byte Folded Spill
	scratch_store_dwordx4 off, v[12:15], off offset:820 ; 16-byte Folded Spill
	scratch_store_dwordx4 off, v[16:19], off offset:836 ; 16-byte Folded Spill
	scratch_store_dwordx4 off, v[20:23], off offset:852 ; 16-byte Folded Spill
	scratch_store_dwordx4 off, v[24:27], off offset:868 ; 16-byte Folded Spill
	scratch_store_dwordx4 off, v[28:31], off offset:884 ; 16-byte Folded Spill
	s_nop 0
	v_mov_b32_e32 v25, v92
	;; [unrolled: 11-line block ×3, first 2 shown]
	scratch_store_dwordx4 off, v[64:67], s4 ; 16-byte Folded Spill
	s_nop 0
	scratch_store_dwordx4 off, v[68:71], s4 offset:16 ; 16-byte Folded Spill
	scratch_store_dwordx4 off, v[72:75], s4 offset:32 ; 16-byte Folded Spill
	;; [unrolled: 1-line block ×7, first 2 shown]
	s_movk_i32 s4, 0x1004
	scratch_store_dwordx4 off, v[64:67], s4 ; 16-byte Folded Spill
	s_nop 0
	scratch_store_dwordx4 off, v[68:71], s4 offset:16 ; 16-byte Folded Spill
	scratch_store_dwordx4 off, v[72:75], s4 offset:32 ; 16-byte Folded Spill
	;; [unrolled: 1-line block ×7, first 2 shown]
	v_mov_b32_e32 v65, v27
	v_mov_b32_e32 v64, v93
	scratch_store_dwordx4 off, v[38:41], off offset:132 ; 16-byte Folded Spill
	s_nop 0
	scratch_store_dwordx4 off, v[42:45], off offset:148 ; 16-byte Folded Spill
	scratch_store_dwordx4 off, v[46:49], off offset:164 ; 16-byte Folded Spill
	;; [unrolled: 1-line block ×7, first 2 shown]
	v_mov_b32_e32 v49, v28
	v_mov_b32_e32 v64, v29
	;; [unrolled: 1-line block ×8, first 2 shown]
	scratch_store_dwordx4 off, v[20:23], off offset:1540 ; 16-byte Folded Spill
	s_nop 0
	scratch_store_dwordx4 off, v[24:27], off offset:1556 ; 16-byte Folded Spill
	scratch_store_dwordx4 off, v[28:31], off offset:1572 ; 16-byte Folded Spill
	;; [unrolled: 1-line block ×7, first 2 shown]
	v_mov_b32_e32 v30, v55
	v_mov_b32_e32 v181, v54
	;; [unrolled: 1-line block ×6, first 2 shown]
	scratch_store_dwordx4 off, v[18:21], off offset:516 ; 16-byte Folded Spill
	s_nop 0
	scratch_store_dwordx4 off, v[22:25], off offset:532 ; 16-byte Folded Spill
	scratch_store_dwordx4 off, v[26:29], off offset:548 ; 16-byte Folded Spill
	scratch_store_dwordx4 off, v[30:33], off offset:564 ; 16-byte Folded Spill
	scratch_store_dwordx4 off, v[34:37], off offset:580 ; 16-byte Folded Spill
	scratch_store_dwordx4 off, v[38:41], off offset:596 ; 16-byte Folded Spill
	scratch_store_dwordx4 off, v[42:45], off offset:612 ; 16-byte Folded Spill
	scratch_store_dwordx4 off, v[46:49], off offset:628 ; 16-byte Folded Spill
	v_mov_b32_e32 v29, v56
	scratch_store_dwordx4 off, v[16:19], off offset:388 ; 16-byte Folded Spill
	s_nop 0
	scratch_store_dwordx4 off, v[20:23], off offset:404 ; 16-byte Folded Spill
	scratch_store_dwordx4 off, v[24:27], off offset:420 ; 16-byte Folded Spill
	scratch_store_dwordx4 off, v[28:31], off offset:436 ; 16-byte Folded Spill
	scratch_store_dwordx4 off, v[32:35], off offset:452 ; 16-byte Folded Spill
	scratch_store_dwordx4 off, v[36:39], off offset:468 ; 16-byte Folded Spill
	scratch_store_dwordx4 off, v[40:43], off offset:484 ; 16-byte Folded Spill
	scratch_store_dwordx4 off, v[44:47], off offset:500 ; 16-byte Folded Spill
	v_mov_b32_e32 v30, v57
	;; [unrolled: 10-line block ×3, first 2 shown]
	v_mov_b32_e32 v58, v64
	scratch_store_dwordx4 off, v[14:17], off offset:260 ; 16-byte Folded Spill
	s_nop 0
	scratch_store_dwordx4 off, v[18:21], off offset:276 ; 16-byte Folded Spill
	scratch_store_dwordx4 off, v[22:25], off offset:292 ; 16-byte Folded Spill
	;; [unrolled: 1-line block ×7, first 2 shown]
	v_mov_b32_e32 v33, v62
	v_mov_b32_e32 v32, v63
	v_mov_b64_e32 v[104:105], v[14:15]
	v_mov_b64_e32 v[116:117], v[26:27]
	v_mov_b32_e32 v54, v31
	v_mov_b64_e32 v[102:103], v[12:13]
	v_mov_b64_e32 v[100:101], v[10:11]
	;; [unrolled: 1-line block ×12, first 2 shown]
.LBB55_38:
	s_or_b64 exec, exec, s[2:3]
	v_cmp_eq_u32_e32 vcc, 7, v255
	s_waitcnt lgkmcnt(0)
	s_barrier
	s_and_saveexec_b64 s[2:3], vcc
	s_cbranch_execz .LBB55_41
; %bb.39:
	ds_write_b32 v250, v49
	ds_write2_b64 v254, v[98:99], v[100:101] offset0:4 offset1:5
	ds_write2_b64 v254, v[102:103], v[104:105] offset0:6 offset1:7
	ds_write2_b64 v254, v[106:107], v[108:109] offset0:8 offset1:9
	ds_write2_b64 v254, v[110:111], v[112:113] offset0:10 offset1:11
	ds_write2_b64 v254, v[114:115], v[116:117] offset0:12 offset1:13
	ds_read_b32 v28, v250
	s_waitcnt lgkmcnt(0)
	v_cmp_neq_f32_e32 vcc, 0, v28
	s_and_b64 exec, exec, vcc
	s_cbranch_execz .LBB55_41
; %bb.40:
	v_div_scale_f32 v29, s[4:5], v28, v28, 1.0
	v_rcp_f32_e32 v30, v29
	v_mov_b32_e32 v10, v54
	v_div_scale_f32 v31, vcc, 1.0, v28, 1.0
	v_fma_f32 v54, -v29, v30, 1.0
	v_fmac_f32_e32 v30, v54, v30
	v_mul_f32_e32 v54, v31, v30
	v_fma_f32 v55, -v29, v54, v31
	v_fmac_f32_e32 v54, v55, v30
	v_fma_f32 v29, -v29, v54, v31
	v_div_fmas_f32 v29, v29, v30, v54
	v_mov_b32_e32 v54, v10
	v_div_fixup_f32 v28, v29, v28, 1.0
	ds_write_b32 v250, v28
.LBB55_41:
	s_or_b64 exec, exec, s[2:3]
	s_waitcnt lgkmcnt(0)
	s_barrier
	ds_read_b32 v127, v250
	v_cmp_lt_u32_e32 vcc, 7, v255
	s_and_saveexec_b64 s[2:3], vcc
	s_cbranch_execz .LBB55_43
; %bb.42:
	ds_read2_b64 v[28:31], v254 offset0:4 offset1:5
	ds_read2_b64 v[32:35], v254 offset0:6 offset1:7
	;; [unrolled: 1-line block ×3, first 2 shown]
	s_waitcnt lgkmcnt(3)
	v_mul_f32_e32 v4, v49, v127
	s_movk_i32 s4, 0x1004
	s_waitcnt lgkmcnt(2)
	v_pk_fma_f32 v[144:145], v[4:5], v[28:29], v[98:99] op_sel_hi:[0,1,1] neg_lo:[1,0,0] neg_hi:[1,0,0]
	v_pk_fma_f32 v[180:181], v[4:5], v[30:31], v[100:101] op_sel_hi:[0,1,1] neg_lo:[1,0,0] neg_hi:[1,0,0]
	s_waitcnt lgkmcnt(0)
	v_pk_fma_f32 v[116:117], v[4:5], v[2:3], v[116:117] op_sel_hi:[0,1,1] neg_lo:[1,0,0] neg_hi:[1,0,0]
	v_pk_fma_f32 v[168:169], v[4:5], v[32:33], v[102:103] op_sel_hi:[0,1,1] neg_lo:[1,0,0] neg_hi:[1,0,0]
	scratch_store_dwordx4 off, v[90:93], off offset:4 ; 16-byte Folded Spill
	s_nop 0
	scratch_store_dwordx4 off, v[94:97], off offset:20 ; 16-byte Folded Spill
	scratch_store_dwordx4 off, v[98:101], off offset:36 ; 16-byte Folded Spill
	;; [unrolled: 1-line block ×7, first 2 shown]
	scratch_load_dwordx4 v[36:39], off, s4  ; 16-byte Folded Reload
	scratch_load_dwordx4 v[40:43], off, s4 offset:16 ; 16-byte Folded Reload
	scratch_load_dwordx4 v[44:47], off, s4 offset:32 ; 16-byte Folded Reload
	;; [unrolled: 1-line block ×7, first 2 shown]
	v_mov_b32_e32 v13, v4
	v_mov_b32_e32 v14, v144
	;; [unrolled: 1-line block ×3, first 2 shown]
	s_waitcnt vmcnt(6)
	v_mov_b32_e32 v43, v4
	s_waitcnt vmcnt(5)
	v_mov_b32_e32 v44, v144
	v_mov_b32_e32 v45, v145
	;; [unrolled: 1-line block ×7, first 2 shown]
	s_movk_i32 s4, 0x1084
	v_mov_b32_e32 v178, v144
	v_mov_b32_e32 v179, v145
	;; [unrolled: 1-line block ×29, first 2 shown]
	scratch_store_dwordx4 off, v[6:9], off offset:3588 ; 16-byte Folded Spill
	s_nop 0
	scratch_store_dwordx4 off, v[10:13], off offset:3604 ; 16-byte Folded Spill
	scratch_store_dwordx4 off, v[14:17], off offset:3620 ; 16-byte Folded Spill
	;; [unrolled: 1-line block ×7, first 2 shown]
	v_mov_b32_e32 v28, v128
	v_mov_b32_e32 v29, v129
	;; [unrolled: 1-line block ×48, first 2 shown]
	scratch_store_dwordx4 off, v[36:39], off offset:3204 ; 16-byte Folded Spill
	s_nop 0
	scratch_store_dwordx4 off, v[40:43], off offset:3220 ; 16-byte Folded Spill
	scratch_store_dwordx4 off, v[44:47], off offset:3236 ; 16-byte Folded Spill
	s_waitcnt vmcnt(15)
	scratch_store_dwordx4 off, v[48:51], off offset:3252 ; 16-byte Folded Spill
	s_waitcnt vmcnt(15)
	;; [unrolled: 2-line block ×5, first 2 shown]
	scratch_store_dwordx4 off, v[64:67], off offset:3316 ; 16-byte Folded Spill
	v_mov_b32_e32 v48, v168
	v_mov_b32_e32 v49, v169
	v_pk_fma_f32 v[196:197], v[4:5], v[34:35], v[104:105] op_sel_hi:[0,1,1] neg_lo:[1,0,0] neg_hi:[1,0,0]
	v_mov_b32_e32 v34, v134
	v_mov_b32_e32 v35, v4
	;; [unrolled: 1-line block ×4, first 2 shown]
	scratch_store_dwordx4 off, v[36:39], off offset:2692 ; 16-byte Folded Spill
	s_nop 0
	scratch_store_dwordx4 off, v[40:43], off offset:2708 ; 16-byte Folded Spill
	scratch_store_dwordx4 off, v[44:47], off offset:2724 ; 16-byte Folded Spill
	;; [unrolled: 1-line block ×7, first 2 shown]
	v_mov_b32_e32 v36, v144
	v_mov_b32_e32 v37, v145
	;; [unrolled: 1-line block ×16, first 2 shown]
	scratch_store_dwordx4 off, v[28:31], off offset:2180 ; 16-byte Folded Spill
	s_nop 0
	scratch_store_dwordx4 off, v[32:35], off offset:2196 ; 16-byte Folded Spill
	scratch_store_dwordx4 off, v[36:39], off offset:2212 ; 16-byte Folded Spill
	;; [unrolled: 1-line block ×7, first 2 shown]
	ds_read2_b64 v[6:9], v254 offset0:8 offset1:9
	ds_read2_b64 v[10:13], v254 offset0:10 offset1:11
	v_mov_b32_e32 v28, v196
	v_mov_b32_e32 v29, v197
	v_mov_b64_e32 v[88:89], v[28:29]
	s_waitcnt lgkmcnt(1)
	v_pk_fma_f32 v[30:31], v[4:5], v[6:7], v[106:107] op_sel_hi:[0,1,1] neg_lo:[1,0,0] neg_hi:[1,0,0]
	v_mov_b64_e32 v[90:91], v[30:31]
	v_mov_b64_e32 v[86:87], v[26:27]
	;; [unrolled: 1-line block ×8, first 2 shown]
	v_mov_b32_e32 v28, v128
	v_mov_b32_e32 v29, v129
	;; [unrolled: 1-line block ×6, first 2 shown]
	v_pk_fma_f32 v[72:73], v[4:5], v[8:9], v[108:109] op_sel_hi:[0,1,1] neg_lo:[1,0,0] neg_hi:[1,0,0]
	v_mov_b64_e32 v[112:113], v[90:91]
	v_mov_b64_e32 v[110:111], v[88:89]
	v_mov_b64_e32 v[96:97], v[74:75]
	v_mov_b64_e32 v[108:109], v[86:87]
	v_mov_b64_e32 v[106:107], v[84:85]
	v_mov_b64_e32 v[104:105], v[82:83]
	v_mov_b64_e32 v[102:103], v[80:81]
	v_mov_b64_e32 v[100:101], v[78:79]
	v_mov_b64_e32 v[98:99], v[76:77]
	v_mov_b32_e32 v114, v72
	v_mov_b32_e32 v115, v73
	;; [unrolled: 1-line block ×26, first 2 shown]
	scratch_store_dwordx4 off, v[28:31], off offset:1924 ; 16-byte Folded Spill
	s_nop 0
	scratch_store_dwordx4 off, v[32:35], off offset:1940 ; 16-byte Folded Spill
	scratch_store_dwordx4 off, v[36:39], off offset:1956 ; 16-byte Folded Spill
	;; [unrolled: 1-line block ×7, first 2 shown]
	s_nop 0
	v_mov_b32_e32 v54, v128
	v_mov_b32_e32 v55, v129
	;; [unrolled: 1-line block ×10, first 2 shown]
	scratch_store_dwordx4 off, v[28:31], off offset:1668 ; 16-byte Folded Spill
	s_nop 0
	scratch_store_dwordx4 off, v[32:35], off offset:1684 ; 16-byte Folded Spill
	scratch_store_dwordx4 off, v[36:39], off offset:1700 ; 16-byte Folded Spill
	;; [unrolled: 1-line block ×7, first 2 shown]
	scratch_load_dwordx4 v[14:17], off, off offset:4 ; 16-byte Folded Reload
	s_nop 0
	scratch_load_dwordx4 v[18:21], off, off offset:20 ; 16-byte Folded Reload
	scratch_load_dwordx4 v[22:25], off, off offset:36 ; 16-byte Folded Reload
	;; [unrolled: 1-line block ×7, first 2 shown]
	s_waitcnt vmcnt(7)
	v_mov_b32_e32 v14, v128
	v_mov_b32_e32 v15, v129
	v_mov_b32_e32 v16, v130
	v_mov_b32_e32 v17, v131
	s_waitcnt vmcnt(6)
	v_mov_b32_e32 v18, v132
	v_mov_b32_e32 v19, v133
	v_mov_b32_e32 v20, v134
	v_mov_b32_e32 v21, v4
	;; [unrolled: 5-line block ×5, first 2 shown]
	v_mov_b64_e32 v[48:49], v[90:91]
	v_mov_b32_e32 v50, v168
	s_waitcnt vmcnt(2) lgkmcnt(0)
	v_pk_fma_f32 v[94:95], v[4:5], v[10:11], v[34:35] op_sel_hi:[0,1,1] neg_lo:[1,0,0] neg_hi:[1,0,0]
	v_mov_b32_e32 v34, v94
	v_mov_b32_e32 v35, v95
	scratch_store_dwordx4 off, v[14:17], off offset:1284 ; 16-byte Folded Spill
	s_nop 0
	scratch_store_dwordx4 off, v[18:21], off offset:1300 ; 16-byte Folded Spill
	scratch_store_dwordx4 off, v[22:25], off offset:1316 ; 16-byte Folded Spill
	;; [unrolled: 1-line block ×5, first 2 shown]
	s_waitcnt vmcnt(7)
	scratch_store_dwordx4 off, v[38:41], off offset:1380 ; 16-byte Folded Spill
	s_waitcnt vmcnt(7)
	scratch_store_dwordx4 off, v[42:45], off offset:1396 ; 16-byte Folded Spill
	scratch_load_dwordx4 v[198:201], off, off offset:4 ; 16-byte Folded Reload
	scratch_load_dwordx4 v[202:205], off, off offset:20 ; 16-byte Folded Reload
	;; [unrolled: 1-line block ×8, first 2 shown]
	v_mov_b64_e32 v[32:33], v[96:97]
	s_waitcnt vmcnt(3)
	v_mov_b32_e32 v214, v112
	v_mov_b32_e32 v215, v113
	v_mov_b64_e32 v[34:35], v[98:99]
	v_mov_b64_e32 v[36:37], v[100:101]
	;; [unrolled: 1-line block ×7, first 2 shown]
	v_mov_b32_e32 v96, v128
	v_mov_b32_e32 v97, v129
	;; [unrolled: 1-line block ×35, first 2 shown]
	s_waitcnt vmcnt(2)
	v_mov_b32_e32 v218, v94
	v_mov_b32_e32 v219, v95
	;; [unrolled: 1-line block ×21, first 2 shown]
	v_pk_fma_f32 v[220:221], v[4:5], v[12:13], v[220:221] op_sel_hi:[0,1,1] neg_lo:[1,0,0] neg_hi:[1,0,0]
	v_mov_b32_e32 v118, v220
	v_mov_b32_e32 v119, v221
	scratch_store_dwordx4 off, v[96:99], off offset:900 ; 16-byte Folded Spill
	s_nop 0
	scratch_store_dwordx4 off, v[100:103], off offset:916 ; 16-byte Folded Spill
	scratch_store_dwordx4 off, v[104:107], off offset:932 ; 16-byte Folded Spill
	;; [unrolled: 1-line block ×7, first 2 shown]
	scratch_load_dwordx4 v[222:225], off, off offset:4 ; 16-byte Folded Reload
	scratch_load_dwordx4 v[226:229], off, off offset:20 ; 16-byte Folded Reload
	;; [unrolled: 1-line block ×8, first 2 shown]
	v_mov_b32_e32 v103, v4
	v_mov_b32_e32 v96, v128
	;; [unrolled: 1-line block ×20, first 2 shown]
	s_waitcnt vmcnt(1)
	v_pk_fma_f32 v[30:31], v[4:5], v[0:1], v[246:247] op_sel_hi:[0,1,1] neg_lo:[1,0,0] neg_hi:[1,0,0]
	scratch_load_dwordx4 v[222:225], off, off offset:4 ; 16-byte Folded Reload
	scratch_load_dwordx4 v[226:229], off, off offset:20 ; 16-byte Folded Reload
	;; [unrolled: 1-line block ×8, first 2 shown]
	s_waitcnt vmcnt(6)
	v_mov_b32_e32 v229, v4
	v_mov_b32_e32 v120, v30
	v_mov_b32_e32 v121, v31
	scratch_store_dwordx4 off, v[222:225], off offset:4 ; 16-byte Folded Spill
	s_nop 0
	scratch_store_dwordx4 off, v[226:229], off offset:20 ; 16-byte Folded Spill
	s_waitcnt vmcnt(7)
	scratch_store_dwordx4 off, v[230:233], off offset:36 ; 16-byte Folded Spill
	s_waitcnt vmcnt(7)
	;; [unrolled: 2-line block ×6, first 2 shown]
	scratch_store_dwordx4 off, v[250:253], off offset:116 ; 16-byte Folded Spill
	scratch_store_dwordx4 off, v[96:99], off offset:644 ; 16-byte Folded Spill
	s_nop 0
	scratch_store_dwordx4 off, v[100:103], off offset:660 ; 16-byte Folded Spill
	scratch_store_dwordx4 off, v[104:107], off offset:676 ; 16-byte Folded Spill
	;; [unrolled: 1-line block ×7, first 2 shown]
	scratch_load_dwordx4 v[222:225], off, off offset:4 ; 16-byte Folded Reload
	scratch_load_dwordx4 v[226:229], off, off offset:20 ; 16-byte Folded Reload
	;; [unrolled: 1-line block ×8, first 2 shown]
	s_waitcnt vmcnt(7)
	v_mov_b32_e32 v222, v128
	scratch_store_dwordx4 off, v[222:225], off offset:4 ; 16-byte Folded Spill
	s_waitcnt vmcnt(7)
	scratch_store_dwordx4 off, v[226:229], off offset:20 ; 16-byte Folded Spill
	s_waitcnt vmcnt(7)
	scratch_store_dwordx4 off, v[230:233], off offset:36 ; 16-byte Folded Spill
	s_waitcnt vmcnt(7)
	scratch_store_dwordx4 off, v[234:237], off offset:52 ; 16-byte Folded Spill
	s_waitcnt vmcnt(7)
	scratch_store_dwordx4 off, v[238:241], off offset:68 ; 16-byte Folded Spill
	s_waitcnt vmcnt(7)
	scratch_store_dwordx4 off, v[242:245], off offset:84 ; 16-byte Folded Spill
	s_waitcnt vmcnt(7)
	scratch_store_dwordx4 off, v[246:249], off offset:100 ; 16-byte Folded Spill
	s_waitcnt vmcnt(7)
	scratch_store_dwordx4 off, v[250:253], off offset:116 ; 16-byte Folded Spill
	scratch_load_dwordx4 v[222:225], off, off offset:4 ; 16-byte Folded Reload
	s_nop 0
	scratch_load_dwordx4 v[226:229], off, off offset:20 ; 16-byte Folded Reload
	scratch_load_dwordx4 v[230:233], off, off offset:36 ; 16-byte Folded Reload
	scratch_load_dwordx4 v[234:237], off, off offset:52 ; 16-byte Folded Reload
	scratch_load_dwordx4 v[238:241], off, off offset:68 ; 16-byte Folded Reload
	scratch_load_dwordx4 v[242:245], off, off offset:84 ; 16-byte Folded Reload
	scratch_load_dwordx4 v[246:249], off, off offset:100 ; 16-byte Folded Reload
	scratch_load_dwordx4 v[250:253], off, off offset:116 ; 16-byte Folded Reload
	s_waitcnt vmcnt(7)
	v_mov_b32_e32 v223, v129
	scratch_store_dwordx4 off, v[222:225], off offset:4 ; 16-byte Folded Spill
	s_waitcnt vmcnt(7)
	scratch_store_dwordx4 off, v[226:229], off offset:20 ; 16-byte Folded Spill
	s_waitcnt vmcnt(7)
	scratch_store_dwordx4 off, v[230:233], off offset:36 ; 16-byte Folded Spill
	s_waitcnt vmcnt(7)
	scratch_store_dwordx4 off, v[234:237], off offset:52 ; 16-byte Folded Spill
	s_waitcnt vmcnt(7)
	scratch_store_dwordx4 off, v[238:241], off offset:68 ; 16-byte Folded Spill
	s_waitcnt vmcnt(7)
	scratch_store_dwordx4 off, v[242:245], off offset:84 ; 16-byte Folded Spill
	s_waitcnt vmcnt(7)
	scratch_store_dwordx4 off, v[246:249], off offset:100 ; 16-byte Folded Spill
	s_waitcnt vmcnt(7)
	scratch_store_dwordx4 off, v[250:253], off offset:116 ; 16-byte Folded Spill
	scratch_load_dwordx4 v[222:225], off, off offset:4 ; 16-byte Folded Reload
	s_nop 0
	scratch_load_dwordx4 v[226:229], off, off offset:20 ; 16-byte Folded Reload
	scratch_load_dwordx4 v[230:233], off, off offset:36 ; 16-byte Folded Reload
	scratch_load_dwordx4 v[234:237], off, off offset:52 ; 16-byte Folded Reload
	scratch_load_dwordx4 v[238:241], off, off offset:68 ; 16-byte Folded Reload
	scratch_load_dwordx4 v[242:245], off, off offset:84 ; 16-byte Folded Reload
	scratch_load_dwordx4 v[246:249], off, off offset:100 ; 16-byte Folded Reload
	scratch_load_dwordx4 v[250:253], off, off offset:116 ; 16-byte Folded Reload
	;; [unrolled: 26-line block ×4, first 2 shown]
	s_waitcnt vmcnt(6)
	v_mov_b32_e32 v226, v132
	scratch_store_dwordx4 off, v[222:225], off offset:4 ; 16-byte Folded Spill
	s_nop 0
	scratch_store_dwordx4 off, v[226:229], off offset:20 ; 16-byte Folded Spill
	s_waitcnt vmcnt(7)
	scratch_store_dwordx4 off, v[230:233], off offset:36 ; 16-byte Folded Spill
	s_waitcnt vmcnt(7)
	scratch_store_dwordx4 off, v[234:237], off offset:52 ; 16-byte Folded Spill
	s_waitcnt vmcnt(7)
	scratch_store_dwordx4 off, v[238:241], off offset:68 ; 16-byte Folded Spill
	s_waitcnt vmcnt(7)
	scratch_store_dwordx4 off, v[242:245], off offset:84 ; 16-byte Folded Spill
	s_waitcnt vmcnt(7)
	scratch_store_dwordx4 off, v[246:249], off offset:100 ; 16-byte Folded Spill
	s_waitcnt vmcnt(7)
	scratch_store_dwordx4 off, v[250:253], off offset:116 ; 16-byte Folded Spill
	scratch_load_dwordx4 v[222:225], off, off offset:4 ; 16-byte Folded Reload
	s_nop 0
	scratch_load_dwordx4 v[226:229], off, off offset:20 ; 16-byte Folded Reload
	scratch_load_dwordx4 v[230:233], off, off offset:36 ; 16-byte Folded Reload
	scratch_load_dwordx4 v[234:237], off, off offset:52 ; 16-byte Folded Reload
	scratch_load_dwordx4 v[238:241], off, off offset:68 ; 16-byte Folded Reload
	scratch_load_dwordx4 v[242:245], off, off offset:84 ; 16-byte Folded Reload
	scratch_load_dwordx4 v[246:249], off, off offset:100 ; 16-byte Folded Reload
	scratch_load_dwordx4 v[250:253], off, off offset:116 ; 16-byte Folded Reload
	s_waitcnt vmcnt(6)
	v_mov_b32_e32 v227, v133
	scratch_store_dwordx4 off, v[222:225], off offset:4 ; 16-byte Folded Spill
	s_nop 0
	scratch_store_dwordx4 off, v[226:229], off offset:20 ; 16-byte Folded Spill
	s_waitcnt vmcnt(7)
	scratch_store_dwordx4 off, v[230:233], off offset:36 ; 16-byte Folded Spill
	s_waitcnt vmcnt(7)
	scratch_store_dwordx4 off, v[234:237], off offset:52 ; 16-byte Folded Spill
	s_waitcnt vmcnt(7)
	scratch_store_dwordx4 off, v[238:241], off offset:68 ; 16-byte Folded Spill
	s_waitcnt vmcnt(7)
	scratch_store_dwordx4 off, v[242:245], off offset:84 ; 16-byte Folded Spill
	s_waitcnt vmcnt(7)
	scratch_store_dwordx4 off, v[246:249], off offset:100 ; 16-byte Folded Spill
	s_waitcnt vmcnt(7)
	scratch_store_dwordx4 off, v[250:253], off offset:116 ; 16-byte Folded Spill
	scratch_load_dwordx4 v[222:225], off, off offset:4 ; 16-byte Folded Reload
	s_nop 0
	scratch_load_dwordx4 v[226:229], off, off offset:20 ; 16-byte Folded Reload
	scratch_load_dwordx4 v[230:233], off, off offset:36 ; 16-byte Folded Reload
	scratch_load_dwordx4 v[234:237], off, off offset:52 ; 16-byte Folded Reload
	scratch_load_dwordx4 v[238:241], off, off offset:68 ; 16-byte Folded Reload
	scratch_load_dwordx4 v[242:245], off, off offset:84 ; 16-byte Folded Reload
	scratch_load_dwordx4 v[246:249], off, off offset:100 ; 16-byte Folded Reload
	scratch_load_dwordx4 v[250:253], off, off offset:116 ; 16-byte Folded Reload
	;; [unrolled: 26-line block ×3, first 2 shown]
	s_waitcnt vmcnt(5)
	v_mov_b32_e32 v230, v144
	scratch_store_dwordx4 off, v[222:225], off offset:4 ; 16-byte Folded Spill
	s_nop 0
	scratch_store_dwordx4 off, v[226:229], off offset:20 ; 16-byte Folded Spill
	scratch_store_dwordx4 off, v[230:233], off offset:36 ; 16-byte Folded Spill
	s_waitcnt vmcnt(7)
	scratch_store_dwordx4 off, v[234:237], off offset:52 ; 16-byte Folded Spill
	s_waitcnt vmcnt(7)
	scratch_store_dwordx4 off, v[238:241], off offset:68 ; 16-byte Folded Spill
	s_waitcnt vmcnt(7)
	scratch_store_dwordx4 off, v[242:245], off offset:84 ; 16-byte Folded Spill
	s_waitcnt vmcnt(7)
	scratch_store_dwordx4 off, v[246:249], off offset:100 ; 16-byte Folded Spill
	s_waitcnt vmcnt(7)
	scratch_store_dwordx4 off, v[250:253], off offset:116 ; 16-byte Folded Spill
	scratch_load_dwordx4 v[222:225], off, off offset:4 ; 16-byte Folded Reload
	s_nop 0
	scratch_load_dwordx4 v[226:229], off, off offset:20 ; 16-byte Folded Reload
	scratch_load_dwordx4 v[230:233], off, off offset:36 ; 16-byte Folded Reload
	scratch_load_dwordx4 v[234:237], off, off offset:52 ; 16-byte Folded Reload
	scratch_load_dwordx4 v[238:241], off, off offset:68 ; 16-byte Folded Reload
	scratch_load_dwordx4 v[242:245], off, off offset:84 ; 16-byte Folded Reload
	scratch_load_dwordx4 v[246:249], off, off offset:100 ; 16-byte Folded Reload
	scratch_load_dwordx4 v[250:253], off, off offset:116 ; 16-byte Folded Reload
	s_waitcnt vmcnt(5)
	v_mov_b32_e32 v231, v145
	scratch_store_dwordx4 off, v[222:225], off offset:4 ; 16-byte Folded Spill
	s_nop 0
	scratch_store_dwordx4 off, v[226:229], off offset:20 ; 16-byte Folded Spill
	scratch_store_dwordx4 off, v[230:233], off offset:36 ; 16-byte Folded Spill
	s_waitcnt vmcnt(7)
	scratch_store_dwordx4 off, v[234:237], off offset:52 ; 16-byte Folded Spill
	s_waitcnt vmcnt(7)
	scratch_store_dwordx4 off, v[238:241], off offset:68 ; 16-byte Folded Spill
	s_waitcnt vmcnt(7)
	scratch_store_dwordx4 off, v[242:245], off offset:84 ; 16-byte Folded Spill
	s_waitcnt vmcnt(7)
	scratch_store_dwordx4 off, v[246:249], off offset:100 ; 16-byte Folded Spill
	s_waitcnt vmcnt(7)
	scratch_store_dwordx4 off, v[250:253], off offset:116 ; 16-byte Folded Spill
	scratch_load_dwordx4 v[222:225], off, off offset:4 ; 16-byte Folded Reload
	s_nop 0
	scratch_load_dwordx4 v[226:229], off, off offset:20 ; 16-byte Folded Reload
	scratch_load_dwordx4 v[230:233], off, off offset:36 ; 16-byte Folded Reload
	scratch_load_dwordx4 v[234:237], off, off offset:52 ; 16-byte Folded Reload
	scratch_load_dwordx4 v[238:241], off, off offset:68 ; 16-byte Folded Reload
	scratch_load_dwordx4 v[242:245], off, off offset:84 ; 16-byte Folded Reload
	scratch_load_dwordx4 v[246:249], off, off offset:100 ; 16-byte Folded Reload
	scratch_load_dwordx4 v[250:253], off, off offset:116 ; 16-byte Folded Reload
	;; [unrolled: 25-line block ×4, first 2 shown]
	s_waitcnt vmcnt(4)
	v_mov_b32_e32 v234, v168
	scratch_store_dwordx4 off, v[222:225], off offset:4 ; 16-byte Folded Spill
	s_nop 0
	scratch_store_dwordx4 off, v[226:229], off offset:20 ; 16-byte Folded Spill
	scratch_store_dwordx4 off, v[230:233], off offset:36 ; 16-byte Folded Spill
	scratch_store_dwordx4 off, v[234:237], off offset:52 ; 16-byte Folded Spill
	s_waitcnt vmcnt(7)
	scratch_store_dwordx4 off, v[238:241], off offset:68 ; 16-byte Folded Spill
	s_waitcnt vmcnt(7)
	scratch_store_dwordx4 off, v[242:245], off offset:84 ; 16-byte Folded Spill
	s_waitcnt vmcnt(7)
	scratch_store_dwordx4 off, v[246:249], off offset:100 ; 16-byte Folded Spill
	s_waitcnt vmcnt(7)
	scratch_store_dwordx4 off, v[250:253], off offset:116 ; 16-byte Folded Spill
	scratch_load_dwordx4 v[222:225], off, off offset:4 ; 16-byte Folded Reload
	s_nop 0
	scratch_load_dwordx4 v[226:229], off, off offset:20 ; 16-byte Folded Reload
	scratch_load_dwordx4 v[230:233], off, off offset:36 ; 16-byte Folded Reload
	scratch_load_dwordx4 v[234:237], off, off offset:52 ; 16-byte Folded Reload
	scratch_load_dwordx4 v[238:241], off, off offset:68 ; 16-byte Folded Reload
	scratch_load_dwordx4 v[242:245], off, off offset:84 ; 16-byte Folded Reload
	scratch_load_dwordx4 v[246:249], off, off offset:100 ; 16-byte Folded Reload
	scratch_load_dwordx4 v[250:253], off, off offset:116 ; 16-byte Folded Reload
	s_waitcnt vmcnt(4)
	v_mov_b32_e32 v235, v169
	scratch_store_dwordx4 off, v[222:225], off offset:4 ; 16-byte Folded Spill
	s_nop 0
	scratch_store_dwordx4 off, v[226:229], off offset:20 ; 16-byte Folded Spill
	scratch_store_dwordx4 off, v[230:233], off offset:36 ; 16-byte Folded Spill
	scratch_store_dwordx4 off, v[234:237], off offset:52 ; 16-byte Folded Spill
	s_waitcnt vmcnt(7)
	scratch_store_dwordx4 off, v[238:241], off offset:68 ; 16-byte Folded Spill
	s_waitcnt vmcnt(7)
	scratch_store_dwordx4 off, v[242:245], off offset:84 ; 16-byte Folded Spill
	s_waitcnt vmcnt(7)
	scratch_store_dwordx4 off, v[246:249], off offset:100 ; 16-byte Folded Spill
	s_waitcnt vmcnt(7)
	scratch_store_dwordx4 off, v[250:253], off offset:116 ; 16-byte Folded Spill
	scratch_load_dwordx4 v[222:225], off, off offset:4 ; 16-byte Folded Reload
	s_nop 0
	scratch_load_dwordx4 v[226:229], off, off offset:20 ; 16-byte Folded Reload
	scratch_load_dwordx4 v[230:233], off, off offset:36 ; 16-byte Folded Reload
	scratch_load_dwordx4 v[234:237], off, off offset:52 ; 16-byte Folded Reload
	scratch_load_dwordx4 v[238:241], off, off offset:68 ; 16-byte Folded Reload
	scratch_load_dwordx4 v[242:245], off, off offset:84 ; 16-byte Folded Reload
	scratch_load_dwordx4 v[246:249], off, off offset:100 ; 16-byte Folded Reload
	scratch_load_dwordx4 v[250:253], off, off offset:116 ; 16-byte Folded Reload
	;; [unrolled: 24-line block ×4, first 2 shown]
	s_waitcnt vmcnt(3)
	v_mov_b32_e32 v238, v48
	scratch_store_dwordx4 off, v[222:225], off offset:4 ; 16-byte Folded Spill
	s_nop 0
	scratch_store_dwordx4 off, v[226:229], off offset:20 ; 16-byte Folded Spill
	scratch_store_dwordx4 off, v[230:233], off offset:36 ; 16-byte Folded Spill
	scratch_store_dwordx4 off, v[234:237], off offset:52 ; 16-byte Folded Spill
	scratch_store_dwordx4 off, v[238:241], off offset:68 ; 16-byte Folded Spill
	s_waitcnt vmcnt(7)
	scratch_store_dwordx4 off, v[242:245], off offset:84 ; 16-byte Folded Spill
	s_waitcnt vmcnt(7)
	scratch_store_dwordx4 off, v[246:249], off offset:100 ; 16-byte Folded Spill
	s_waitcnt vmcnt(7)
	scratch_store_dwordx4 off, v[250:253], off offset:116 ; 16-byte Folded Spill
	scratch_load_dwordx4 v[222:225], off, off offset:4 ; 16-byte Folded Reload
	s_nop 0
	scratch_load_dwordx4 v[226:229], off, off offset:20 ; 16-byte Folded Reload
	scratch_load_dwordx4 v[230:233], off, off offset:36 ; 16-byte Folded Reload
	scratch_load_dwordx4 v[234:237], off, off offset:52 ; 16-byte Folded Reload
	scratch_load_dwordx4 v[238:241], off, off offset:68 ; 16-byte Folded Reload
	scratch_load_dwordx4 v[242:245], off, off offset:84 ; 16-byte Folded Reload
	scratch_load_dwordx4 v[246:249], off, off offset:100 ; 16-byte Folded Reload
	scratch_load_dwordx4 v[250:253], off, off offset:116 ; 16-byte Folded Reload
	s_waitcnt vmcnt(3)
	v_mov_b32_e32 v239, v49
	scratch_store_dwordx4 off, v[222:225], off offset:4 ; 16-byte Folded Spill
	s_nop 0
	scratch_store_dwordx4 off, v[226:229], off offset:20 ; 16-byte Folded Spill
	scratch_store_dwordx4 off, v[230:233], off offset:36 ; 16-byte Folded Spill
	scratch_store_dwordx4 off, v[234:237], off offset:52 ; 16-byte Folded Spill
	scratch_store_dwordx4 off, v[238:241], off offset:68 ; 16-byte Folded Spill
	s_waitcnt vmcnt(7)
	scratch_store_dwordx4 off, v[242:245], off offset:84 ; 16-byte Folded Spill
	s_waitcnt vmcnt(7)
	scratch_store_dwordx4 off, v[246:249], off offset:100 ; 16-byte Folded Spill
	s_waitcnt vmcnt(7)
	scratch_store_dwordx4 off, v[250:253], off offset:116 ; 16-byte Folded Spill
	scratch_load_dwordx4 v[222:225], off, off offset:4 ; 16-byte Folded Reload
	s_nop 0
	scratch_load_dwordx4 v[226:229], off, off offset:20 ; 16-byte Folded Reload
	scratch_load_dwordx4 v[230:233], off, off offset:36 ; 16-byte Folded Reload
	scratch_load_dwordx4 v[234:237], off, off offset:52 ; 16-byte Folded Reload
	scratch_load_dwordx4 v[238:241], off, off offset:68 ; 16-byte Folded Reload
	scratch_load_dwordx4 v[242:245], off, off offset:84 ; 16-byte Folded Reload
	scratch_load_dwordx4 v[246:249], off, off offset:100 ; 16-byte Folded Reload
	scratch_load_dwordx4 v[250:253], off, off offset:116 ; 16-byte Folded Reload
	;; [unrolled: 23-line block ×4, first 2 shown]
	s_waitcnt vmcnt(2)
	v_mov_b32_e32 v242, v94
	scratch_store_dwordx4 off, v[222:225], off offset:4 ; 16-byte Folded Spill
	s_nop 0
	scratch_store_dwordx4 off, v[226:229], off offset:20 ; 16-byte Folded Spill
	scratch_store_dwordx4 off, v[230:233], off offset:36 ; 16-byte Folded Spill
	scratch_store_dwordx4 off, v[234:237], off offset:52 ; 16-byte Folded Spill
	scratch_store_dwordx4 off, v[238:241], off offset:68 ; 16-byte Folded Spill
	scratch_store_dwordx4 off, v[242:245], off offset:84 ; 16-byte Folded Spill
	s_waitcnt vmcnt(7)
	scratch_store_dwordx4 off, v[246:249], off offset:100 ; 16-byte Folded Spill
	s_waitcnt vmcnt(7)
	scratch_store_dwordx4 off, v[250:253], off offset:116 ; 16-byte Folded Spill
	scratch_load_dwordx4 v[222:225], off, off offset:4 ; 16-byte Folded Reload
	s_nop 0
	scratch_load_dwordx4 v[226:229], off, off offset:20 ; 16-byte Folded Reload
	scratch_load_dwordx4 v[230:233], off, off offset:36 ; 16-byte Folded Reload
	scratch_load_dwordx4 v[234:237], off, off offset:52 ; 16-byte Folded Reload
	scratch_load_dwordx4 v[238:241], off, off offset:68 ; 16-byte Folded Reload
	scratch_load_dwordx4 v[242:245], off, off offset:84 ; 16-byte Folded Reload
	scratch_load_dwordx4 v[246:249], off, off offset:100 ; 16-byte Folded Reload
	scratch_load_dwordx4 v[250:253], off, off offset:116 ; 16-byte Folded Reload
	s_waitcnt vmcnt(2)
	v_mov_b32_e32 v243, v95
	scratch_store_dwordx4 off, v[222:225], off offset:4 ; 16-byte Folded Spill
	s_nop 0
	scratch_store_dwordx4 off, v[226:229], off offset:20 ; 16-byte Folded Spill
	scratch_store_dwordx4 off, v[230:233], off offset:36 ; 16-byte Folded Spill
	scratch_store_dwordx4 off, v[234:237], off offset:52 ; 16-byte Folded Spill
	scratch_store_dwordx4 off, v[238:241], off offset:68 ; 16-byte Folded Spill
	scratch_store_dwordx4 off, v[242:245], off offset:84 ; 16-byte Folded Spill
	s_waitcnt vmcnt(7)
	scratch_store_dwordx4 off, v[246:249], off offset:100 ; 16-byte Folded Spill
	s_waitcnt vmcnt(7)
	scratch_store_dwordx4 off, v[250:253], off offset:116 ; 16-byte Folded Spill
	scratch_load_dwordx4 v[222:225], off, off offset:4 ; 16-byte Folded Reload
	s_nop 0
	scratch_load_dwordx4 v[226:229], off, off offset:20 ; 16-byte Folded Reload
	scratch_load_dwordx4 v[230:233], off, off offset:36 ; 16-byte Folded Reload
	scratch_load_dwordx4 v[234:237], off, off offset:52 ; 16-byte Folded Reload
	scratch_load_dwordx4 v[238:241], off, off offset:68 ; 16-byte Folded Reload
	scratch_load_dwordx4 v[242:245], off, off offset:84 ; 16-byte Folded Reload
	scratch_load_dwordx4 v[246:249], off, off offset:100 ; 16-byte Folded Reload
	scratch_load_dwordx4 v[250:253], off, off offset:116 ; 16-byte Folded Reload
	;; [unrolled: 22-line block ×4, first 2 shown]
	s_waitcnt vmcnt(1)
	v_mov_b32_e32 v246, v30
	scratch_store_dwordx4 off, v[222:225], off offset:4 ; 16-byte Folded Spill
	s_nop 0
	scratch_store_dwordx4 off, v[226:229], off offset:20 ; 16-byte Folded Spill
	scratch_store_dwordx4 off, v[230:233], off offset:36 ; 16-byte Folded Spill
	;; [unrolled: 1-line block ×6, first 2 shown]
	s_waitcnt vmcnt(7)
	scratch_store_dwordx4 off, v[250:253], off offset:116 ; 16-byte Folded Spill
	scratch_load_dwordx4 v[222:225], off, off offset:4 ; 16-byte Folded Reload
	s_nop 0
	scratch_load_dwordx4 v[226:229], off, off offset:20 ; 16-byte Folded Reload
	scratch_load_dwordx4 v[230:233], off, off offset:36 ; 16-byte Folded Reload
	;; [unrolled: 1-line block ×7, first 2 shown]
	s_waitcnt vmcnt(1)
	v_mov_b32_e32 v247, v31
	scratch_store_dwordx4 off, v[222:225], off offset:4 ; 16-byte Folded Spill
	s_nop 0
	scratch_store_dwordx4 off, v[226:229], off offset:20 ; 16-byte Folded Spill
	scratch_store_dwordx4 off, v[230:233], off offset:36 ; 16-byte Folded Spill
	;; [unrolled: 1-line block ×6, first 2 shown]
	s_waitcnt vmcnt(7)
	scratch_store_dwordx4 off, v[250:253], off offset:116 ; 16-byte Folded Spill
	scratch_store_dwordx4 off, v[128:131], s4 ; 16-byte Folded Spill
	s_nop 0
	scratch_store_dwordx4 off, v[132:135], s4 offset:16 ; 16-byte Folded Spill
	scratch_store_dwordx4 off, v[136:139], s4 offset:32 ; 16-byte Folded Spill
	;; [unrolled: 1-line block ×7, first 2 shown]
	scratch_load_dwordx4 v[222:225], off, off offset:4 ; 16-byte Folded Reload
	scratch_load_dwordx4 v[226:229], off, off offset:20 ; 16-byte Folded Reload
	;; [unrolled: 1-line block ×8, first 2 shown]
	s_waitcnt vmcnt(1)
	v_mov_b32_e32 v96, v248
	scratch_load_dwordx4 v[222:225], off, off offset:4 ; 16-byte Folded Reload
	scratch_load_dwordx4 v[226:229], off, off offset:20 ; 16-byte Folded Reload
	;; [unrolled: 1-line block ×8, first 2 shown]
	s_waitcnt vmcnt(5)
	v_mov_b32_e32 v230, v144
	s_waitcnt vmcnt(0)
	v_mov_b32_e32 v250, v2
	v_mov_b32_e32 v229, v143
	;; [unrolled: 1-line block ×10, first 2 shown]
	scratch_store_dwordx4 off, v[70:73], off offset:132 ; 16-byte Folded Spill
	s_nop 0
	scratch_store_dwordx4 off, v[74:77], off offset:148 ; 16-byte Folded Spill
	scratch_store_dwordx4 off, v[78:81], off offset:164 ; 16-byte Folded Spill
	;; [unrolled: 1-line block ×7, first 2 shown]
	s_nop 0
	v_mov_b32_e32 v96, v180
	v_mov_b32_e32 v98, v144
	scratch_store_dwordx4 off, v[222:225], off offset:3972 ; 16-byte Folded Spill
	s_nop 0
	scratch_store_dwordx4 off, v[226:229], off offset:3988 ; 16-byte Folded Spill
	scratch_store_dwordx4 off, v[230:233], off offset:4004 ; 16-byte Folded Spill
	scratch_store_dwordx4 off, v[234:237], off offset:4020 ; 16-byte Folded Spill
	scratch_store_dwordx4 off, v[238:241], off offset:4036 ; 16-byte Folded Spill
	scratch_store_dwordx4 off, v[242:245], off offset:4052 ; 16-byte Folded Spill
	scratch_store_dwordx4 off, v[246:249], off offset:4068 ; 16-byte Folded Spill
	scratch_store_dwordx4 off, v[250:253], off offset:4084 ; 16-byte Folded Spill
	scratch_store_dwordx4 off, v[136:139], off offset:1540 ; 16-byte Folded Spill
	s_nop 0
	scratch_store_dwordx4 off, v[140:143], off offset:1556 ; 16-byte Folded Spill
	scratch_store_dwordx4 off, v[144:147], off offset:1572 ; 16-byte Folded Spill
	scratch_store_dwordx4 off, v[148:151], off offset:1588 ; 16-byte Folded Spill
	scratch_store_dwordx4 off, v[152:155], off offset:1604 ; 16-byte Folded Spill
	scratch_store_dwordx4 off, v[156:159], off offset:1620 ; 16-byte Folded Spill
	scratch_store_dwordx4 off, v[160:163], off offset:1636 ; 16-byte Folded Spill
	scratch_store_dwordx4 off, v[164:167], off offset:1652 ; 16-byte Folded Spill
	;; [unrolled: 9-line block ×6, first 2 shown]
	v_mov_b32_e32 v50, v196
	scratch_store_dwordx4 off, v[36:39], off offset:1028 ; 16-byte Folded Spill
	s_nop 0
	scratch_store_dwordx4 off, v[40:43], off offset:1044 ; 16-byte Folded Spill
	scratch_store_dwordx4 off, v[44:47], off offset:1060 ; 16-byte Folded Spill
	scratch_store_dwordx4 off, v[48:51], off offset:1076 ; 16-byte Folded Spill
	scratch_store_dwordx4 off, v[52:55], off offset:1092 ; 16-byte Folded Spill
	scratch_store_dwordx4 off, v[56:59], off offset:1108 ; 16-byte Folded Spill
	scratch_store_dwordx4 off, v[60:63], off offset:1124 ; 16-byte Folded Spill
	scratch_store_dwordx4 off, v[64:67], off offset:1140 ; 16-byte Folded Spill
	scratch_store_dwordx4 off, v[182:185], off offset:2052 ; 16-byte Folded Spill
	s_nop 0
	scratch_store_dwordx4 off, v[186:189], off offset:2068 ; 16-byte Folded Spill
	scratch_store_dwordx4 off, v[190:193], off offset:2084 ; 16-byte Folded Spill
	scratch_store_dwordx4 off, v[194:197], off offset:2100 ; 16-byte Folded Spill
	scratch_store_dwordx4 off, v[198:201], off offset:2116 ; 16-byte Folded Spill
	scratch_store_dwordx4 off, v[202:205], off offset:2132 ; 16-byte Folded Spill
	scratch_store_dwordx4 off, v[206:209], off offset:2148 ; 16-byte Folded Spill
	scratch_store_dwordx4 off, v[210:213], off offset:2164 ; 16-byte Folded Spill
	;; [unrolled: 9-line block ×3, first 2 shown]
	v_mov_b64_e32 v[142:143], v[46:47]
	v_mov_b32_e32 v146, v48
	v_mov_b64_e32 v[140:141], v[44:45]
	v_mov_b64_e32 v[138:139], v[42:43]
	;; [unrolled: 1-line block ×7, first 2 shown]
	v_mov_b32_e32 v144, v48
	scratch_store_dwordx4 off, v[128:131], off offset:1156 ; 16-byte Folded Spill
	s_nop 0
	scratch_store_dwordx4 off, v[132:135], off offset:1172 ; 16-byte Folded Spill
	scratch_store_dwordx4 off, v[136:139], off offset:1188 ; 16-byte Folded Spill
	;; [unrolled: 1-line block ×7, first 2 shown]
	v_mov_b32_e32 v138, v72
	scratch_store_dwordx4 off, v[54:57], off offset:1796 ; 16-byte Folded Spill
	s_nop 0
	scratch_store_dwordx4 off, v[58:61], off offset:1812 ; 16-byte Folded Spill
	scratch_store_dwordx4 off, v[62:65], off offset:1828 ; 16-byte Folded Spill
	;; [unrolled: 1-line block ×7, first 2 shown]
	v_mov_b32_e32 v32, v94
	v_mov_b32_e32 v134, v30
	;; [unrolled: 1-line block ×3, first 2 shown]
	v_mov_b64_e32 v[188:189], v[198:199]
	v_mov_b64_e32 v[190:191], v[200:201]
	;; [unrolled: 1-line block ×12, first 2 shown]
	v_mov_b32_e32 v54, v180
	v_mov_b32_e32 v152, v210
	;; [unrolled: 1-line block ×3, first 2 shown]
	scratch_store_dwordx4 off, v[74:77], off offset:1412 ; 16-byte Folded Spill
	s_nop 0
	scratch_store_dwordx4 off, v[78:81], off offset:1428 ; 16-byte Folded Spill
	scratch_store_dwordx4 off, v[82:85], off offset:1444 ; 16-byte Folded Spill
	;; [unrolled: 1-line block ×7, first 2 shown]
	v_mov_b32_e32 v33, v73
	v_mov_b32_e32 v58, v98
	;; [unrolled: 1-line block ×3, first 2 shown]
	scratch_load_dwordx4 v[90:93], off, off offset:4 ; 16-byte Folded Reload
	scratch_load_dwordx4 v[94:97], off, off offset:20 ; 16-byte Folded Reload
	;; [unrolled: 1-line block ×8, first 2 shown]
	s_nop 0
	scratch_store_dwordx4 off, v[6:9], off offset:772 ; 16-byte Folded Spill
	s_nop 0
	scratch_store_dwordx4 off, v[10:13], off offset:788 ; 16-byte Folded Spill
	scratch_store_dwordx4 off, v[14:17], off offset:804 ; 16-byte Folded Spill
	;; [unrolled: 1-line block ×7, first 2 shown]
	v_mov_b32_e32 v89, v31
.LBB55_43:
	s_or_b64 exec, exec, s[2:3]
	v_cmp_eq_u32_e32 vcc, 8, v255
	s_waitcnt lgkmcnt(0)
	s_barrier
	s_and_saveexec_b64 s[2:3], vcc
	s_cbranch_execz .LBB55_46
; %bb.44:
	ds_write_b32 v250, v58
	s_waitcnt vmcnt(13)
	ds_write2_b32 v254, v99, v100 offset0:9 offset1:10
	s_waitcnt vmcnt(12)
	ds_write2_b32 v254, v101, v102 offset0:11 offset1:12
	ds_write2_b32 v254, v103, v104 offset0:13 offset1:14
	s_waitcnt vmcnt(11)
	ds_write2_b32 v254, v105, v106 offset0:15 offset1:16
	;; [unrolled: 3-line block ×4, first 2 shown]
	ds_write2_b32 v254, v115, v116 offset0:25 offset1:26
	scratch_load_dwordx4 v[0:3], off, off offset:132 ; 16-byte Folded Reload
	scratch_load_dwordx4 v[4:7], off, off offset:148 ; 16-byte Folded Reload
	;; [unrolled: 1-line block ×8, first 2 shown]
	s_waitcnt vmcnt(1)
	ds_write_b32 v254, v27 offset:108
	s_waitcnt vmcnt(0)
	ds_read_b32 v28, v250
	s_waitcnt lgkmcnt(0)
	v_cmp_neq_f32_e32 vcc, 0, v28
	s_and_b64 exec, exec, vcc
	s_cbranch_execz .LBB55_46
; %bb.45:
	v_div_scale_f32 v29, s[4:5], v28, v28, 1.0
	v_rcp_f32_e32 v30, v29
	v_mov_b32_e32 v10, v54
	v_div_scale_f32 v31, vcc, 1.0, v28, 1.0
	v_fma_f32 v54, -v29, v30, 1.0
	v_fmac_f32_e32 v30, v54, v30
	v_mul_f32_e32 v54, v31, v30
	v_fma_f32 v55, -v29, v54, v31
	v_fmac_f32_e32 v54, v55, v30
	v_fma_f32 v29, -v29, v54, v31
	v_div_fmas_f32 v29, v29, v30, v54
	v_mov_b32_e32 v54, v10
	v_div_fixup_f32 v28, v29, v28, 1.0
	ds_write_b32 v250, v28
.LBB55_46:
	s_or_b64 exec, exec, s[2:3]
	s_waitcnt lgkmcnt(0)
	s_barrier
	ds_read_b32 v246, v250
	v_cmp_lt_u32_e32 vcc, 8, v255
	s_and_saveexec_b64 s[2:3], vcc
	s_cbranch_execz .LBB55_48
; %bb.47:
	s_movk_i32 s4, 0x1084
	scratch_load_dwordx4 v[64:67], off, s4  ; 16-byte Folded Reload
	scratch_load_dwordx4 v[68:71], off, s4 offset:16 ; 16-byte Folded Reload
	scratch_load_dwordx4 v[72:75], off, s4 offset:32 ; 16-byte Folded Reload
	;; [unrolled: 1-line block ×7, first 2 shown]
	ds_read2_b32 v[0:1], v254 offset0:9 offset1:10
	ds_read2_b32 v[4:5], v254 offset0:11 offset1:12
	;; [unrolled: 1-line block ×4, first 2 shown]
	s_waitcnt vmcnt(5) lgkmcnt(4)
	v_mul_f32_e32 v72, v58, v246
	v_mov_b32_e32 v2, v99
	v_mov_b32_e32 v3, v100
	;; [unrolled: 1-line block ×6, first 2 shown]
	s_waitcnt lgkmcnt(3)
	v_pk_fma_f32 v[28:29], v[72:73], v[0:1], v[2:3] op_sel_hi:[0,1,1] neg_lo:[1,0,0] neg_hi:[1,0,0]
	v_mov_b32_e32 v0, v101
	v_mov_b32_e32 v1, v102
	s_waitcnt lgkmcnt(2)
	v_pk_fma_f32 v[30:31], v[72:73], v[4:5], v[0:1] op_sel_hi:[0,1,1] neg_lo:[1,0,0] neg_hi:[1,0,0]
	v_mov_b32_e32 v0, v103
	v_mov_b32_e32 v1, v104
	;; [unrolled: 4-line block ×3, first 2 shown]
	s_waitcnt lgkmcnt(0)
	v_pk_fma_f32 v[56:57], v[72:73], v[8:9], v[0:1] op_sel_hi:[0,1,1] neg_lo:[1,0,0] neg_hi:[1,0,0]
	ds_read2_b32 v[0:1], v254 offset0:17 offset1:18
	ds_read2_b32 v[4:5], v254 offset0:19 offset1:20
	;; [unrolled: 1-line block ×4, first 2 shown]
	v_mov_b32_e32 v2, v107
	v_mov_b32_e32 v3, v108
	v_mov_b32_e32 v10, v29
	s_waitcnt lgkmcnt(3)
	v_pk_fma_f32 v[58:59], v[72:73], v[0:1], v[2:3] op_sel_hi:[0,1,1] neg_lo:[1,0,0] neg_hi:[1,0,0]
	v_mov_b32_e32 v0, v109
	v_mov_b32_e32 v1, v110
	s_waitcnt lgkmcnt(2)
	v_pk_fma_f32 v[60:61], v[72:73], v[4:5], v[0:1] op_sel_hi:[0,1,1] neg_lo:[1,0,0] neg_hi:[1,0,0]
	ds_read2_b32 v[2:3], v254 offset0:25 offset1:26
	ds_read_b32 v4, v254 offset:108
	scratch_load_dwordx4 v[128:131], off, off offset:132 ; 16-byte Folded Reload
	scratch_load_dwordx4 v[132:135], off, off offset:148 ; 16-byte Folded Reload
	;; [unrolled: 1-line block ×8, first 2 shown]
	v_mov_b32_e32 v0, v111
	v_mov_b32_e32 v1, v112
	s_waitcnt lgkmcnt(3)
	v_pk_fma_f32 v[62:63], v[72:73], v[6:7], v[0:1] op_sel_hi:[0,1,1] neg_lo:[1,0,0] neg_hi:[1,0,0]
	v_mov_b32_e32 v0, v113
	v_mov_b32_e32 v1, v114
	s_waitcnt vmcnt(9) lgkmcnt(2)
	v_pk_fma_f32 v[88:89], v[72:73], v[8:9], v[0:1] op_sel_hi:[0,1,1] neg_lo:[1,0,0] neg_hi:[1,0,0]
	v_mov_b32_e32 v0, v115
	v_mov_b32_e32 v1, v116
	s_waitcnt lgkmcnt(1)
	v_pk_fma_f32 v[90:91], v[72:73], v[2:3], v[0:1] op_sel_hi:[0,1,1] neg_lo:[1,0,0] neg_hi:[1,0,0]
	v_mov_b32_e32 v0, v64
	v_mov_b32_e32 v1, v65
	;; [unrolled: 1-line block ×10, first 2 shown]
	s_waitcnt vmcnt(0)
	v_mov_b32_e32 v156, v64
	v_mov_b32_e32 v157, v65
	;; [unrolled: 1-line block ×24, first 2 shown]
	s_waitcnt lgkmcnt(0)
	v_fma_f32 v27, -v72, v4, v155
	v_mov_b32_e32 v4, v68
	scratch_store_dwordx4 off, v[0:3], off offset:3460 ; 16-byte Folded Spill
	s_nop 0
	scratch_store_dwordx4 off, v[4:7], off offset:3476 ; 16-byte Folded Spill
	scratch_store_dwordx4 off, v[8:11], off offset:3492 ; 16-byte Folded Spill
	;; [unrolled: 1-line block ×7, first 2 shown]
	v_mov_b32_e32 v11, v30
	scratch_store_dwordx4 off, v[0:3], off offset:3204 ; 16-byte Folded Spill
	s_nop 0
	scratch_store_dwordx4 off, v[4:7], off offset:3220 ; 16-byte Folded Spill
	scratch_store_dwordx4 off, v[8:11], off offset:3236 ; 16-byte Folded Spill
	;; [unrolled: 1-line block ×7, first 2 shown]
	v_mov_b32_e32 v13, v54
	v_mov_b32_e32 v165, v28
	;; [unrolled: 1-line block ×6, first 2 shown]
	scratch_store_dwordx4 off, v[156:159], off offset:3076 ; 16-byte Folded Spill
	s_nop 0
	scratch_store_dwordx4 off, v[160:163], off offset:3092 ; 16-byte Folded Spill
	scratch_store_dwordx4 off, v[164:167], off offset:3108 ; 16-byte Folded Spill
	;; [unrolled: 1-line block ×8, first 2 shown]
	s_nop 0
	scratch_store_dwordx4 off, v[4:7], off offset:2708 ; 16-byte Folded Spill
	scratch_store_dwordx4 off, v[8:11], off offset:2724 ; 16-byte Folded Spill
	scratch_store_dwordx4 off, v[12:15], off offset:2740 ; 16-byte Folded Spill
	scratch_store_dwordx4 off, v[16:19], off offset:2756 ; 16-byte Folded Spill
	scratch_store_dwordx4 off, v[20:23], off offset:2772 ; 16-byte Folded Spill
	scratch_store_dwordx4 off, v[24:27], off offset:2788 ; 16-byte Folded Spill
	scratch_store_dwordx4 off, v[28:31], off offset:2804 ; 16-byte Folded Spill
	v_mov_b32_e32 v14, v55
	scratch_store_dwordx4 off, v[0:3], off offset:2052 ; 16-byte Folded Spill
	s_nop 0
	scratch_store_dwordx4 off, v[4:7], off offset:2068 ; 16-byte Folded Spill
	scratch_store_dwordx4 off, v[8:11], off offset:2084 ; 16-byte Folded Spill
	scratch_store_dwordx4 off, v[12:15], off offset:2100 ; 16-byte Folded Spill
	scratch_store_dwordx4 off, v[16:19], off offset:2116 ; 16-byte Folded Spill
	scratch_store_dwordx4 off, v[20:23], off offset:2132 ; 16-byte Folded Spill
	scratch_store_dwordx4 off, v[24:27], off offset:2148 ; 16-byte Folded Spill
	scratch_store_dwordx4 off, v[28:31], off offset:2164 ; 16-byte Folded Spill
	v_mov_b32_e32 v15, v56
	scratch_store_dwordx4 off, v[0:3], off offset:2180 ; 16-byte Folded Spill
	s_nop 0
	scratch_store_dwordx4 off, v[4:7], off offset:2196 ; 16-byte Folded Spill
	scratch_store_dwordx4 off, v[8:11], off offset:2212 ; 16-byte Folded Spill
	scratch_store_dwordx4 off, v[12:15], off offset:2228 ; 16-byte Folded Spill
	scratch_store_dwordx4 off, v[16:19], off offset:2244 ; 16-byte Folded Spill
	scratch_store_dwordx4 off, v[20:23], off offset:2260 ; 16-byte Folded Spill
	scratch_store_dwordx4 off, v[24:27], off offset:2276 ; 16-byte Folded Spill
	scratch_store_dwordx4 off, v[28:31], off offset:2292 ; 16-byte Folded Spill
	v_mov_b32_e32 v16, v57
	scratch_store_dwordx4 off, v[0:3], off offset:1156 ; 16-byte Folded Spill
	s_nop 0
	scratch_store_dwordx4 off, v[4:7], off offset:1172 ; 16-byte Folded Spill
	scratch_store_dwordx4 off, v[8:11], off offset:1188 ; 16-byte Folded Spill
	scratch_store_dwordx4 off, v[12:15], off offset:1204 ; 16-byte Folded Spill
	scratch_store_dwordx4 off, v[16:19], off offset:1220 ; 16-byte Folded Spill
	scratch_store_dwordx4 off, v[20:23], off offset:1236 ; 16-byte Folded Spill
	scratch_store_dwordx4 off, v[24:27], off offset:1252 ; 16-byte Folded Spill
	scratch_store_dwordx4 off, v[28:31], off offset:1268 ; 16-byte Folded Spill
	v_mov_b32_e32 v17, v58
	scratch_store_dwordx4 off, v[0:3], off offset:1924 ; 16-byte Folded Spill
	s_nop 0
	scratch_store_dwordx4 off, v[4:7], off offset:1940 ; 16-byte Folded Spill
	scratch_store_dwordx4 off, v[8:11], off offset:1956 ; 16-byte Folded Spill
	scratch_store_dwordx4 off, v[12:15], off offset:1972 ; 16-byte Folded Spill
	scratch_store_dwordx4 off, v[16:19], off offset:1988 ; 16-byte Folded Spill
	scratch_store_dwordx4 off, v[20:23], off offset:2004 ; 16-byte Folded Spill
	scratch_store_dwordx4 off, v[24:27], off offset:2020 ; 16-byte Folded Spill
	scratch_store_dwordx4 off, v[28:31], off offset:2036 ; 16-byte Folded Spill
	v_mov_b32_e32 v18, v59
	scratch_store_dwordx4 off, v[0:3], off offset:1796 ; 16-byte Folded Spill
	s_nop 0
	scratch_store_dwordx4 off, v[4:7], off offset:1812 ; 16-byte Folded Spill
	scratch_store_dwordx4 off, v[8:11], off offset:1828 ; 16-byte Folded Spill
	scratch_store_dwordx4 off, v[12:15], off offset:1844 ; 16-byte Folded Spill
	scratch_store_dwordx4 off, v[16:19], off offset:1860 ; 16-byte Folded Spill
	scratch_store_dwordx4 off, v[20:23], off offset:1876 ; 16-byte Folded Spill
	scratch_store_dwordx4 off, v[24:27], off offset:1892 ; 16-byte Folded Spill
	scratch_store_dwordx4 off, v[28:31], off offset:1908 ; 16-byte Folded Spill
	v_mov_b32_e32 v19, v60
	scratch_store_dwordx4 off, v[0:3], off offset:1668 ; 16-byte Folded Spill
	s_nop 0
	scratch_store_dwordx4 off, v[4:7], off offset:1684 ; 16-byte Folded Spill
	scratch_store_dwordx4 off, v[8:11], off offset:1700 ; 16-byte Folded Spill
	scratch_store_dwordx4 off, v[12:15], off offset:1716 ; 16-byte Folded Spill
	scratch_store_dwordx4 off, v[16:19], off offset:1732 ; 16-byte Folded Spill
	scratch_store_dwordx4 off, v[20:23], off offset:1748 ; 16-byte Folded Spill
	scratch_store_dwordx4 off, v[24:27], off offset:1764 ; 16-byte Folded Spill
	scratch_store_dwordx4 off, v[28:31], off offset:1780 ; 16-byte Folded Spill
	v_mov_b32_e32 v20, v61
	scratch_store_dwordx4 off, v[0:3], off offset:1412 ; 16-byte Folded Spill
	s_nop 0
	scratch_store_dwordx4 off, v[4:7], off offset:1428 ; 16-byte Folded Spill
	scratch_store_dwordx4 off, v[8:11], off offset:1444 ; 16-byte Folded Spill
	scratch_store_dwordx4 off, v[12:15], off offset:1460 ; 16-byte Folded Spill
	scratch_store_dwordx4 off, v[16:19], off offset:1476 ; 16-byte Folded Spill
	scratch_store_dwordx4 off, v[20:23], off offset:1492 ; 16-byte Folded Spill
	scratch_store_dwordx4 off, v[24:27], off offset:1508 ; 16-byte Folded Spill
	scratch_store_dwordx4 off, v[28:31], off offset:1524 ; 16-byte Folded Spill
	v_mov_b32_e32 v21, v62
	scratch_store_dwordx4 off, v[0:3], off offset:1284 ; 16-byte Folded Spill
	s_nop 0
	scratch_store_dwordx4 off, v[4:7], off offset:1300 ; 16-byte Folded Spill
	scratch_store_dwordx4 off, v[8:11], off offset:1316 ; 16-byte Folded Spill
	;; [unrolled: 1-line block ×7, first 2 shown]
	v_mov_b32_e32 v22, v63
	v_mov_b32_e32 v23, v88
	;; [unrolled: 1-line block ×6, first 2 shown]
	scratch_store_dwordx4 off, v[0:3], off offset:900 ; 16-byte Folded Spill
	s_nop 0
	scratch_store_dwordx4 off, v[4:7], off offset:916 ; 16-byte Folded Spill
	scratch_store_dwordx4 off, v[8:11], off offset:932 ; 16-byte Folded Spill
	scratch_store_dwordx4 off, v[12:15], off offset:948 ; 16-byte Folded Spill
	scratch_store_dwordx4 off, v[16:19], off offset:964 ; 16-byte Folded Spill
	scratch_store_dwordx4 off, v[20:23], off offset:980 ; 16-byte Folded Spill
	scratch_store_dwordx4 off, v[24:27], off offset:996 ; 16-byte Folded Spill
	scratch_store_dwordx4 off, v[28:31], off offset:1012 ; 16-byte Folded Spill
	s_nop 0
	v_mov_b32_e32 v24, v89
	scratch_store_dwordx4 off, v[0:3], off offset:772 ; 16-byte Folded Spill
	s_nop 0
	scratch_store_dwordx4 off, v[4:7], off offset:788 ; 16-byte Folded Spill
	scratch_store_dwordx4 off, v[8:11], off offset:804 ; 16-byte Folded Spill
	scratch_store_dwordx4 off, v[12:15], off offset:820 ; 16-byte Folded Spill
	scratch_store_dwordx4 off, v[16:19], off offset:836 ; 16-byte Folded Spill
	scratch_store_dwordx4 off, v[20:23], off offset:852 ; 16-byte Folded Spill
	scratch_store_dwordx4 off, v[24:27], off offset:868 ; 16-byte Folded Spill
	scratch_store_dwordx4 off, v[28:31], off offset:884 ; 16-byte Folded Spill
	s_nop 0
	v_mov_b32_e32 v25, v90
	;; [unrolled: 11-line block ×3, first 2 shown]
	scratch_store_dwordx4 off, v[64:67], off offset:3588 ; 16-byte Folded Spill
	s_nop 0
	scratch_store_dwordx4 off, v[68:71], off offset:3604 ; 16-byte Folded Spill
	scratch_store_dwordx4 off, v[72:75], off offset:3620 ; 16-byte Folded Spill
	;; [unrolled: 1-line block ×8, first 2 shown]
	s_nop 0
	scratch_store_dwordx4 off, v[68:71], off offset:3988 ; 16-byte Folded Spill
	scratch_store_dwordx4 off, v[72:75], off offset:4004 ; 16-byte Folded Spill
	;; [unrolled: 1-line block ×7, first 2 shown]
	v_mov_b32_e32 v65, v27
	v_mov_b32_e32 v33, v28
	;; [unrolled: 1-line block ×3, first 2 shown]
	scratch_store_dwordx4 off, v[38:41], off offset:132 ; 16-byte Folded Spill
	s_nop 0
	scratch_store_dwordx4 off, v[42:45], off offset:148 ; 16-byte Folded Spill
	scratch_store_dwordx4 off, v[46:49], off offset:164 ; 16-byte Folded Spill
	scratch_store_dwordx4 off, v[50:53], off offset:180 ; 16-byte Folded Spill
	scratch_store_dwordx4 off, v[54:57], off offset:196 ; 16-byte Folded Spill
	scratch_store_dwordx4 off, v[58:61], off offset:212 ; 16-byte Folded Spill
	scratch_store_dwordx4 off, v[62:65], off offset:228 ; 16-byte Folded Spill
	scratch_store_dwordx4 off, v[66:69], off offset:244 ; 16-byte Folded Spill
	v_mov_b32_e32 v134, v89
	v_mov_b32_e32 v89, v90
	;; [unrolled: 1-line block ×3, first 2 shown]
	scratch_store_dwordx4 off, v[24:27], off offset:1540 ; 16-byte Folded Spill
	s_nop 0
	scratch_store_dwordx4 off, v[28:31], off offset:1556 ; 16-byte Folded Spill
	scratch_store_dwordx4 off, v[32:35], off offset:1572 ; 16-byte Folded Spill
	;; [unrolled: 1-line block ×7, first 2 shown]
	v_mov_b32_e32 v146, v57
	v_mov_b32_e32 v143, v58
	;; [unrolled: 1-line block ×8, first 2 shown]
	scratch_store_dwordx4 off, v[18:21], off offset:516 ; 16-byte Folded Spill
	s_nop 0
	scratch_store_dwordx4 off, v[22:25], off offset:532 ; 16-byte Folded Spill
	scratch_store_dwordx4 off, v[26:29], off offset:548 ; 16-byte Folded Spill
	scratch_store_dwordx4 off, v[30:33], off offset:564 ; 16-byte Folded Spill
	scratch_store_dwordx4 off, v[34:37], off offset:580 ; 16-byte Folded Spill
	scratch_store_dwordx4 off, v[38:41], off offset:596 ; 16-byte Folded Spill
	scratch_store_dwordx4 off, v[42:45], off offset:612 ; 16-byte Folded Spill
	scratch_store_dwordx4 off, v[46:49], off offset:628 ; 16-byte Folded Spill
	v_mov_b32_e32 v29, v54
	scratch_store_dwordx4 off, v[16:19], off offset:388 ; 16-byte Folded Spill
	s_nop 0
	scratch_store_dwordx4 off, v[20:23], off offset:404 ; 16-byte Folded Spill
	scratch_store_dwordx4 off, v[24:27], off offset:420 ; 16-byte Folded Spill
	scratch_store_dwordx4 off, v[28:31], off offset:436 ; 16-byte Folded Spill
	scratch_store_dwordx4 off, v[32:35], off offset:452 ; 16-byte Folded Spill
	scratch_store_dwordx4 off, v[36:39], off offset:468 ; 16-byte Folded Spill
	scratch_store_dwordx4 off, v[40:43], off offset:484 ; 16-byte Folded Spill
	scratch_store_dwordx4 off, v[44:47], off offset:500 ; 16-byte Folded Spill
	v_mov_b32_e32 v30, v55
	;; [unrolled: 10-line block ×4, first 2 shown]
	v_mov_b32_e32 v32, v61
	v_mov_b64_e32 v[104:105], v[14:15]
	v_mov_b64_e32 v[116:117], v[26:27]
	v_mov_b32_e32 v54, v28
	v_mov_b64_e32 v[102:103], v[12:13]
	v_mov_b64_e32 v[100:101], v[10:11]
	;; [unrolled: 1-line block ×12, first 2 shown]
.LBB55_48:
	s_or_b64 exec, exec, s[2:3]
	v_cmp_eq_u32_e32 vcc, 9, v255
	s_waitcnt lgkmcnt(0)
	s_barrier
	s_and_saveexec_b64 s[2:3], vcc
	s_cbranch_execz .LBB55_51
; %bb.49:
	scratch_load_dwordx4 v[0:3], off, off offset:1540 ; 16-byte Folded Reload
	scratch_load_dwordx4 v[4:7], off, off offset:1556 ; 16-byte Folded Reload
	;; [unrolled: 1-line block ×8, first 2 shown]
	s_waitcnt vmcnt(5)
	ds_write_b32 v250, v9
	ds_write2_b64 v254, v[100:101], v[102:103] offset0:5 offset1:6
	ds_write2_b64 v254, v[104:105], v[106:107] offset0:7 offset1:8
	;; [unrolled: 1-line block ×4, first 2 shown]
	ds_write_b64 v254, v[116:117] offset:104
	s_waitcnt vmcnt(0)
	ds_read_b32 v28, v250
	s_waitcnt lgkmcnt(0)
	v_cmp_neq_f32_e32 vcc, 0, v28
	s_and_b64 exec, exec, vcc
	s_cbranch_execz .LBB55_51
; %bb.50:
	v_div_scale_f32 v29, s[4:5], v28, v28, 1.0
	v_rcp_f32_e32 v30, v29
	v_mov_b32_e32 v10, v54
	v_div_scale_f32 v31, vcc, 1.0, v28, 1.0
	v_fma_f32 v54, -v29, v30, 1.0
	v_fmac_f32_e32 v30, v54, v30
	v_mul_f32_e32 v54, v31, v30
	v_fma_f32 v55, -v29, v54, v31
	v_fmac_f32_e32 v54, v55, v30
	v_fma_f32 v29, -v29, v54, v31
	v_div_fmas_f32 v29, v29, v30, v54
	v_mov_b32_e32 v54, v10
	v_div_fixup_f32 v28, v29, v28, 1.0
	ds_write_b32 v250, v28
.LBB55_51:
	s_or_b64 exec, exec, s[2:3]
	s_waitcnt lgkmcnt(0)
	s_barrier
	ds_read_b32 v247, v250
	v_cmp_lt_u32_e32 vcc, 9, v255
	s_and_saveexec_b64 s[2:3], vcc
	s_cbranch_execz .LBB55_53
; %bb.52:
	ds_read2_b64 v[2:5], v254 offset0:5 offset1:6
	ds_read2_b64 v[6:9], v254 offset0:7 offset1:8
	ds_read_b64 v[28:29], v254 offset:104
	scratch_load_dwordx4 v[30:33], off, off offset:1540 ; 16-byte Folded Reload
	scratch_load_dwordx4 v[34:37], off, off offset:1556 ; 16-byte Folded Reload
	;; [unrolled: 1-line block ×8, first 2 shown]
	s_waitcnt vmcnt(5) lgkmcnt(3)
	v_mul_f32_e32 v24, v39, v247
	s_waitcnt lgkmcnt(0)
	v_pk_fma_f32 v[116:117], v[24:25], v[28:29], v[116:117] op_sel_hi:[0,1,1] neg_lo:[1,0,0] neg_hi:[1,0,0]
	scratch_load_dwordx4 v[28:31], off, off offset:3972 ; 16-byte Folded Reload
	scratch_load_dwordx4 v[32:35], off, off offset:3988 ; 16-byte Folded Reload
	;; [unrolled: 1-line block ×8, first 2 shown]
	v_mov_b64_e32 v[172:173], v[116:117]
	v_mov_b64_e32 v[170:171], v[114:115]
	;; [unrolled: 1-line block ×6, first 2 shown]
	v_pk_fma_f32 v[20:21], v[24:25], v[2:3], v[100:101] op_sel_hi:[0,1,1] neg_lo:[1,0,0] neg_hi:[1,0,0]
	v_mov_b32_e32 v19, v24
	s_waitcnt vmcnt(5)
	v_mov_b32_e32 v37, v24
	v_pk_fma_f32 v[22:23], v[24:25], v[4:5], v[102:103] op_sel_hi:[0,1,1] neg_lo:[1,0,0] neg_hi:[1,0,0]
	v_pk_fma_f32 v[218:219], v[24:25], v[6:7], v[104:105] op_sel_hi:[0,1,1] neg_lo:[1,0,0] neg_hi:[1,0,0]
	;; [unrolled: 1-line block ×3, first 2 shown]
	v_mov_b64_e32 v[90:91], v[22:23]
	v_mov_b32_e32 v9, v24
	v_mov_b32_e32 v119, v24
	;; [unrolled: 1-line block ×54, first 2 shown]
	v_mov_b64_e32 v[156:157], v[20:21]
	v_mov_b32_e32 v38, v156
	v_mov_b32_e32 v39, v157
	scratch_store_dwordx4 off, v[28:31], off offset:3204 ; 16-byte Folded Spill
	s_nop 0
	scratch_store_dwordx4 off, v[32:35], off offset:3220 ; 16-byte Folded Spill
	scratch_store_dwordx4 off, v[36:39], off offset:3236 ; 16-byte Folded Spill
	s_waitcnt vmcnt(7)
	scratch_store_dwordx4 off, v[40:43], off offset:3252 ; 16-byte Folded Spill
	s_waitcnt vmcnt(7)
	scratch_store_dwordx4 off, v[44:47], off offset:3268 ; 16-byte Folded Spill
	s_waitcnt vmcnt(7)
	scratch_store_dwordx4 off, v[48:51], off offset:3284 ; 16-byte Folded Spill
	s_waitcnt vmcnt(7)
	scratch_store_dwordx4 off, v[52:55], off offset:3300 ; 16-byte Folded Spill
	s_waitcnt vmcnt(7)
	scratch_store_dwordx4 off, v[56:59], off offset:3316 ; 16-byte Folded Spill
	v_mov_b32_e32 v40, v22
	v_mov_b32_e32 v41, v23
	v_mov_b64_e32 v[88:89], v[20:21]
	v_mov_b64_e32 v[154:155], v[18:19]
	;; [unrolled: 1-line block ×11, first 2 shown]
	v_mov_b32_e32 v0, v110
	v_mov_b32_e32 v1, v111
	;; [unrolled: 1-line block ×41, first 2 shown]
	scratch_store_dwordx4 off, v[28:31], off offset:2692 ; 16-byte Folded Spill
	s_nop 0
	scratch_store_dwordx4 off, v[32:35], off offset:2708 ; 16-byte Folded Spill
	scratch_store_dwordx4 off, v[36:39], off offset:2724 ; 16-byte Folded Spill
	;; [unrolled: 1-line block ×7, first 2 shown]
	v_mov_b32_e32 v42, v218
	v_mov_b32_e32 v43, v219
	;; [unrolled: 1-line block ×20, first 2 shown]
	scratch_store_dwordx4 off, v[28:31], off offset:2180 ; 16-byte Folded Spill
	s_nop 0
	scratch_store_dwordx4 off, v[32:35], off offset:2196 ; 16-byte Folded Spill
	scratch_store_dwordx4 off, v[36:39], off offset:2212 ; 16-byte Folded Spill
	;; [unrolled: 1-line block ×7, first 2 shown]
	v_mov_b32_e32 v40, v90
	v_mov_b32_e32 v41, v91
	;; [unrolled: 1-line block ×6, first 2 shown]
	scratch_store_dwordx4 off, v[28:31], off offset:1924 ; 16-byte Folded Spill
	s_nop 0
	scratch_store_dwordx4 off, v[32:35], off offset:1940 ; 16-byte Folded Spill
	scratch_store_dwordx4 off, v[36:39], off offset:1956 ; 16-byte Folded Spill
	;; [unrolled: 1-line block ×7, first 2 shown]
	ds_read2_b64 v[2:5], v254 offset0:9 offset1:10
	ds_read2_b64 v[74:77], v254 offset0:11 offset1:12
	v_mov_b32_e32 v54, v110
	v_mov_b32_e32 v55, v111
	;; [unrolled: 1-line block ×3, first 2 shown]
	s_waitcnt lgkmcnt(1)
	v_pk_fma_f32 v[72:73], v[24:25], v[2:3], v[164:165] op_sel_hi:[0,1,1] neg_lo:[1,0,0] neg_hi:[1,0,0]
	v_mov_b32_e32 v57, v113
	v_mov_b32_e32 v58, v114
	;; [unrolled: 1-line block ×5, first 2 shown]
	v_pk_fma_f32 v[202:203], v[24:25], v[4:5], v[166:167] op_sel_hi:[0,1,1] neg_lo:[1,0,0] neg_hi:[1,0,0]
	v_mov_b32_e32 v2, v112
	v_mov_b32_e32 v3, v113
	;; [unrolled: 1-line block ×22, first 2 shown]
	scratch_store_dwordx4 off, v[28:31], off offset:1668 ; 16-byte Folded Spill
	s_nop 0
	scratch_store_dwordx4 off, v[32:35], off offset:1684 ; 16-byte Folded Spill
	scratch_store_dwordx4 off, v[36:39], off offset:1700 ; 16-byte Folded Spill
	;; [unrolled: 1-line block ×7, first 2 shown]
	s_nop 0
	v_mov_b64_e32 v[52:53], v[22:23]
	v_mov_b64_e32 v[40:41], v[78:79]
	v_mov_b64_e32 v[42:43], v[80:81]
	v_mov_b64_e32 v[44:45], v[82:83]
	v_mov_b64_e32 v[46:47], v[84:85]
	v_mov_b64_e32 v[48:49], v[86:87]
	v_mov_b64_e32 v[50:51], v[88:89]
	v_mov_b32_e32 v86, v110
	v_mov_b32_e32 v87, v111
	;; [unrolled: 1-line block ×11, first 2 shown]
	scratch_store_dwordx4 off, v[0:3], off offset:1284 ; 16-byte Folded Spill
	s_nop 0
	scratch_store_dwordx4 off, v[4:7], off offset:1300 ; 16-byte Folded Spill
	scratch_store_dwordx4 off, v[8:11], off offset:1316 ; 16-byte Folded Spill
	;; [unrolled: 1-line block ×7, first 2 shown]
	s_nop 1
	v_mov_b64_e32 v[28:29], v[146:147]
	v_mov_b64_e32 v[38:39], v[156:157]
	v_mov_b32_e32 v84, v38
	v_mov_b32_e32 v85, v39
	v_mov_b64_e32 v[30:31], v[148:149]
	v_mov_b64_e32 v[32:33], v[150:151]
	;; [unrolled: 1-line block ×4, first 2 shown]
	v_mov_b32_e32 v154, v118
	v_mov_b32_e32 v12, v52
	;; [unrolled: 1-line block ×5, first 2 shown]
	s_waitcnt lgkmcnt(0)
	v_pk_fma_f32 v[22:23], v[24:25], v[74:75], v[168:169] op_sel_hi:[0,1,1] neg_lo:[1,0,0] neg_hi:[1,0,0]
	v_mov_b32_e32 v95, v24
	v_mov_b32_e32 v108, v22
	;; [unrolled: 1-line block ×3, first 2 shown]
	scratch_store_dwordx4 off, v[86:89], off offset:900 ; 16-byte Folded Spill
	s_nop 0
	scratch_store_dwordx4 off, v[90:93], off offset:916 ; 16-byte Folded Spill
	scratch_store_dwordx4 off, v[94:97], off offset:932 ; 16-byte Folded Spill
	scratch_store_dwordx4 off, v[98:101], off offset:948 ; 16-byte Folded Spill
	scratch_store_dwordx4 off, v[102:105], off offset:964 ; 16-byte Folded Spill
	scratch_store_dwordx4 off, v[106:109], off offset:980 ; 16-byte Folded Spill
	scratch_store_dwordx4 off, v[110:113], off offset:996 ; 16-byte Folded Spill
	scratch_store_dwordx4 off, v[114:117], off offset:1012 ; 16-byte Folded Spill
	v_pk_fma_f32 v[244:245], v[24:25], v[76:77], v[170:171] op_sel_hi:[0,1,1] neg_lo:[1,0,0] neg_hi:[1,0,0]
	v_mov_b32_e32 v83, v24
	v_mov_b32_e32 v86, v52
	;; [unrolled: 1-line block ×39, first 2 shown]
	scratch_store_dwordx4 off, v[74:77], off offset:644 ; 16-byte Folded Spill
	s_nop 0
	scratch_store_dwordx4 off, v[78:81], off offset:660 ; 16-byte Folded Spill
	scratch_store_dwordx4 off, v[82:85], off offset:676 ; 16-byte Folded Spill
	;; [unrolled: 1-line block ×7, first 2 shown]
	v_mov_b32_e32 v146, v110
	v_mov_b32_e32 v147, v111
	;; [unrolled: 1-line block ×8, first 2 shown]
	scratch_store_dwordx4 off, v[110:113], off offset:3588 ; 16-byte Folded Spill
	s_nop 0
	scratch_store_dwordx4 off, v[114:117], off offset:3604 ; 16-byte Folded Spill
	scratch_store_dwordx4 off, v[118:121], off offset:3620 ; 16-byte Folded Spill
	scratch_store_dwordx4 off, v[122:125], off offset:3636 ; 16-byte Folded Spill
	scratch_store_dwordx4 off, v[126:129], off offset:3652 ; 16-byte Folded Spill
	scratch_store_dwordx4 off, v[130:133], off offset:3668 ; 16-byte Folded Spill
	scratch_store_dwordx4 off, v[134:137], off offset:3684 ; 16-byte Folded Spill
	scratch_store_dwordx4 off, v[138:141], off offset:3700 ; 16-byte Folded Spill
	v_mov_b64_e32 v[106:107], v[162:163]
	v_mov_b64_e32 v[116:117], v[172:173]
	v_mov_b32_e32 v26, v116
	v_mov_b32_e32 v27, v117
	scratch_store_dwordx4 off, v[0:3], off offset:132 ; 16-byte Folded Spill
	s_nop 0
	scratch_store_dwordx4 off, v[4:7], off offset:148 ; 16-byte Folded Spill
	scratch_store_dwordx4 off, v[8:11], off offset:164 ; 16-byte Folded Spill
	;; [unrolled: 1-line block ×7, first 2 shown]
	v_mov_b64_e32 v[108:109], v[164:165]
	v_mov_b64_e32 v[110:111], v[166:167]
	;; [unrolled: 1-line block ×4, first 2 shown]
	v_mov_b32_e32 v24, v38
	v_mov_b32_e32 v26, v52
	v_mov_b64_e32 v[90:91], v[146:147]
	v_mov_b64_e32 v[92:93], v[148:149]
	v_mov_b64_e32 v[94:95], v[150:151]
	v_mov_b64_e32 v[96:97], v[152:153]
	v_mov_b64_e32 v[98:99], v[154:155]
	v_mov_b64_e32 v[100:101], v[156:157]
	v_mov_b64_e32 v[102:103], v[158:159]
	v_mov_b64_e32 v[104:105], v[160:161]
	v_mov_b32_e32 v146, v144
	v_mov_b32_e32 v180, v38
	;; [unrolled: 1-line block ×12, first 2 shown]
	scratch_store_dwordx4 off, v[170:173], off offset:3460 ; 16-byte Folded Spill
	s_nop 0
	scratch_store_dwordx4 off, v[174:177], off offset:3476 ; 16-byte Folded Spill
	scratch_store_dwordx4 off, v[178:181], off offset:3492 ; 16-byte Folded Spill
	;; [unrolled: 1-line block ×7, first 2 shown]
	v_mov_b32_e32 v181, v39
	scratch_store_dwordx4 off, v[14:17], off offset:516 ; 16-byte Folded Spill
	s_nop 0
	scratch_store_dwordx4 off, v[18:21], off offset:532 ; 16-byte Folded Spill
	scratch_store_dwordx4 off, v[22:25], off offset:548 ; 16-byte Folded Spill
	scratch_store_dwordx4 off, v[26:29], off offset:564 ; 16-byte Folded Spill
	scratch_store_dwordx4 off, v[30:33], off offset:580 ; 16-byte Folded Spill
	scratch_store_dwordx4 off, v[34:37], off offset:596 ; 16-byte Folded Spill
	scratch_store_dwordx4 off, v[38:41], off offset:612 ; 16-byte Folded Spill
	scratch_store_dwordx4 off, v[42:45], off offset:628 ; 16-byte Folded Spill
	scratch_store_dwordx4 off, v[40:43], off offset:3076 ; 16-byte Folded Spill
	s_nop 0
	scratch_store_dwordx4 off, v[44:47], off offset:3092 ; 16-byte Folded Spill
	scratch_store_dwordx4 off, v[48:51], off offset:3108 ; 16-byte Folded Spill
	scratch_store_dwordx4 off, v[52:55], off offset:3124 ; 16-byte Folded Spill
	scratch_store_dwordx4 off, v[56:59], off offset:3140 ; 16-byte Folded Spill
	scratch_store_dwordx4 off, v[60:63], off offset:3156 ; 16-byte Folded Spill
	scratch_store_dwordx4 off, v[64:67], off offset:3172 ; 16-byte Folded Spill
	scratch_store_dwordx4 off, v[68:71], off offset:3188 ; 16-byte Folded Spill
	scratch_store_dwordx4 off, v[40:43], off offset:388 ; 16-byte Folded Spill
	s_nop 0
	scratch_store_dwordx4 off, v[44:47], off offset:404 ; 16-byte Folded Spill
	scratch_store_dwordx4 off, v[48:51], off offset:420 ; 16-byte Folded Spill
	scratch_store_dwordx4 off, v[52:55], off offset:436 ; 16-byte Folded Spill
	scratch_store_dwordx4 off, v[56:59], off offset:452 ; 16-byte Folded Spill
	scratch_store_dwordx4 off, v[60:63], off offset:468 ; 16-byte Folded Spill
	scratch_store_dwordx4 off, v[64:67], off offset:484 ; 16-byte Folded Spill
	scratch_store_dwordx4 off, v[68:71], off offset:500 ; 16-byte Folded Spill
	v_mov_b32_e32 v26, v218
	scratch_store_dwordx4 off, v[12:15], off offset:1028 ; 16-byte Folded Spill
	s_nop 0
	scratch_store_dwordx4 off, v[16:19], off offset:1044 ; 16-byte Folded Spill
	scratch_store_dwordx4 off, v[20:23], off offset:1060 ; 16-byte Folded Spill
	scratch_store_dwordx4 off, v[24:27], off offset:1076 ; 16-byte Folded Spill
	scratch_store_dwordx4 off, v[28:31], off offset:1092 ; 16-byte Folded Spill
	scratch_store_dwordx4 off, v[32:35], off offset:1108 ; 16-byte Folded Spill
	scratch_store_dwordx4 off, v[36:39], off offset:1124 ; 16-byte Folded Spill
	scratch_store_dwordx4 off, v[40:43], off offset:1140 ; 16-byte Folded Spill
	scratch_store_dwordx4 off, v[204:207], off offset:2052 ; 16-byte Folded Spill
	s_nop 0
	scratch_store_dwordx4 off, v[208:211], off offset:2068 ; 16-byte Folded Spill
	scratch_store_dwordx4 off, v[212:215], off offset:2084 ; 16-byte Folded Spill
	scratch_store_dwordx4 off, v[216:219], off offset:2100 ; 16-byte Folded Spill
	scratch_store_dwordx4 off, v[220:223], off offset:2116 ; 16-byte Folded Spill
	scratch_store_dwordx4 off, v[224:227], off offset:2132 ; 16-byte Folded Spill
	scratch_store_dwordx4 off, v[228:231], off offset:2148 ; 16-byte Folded Spill
	scratch_store_dwordx4 off, v[232:235], off offset:2164 ; 16-byte Folded Spill
	;; [unrolled: 9-line block ×4, first 2 shown]
	v_mov_b32_e32 v138, v72
	scratch_store_dwordx4 off, v[54:57], off offset:1796 ; 16-byte Folded Spill
	s_nop 0
	scratch_store_dwordx4 off, v[58:61], off offset:1812 ; 16-byte Folded Spill
	scratch_store_dwordx4 off, v[62:65], off offset:1828 ; 16-byte Folded Spill
	;; [unrolled: 1-line block ×7, first 2 shown]
	v_mov_b32_e32 v32, v202
	v_mov_b32_e32 v134, v244
	scratch_store_dwordx4 off, v[182:185], off offset:1412 ; 16-byte Folded Spill
	s_nop 0
	scratch_store_dwordx4 off, v[186:189], off offset:1428 ; 16-byte Folded Spill
	scratch_store_dwordx4 off, v[190:193], off offset:1444 ; 16-byte Folded Spill
	;; [unrolled: 1-line block ×8, first 2 shown]
	s_nop 0
	scratch_store_dwordx4 off, v[224:227], off offset:788 ; 16-byte Folded Spill
	scratch_store_dwordx4 off, v[228:231], off offset:804 ; 16-byte Folded Spill
	;; [unrolled: 1-line block ×7, first 2 shown]
	v_mov_b64_e32 v[210:211], v[22:23]
	v_mov_b32_e32 v143, v145
	v_mov_b32_e32 v33, v73
	;; [unrolled: 1-line block ×3, first 2 shown]
	v_mov_b64_e32 v[208:209], v[20:21]
	v_mov_b64_e32 v[206:207], v[18:19]
	;; [unrolled: 1-line block ×3, first 2 shown]
	v_mov_b32_e32 v152, v210
	v_mov_b32_e32 v153, v211
	;; [unrolled: 1-line block ×3, first 2 shown]
	v_mov_b64_e32 v[202:203], v[14:15]
	v_mov_b64_e32 v[200:201], v[12:13]
	;; [unrolled: 1-line block ×8, first 2 shown]
	v_mov_b32_e32 v89, v245
.LBB55_53:
	s_or_b64 exec, exec, s[2:3]
	v_cmp_eq_u32_e32 vcc, 10, v255
	s_waitcnt lgkmcnt(0)
	s_barrier
	s_and_saveexec_b64 s[2:3], vcc
	s_cbranch_execz .LBB55_56
; %bb.54:
	ds_write_b32 v250, v54
	s_waitcnt vmcnt(12)
	ds_write2_b32 v254, v101, v102 offset0:11 offset1:12
	ds_write2_b32 v254, v103, v104 offset0:13 offset1:14
	s_waitcnt vmcnt(11)
	ds_write2_b32 v254, v105, v106 offset0:15 offset1:16
	ds_write2_b32 v254, v107, v108 offset0:17 offset1:18
	;; [unrolled: 3-line block ×4, first 2 shown]
	scratch_load_dwordx4 v[0:3], off, off offset:132 ; 16-byte Folded Reload
	scratch_load_dwordx4 v[4:7], off, off offset:148 ; 16-byte Folded Reload
	;; [unrolled: 1-line block ×8, first 2 shown]
	s_waitcnt vmcnt(1)
	ds_write_b32 v254, v27 offset:108
	s_waitcnt vmcnt(0)
	ds_read_b32 v28, v250
	s_waitcnt lgkmcnt(0)
	v_cmp_neq_f32_e32 vcc, 0, v28
	s_and_b64 exec, exec, vcc
	s_cbranch_execz .LBB55_56
; %bb.55:
	v_div_scale_f32 v29, s[4:5], v28, v28, 1.0
	v_rcp_f32_e32 v30, v29
	v_mov_b32_e32 v10, v54
	v_div_scale_f32 v31, vcc, 1.0, v28, 1.0
	v_fma_f32 v54, -v29, v30, 1.0
	v_fmac_f32_e32 v30, v54, v30
	v_mul_f32_e32 v54, v31, v30
	v_fma_f32 v55, -v29, v54, v31
	v_fmac_f32_e32 v54, v55, v30
	v_fma_f32 v29, -v29, v54, v31
	v_div_fmas_f32 v29, v29, v30, v54
	v_mov_b32_e32 v54, v10
	v_div_fixup_f32 v28, v29, v28, 1.0
	ds_write_b32 v250, v28
.LBB55_56:
	s_or_b64 exec, exec, s[2:3]
	s_waitcnt lgkmcnt(0)
	s_barrier
	ds_read_b32 v86, v250
	v_cmp_lt_u32_e32 vcc, 10, v255
	s_and_saveexec_b64 s[2:3], vcc
	s_cbranch_execz .LBB55_58
; %bb.57:
	scratch_load_dwordx4 v[0:3], off, off offset:3588 ; 16-byte Folded Reload
	scratch_load_dwordx4 v[4:7], off, off offset:3604 ; 16-byte Folded Reload
	;; [unrolled: 1-line block ×8, first 2 shown]
	s_waitcnt lgkmcnt(0)
	v_mul_f32_e32 v74, v54, v86
	v_mov_b32_e32 v166, v74
	s_waitcnt vmcnt(5)
	v_mov_b32_e32 v10, v74
	v_mov_b32_e32 v198, v74
	v_mov_b64_e32 v[72:73], v[8:9]
	v_mov_b64_e32 v[70:71], v[6:7]
	;; [unrolled: 1-line block ×5, first 2 shown]
	ds_read2_b32 v[0:1], v254 offset0:11 offset1:12
	ds_read2_b32 v[4:5], v254 offset0:13 offset1:14
	;; [unrolled: 1-line block ×4, first 2 shown]
	v_mov_b32_e32 v2, v101
	v_mov_b32_e32 v3, v102
	;; [unrolled: 1-line block ×3, first 2 shown]
	s_waitcnt vmcnt(0) lgkmcnt(3)
	v_pk_fma_f32 v[28:29], v[74:75], v[0:1], v[2:3] op_sel_hi:[0,1,1] neg_lo:[1,0,0] neg_hi:[1,0,0]
	v_mov_b32_e32 v0, v103
	v_mov_b32_e32 v1, v104
	s_waitcnt lgkmcnt(2)
	v_pk_fma_f32 v[30:31], v[74:75], v[4:5], v[0:1] op_sel_hi:[0,1,1] neg_lo:[1,0,0] neg_hi:[1,0,0]
	v_mov_b32_e32 v0, v105
	v_mov_b32_e32 v1, v106
	s_waitcnt lgkmcnt(1)
	;; [unrolled: 4-line block ×3, first 2 shown]
	v_pk_fma_f32 v[56:57], v[74:75], v[8:9], v[0:1] op_sel_hi:[0,1,1] neg_lo:[1,0,0] neg_hi:[1,0,0]
	ds_read2_b32 v[0:1], v254 offset0:19 offset1:20
	ds_read2_b32 v[4:5], v254 offset0:21 offset1:22
	;; [unrolled: 1-line block ×4, first 2 shown]
	v_mov_b32_e32 v2, v109
	v_mov_b32_e32 v3, v110
	;; [unrolled: 1-line block ×3, first 2 shown]
	s_waitcnt lgkmcnt(3)
	v_pk_fma_f32 v[58:59], v[74:75], v[0:1], v[2:3] op_sel_hi:[0,1,1] neg_lo:[1,0,0] neg_hi:[1,0,0]
	v_mov_b32_e32 v0, v111
	v_mov_b32_e32 v1, v112
	s_waitcnt lgkmcnt(2)
	v_pk_fma_f32 v[60:61], v[74:75], v[4:5], v[0:1] op_sel_hi:[0,1,1] neg_lo:[1,0,0] neg_hi:[1,0,0]
	v_mov_b32_e32 v0, v113
	v_mov_b32_e32 v1, v114
	ds_read_b32 v2, v254 offset:108
	s_waitcnt lgkmcnt(2)
	v_pk_fma_f32 v[62:63], v[74:75], v[6:7], v[0:1] op_sel_hi:[0,1,1] neg_lo:[1,0,0] neg_hi:[1,0,0]
	v_mov_b32_e32 v0, v115
	v_mov_b32_e32 v1, v116
	scratch_load_dwordx4 v[90:93], off, off offset:132 ; 16-byte Folded Reload
	scratch_load_dwordx4 v[94:97], off, off offset:148 ; 16-byte Folded Reload
	;; [unrolled: 1-line block ×8, first 2 shown]
	s_waitcnt lgkmcnt(1)
	v_pk_fma_f32 v[88:89], v[74:75], v[8:9], v[0:1] op_sel_hi:[0,1,1] neg_lo:[1,0,0] neg_hi:[1,0,0]
	v_mov_b32_e32 v158, v66
	v_mov_b32_e32 v159, v67
	;; [unrolled: 1-line block ×23, first 2 shown]
	scratch_store_dwordx4 off, v[156:159], off offset:3076 ; 16-byte Folded Spill
	s_nop 0
	scratch_store_dwordx4 off, v[160:163], off offset:3092 ; 16-byte Folded Spill
	scratch_store_dwordx4 off, v[164:167], off offset:3108 ; 16-byte Folded Spill
	;; [unrolled: 1-line block ×7, first 2 shown]
	s_waitcnt vmcnt(15)
	v_mov_b32_e32 v90, v64
	v_mov_b32_e32 v91, v65
	;; [unrolled: 1-line block ×4, first 2 shown]
	s_waitcnt vmcnt(14)
	v_mov_b32_e32 v94, v68
	v_mov_b32_e32 v95, v69
	;; [unrolled: 1-line block ×14, first 2 shown]
	s_waitcnt vmcnt(13)
	v_mov_b32_e32 v98, v72
	v_mov_b32_e32 v99, v73
	v_mov_b32_e32 v100, v74
	s_waitcnt vmcnt(9)
	v_mov_b32_e32 v115, v88
	v_mov_b32_e32 v116, v89
	;; [unrolled: 1-line block ×29, first 2 shown]
	s_waitcnt lgkmcnt(0)
	v_fma_f32 v117, -v74, v2, v117
	v_mov_b32_e32 v2, v66
	scratch_store_dwordx4 off, v[0:3], off offset:2692 ; 16-byte Folded Spill
	s_nop 0
	scratch_store_dwordx4 off, v[4:7], off offset:2708 ; 16-byte Folded Spill
	scratch_store_dwordx4 off, v[8:11], off offset:2724 ; 16-byte Folded Spill
	scratch_store_dwordx4 off, v[12:15], off offset:2740 ; 16-byte Folded Spill
	scratch_store_dwordx4 off, v[16:19], off offset:2756 ; 16-byte Folded Spill
	scratch_store_dwordx4 off, v[20:23], off offset:2772 ; 16-byte Folded Spill
	scratch_store_dwordx4 off, v[24:27], off offset:2788 ; 16-byte Folded Spill
	scratch_store_dwordx4 off, v[28:31], off offset:2804 ; 16-byte Folded Spill
	v_mov_b32_e32 v14, v31
	scratch_store_dwordx4 off, v[0:3], off offset:2052 ; 16-byte Folded Spill
	s_nop 0
	scratch_store_dwordx4 off, v[4:7], off offset:2068 ; 16-byte Folded Spill
	scratch_store_dwordx4 off, v[8:11], off offset:2084 ; 16-byte Folded Spill
	scratch_store_dwordx4 off, v[12:15], off offset:2100 ; 16-byte Folded Spill
	scratch_store_dwordx4 off, v[16:19], off offset:2116 ; 16-byte Folded Spill
	scratch_store_dwordx4 off, v[20:23], off offset:2132 ; 16-byte Folded Spill
	scratch_store_dwordx4 off, v[24:27], off offset:2148 ; 16-byte Folded Spill
	scratch_store_dwordx4 off, v[28:31], off offset:2164 ; 16-byte Folded Spill
	;; [unrolled: 10-line block ×9, first 2 shown]
	v_mov_b32_e32 v22, v61
	v_mov_b32_e32 v23, v62
	v_mov_b32_e32 v199, v28
	v_mov_b32_e32 v200, v29
	v_mov_b32_e32 v201, v30
	v_mov_b32_e32 v202, v31
	scratch_store_dwordx4 off, v[0:3], off offset:900 ; 16-byte Folded Spill
	s_nop 0
	scratch_store_dwordx4 off, v[4:7], off offset:916 ; 16-byte Folded Spill
	scratch_store_dwordx4 off, v[8:11], off offset:932 ; 16-byte Folded Spill
	;; [unrolled: 1-line block ×7, first 2 shown]
	s_nop 0
	v_mov_b32_e32 v24, v63
	scratch_store_dwordx4 off, v[0:3], off offset:772 ; 16-byte Folded Spill
	s_nop 0
	scratch_store_dwordx4 off, v[4:7], off offset:788 ; 16-byte Folded Spill
	scratch_store_dwordx4 off, v[8:11], off offset:804 ; 16-byte Folded Spill
	;; [unrolled: 1-line block ×7, first 2 shown]
	s_nop 0
	v_mov_b32_e32 v25, v88
	scratch_store_dwordx4 off, v[0:3], off offset:644 ; 16-byte Folded Spill
	s_nop 0
	scratch_store_dwordx4 off, v[4:7], off offset:660 ; 16-byte Folded Spill
	scratch_store_dwordx4 off, v[8:11], off offset:676 ; 16-byte Folded Spill
	scratch_store_dwordx4 off, v[12:15], off offset:692 ; 16-byte Folded Spill
	scratch_store_dwordx4 off, v[16:19], off offset:708 ; 16-byte Folded Spill
	scratch_store_dwordx4 off, v[20:23], off offset:724 ; 16-byte Folded Spill
	scratch_store_dwordx4 off, v[24:27], off offset:740 ; 16-byte Folded Spill
	scratch_store_dwordx4 off, v[28:31], off offset:756 ; 16-byte Folded Spill
	scratch_store_dwordx4 off, v[64:67], off offset:3204 ; 16-byte Folded Spill
	s_nop 0
	scratch_store_dwordx4 off, v[68:71], off offset:3220 ; 16-byte Folded Spill
	scratch_store_dwordx4 off, v[72:75], off offset:3236 ; 16-byte Folded Spill
	scratch_store_dwordx4 off, v[76:79], off offset:3252 ; 16-byte Folded Spill
	scratch_store_dwordx4 off, v[80:83], off offset:3268 ; 16-byte Folded Spill
	scratch_store_dwordx4 off, v[84:87], off offset:3284 ; 16-byte Folded Spill
	scratch_store_dwordx4 off, v[88:91], off offset:3300 ; 16-byte Folded Spill
	scratch_store_dwordx4 off, v[92:95], off offset:3316 ; 16-byte Folded Spill
	;; [unrolled: 9-line block ×3, first 2 shown]
	v_mov_b32_e32 v27, v117
	v_mov_b32_e32 v101, v28
	;; [unrolled: 1-line block ×6, first 2 shown]
	scratch_store_dwordx4 off, v[0:3], off offset:132 ; 16-byte Folded Spill
	s_nop 0
	scratch_store_dwordx4 off, v[4:7], off offset:148 ; 16-byte Folded Spill
	scratch_store_dwordx4 off, v[8:11], off offset:164 ; 16-byte Folded Spill
	;; [unrolled: 1-line block ×7, first 2 shown]
	v_mov_b32_e32 v89, v88
	v_mov_b32_e32 v181, v28
	scratch_store_dwordx4 off, v[0:3], off offset:516 ; 16-byte Folded Spill
	s_nop 0
	scratch_store_dwordx4 off, v[4:7], off offset:532 ; 16-byte Folded Spill
	scratch_store_dwordx4 off, v[8:11], off offset:548 ; 16-byte Folded Spill
	scratch_store_dwordx4 off, v[12:15], off offset:564 ; 16-byte Folded Spill
	scratch_store_dwordx4 off, v[16:19], off offset:580 ; 16-byte Folded Spill
	scratch_store_dwordx4 off, v[20:23], off offset:596 ; 16-byte Folded Spill
	scratch_store_dwordx4 off, v[24:27], off offset:612 ; 16-byte Folded Spill
	scratch_store_dwordx4 off, v[28:31], off offset:628 ; 16-byte Folded Spill
	scratch_store_dwordx4 off, v[0:3], off offset:388 ; 16-byte Folded Spill
	s_nop 0
	scratch_store_dwordx4 off, v[4:7], off offset:404 ; 16-byte Folded Spill
	scratch_store_dwordx4 off, v[8:11], off offset:420 ; 16-byte Folded Spill
	scratch_store_dwordx4 off, v[12:15], off offset:436 ; 16-byte Folded Spill
	scratch_store_dwordx4 off, v[16:19], off offset:452 ; 16-byte Folded Spill
	scratch_store_dwordx4 off, v[20:23], off offset:468 ; 16-byte Folded Spill
	scratch_store_dwordx4 off, v[24:27], off offset:484 ; 16-byte Folded Spill
	scratch_store_dwordx4 off, v[28:31], off offset:500 ; 16-byte Folded Spill
	;; [unrolled: 9-line block ×4, first 2 shown]
.LBB55_58:
	s_or_b64 exec, exec, s[2:3]
	v_cmp_eq_u32_e32 vcc, 11, v255
	s_waitcnt lgkmcnt(0)
	s_barrier
	s_and_saveexec_b64 s[2:3], vcc
	s_cbranch_execz .LBB55_61
; %bb.59:
	ds_write_b32 v250, v181
	s_waitcnt vmcnt(12)
	ds_write2_b64 v254, v[102:103], v[104:105] offset0:6 offset1:7
	s_waitcnt vmcnt(11)
	ds_write2_b64 v254, v[106:107], v[108:109] offset0:8 offset1:9
	;; [unrolled: 2-line block ×4, first 2 shown]
	ds_read_b32 v28, v250
	s_waitcnt lgkmcnt(0)
	v_cmp_neq_f32_e32 vcc, 0, v28
	s_and_b64 exec, exec, vcc
	s_cbranch_execz .LBB55_61
; %bb.60:
	v_div_scale_f32 v29, s[4:5], v28, v28, 1.0
	v_rcp_f32_e32 v30, v29
	v_div_scale_f32 v31, vcc, 1.0, v28, 1.0
	v_fma_f32 v54, -v29, v30, 1.0
	v_fmac_f32_e32 v30, v54, v30
	v_mul_f32_e32 v54, v31, v30
	v_fma_f32 v55, -v29, v54, v31
	v_fmac_f32_e32 v54, v55, v30
	v_fma_f32 v29, -v29, v54, v31
	v_div_fmas_f32 v29, v29, v30, v54
	v_div_fixup_f32 v28, v29, v28, 1.0
	ds_write_b32 v250, v28
.LBB55_61:
	s_or_b64 exec, exec, s[2:3]
	s_waitcnt lgkmcnt(0)
	s_barrier
	ds_read_b32 v87, v250
	v_cmp_lt_u32_e32 vcc, 11, v255
	s_and_saveexec_b64 s[2:3], vcc
	s_cbranch_execz .LBB55_63
; %bb.62:
	ds_read2_b64 v[28:31], v254 offset0:6 offset1:7
	ds_read2_b64 v[4:7], v254 offset0:8 offset1:9
	;; [unrolled: 1-line block ×3, first 2 shown]
	s_waitcnt lgkmcnt(3)
	v_mul_f32_e32 v74, v181, v87
	ds_read2_b64 v[10:13], v254 offset0:10 offset1:11
	s_waitcnt vmcnt(12) lgkmcnt(3)
	v_pk_fma_f32 v[168:169], v[74:75], v[28:29], v[102:103] op_sel_hi:[0,1,1] neg_lo:[1,0,0] neg_hi:[1,0,0]
	s_waitcnt vmcnt(0)
	v_pk_fma_f32 v[218:219], v[74:75], v[30:31], v[104:105] op_sel_hi:[0,1,1] neg_lo:[1,0,0] neg_hi:[1,0,0]
	s_waitcnt lgkmcnt(1)
	v_pk_fma_f32 v[116:117], v[74:75], v[26:27], v[116:117] op_sel_hi:[0,1,1] neg_lo:[1,0,0] neg_hi:[1,0,0]
	v_pk_fma_f32 v[144:145], v[74:75], v[4:5], v[106:107] op_sel_hi:[0,1,1] neg_lo:[1,0,0] neg_hi:[1,0,0]
	scratch_store_dwordx4 off, v[90:93], off offset:4 ; 16-byte Folded Spill
	s_nop 0
	scratch_store_dwordx4 off, v[94:97], off offset:20 ; 16-byte Folded Spill
	scratch_store_dwordx4 off, v[98:101], off offset:36 ; 16-byte Folded Spill
	;; [unrolled: 1-line block ×7, first 2 shown]
	scratch_load_dwordx4 v[170:173], off, off offset:3460 ; 16-byte Folded Reload
	scratch_load_dwordx4 v[174:177], off, off offset:3476 ; 16-byte Folded Reload
	;; [unrolled: 1-line block ×8, first 2 shown]
	v_mov_b32_e32 v39, v74
	v_mov_b32_e32 v40, v168
	;; [unrolled: 1-line block ×10, first 2 shown]
	s_waitcnt vmcnt(5)
	v_mov_b32_e32 v181, v74
	s_waitcnt vmcnt(2)
	v_mov_b32_e32 v193, v74
	s_waitcnt vmcnt(1)
	v_mov_b32_e32 v194, v168
	v_mov_b32_e32 v195, v169
	v_mov_b32_e32 v196, v218
	;; [unrolled: 1-line block ×3, first 2 shown]
	s_waitcnt vmcnt(0)
	v_mov_b32_e32 v198, v144
	v_mov_b32_e32 v199, v145
	;; [unrolled: 1-line block ×30, first 2 shown]
	v_pk_fma_f32 v[72:73], v[74:75], v[6:7], v[108:109] op_sel_hi:[0,1,1] neg_lo:[1,0,0] neg_hi:[1,0,0]
	v_mov_b32_e32 v28, v170
	v_mov_b32_e32 v29, v171
	;; [unrolled: 1-line block ×11, first 2 shown]
	scratch_store_dwordx4 off, v[28:31], off offset:2692 ; 16-byte Folded Spill
	s_nop 0
	scratch_store_dwordx4 off, v[32:35], off offset:2708 ; 16-byte Folded Spill
	scratch_store_dwordx4 off, v[36:39], off offset:2724 ; 16-byte Folded Spill
	;; [unrolled: 1-line block ×7, first 2 shown]
	v_mov_b32_e32 v42, v218
	v_mov_b32_e32 v43, v219
	s_waitcnt lgkmcnt(0)
	v_pk_fma_f32 v[202:203], v[74:75], v[10:11], v[110:111] op_sel_hi:[0,1,1] neg_lo:[1,0,0] neg_hi:[1,0,0]
	v_pk_fma_f32 v[22:23], v[74:75], v[12:13], v[112:113] op_sel_hi:[0,1,1] neg_lo:[1,0,0] neg_hi:[1,0,0]
	v_mov_b32_e32 v26, v170
	v_mov_b32_e32 v27, v171
	;; [unrolled: 1-line block ×59, first 2 shown]
	scratch_store_dwordx4 off, v[28:31], off offset:2180 ; 16-byte Folded Spill
	s_nop 0
	scratch_store_dwordx4 off, v[32:35], off offset:2196 ; 16-byte Folded Spill
	scratch_store_dwordx4 off, v[36:39], off offset:2212 ; 16-byte Folded Spill
	;; [unrolled: 1-line block ×7, first 2 shown]
	v_mov_b32_e32 v44, v144
	v_mov_b32_e32 v45, v145
	;; [unrolled: 1-line block ×48, first 2 shown]
	scratch_store_dwordx4 off, v[28:31], off offset:1924 ; 16-byte Folded Spill
	s_nop 0
	scratch_store_dwordx4 off, v[32:35], off offset:1940 ; 16-byte Folded Spill
	scratch_store_dwordx4 off, v[36:39], off offset:1956 ; 16-byte Folded Spill
	;; [unrolled: 1-line block ×7, first 2 shown]
	s_nop 0
	v_mov_b32_e32 v54, v170
	v_mov_b32_e32 v55, v171
	v_mov_b32_e32 v56, v172
	v_mov_b32_e32 v57, v173
	v_mov_b32_e32 v58, v174
	v_mov_b32_e32 v59, v175
	v_mov_b32_e32 v46, v72
	v_mov_b32_e32 v47, v73
	scratch_store_dwordx4 off, v[28:31], off offset:1668 ; 16-byte Folded Spill
	s_nop 0
	scratch_store_dwordx4 off, v[32:35], off offset:1684 ; 16-byte Folded Spill
	scratch_store_dwordx4 off, v[36:39], off offset:1700 ; 16-byte Folded Spill
	;; [unrolled: 1-line block ×7, first 2 shown]
	v_mov_b32_e32 v28, v172
	v_mov_b32_e32 v29, v173
	;; [unrolled: 1-line block ×20, first 2 shown]
	scratch_store_dwordx4 off, v[26:29], off offset:1284 ; 16-byte Folded Spill
	s_nop 0
	scratch_store_dwordx4 off, v[30:33], off offset:1300 ; 16-byte Folded Spill
	scratch_store_dwordx4 off, v[34:37], off offset:1316 ; 16-byte Folded Spill
	;; [unrolled: 1-line block ×8, first 2 shown]
	s_nop 0
	scratch_store_dwordx4 off, v[92:95], off offset:916 ; 16-byte Folded Spill
	scratch_store_dwordx4 off, v[96:99], off offset:932 ; 16-byte Folded Spill
	;; [unrolled: 1-line block ×7, first 2 shown]
	scratch_load_dwordx4 v[88:91], off, off offset:4 ; 16-byte Folded Reload
	s_nop 0
	scratch_load_dwordx4 v[92:95], off, off offset:20 ; 16-byte Folded Reload
	scratch_load_dwordx4 v[96:99], off, off offset:36 ; 16-byte Folded Reload
	;; [unrolled: 1-line block ×7, first 2 shown]
	s_waitcnt vmcnt(1)
	v_pk_fma_f32 v[244:245], v[74:75], v[24:25], v[112:113] op_sel_hi:[0,1,1] neg_lo:[1,0,0] neg_hi:[1,0,0]
	scratch_load_dwordx4 v[88:91], off, off offset:4 ; 16-byte Folded Reload
	scratch_load_dwordx4 v[92:95], off, off offset:20 ; 16-byte Folded Reload
	;; [unrolled: 1-line block ×8, first 2 shown]
	s_waitcnt vmcnt(5)
	v_mov_b32_e32 v99, v74
	scratch_store_dwordx4 off, v[88:91], off offset:4 ; 16-byte Folded Spill
	s_nop 0
	scratch_store_dwordx4 off, v[92:95], off offset:20 ; 16-byte Folded Spill
	scratch_store_dwordx4 off, v[96:99], off offset:36 ; 16-byte Folded Spill
	s_waitcnt vmcnt(7)
	scratch_store_dwordx4 off, v[100:103], off offset:52 ; 16-byte Folded Spill
	s_waitcnt vmcnt(7)
	;; [unrolled: 2-line block ×5, first 2 shown]
	scratch_store_dwordx4 off, v[116:119], off offset:116 ; 16-byte Folded Spill
	v_mov_b32_e32 v88, v170
	v_mov_b32_e32 v89, v171
	;; [unrolled: 1-line block ×25, first 2 shown]
	scratch_store_dwordx4 off, v[88:91], off offset:644 ; 16-byte Folded Spill
	s_nop 0
	scratch_store_dwordx4 off, v[92:95], off offset:660 ; 16-byte Folded Spill
	scratch_store_dwordx4 off, v[96:99], off offset:676 ; 16-byte Folded Spill
	;; [unrolled: 1-line block ×7, first 2 shown]
	scratch_load_dwordx4 v[90:93], off, off offset:4 ; 16-byte Folded Reload
	s_nop 0
	scratch_load_dwordx4 v[94:97], off, off offset:20 ; 16-byte Folded Reload
	scratch_load_dwordx4 v[98:101], off, off offset:36 ; 16-byte Folded Reload
	scratch_load_dwordx4 v[102:105], off, off offset:52 ; 16-byte Folded Reload
	scratch_load_dwordx4 v[106:109], off, off offset:68 ; 16-byte Folded Reload
	scratch_load_dwordx4 v[110:113], off, off offset:84 ; 16-byte Folded Reload
	scratch_load_dwordx4 v[114:117], off, off offset:100 ; 16-byte Folded Reload
	scratch_load_dwordx4 v[118:121], off, off offset:116 ; 16-byte Folded Reload
	s_waitcnt vmcnt(7)
	v_mov_b32_e32 v90, v170
	v_mov_b32_e32 v91, v171
	;; [unrolled: 1-line block ×4, first 2 shown]
	s_waitcnt vmcnt(6)
	v_mov_b32_e32 v94, v174
	v_mov_b32_e32 v95, v175
	;; [unrolled: 1-line block ×4, first 2 shown]
	s_waitcnt vmcnt(5)
	v_mov_b32_e32 v98, v178
	v_mov_b32_e32 v99, v179
	v_mov_b32_e32 v100, v180
	s_waitcnt vmcnt(2)
	v_mov_b32_e32 v112, v22
	v_mov_b32_e32 v113, v23
	scratch_store_dwordx4 off, v[170:173], off offset:3204 ; 16-byte Folded Spill
	s_nop 0
	scratch_store_dwordx4 off, v[174:177], off offset:3220 ; 16-byte Folded Spill
	scratch_store_dwordx4 off, v[178:181], off offset:3236 ; 16-byte Folded Spill
	;; [unrolled: 1-line block ×7, first 2 shown]
	v_mov_b32_e32 v102, v168
	v_mov_b32_e32 v103, v169
	;; [unrolled: 1-line block ×10, first 2 shown]
	s_waitcnt vmcnt(9)
	v_mov_b32_e32 v114, v244
	v_mov_b32_e32 v115, v245
	;; [unrolled: 1-line block ×4, first 2 shown]
	scratch_store_dwordx4 off, v[0:3], off offset:132 ; 16-byte Folded Spill
	s_nop 0
	scratch_store_dwordx4 off, v[4:7], off offset:148 ; 16-byte Folded Spill
	scratch_store_dwordx4 off, v[8:11], off offset:164 ; 16-byte Folded Spill
	;; [unrolled: 1-line block ×7, first 2 shown]
	s_nop 0
	v_mov_b32_e32 v24, v168
	scratch_store_dwordx4 off, v[12:15], off offset:516 ; 16-byte Folded Spill
	s_nop 0
	scratch_store_dwordx4 off, v[16:19], off offset:532 ; 16-byte Folded Spill
	scratch_store_dwordx4 off, v[20:23], off offset:548 ; 16-byte Folded Spill
	scratch_store_dwordx4 off, v[24:27], off offset:564 ; 16-byte Folded Spill
	scratch_store_dwordx4 off, v[28:31], off offset:580 ; 16-byte Folded Spill
	scratch_store_dwordx4 off, v[32:35], off offset:596 ; 16-byte Folded Spill
	scratch_store_dwordx4 off, v[36:39], off offset:612 ; 16-byte Folded Spill
	scratch_store_dwordx4 off, v[40:43], off offset:628 ; 16-byte Folded Spill
	scratch_store_dwordx4 off, v[156:159], off offset:3076 ; 16-byte Folded Spill
	s_nop 0
	scratch_store_dwordx4 off, v[160:163], off offset:3092 ; 16-byte Folded Spill
	scratch_store_dwordx4 off, v[164:167], off offset:3108 ; 16-byte Folded Spill
	scratch_store_dwordx4 off, v[168:171], off offset:3124 ; 16-byte Folded Spill
	scratch_store_dwordx4 off, v[172:175], off offset:3140 ; 16-byte Folded Spill
	scratch_store_dwordx4 off, v[176:179], off offset:3156 ; 16-byte Folded Spill
	scratch_store_dwordx4 off, v[180:183], off offset:3172 ; 16-byte Folded Spill
	scratch_store_dwordx4 off, v[184:187], off offset:3188 ; 16-byte Folded Spill
	;; [unrolled: 9-line block ×3, first 2 shown]
	v_mov_b32_e32 v24, v218
	scratch_store_dwordx4 off, v[10:13], off offset:1028 ; 16-byte Folded Spill
	s_nop 0
	scratch_store_dwordx4 off, v[14:17], off offset:1044 ; 16-byte Folded Spill
	scratch_store_dwordx4 off, v[18:21], off offset:1060 ; 16-byte Folded Spill
	scratch_store_dwordx4 off, v[22:25], off offset:1076 ; 16-byte Folded Spill
	scratch_store_dwordx4 off, v[26:29], off offset:1092 ; 16-byte Folded Spill
	scratch_store_dwordx4 off, v[30:33], off offset:1108 ; 16-byte Folded Spill
	scratch_store_dwordx4 off, v[34:37], off offset:1124 ; 16-byte Folded Spill
	scratch_store_dwordx4 off, v[38:41], off offset:1140 ; 16-byte Folded Spill
	scratch_store_dwordx4 off, v[204:207], off offset:2052 ; 16-byte Folded Spill
	s_nop 0
	scratch_store_dwordx4 off, v[208:211], off offset:2068 ; 16-byte Folded Spill
	scratch_store_dwordx4 off, v[212:215], off offset:2084 ; 16-byte Folded Spill
	scratch_store_dwordx4 off, v[216:219], off offset:2100 ; 16-byte Folded Spill
	scratch_store_dwordx4 off, v[220:223], off offset:2116 ; 16-byte Folded Spill
	scratch_store_dwordx4 off, v[224:227], off offset:2132 ; 16-byte Folded Spill
	scratch_store_dwordx4 off, v[228:231], off offset:2148 ; 16-byte Folded Spill
	scratch_store_dwordx4 off, v[232:235], off offset:2164 ; 16-byte Folded Spill
	;; [unrolled: 9-line block ×3, first 2 shown]
	v_mov_b32_e32 v32, v202
	scratch_store_dwordx4 off, v[128:131], off offset:1156 ; 16-byte Folded Spill
	s_nop 0
	scratch_store_dwordx4 off, v[132:135], off offset:1172 ; 16-byte Folded Spill
	scratch_store_dwordx4 off, v[136:139], off offset:1188 ; 16-byte Folded Spill
	scratch_store_dwordx4 off, v[140:143], off offset:1204 ; 16-byte Folded Spill
	scratch_store_dwordx4 off, v[144:147], off offset:1220 ; 16-byte Folded Spill
	scratch_store_dwordx4 off, v[148:151], off offset:1236 ; 16-byte Folded Spill
	scratch_store_dwordx4 off, v[152:155], off offset:1252 ; 16-byte Folded Spill
	scratch_store_dwordx4 off, v[156:159], off offset:1268 ; 16-byte Folded Spill
	v_mov_b32_e32 v138, v72
	scratch_store_dwordx4 off, v[54:57], off offset:1796 ; 16-byte Folded Spill
	s_nop 0
	scratch_store_dwordx4 off, v[58:61], off offset:1812 ; 16-byte Folded Spill
	scratch_store_dwordx4 off, v[62:65], off offset:1828 ; 16-byte Folded Spill
	scratch_store_dwordx4 off, v[66:69], off offset:1844 ; 16-byte Folded Spill
	scratch_store_dwordx4 off, v[70:73], off offset:1860 ; 16-byte Folded Spill
	scratch_store_dwordx4 off, v[74:77], off offset:1876 ; 16-byte Folded Spill
	scratch_store_dwordx4 off, v[78:81], off offset:1892 ; 16-byte Folded Spill
	scratch_store_dwordx4 off, v[82:85], off offset:1908 ; 16-byte Folded Spill
	;; [unrolled: 10-line block ×3, first 2 shown]
	scratch_store_dwordx4 off, v[220:223], off offset:772 ; 16-byte Folded Spill
	s_nop 0
	scratch_store_dwordx4 off, v[224:227], off offset:788 ; 16-byte Folded Spill
	scratch_store_dwordx4 off, v[228:231], off offset:804 ; 16-byte Folded Spill
	;; [unrolled: 1-line block ×7, first 2 shown]
	v_mov_b64_e32 v[210:211], v[22:23]
	v_mov_b64_e32 v[208:209], v[20:21]
	v_mov_b64_e32 v[206:207], v[18:19]
	v_mov_b64_e32 v[204:205], v[16:17]
	v_mov_b32_e32 v152, v210
	v_mov_b32_e32 v153, v211
	;; [unrolled: 1-line block ×5, first 2 shown]
	v_mov_b64_e32 v[202:203], v[14:15]
	v_mov_b64_e32 v[200:201], v[12:13]
	;; [unrolled: 1-line block ×8, first 2 shown]
	v_mov_b32_e32 v89, v245
.LBB55_63:
	s_or_b64 exec, exec, s[2:3]
	v_cmp_eq_u32_e32 vcc, 12, v255
	s_waitcnt lgkmcnt(0)
	s_barrier
	s_and_saveexec_b64 s[2:3], vcc
	s_cbranch_execz .LBB55_66
; %bb.64:
	scratch_load_dwordx4 v[0:3], off, off offset:516 ; 16-byte Folded Reload
	scratch_load_dwordx4 v[4:7], off, off offset:532 ; 16-byte Folded Reload
	;; [unrolled: 1-line block ×8, first 2 shown]
	s_waitcnt vmcnt(4)
	ds_write_b32 v250, v12
	ds_write2_b32 v254, v103, v104 offset0:13 offset1:14
	ds_write2_b32 v254, v105, v106 offset0:15 offset1:16
	ds_write2_b32 v254, v107, v108 offset0:17 offset1:18
	ds_write2_b32 v254, v109, v110 offset0:19 offset1:20
	ds_write2_b32 v254, v111, v112 offset0:21 offset1:22
	ds_write2_b32 v254, v113, v114 offset0:23 offset1:24
	ds_write2_b32 v254, v115, v116 offset0:25 offset1:26
	scratch_load_dwordx4 v[0:3], off, off offset:132 ; 16-byte Folded Reload
	scratch_load_dwordx4 v[4:7], off, off offset:148 ; 16-byte Folded Reload
	;; [unrolled: 1-line block ×8, first 2 shown]
	s_waitcnt vmcnt(1)
	ds_write_b32 v254, v27 offset:108
	s_waitcnt vmcnt(0)
	ds_read_b32 v28, v250
	s_waitcnt lgkmcnt(0)
	v_cmp_neq_f32_e32 vcc, 0, v28
	s_and_b64 exec, exec, vcc
	s_cbranch_execz .LBB55_66
; %bb.65:
	v_div_scale_f32 v29, s[4:5], v28, v28, 1.0
	v_rcp_f32_e32 v30, v29
	v_div_scale_f32 v31, vcc, 1.0, v28, 1.0
	v_fma_f32 v54, -v29, v30, 1.0
	v_fmac_f32_e32 v30, v54, v30
	v_mul_f32_e32 v54, v31, v30
	v_fma_f32 v55, -v29, v54, v31
	v_fmac_f32_e32 v54, v55, v30
	v_fma_f32 v29, -v29, v54, v31
	v_div_fmas_f32 v29, v29, v30, v54
	v_div_fixup_f32 v28, v29, v28, 1.0
	ds_write_b32 v250, v28
.LBB55_66:
	s_or_b64 exec, exec, s[2:3]
	s_waitcnt lgkmcnt(0)
	s_barrier
	s_waitcnt vmcnt(9)
	ds_read_b32 v84, v250
	v_cmp_lt_u32_e32 vcc, 12, v255
	s_and_saveexec_b64 s[2:3], vcc
	s_cbranch_execz .LBB55_68
; %bb.67:
	scratch_load_dwordx4 v[156:159], off, off offset:3204 ; 16-byte Folded Reload
	scratch_load_dwordx4 v[160:163], off, off offset:3220 ; 16-byte Folded Reload
	;; [unrolled: 1-line block ×16, first 2 shown]
	s_waitcnt vmcnt(7)
	ds_read2_b32 v[0:1], v254 offset0:13 offset1:14
	s_waitcnt vmcnt(6)
	ds_read2_b32 v[4:5], v254 offset0:15 offset1:16
	ds_read2_b32 v[6:7], v254 offset0:17 offset1:18
	s_waitcnt vmcnt(5)
	ds_read2_b32 v[8:9], v254 offset0:19 offset1:20
	v_mov_b32_e32 v2, v103
	v_mov_b32_e32 v3, v104
	;; [unrolled: 1-line block ×13, first 2 shown]
	s_waitcnt vmcnt(4) lgkmcnt(4)
	v_mul_f32_e32 v168, v12, v84
	s_waitcnt vmcnt(0) lgkmcnt(3)
	v_pk_fma_f32 v[28:29], v[168:169], v[0:1], v[2:3] op_sel_hi:[0,1,1] neg_lo:[1,0,0] neg_hi:[1,0,0]
	v_mov_b32_e32 v0, v105
	v_mov_b32_e32 v1, v106
	s_waitcnt lgkmcnt(2)
	v_pk_fma_f32 v[30:31], v[168:169], v[4:5], v[0:1] op_sel_hi:[0,1,1] neg_lo:[1,0,0] neg_hi:[1,0,0]
	v_mov_b32_e32 v0, v107
	v_mov_b32_e32 v1, v108
	s_waitcnt lgkmcnt(1)
	;; [unrolled: 4-line block ×3, first 2 shown]
	v_pk_fma_f32 v[56:57], v[168:169], v[8:9], v[0:1] op_sel_hi:[0,1,1] neg_lo:[1,0,0] neg_hi:[1,0,0]
	ds_read2_b32 v[0:1], v254 offset0:21 offset1:22
	ds_read2_b32 v[4:5], v254 offset0:23 offset1:24
	;; [unrolled: 1-line block ×3, first 2 shown]
	ds_read_b32 v8, v254 offset:108
	v_mov_b32_e32 v2, v111
	v_mov_b32_e32 v3, v112
	;; [unrolled: 1-line block ×3, first 2 shown]
	s_waitcnt lgkmcnt(3)
	v_pk_fma_f32 v[58:59], v[168:169], v[0:1], v[2:3] op_sel_hi:[0,1,1] neg_lo:[1,0,0] neg_hi:[1,0,0]
	v_mov_b32_e32 v0, v113
	v_mov_b32_e32 v1, v114
	s_waitcnt lgkmcnt(2)
	v_pk_fma_f32 v[60:61], v[168:169], v[4:5], v[0:1] op_sel_hi:[0,1,1] neg_lo:[1,0,0] neg_hi:[1,0,0]
	v_mov_b32_e32 v0, v115
	v_mov_b32_e32 v1, v116
	scratch_load_dwordx4 v[88:91], off, off offset:132 ; 16-byte Folded Reload
	scratch_load_dwordx4 v[92:95], off, off offset:148 ; 16-byte Folded Reload
	;; [unrolled: 1-line block ×8, first 2 shown]
	s_waitcnt lgkmcnt(1)
	v_pk_fma_f32 v[62:63], v[168:169], v[6:7], v[0:1] op_sel_hi:[0,1,1] neg_lo:[1,0,0] neg_hi:[1,0,0]
	v_mov_b32_e32 v0, v156
	v_mov_b32_e32 v1, v157
	v_mov_b32_e32 v2, v158
	v_mov_b32_e32 v3, v159
	v_mov_b32_e32 v4, v160
	v_mov_b32_e32 v5, v161
	v_mov_b32_e32 v6, v162
	v_mov_b32_e32 v7, v163
	v_mov_b32_e32 v12, v168
	v_mov_b32_e32 v13, v28
	v_mov_b32_e32 v14, v29
	v_mov_b32_e32 v169, v28
	v_mov_b32_e32 v197, v165
	v_mov_b32_e32 v198, v166
	v_mov_b32_e32 v199, v167
	v_mov_b32_e32 v200, v168
	s_waitcnt vmcnt(7)
	v_mov_b32_e32 v90, v156
	v_mov_b32_e32 v91, v157
	s_waitcnt vmcnt(6)
	v_mov_b32_e32 v92, v158
	v_mov_b32_e32 v93, v159
	v_mov_b32_e32 v94, v160
	v_mov_b32_e32 v95, v161
	s_waitcnt vmcnt(5)
	v_mov_b32_e32 v96, v162
	v_mov_b32_e32 v97, v163
	;; [unrolled: 5-line block ×3, first 2 shown]
	v_mov_b32_e32 v102, v168
	v_mov_b32_e32 v205, v54
	v_mov_b32_e32 v206, v55
	v_mov_b32_e32 v207, v56
	v_mov_b32_e32 v208, v57
	v_mov_b32_e32 v209, v58
	v_mov_b32_e32 v210, v59
	s_waitcnt vmcnt(3)
	v_mov_b32_e32 v107, v54
	s_waitcnt vmcnt(2)
	v_mov_b32_e32 v108, v55
	v_mov_b32_e32 v109, v56
	;; [unrolled: 1-line block ×4, first 2 shown]
	s_waitcnt vmcnt(1)
	v_mov_b32_e32 v112, v59
	v_mov_b32_e32 v113, v60
	;; [unrolled: 1-line block ×3, first 2 shown]
	s_waitcnt vmcnt(0)
	v_mov_b32_e32 v116, v63
	v_mov_b32_e32 v143, v54
	;; [unrolled: 1-line block ×10, first 2 shown]
	s_waitcnt lgkmcnt(0)
	v_fma_f32 v117, -v168, v8, v115
	v_mov_b32_e32 v8, v164
	scratch_store_dwordx4 off, v[0:3], off offset:2052 ; 16-byte Folded Spill
	s_nop 0
	scratch_store_dwordx4 off, v[4:7], off offset:2068 ; 16-byte Folded Spill
	scratch_store_dwordx4 off, v[8:11], off offset:2084 ; 16-byte Folded Spill
	;; [unrolled: 1-line block ×7, first 2 shown]
	v_mov_b32_e32 v115, v62
	v_mov_b32_e32 v15, v30
	scratch_store_dwordx4 off, v[0:3], off offset:2180 ; 16-byte Folded Spill
	s_nop 0
	scratch_store_dwordx4 off, v[4:7], off offset:2196 ; 16-byte Folded Spill
	scratch_store_dwordx4 off, v[8:11], off offset:2212 ; 16-byte Folded Spill
	scratch_store_dwordx4 off, v[12:15], off offset:2228 ; 16-byte Folded Spill
	scratch_store_dwordx4 off, v[16:19], off offset:2244 ; 16-byte Folded Spill
	scratch_store_dwordx4 off, v[20:23], off offset:2260 ; 16-byte Folded Spill
	scratch_store_dwordx4 off, v[24:27], off offset:2276 ; 16-byte Folded Spill
	scratch_store_dwordx4 off, v[28:31], off offset:2292 ; 16-byte Folded Spill
	v_mov_b32_e32 v16, v31
	scratch_store_dwordx4 off, v[0:3], off offset:1156 ; 16-byte Folded Spill
	s_nop 0
	scratch_store_dwordx4 off, v[4:7], off offset:1172 ; 16-byte Folded Spill
	scratch_store_dwordx4 off, v[8:11], off offset:1188 ; 16-byte Folded Spill
	scratch_store_dwordx4 off, v[12:15], off offset:1204 ; 16-byte Folded Spill
	scratch_store_dwordx4 off, v[16:19], off offset:1220 ; 16-byte Folded Spill
	scratch_store_dwordx4 off, v[20:23], off offset:1236 ; 16-byte Folded Spill
	scratch_store_dwordx4 off, v[24:27], off offset:1252 ; 16-byte Folded Spill
	scratch_store_dwordx4 off, v[28:31], off offset:1268 ; 16-byte Folded Spill
	;; [unrolled: 10-line block ×7, first 2 shown]
	v_mov_b32_e32 v22, v59
	v_mov_b32_e32 v23, v60
	v_mov_b32_e32 v201, v28
	v_mov_b32_e32 v202, v29
	v_mov_b32_e32 v203, v30
	v_mov_b32_e32 v204, v31
	scratch_store_dwordx4 off, v[0:3], off offset:900 ; 16-byte Folded Spill
	s_nop 0
	scratch_store_dwordx4 off, v[4:7], off offset:916 ; 16-byte Folded Spill
	scratch_store_dwordx4 off, v[8:11], off offset:932 ; 16-byte Folded Spill
	scratch_store_dwordx4 off, v[12:15], off offset:948 ; 16-byte Folded Spill
	scratch_store_dwordx4 off, v[16:19], off offset:964 ; 16-byte Folded Spill
	scratch_store_dwordx4 off, v[20:23], off offset:980 ; 16-byte Folded Spill
	scratch_store_dwordx4 off, v[24:27], off offset:996 ; 16-byte Folded Spill
	scratch_store_dwordx4 off, v[28:31], off offset:1012 ; 16-byte Folded Spill
	s_nop 0
	v_mov_b32_e32 v24, v61
	scratch_store_dwordx4 off, v[0:3], off offset:772 ; 16-byte Folded Spill
	s_nop 0
	scratch_store_dwordx4 off, v[4:7], off offset:788 ; 16-byte Folded Spill
	scratch_store_dwordx4 off, v[8:11], off offset:804 ; 16-byte Folded Spill
	scratch_store_dwordx4 off, v[12:15], off offset:820 ; 16-byte Folded Spill
	scratch_store_dwordx4 off, v[16:19], off offset:836 ; 16-byte Folded Spill
	scratch_store_dwordx4 off, v[20:23], off offset:852 ; 16-byte Folded Spill
	scratch_store_dwordx4 off, v[24:27], off offset:868 ; 16-byte Folded Spill
	scratch_store_dwordx4 off, v[28:31], off offset:884 ; 16-byte Folded Spill
	s_nop 0
	v_mov_b32_e32 v25, v62
	;; [unrolled: 11-line block ×3, first 2 shown]
	v_mov_b32_e32 v27, v117
	scratch_store_dwordx4 off, v[156:159], off offset:2692 ; 16-byte Folded Spill
	s_nop 0
	scratch_store_dwordx4 off, v[160:163], off offset:2708 ; 16-byte Folded Spill
	scratch_store_dwordx4 off, v[164:167], off offset:2724 ; 16-byte Folded Spill
	;; [unrolled: 1-line block ×8, first 2 shown]
	s_nop 0
	scratch_store_dwordx4 off, v[160:163], off offset:3092 ; 16-byte Folded Spill
	scratch_store_dwordx4 off, v[164:167], off offset:3108 ; 16-byte Folded Spill
	;; [unrolled: 1-line block ×7, first 2 shown]
	v_mov_b32_e32 v103, v28
	v_mov_b32_e32 v104, v29
	;; [unrolled: 1-line block ×4, first 2 shown]
	scratch_store_dwordx4 off, v[0:3], off offset:132 ; 16-byte Folded Spill
	s_nop 0
	scratch_store_dwordx4 off, v[4:7], off offset:148 ; 16-byte Folded Spill
	scratch_store_dwordx4 off, v[8:11], off offset:164 ; 16-byte Folded Spill
	scratch_store_dwordx4 off, v[12:15], off offset:180 ; 16-byte Folded Spill
	scratch_store_dwordx4 off, v[16:19], off offset:196 ; 16-byte Folded Spill
	scratch_store_dwordx4 off, v[20:23], off offset:212 ; 16-byte Folded Spill
	scratch_store_dwordx4 off, v[24:27], off offset:228 ; 16-byte Folded Spill
	scratch_store_dwordx4 off, v[28:31], off offset:244 ; 16-byte Folded Spill
	scratch_store_dwordx4 off, v[0:3], off offset:388 ; 16-byte Folded Spill
	s_nop 0
	scratch_store_dwordx4 off, v[4:7], off offset:404 ; 16-byte Folded Spill
	scratch_store_dwordx4 off, v[8:11], off offset:420 ; 16-byte Folded Spill
	scratch_store_dwordx4 off, v[12:15], off offset:436 ; 16-byte Folded Spill
	scratch_store_dwordx4 off, v[16:19], off offset:452 ; 16-byte Folded Spill
	scratch_store_dwordx4 off, v[20:23], off offset:468 ; 16-byte Folded Spill
	scratch_store_dwordx4 off, v[24:27], off offset:484 ; 16-byte Folded Spill
	scratch_store_dwordx4 off, v[28:31], off offset:500 ; 16-byte Folded Spill
	;; [unrolled: 9-line block ×4, first 2 shown]
	v_mov_b32_e32 v146, v31
.LBB55_68:
	s_or_b64 exec, exec, s[2:3]
	v_cmp_eq_u32_e32 vcc, 13, v255
	s_waitcnt lgkmcnt(0)
	s_barrier
	s_and_saveexec_b64 s[2:3], vcc
	s_cbranch_execz .LBB55_71
; %bb.69:
	scratch_load_dwordx4 v[0:3], off, off offset:388 ; 16-byte Folded Reload
	scratch_load_dwordx4 v[4:7], off, off offset:404 ; 16-byte Folded Reload
	scratch_load_dwordx4 v[8:11], off, off offset:420 ; 16-byte Folded Reload
	scratch_load_dwordx4 v[12:15], off, off offset:436 ; 16-byte Folded Reload
	scratch_load_dwordx4 v[16:19], off, off offset:452 ; 16-byte Folded Reload
	scratch_load_dwordx4 v[20:23], off, off offset:468 ; 16-byte Folded Reload
	scratch_load_dwordx4 v[24:27], off, off offset:484 ; 16-byte Folded Reload
	scratch_load_dwordx4 v[28:31], off, off offset:500 ; 16-byte Folded Reload
	s_waitcnt vmcnt(4)
	ds_write_b32 v250, v13
	ds_write2_b64 v254, v[104:105], v[106:107] offset0:7 offset1:8
	ds_write2_b64 v254, v[108:109], v[110:111] offset0:9 offset1:10
	;; [unrolled: 1-line block ×3, first 2 shown]
	ds_write_b64 v254, v[116:117] offset:104
	s_waitcnt vmcnt(0)
	ds_read_b32 v28, v250
	s_waitcnt lgkmcnt(0)
	v_cmp_neq_f32_e32 vcc, 0, v28
	s_and_b64 exec, exec, vcc
	s_cbranch_execz .LBB55_71
; %bb.70:
	v_div_scale_f32 v29, s[4:5], v28, v28, 1.0
	v_rcp_f32_e32 v30, v29
	v_div_scale_f32 v31, vcc, 1.0, v28, 1.0
	v_fma_f32 v54, -v29, v30, 1.0
	v_fmac_f32_e32 v30, v54, v30
	v_mul_f32_e32 v54, v31, v30
	v_fma_f32 v55, -v29, v54, v31
	v_fmac_f32_e32 v54, v55, v30
	v_fma_f32 v29, -v29, v54, v31
	v_div_fmas_f32 v29, v29, v30, v54
	v_div_fixup_f32 v28, v29, v28, 1.0
	ds_write_b32 v250, v28
.LBB55_71:
	s_or_b64 exec, exec, s[2:3]
	s_waitcnt lgkmcnt(0)
	s_barrier
	ds_read_b32 v85, v250
	v_cmp_lt_u32_e32 vcc, 13, v255
	s_and_saveexec_b64 s[2:3], vcc
	s_cbranch_execz .LBB55_73
; %bb.72:
	ds_read2_b64 v[6:9], v254 offset0:7 offset1:8
	ds_read2_b64 v[0:3], v254 offset0:9 offset1:10
	ds_read_b64 v[10:11], v254 offset:104
	scratch_load_dwordx4 v[12:15], off, off offset:388 ; 16-byte Folded Reload
	scratch_load_dwordx4 v[16:19], off, off offset:404 ; 16-byte Folded Reload
	;; [unrolled: 1-line block ×8, first 2 shown]
	ds_read2_b64 v[74:77], v254 offset0:11 offset1:12
	s_waitcnt vmcnt(4) lgkmcnt(4)
	v_mul_f32_e32 v24, v25, v85
	s_waitcnt lgkmcnt(1)
	v_pk_fma_f32 v[116:117], v[24:25], v[10:11], v[116:117] op_sel_hi:[0,1,1] neg_lo:[1,0,0] neg_hi:[1,0,0]
	v_pk_fma_f32 v[218:219], v[24:25], v[6:7], v[104:105] op_sel_hi:[0,1,1] neg_lo:[1,0,0] neg_hi:[1,0,0]
	;; [unrolled: 1-line block ×4, first 2 shown]
	scratch_store_dwordx4 off, v[90:93], off offset:4 ; 16-byte Folded Spill
	s_nop 0
	scratch_store_dwordx4 off, v[94:97], off offset:20 ; 16-byte Folded Spill
	scratch_store_dwordx4 off, v[98:101], off offset:36 ; 16-byte Folded Spill
	;; [unrolled: 1-line block ×7, first 2 shown]
	scratch_load_dwordx4 v[156:159], off, off offset:3076 ; 16-byte Folded Reload
	scratch_load_dwordx4 v[160:163], off, off offset:3092 ; 16-byte Folded Reload
	scratch_load_dwordx4 v[164:167], off, off offset:3108 ; 16-byte Folded Reload
	scratch_load_dwordx4 v[168:171], off, off offset:3124 ; 16-byte Folded Reload
	scratch_load_dwordx4 v[172:175], off, off offset:3140 ; 16-byte Folded Reload
	scratch_load_dwordx4 v[176:179], off, off offset:3156 ; 16-byte Folded Reload
	scratch_load_dwordx4 v[180:183], off, off offset:3172 ; 16-byte Folded Reload
	scratch_load_dwordx4 v[184:187], off, off offset:3188 ; 16-byte Folded Reload
	s_waitcnt vmcnt(16)
	v_mov_b32_e32 v41, v24
	v_mov_b32_e32 v42, v218
	;; [unrolled: 1-line block ×10, first 2 shown]
	s_waitcnt vmcnt(4)
	v_mov_b32_e32 v169, v24
	v_mov_b32_e32 v217, v24
	;; [unrolled: 1-line block ×30, first 2 shown]
	v_pk_fma_f32 v[202:203], v[24:25], v[2:3], v[110:111] op_sel_hi:[0,1,1] neg_lo:[1,0,0] neg_hi:[1,0,0]
	v_mov_b32_e32 v28, v156
	v_mov_b32_e32 v29, v157
	v_mov_b32_e32 v30, v158
	v_mov_b32_e32 v31, v159
	v_mov_b32_e32 v32, v160
	v_mov_b32_e32 v33, v161
	v_mov_b32_e32 v34, v162
	v_mov_b32_e32 v35, v163
	v_mov_b32_e32 v36, v164
	v_mov_b32_e32 v37, v165
	v_mov_b32_e32 v38, v166
	v_mov_b32_e32 v39, v167
	v_mov_b32_e32 v40, v168
	scratch_store_dwordx4 off, v[28:31], off offset:2180 ; 16-byte Folded Spill
	s_nop 0
	scratch_store_dwordx4 off, v[32:35], off offset:2196 ; 16-byte Folded Spill
	scratch_store_dwordx4 off, v[36:39], off offset:2212 ; 16-byte Folded Spill
	;; [unrolled: 1-line block ×7, first 2 shown]
	v_mov_b32_e32 v44, v144
	v_mov_b32_e32 v45, v145
	;; [unrolled: 1-line block ×32, first 2 shown]
	s_waitcnt vmcnt(9)
	v_mov_b32_e32 v182, v156
	v_mov_b32_e32 v183, v157
	s_waitcnt vmcnt(8)
	v_mov_b32_e32 v184, v158
	v_mov_b32_e32 v185, v159
	;; [unrolled: 1-line block ×25, first 2 shown]
	scratch_store_dwordx4 off, v[28:31], off offset:1924 ; 16-byte Folded Spill
	s_nop 0
	scratch_store_dwordx4 off, v[32:35], off offset:1940 ; 16-byte Folded Spill
	scratch_store_dwordx4 off, v[36:39], off offset:1956 ; 16-byte Folded Spill
	;; [unrolled: 1-line block ×7, first 2 shown]
	s_nop 0
	v_mov_b32_e32 v54, v156
	v_mov_b32_e32 v55, v157
	;; [unrolled: 1-line block ×42, first 2 shown]
	scratch_store_dwordx4 off, v[28:31], off offset:1668 ; 16-byte Folded Spill
	s_nop 0
	scratch_store_dwordx4 off, v[32:35], off offset:1684 ; 16-byte Folded Spill
	scratch_store_dwordx4 off, v[36:39], off offset:1700 ; 16-byte Folded Spill
	;; [unrolled: 1-line block ×8, first 2 shown]
	s_nop 0
	scratch_store_dwordx4 off, v[4:7], off offset:1300 ; 16-byte Folded Spill
	scratch_store_dwordx4 off, v[8:11], off offset:1316 ; 16-byte Folded Spill
	;; [unrolled: 1-line block ×7, first 2 shown]
	s_waitcnt lgkmcnt(0)
	v_pk_fma_f32 v[22:23], v[24:25], v[74:75], v[112:113] op_sel_hi:[0,1,1] neg_lo:[1,0,0] neg_hi:[1,0,0]
	v_mov_b32_e32 v101, v24
	v_mov_b32_e32 v110, v22
	;; [unrolled: 1-line block ×3, first 2 shown]
	scratch_store_dwordx4 off, v[88:91], off offset:900 ; 16-byte Folded Spill
	s_nop 0
	scratch_store_dwordx4 off, v[92:95], off offset:916 ; 16-byte Folded Spill
	scratch_store_dwordx4 off, v[96:99], off offset:932 ; 16-byte Folded Spill
	;; [unrolled: 1-line block ×7, first 2 shown]
	scratch_load_dwordx4 v[88:91], off, off offset:4 ; 16-byte Folded Reload
	s_nop 0
	scratch_load_dwordx4 v[92:95], off, off offset:20 ; 16-byte Folded Reload
	scratch_load_dwordx4 v[96:99], off, off offset:36 ; 16-byte Folded Reload
	;; [unrolled: 1-line block ×7, first 2 shown]
	v_mov_b32_e32 v233, v24
	v_mov_b32_e32 v242, v22
	;; [unrolled: 1-line block ×3, first 2 shown]
	s_waitcnt vmcnt(1)
	v_pk_fma_f32 v[244:245], v[24:25], v[76:77], v[112:113] op_sel_hi:[0,1,1] neg_lo:[1,0,0] neg_hi:[1,0,0]
	scratch_load_dwordx4 v[88:91], off, off offset:4 ; 16-byte Folded Reload
	scratch_load_dwordx4 v[92:95], off, off offset:20 ; 16-byte Folded Reload
	;; [unrolled: 1-line block ×8, first 2 shown]
	s_waitcnt vmcnt(4)
	v_mov_b32_e32 v101, v24
	scratch_store_dwordx4 off, v[88:91], off offset:4 ; 16-byte Folded Spill
	s_nop 0
	scratch_store_dwordx4 off, v[92:95], off offset:20 ; 16-byte Folded Spill
	scratch_store_dwordx4 off, v[96:99], off offset:36 ; 16-byte Folded Spill
	;; [unrolled: 1-line block ×3, first 2 shown]
	s_waitcnt vmcnt(7)
	scratch_store_dwordx4 off, v[104:107], off offset:68 ; 16-byte Folded Spill
	s_waitcnt vmcnt(7)
	scratch_store_dwordx4 off, v[108:111], off offset:84 ; 16-byte Folded Spill
	;; [unrolled: 2-line block ×4, first 2 shown]
	v_mov_b32_e32 v88, v156
	v_mov_b32_e32 v89, v157
	;; [unrolled: 1-line block ×25, first 2 shown]
	scratch_store_dwordx4 off, v[88:91], off offset:644 ; 16-byte Folded Spill
	s_nop 0
	scratch_store_dwordx4 off, v[92:95], off offset:660 ; 16-byte Folded Spill
	scratch_store_dwordx4 off, v[96:99], off offset:676 ; 16-byte Folded Spill
	;; [unrolled: 1-line block ×7, first 2 shown]
	scratch_load_dwordx4 v[90:93], off, off offset:4 ; 16-byte Folded Reload
	s_nop 0
	scratch_load_dwordx4 v[94:97], off, off offset:20 ; 16-byte Folded Reload
	scratch_load_dwordx4 v[98:101], off, off offset:36 ; 16-byte Folded Reload
	;; [unrolled: 1-line block ×7, first 2 shown]
	s_waitcnt vmcnt(7)
	v_mov_b32_e32 v90, v156
	v_mov_b32_e32 v91, v157
	v_mov_b32_e32 v92, v158
	v_mov_b32_e32 v93, v159
	s_waitcnt vmcnt(6)
	v_mov_b32_e32 v94, v160
	v_mov_b32_e32 v95, v161
	v_mov_b32_e32 v96, v162
	v_mov_b32_e32 v97, v163
	s_waitcnt vmcnt(5)
	v_mov_b32_e32 v98, v164
	v_mov_b32_e32 v99, v165
	v_mov_b32_e32 v100, v166
	v_mov_b32_e32 v101, v167
	s_waitcnt vmcnt(4)
	v_mov_b32_e32 v102, v168
	s_waitcnt vmcnt(2)
	v_mov_b32_e32 v112, v22
	v_mov_b32_e32 v113, v23
	scratch_store_dwordx4 off, v[156:159], off offset:2692 ; 16-byte Folded Spill
	s_nop 0
	scratch_store_dwordx4 off, v[160:163], off offset:2708 ; 16-byte Folded Spill
	scratch_store_dwordx4 off, v[164:167], off offset:2724 ; 16-byte Folded Spill
	;; [unrolled: 1-line block ×7, first 2 shown]
	v_mov_b32_e32 v104, v218
	v_mov_b32_e32 v105, v219
	;; [unrolled: 1-line block ×8, first 2 shown]
	s_waitcnt vmcnt(9)
	v_mov_b32_e32 v114, v244
	v_mov_b32_e32 v115, v245
	;; [unrolled: 1-line block ×4, first 2 shown]
	scratch_store_dwordx4 off, v[0:3], off offset:132 ; 16-byte Folded Spill
	s_nop 0
	scratch_store_dwordx4 off, v[4:7], off offset:148 ; 16-byte Folded Spill
	scratch_store_dwordx4 off, v[8:11], off offset:164 ; 16-byte Folded Spill
	;; [unrolled: 1-line block ×7, first 2 shown]
	s_nop 0
	v_mov_b32_e32 v24, v218
	scratch_store_dwordx4 off, v[10:13], off offset:1028 ; 16-byte Folded Spill
	s_nop 0
	scratch_store_dwordx4 off, v[14:17], off offset:1044 ; 16-byte Folded Spill
	scratch_store_dwordx4 off, v[18:21], off offset:1060 ; 16-byte Folded Spill
	scratch_store_dwordx4 off, v[22:25], off offset:1076 ; 16-byte Folded Spill
	scratch_store_dwordx4 off, v[26:29], off offset:1092 ; 16-byte Folded Spill
	scratch_store_dwordx4 off, v[30:33], off offset:1108 ; 16-byte Folded Spill
	scratch_store_dwordx4 off, v[34:37], off offset:1124 ; 16-byte Folded Spill
	scratch_store_dwordx4 off, v[38:41], off offset:1140 ; 16-byte Folded Spill
	scratch_store_dwordx4 off, v[204:207], off offset:2052 ; 16-byte Folded Spill
	s_nop 0
	scratch_store_dwordx4 off, v[208:211], off offset:2068 ; 16-byte Folded Spill
	scratch_store_dwordx4 off, v[212:215], off offset:2084 ; 16-byte Folded Spill
	scratch_store_dwordx4 off, v[216:219], off offset:2100 ; 16-byte Folded Spill
	scratch_store_dwordx4 off, v[220:223], off offset:2116 ; 16-byte Folded Spill
	scratch_store_dwordx4 off, v[224:227], off offset:2132 ; 16-byte Folded Spill
	scratch_store_dwordx4 off, v[228:231], off offset:2148 ; 16-byte Folded Spill
	scratch_store_dwordx4 off, v[232:235], off offset:2164 ; 16-byte Folded Spill
	;; [unrolled: 9-line block ×4, first 2 shown]
	v_mov_b32_e32 v138, v72
	scratch_store_dwordx4 off, v[54:57], off offset:1796 ; 16-byte Folded Spill
	s_nop 0
	scratch_store_dwordx4 off, v[58:61], off offset:1812 ; 16-byte Folded Spill
	scratch_store_dwordx4 off, v[62:65], off offset:1828 ; 16-byte Folded Spill
	;; [unrolled: 1-line block ×7, first 2 shown]
	v_mov_b32_e32 v32, v202
	v_mov_b32_e32 v134, v244
	scratch_store_dwordx4 off, v[182:185], off offset:1412 ; 16-byte Folded Spill
	s_nop 0
	scratch_store_dwordx4 off, v[186:189], off offset:1428 ; 16-byte Folded Spill
	scratch_store_dwordx4 off, v[190:193], off offset:1444 ; 16-byte Folded Spill
	;; [unrolled: 1-line block ×8, first 2 shown]
	s_nop 0
	scratch_store_dwordx4 off, v[224:227], off offset:788 ; 16-byte Folded Spill
	scratch_store_dwordx4 off, v[228:231], off offset:804 ; 16-byte Folded Spill
	;; [unrolled: 1-line block ×7, first 2 shown]
	v_mov_b64_e32 v[210:211], v[22:23]
	v_mov_b32_e32 v143, v145
	v_mov_b32_e32 v33, v73
	v_mov_b64_e32 v[208:209], v[20:21]
	v_mov_b64_e32 v[206:207], v[18:19]
	;; [unrolled: 1-line block ×3, first 2 shown]
	v_mov_b32_e32 v152, v210
	v_mov_b32_e32 v153, v211
	v_mov_b32_e32 v135, v203
	v_mov_b64_e32 v[202:203], v[14:15]
	v_mov_b64_e32 v[200:201], v[12:13]
	;; [unrolled: 1-line block ×8, first 2 shown]
	v_mov_b32_e32 v89, v245
.LBB55_73:
	s_or_b64 exec, exec, s[2:3]
	v_cmp_eq_u32_e32 vcc, 14, v255
	s_waitcnt lgkmcnt(0)
	s_barrier
	s_and_saveexec_b64 s[2:3], vcc
	s_cbranch_execz .LBB55_76
; %bb.74:
	scratch_load_dwordx4 v[0:3], off, off offset:1028 ; 16-byte Folded Reload
	scratch_load_dwordx4 v[4:7], off, off offset:1044 ; 16-byte Folded Reload
	;; [unrolled: 1-line block ×8, first 2 shown]
	s_waitcnt vmcnt(4)
	ds_write_b32 v250, v14
	ds_write2_b32 v254, v105, v106 offset0:15 offset1:16
	ds_write2_b32 v254, v107, v108 offset0:17 offset1:18
	;; [unrolled: 1-line block ×6, first 2 shown]
	scratch_load_dwordx4 v[0:3], off, off offset:132 ; 16-byte Folded Reload
	scratch_load_dwordx4 v[4:7], off, off offset:148 ; 16-byte Folded Reload
	;; [unrolled: 1-line block ×8, first 2 shown]
	s_waitcnt vmcnt(1)
	ds_write_b32 v254, v27 offset:108
	s_waitcnt vmcnt(0)
	ds_read_b32 v28, v250
	s_waitcnt lgkmcnt(0)
	v_cmp_neq_f32_e32 vcc, 0, v28
	s_and_b64 exec, exec, vcc
	s_cbranch_execz .LBB55_76
; %bb.75:
	v_div_scale_f32 v29, s[4:5], v28, v28, 1.0
	v_rcp_f32_e32 v30, v29
	v_div_scale_f32 v31, vcc, 1.0, v28, 1.0
	v_fma_f32 v54, -v29, v30, 1.0
	v_fmac_f32_e32 v30, v54, v30
	v_mul_f32_e32 v54, v31, v30
	v_fma_f32 v55, -v29, v54, v31
	v_fmac_f32_e32 v54, v55, v30
	v_fma_f32 v29, -v29, v54, v31
	v_div_fmas_f32 v29, v29, v30, v54
	v_div_fixup_f32 v28, v29, v28, 1.0
	ds_write_b32 v250, v28
.LBB55_76:
	s_or_b64 exec, exec, s[2:3]
	s_waitcnt lgkmcnt(0)
	s_barrier
	ds_read_b32 v244, v250
	v_cmp_lt_u32_e32 vcc, 14, v255
	s_mov_b64 s[2:3], exec
	scratch_load_dwordx4 v[0:3], off, off offset:260 ; 16-byte Folded Reload
	scratch_load_dwordx4 v[4:7], off, off offset:276 ; 16-byte Folded Reload
	;; [unrolled: 1-line block ×8, first 2 shown]
	s_and_b64 s[4:5], s[2:3], vcc
	v_mov_b32_e32 v62, v146
	v_mov_b32_e32 v83, v33
	s_waitcnt vmcnt(4)
	v_mov_b32_e32 v147, v15
	s_mov_b64 exec, s[4:5]
	s_cbranch_execz .LBB55_78
; %bb.77:
	scratch_load_dwordx4 v[28:31], off, off offset:2692 ; 16-byte Folded Reload
	scratch_load_dwordx4 v[32:35], off, off offset:2708 ; 16-byte Folded Reload
	;; [unrolled: 1-line block ×8, first 2 shown]
	s_waitcnt vmcnt(5)
	v_mov_b64_e32 v[72:73], v[38:39]
	v_mov_b64_e32 v[70:71], v[36:37]
	;; [unrolled: 1-line block ×6, first 2 shown]
	scratch_load_dwordx4 v[0:3], off, off offset:1028 ; 16-byte Folded Reload
	scratch_load_dwordx4 v[4:7], off, off offset:1044 ; 16-byte Folded Reload
	;; [unrolled: 1-line block ×8, first 2 shown]
	s_waitcnt vmcnt(7)
	ds_read2_b32 v[0:1], v254 offset0:15 offset1:16
	s_waitcnt vmcnt(6)
	ds_read2_b32 v[4:5], v254 offset0:17 offset1:18
	ds_read2_b32 v[6:7], v254 offset0:19 offset1:20
	s_waitcnt vmcnt(5)
	ds_read2_b32 v[8:9], v254 offset0:21 offset1:22
	v_mov_b32_e32 v2, v105
	v_mov_b32_e32 v3, v106
	v_mov_b64_e32 v[74:75], v[40:41]
	v_mov_b32_e32 v10, v72
	v_mov_b32_e32 v11, v73
	s_waitcnt vmcnt(4)
	v_mov_b32_e32 v12, v74
	v_mov_b32_e32 v13, v75
	;; [unrolled: 1-line block ×16, first 2 shown]
	s_waitcnt lgkmcnt(4)
	v_mul_f32_e32 v76, v14, v244
	s_waitcnt vmcnt(0) lgkmcnt(3)
	v_pk_fma_f32 v[28:29], v[76:77], v[0:1], v[2:3] op_sel_hi:[0,1,1] neg_lo:[1,0,0] neg_hi:[1,0,0]
	v_mov_b32_e32 v0, v107
	v_mov_b32_e32 v1, v108
	s_waitcnt lgkmcnt(2)
	v_pk_fma_f32 v[30:31], v[76:77], v[4:5], v[0:1] op_sel_hi:[0,1,1] neg_lo:[1,0,0] neg_hi:[1,0,0]
	v_mov_b32_e32 v0, v109
	v_mov_b32_e32 v1, v110
	s_waitcnt lgkmcnt(1)
	;; [unrolled: 4-line block ×3, first 2 shown]
	v_pk_fma_f32 v[56:57], v[76:77], v[8:9], v[0:1] op_sel_hi:[0,1,1] neg_lo:[1,0,0] neg_hi:[1,0,0]
	ds_read2_b32 v[0:1], v254 offset0:23 offset1:24
	v_mov_b32_e32 v2, v113
	v_mov_b32_e32 v3, v114
	ds_read2_b32 v[4:5], v254 offset0:25 offset1:26
	ds_read_b32 v6, v254 offset:108
	v_mov_b32_e32 v7, v69
	s_waitcnt lgkmcnt(2)
	v_pk_fma_f32 v[58:59], v[76:77], v[0:1], v[2:3] op_sel_hi:[0,1,1] neg_lo:[1,0,0] neg_hi:[1,0,0]
	v_mov_b32_e32 v0, v115
	v_mov_b32_e32 v1, v116
	scratch_load_dwordx4 v[88:91], off, off offset:132 ; 16-byte Folded Reload
	scratch_load_dwordx4 v[92:95], off, off offset:148 ; 16-byte Folded Reload
	;; [unrolled: 1-line block ×8, first 2 shown]
	s_waitcnt lgkmcnt(1)
	v_pk_fma_f32 v[60:61], v[76:77], v[4:5], v[0:1] op_sel_hi:[0,1,1] neg_lo:[1,0,0] neg_hi:[1,0,0]
	v_mov_b32_e32 v0, v62
	v_mov_b32_e32 v1, v63
	;; [unrolled: 1-line block ×12, first 2 shown]
	s_waitcnt vmcnt(7)
	v_mov_b32_e32 v90, v62
	v_mov_b32_e32 v91, v63
	s_waitcnt vmcnt(6)
	v_mov_b32_e32 v92, v64
	v_mov_b32_e32 v93, v65
	v_mov_b32_e32 v202, v76
	v_mov_b32_e32 v94, v66
	v_mov_b32_e32 v95, v67
	s_waitcnt vmcnt(5)
	v_mov_b32_e32 v96, v68
	v_mov_b32_e32 v97, v69
	v_mov_b32_e32 v98, v70
	v_mov_b32_e32 v99, v71
	s_waitcnt vmcnt(4)
	v_mov_b32_e32 v100, v72
	v_mov_b32_e32 v101, v73
	v_mov_b32_e32 v102, v74
	v_mov_b32_e32 v103, v75
	;; [unrolled: 5-line block ×3, first 2 shown]
	v_mov_b32_e32 v210, v57
	s_waitcnt vmcnt(2)
	v_mov_b32_e32 v109, v54
	v_mov_b32_e32 v110, v55
	v_mov_b32_e32 v111, v56
	s_waitcnt vmcnt(1)
	v_mov_b32_e32 v112, v57
	v_mov_b32_e32 v113, v58
	v_mov_b32_e32 v114, v59
	s_waitcnt vmcnt(0)
	v_mov_b32_e32 v116, v61
	v_mov_b32_e32 v32, v55
	v_mov_b32_e32 v135, v56
	v_mov_b32_e32 v152, v57
	;; [unrolled: 1-line block ×4, first 2 shown]
	s_waitcnt lgkmcnt(0)
	v_fma_f32 v117, -v76, v6, v115
	v_mov_b32_e32 v6, v68
	scratch_store_dwordx4 off, v[0:3], off offset:1156 ; 16-byte Folded Spill
	s_nop 0
	scratch_store_dwordx4 off, v[4:7], off offset:1172 ; 16-byte Folded Spill
	scratch_store_dwordx4 off, v[8:11], off offset:1188 ; 16-byte Folded Spill
	;; [unrolled: 1-line block ×7, first 2 shown]
	v_mov_b32_e32 v115, v60
	v_mov_b32_e32 v17, v30
	scratch_store_dwordx4 off, v[0:3], off offset:1924 ; 16-byte Folded Spill
	s_nop 0
	scratch_store_dwordx4 off, v[4:7], off offset:1940 ; 16-byte Folded Spill
	scratch_store_dwordx4 off, v[8:11], off offset:1956 ; 16-byte Folded Spill
	scratch_store_dwordx4 off, v[12:15], off offset:1972 ; 16-byte Folded Spill
	scratch_store_dwordx4 off, v[16:19], off offset:1988 ; 16-byte Folded Spill
	scratch_store_dwordx4 off, v[20:23], off offset:2004 ; 16-byte Folded Spill
	scratch_store_dwordx4 off, v[24:27], off offset:2020 ; 16-byte Folded Spill
	scratch_store_dwordx4 off, v[28:31], off offset:2036 ; 16-byte Folded Spill
	v_mov_b32_e32 v18, v31
	scratch_store_dwordx4 off, v[0:3], off offset:1796 ; 16-byte Folded Spill
	s_nop 0
	scratch_store_dwordx4 off, v[4:7], off offset:1812 ; 16-byte Folded Spill
	scratch_store_dwordx4 off, v[8:11], off offset:1828 ; 16-byte Folded Spill
	scratch_store_dwordx4 off, v[12:15], off offset:1844 ; 16-byte Folded Spill
	scratch_store_dwordx4 off, v[16:19], off offset:1860 ; 16-byte Folded Spill
	scratch_store_dwordx4 off, v[20:23], off offset:1876 ; 16-byte Folded Spill
	scratch_store_dwordx4 off, v[24:27], off offset:1892 ; 16-byte Folded Spill
	scratch_store_dwordx4 off, v[28:31], off offset:1908 ; 16-byte Folded Spill
	;; [unrolled: 10-line block ×5, first 2 shown]
	v_mov_b32_e32 v22, v57
	v_mov_b32_e32 v23, v58
	;; [unrolled: 1-line block ×6, first 2 shown]
	scratch_store_dwordx4 off, v[0:3], off offset:900 ; 16-byte Folded Spill
	s_nop 0
	scratch_store_dwordx4 off, v[4:7], off offset:916 ; 16-byte Folded Spill
	scratch_store_dwordx4 off, v[8:11], off offset:932 ; 16-byte Folded Spill
	scratch_store_dwordx4 off, v[12:15], off offset:948 ; 16-byte Folded Spill
	scratch_store_dwordx4 off, v[16:19], off offset:964 ; 16-byte Folded Spill
	scratch_store_dwordx4 off, v[20:23], off offset:980 ; 16-byte Folded Spill
	scratch_store_dwordx4 off, v[24:27], off offset:996 ; 16-byte Folded Spill
	scratch_store_dwordx4 off, v[28:31], off offset:1012 ; 16-byte Folded Spill
	s_nop 0
	v_mov_b32_e32 v24, v59
	scratch_store_dwordx4 off, v[0:3], off offset:772 ; 16-byte Folded Spill
	s_nop 0
	scratch_store_dwordx4 off, v[4:7], off offset:788 ; 16-byte Folded Spill
	scratch_store_dwordx4 off, v[8:11], off offset:804 ; 16-byte Folded Spill
	scratch_store_dwordx4 off, v[12:15], off offset:820 ; 16-byte Folded Spill
	scratch_store_dwordx4 off, v[16:19], off offset:836 ; 16-byte Folded Spill
	scratch_store_dwordx4 off, v[20:23], off offset:852 ; 16-byte Folded Spill
	scratch_store_dwordx4 off, v[24:27], off offset:868 ; 16-byte Folded Spill
	scratch_store_dwordx4 off, v[28:31], off offset:884 ; 16-byte Folded Spill
	s_nop 0
	v_mov_b32_e32 v25, v60
	;; [unrolled: 11-line block ×3, first 2 shown]
	v_mov_b32_e32 v27, v117
	scratch_store_dwordx4 off, v[62:65], off offset:2180 ; 16-byte Folded Spill
	s_nop 0
	scratch_store_dwordx4 off, v[66:69], off offset:2196 ; 16-byte Folded Spill
	scratch_store_dwordx4 off, v[70:73], off offset:2212 ; 16-byte Folded Spill
	;; [unrolled: 1-line block ×8, first 2 shown]
	s_nop 0
	scratch_store_dwordx4 off, v[66:69], off offset:2068 ; 16-byte Folded Spill
	scratch_store_dwordx4 off, v[70:73], off offset:2084 ; 16-byte Folded Spill
	;; [unrolled: 1-line block ×7, first 2 shown]
	v_mov_b32_e32 v83, v54
	v_mov_b32_e32 v89, v60
	;; [unrolled: 1-line block ×6, first 2 shown]
	scratch_store_dwordx4 off, v[0:3], off offset:132 ; 16-byte Folded Spill
	s_nop 0
	scratch_store_dwordx4 off, v[4:7], off offset:148 ; 16-byte Folded Spill
	scratch_store_dwordx4 off, v[8:11], off offset:164 ; 16-byte Folded Spill
	;; [unrolled: 1-line block ×7, first 2 shown]
	v_mov_b32_e32 v147, v28
	v_mov_b32_e32 v62, v29
	;; [unrolled: 1-line block ×4, first 2 shown]
.LBB55_78:
	s_or_b64 exec, exec, s[2:3]
	v_cmp_eq_u32_e32 vcc, 15, v255
	s_waitcnt lgkmcnt(0)
	s_barrier
	s_and_saveexec_b64 s[2:3], vcc
	s_cbranch_execz .LBB55_81
; %bb.79:
	ds_write_b32 v250, v147
	ds_write2_b64 v254, v[106:107], v[108:109] offset0:8 offset1:9
	ds_write2_b64 v254, v[110:111], v[112:113] offset0:10 offset1:11
	;; [unrolled: 1-line block ×3, first 2 shown]
	s_waitcnt vmcnt(0)
	ds_read_b32 v28, v250
	s_waitcnt lgkmcnt(0)
	v_cmp_neq_f32_e32 vcc, 0, v28
	s_and_b64 exec, exec, vcc
	s_cbranch_execz .LBB55_81
; %bb.80:
	v_div_scale_f32 v29, s[4:5], v28, v28, 1.0
	v_rcp_f32_e32 v30, v29
	v_div_scale_f32 v31, vcc, 1.0, v28, 1.0
	v_fma_f32 v54, -v29, v30, 1.0
	v_fmac_f32_e32 v30, v54, v30
	v_mul_f32_e32 v54, v31, v30
	v_fma_f32 v55, -v29, v54, v31
	v_fmac_f32_e32 v54, v55, v30
	v_fma_f32 v29, -v29, v54, v31
	v_div_fmas_f32 v29, v29, v30, v54
	v_div_fixup_f32 v28, v29, v28, 1.0
	ds_write_b32 v250, v28
.LBB55_81:
	s_or_b64 exec, exec, s[2:3]
	s_waitcnt lgkmcnt(0)
	s_barrier
	ds_read_b32 v245, v250
	v_cmp_lt_u32_e32 vcc, 15, v255
	s_and_saveexec_b64 s[2:3], vcc
	s_cbranch_execz .LBB55_83
; %bb.82:
	ds_read2_b64 v[2:5], v254 offset0:8 offset1:9
	ds_read2_b64 v[6:9], v254 offset0:10 offset1:11
	;; [unrolled: 1-line block ×3, first 2 shown]
	scratch_load_dwordx4 v[204:207], off, off offset:2052 ; 16-byte Folded Reload
	scratch_load_dwordx4 v[208:211], off, off offset:2068 ; 16-byte Folded Reload
	;; [unrolled: 1-line block ×8, first 2 shown]
	s_waitcnt lgkmcnt(3)
	v_mul_f32_e32 v0, v147, v245
	s_waitcnt lgkmcnt(2)
	v_pk_fma_f32 v[144:145], v[0:1], v[2:3], v[106:107] op_sel_hi:[0,1,1] neg_lo:[1,0,0] neg_hi:[1,0,0]
	v_mov_b32_e32 v43, v0
	v_mov_b32_e32 v44, v144
	;; [unrolled: 1-line block ×3, first 2 shown]
	v_pk_fma_f32 v[72:73], v[0:1], v[4:5], v[108:109] op_sel_hi:[0,1,1] neg_lo:[1,0,0] neg_hi:[1,0,0]
	s_waitcnt lgkmcnt(1)
	v_pk_fma_f32 v[202:203], v[0:1], v[6:7], v[110:111] op_sel_hi:[0,1,1] neg_lo:[1,0,0] neg_hi:[1,0,0]
	s_waitcnt lgkmcnt(0)
	v_pk_fma_f32 v[116:117], v[0:1], v[12:13], v[116:117] op_sel_hi:[0,1,1] neg_lo:[1,0,0] neg_hi:[1,0,0]
	s_waitcnt vmcnt(9)
	v_mov_b32_e32 v27, v0
	v_pk_fma_f32 v[242:243], v[0:1], v[8:9], v[112:113] op_sel_hi:[0,1,1] neg_lo:[1,0,0] neg_hi:[1,0,0]
	v_mov_b32_e32 v103, v0
	v_mov_b32_e32 v104, v144
	;; [unrolled: 1-line block ×9, first 2 shown]
	s_waitcnt vmcnt(4)
	v_mov_b32_e32 v219, v0
	s_waitcnt vmcnt(0)
	v_mov_b32_e32 v235, v0
	v_mov_b32_e32 v143, v0
	v_mov_b32_e32 v69, v0
	v_mov_b32_e32 v70, v144
	v_mov_b32_e32 v71, v145
	v_mov_b32_e32 v197, v0
	v_mov_b32_e32 v198, v144
	v_mov_b32_e32 v199, v145
	v_mov_b32_e32 v200, v72
	v_mov_b32_e32 v201, v73
	v_mov_b32_e32 v236, v144
	v_mov_b32_e32 v237, v145
	v_mov_b32_e32 v171, v0
	v_mov_b32_e32 v172, v144
	v_mov_b32_e32 v173, v145
	v_mov_b32_e32 v238, v72
	v_mov_b32_e32 v239, v73
	v_mov_b32_e32 v240, v202
	v_mov_b32_e32 v241, v203
	v_mov_b32_e32 v174, v72
	v_mov_b32_e32 v175, v73
	v_mov_b32_e32 v176, v202
	v_mov_b32_e32 v177, v203
	v_mov_b32_e32 v178, v242
	v_mov_b32_e32 v179, v243
	v_mov_b32_e32 v28, v204
	v_mov_b32_e32 v29, v205
	v_mov_b32_e32 v30, v206
	v_mov_b32_e32 v31, v207
	v_mov_b32_e32 v32, v208
	v_mov_b32_e32 v33, v209
	v_mov_b32_e32 v34, v210
	v_mov_b32_e32 v35, v211
	v_mov_b32_e32 v36, v212
	v_mov_b32_e32 v37, v213
	v_mov_b32_e32 v38, v214
	v_mov_b32_e32 v39, v215
	v_mov_b32_e32 v40, v216
	v_mov_b32_e32 v41, v217
	v_mov_b32_e32 v42, v218
	scratch_store_dwordx4 off, v[28:31], off offset:1924 ; 16-byte Folded Spill
	s_nop 0
	scratch_store_dwordx4 off, v[32:35], off offset:1940 ; 16-byte Folded Spill
	scratch_store_dwordx4 off, v[36:39], off offset:1956 ; 16-byte Folded Spill
	;; [unrolled: 1-line block ×7, first 2 shown]
	v_mov_b32_e32 v46, v72
	v_mov_b32_e32 v54, v204
	;; [unrolled: 1-line block ×60, first 2 shown]
	scratch_store_dwordx4 off, v[28:31], off offset:1668 ; 16-byte Folded Spill
	s_nop 0
	scratch_store_dwordx4 off, v[32:35], off offset:1684 ; 16-byte Folded Spill
	scratch_store_dwordx4 off, v[36:39], off offset:1700 ; 16-byte Folded Spill
	;; [unrolled: 1-line block ×7, first 2 shown]
	v_mov_b32_e32 v28, v144
	v_mov_b32_e32 v29, v145
	v_mov_b32_e32 v30, v72
	v_mov_b32_e32 v31, v73
	v_mov_b32_e32 v32, v202
	v_mov_b32_e32 v33, v203
	v_mov_b32_e32 v135, v211
	v_mov_b32_e32 v136, v212
	v_mov_b32_e32 v137, v213
	v_mov_b32_e32 v138, v214
	v_mov_b32_e32 v139, v215
	v_mov_b32_e32 v140, v216
	v_mov_b32_e32 v141, v217
	v_mov_b32_e32 v142, v218
	v_mov_b32_e32 v60, v210
	v_mov_b32_e32 v61, v211
	v_mov_b32_e32 v62, v212
	v_mov_b32_e32 v63, v213
	v_mov_b32_e32 v64, v214
	v_mov_b32_e32 v65, v215
	v_mov_b32_e32 v66, v216
	v_mov_b32_e32 v67, v217
	v_mov_b32_e32 v68, v218
	v_mov_b32_e32 v182, v204
	v_mov_b32_e32 v183, v205
	v_mov_b32_e32 v184, v206
	v_mov_b32_e32 v185, v207
	v_mov_b32_e32 v186, v208
	v_mov_b32_e32 v187, v209
	v_mov_b32_e32 v188, v210
	v_mov_b32_e32 v189, v211
	v_mov_b32_e32 v190, v212
	v_mov_b32_e32 v191, v213
	v_mov_b32_e32 v192, v214
	v_mov_b32_e32 v193, v215
	v_mov_b32_e32 v194, v216
	v_mov_b32_e32 v195, v217
	v_mov_b32_e32 v196, v218
	v_mov_b32_e32 v156, v204
	v_mov_b32_e32 v157, v205
	v_mov_b32_e32 v158, v206
	v_mov_b32_e32 v159, v207
	v_mov_b32_e32 v160, v208
	v_mov_b32_e32 v161, v209
	v_mov_b32_e32 v162, v210
	v_mov_b32_e32 v163, v211
	v_mov_b32_e32 v164, v212
	v_mov_b32_e32 v165, v213
	v_mov_b32_e32 v166, v214
	v_mov_b32_e32 v167, v215
	v_mov_b32_e32 v168, v216
	v_mov_b32_e32 v169, v217
	v_mov_b32_e32 v170, v218
	scratch_store_dwordx4 off, v[12:15], off offset:1284 ; 16-byte Folded Spill
	s_nop 0
	scratch_store_dwordx4 off, v[16:19], off offset:1300 ; 16-byte Folded Spill
	scratch_store_dwordx4 off, v[20:23], off offset:1316 ; 16-byte Folded Spill
	scratch_store_dwordx4 off, v[24:27], off offset:1332 ; 16-byte Folded Spill
	scratch_store_dwordx4 off, v[28:31], off offset:1348 ; 16-byte Folded Spill
	scratch_store_dwordx4 off, v[32:35], off offset:1364 ; 16-byte Folded Spill
	scratch_store_dwordx4 off, v[36:39], off offset:1380 ; 16-byte Folded Spill
	scratch_store_dwordx4 off, v[40:43], off offset:1396 ; 16-byte Folded Spill
	v_mov_b64_e32 v[24:25], v[114:115]
	v_mov_b64_e32 v[26:27], v[116:117]
	scratch_store_dwordx4 off, v[88:91], off offset:900 ; 16-byte Folded Spill
	s_nop 0
	scratch_store_dwordx4 off, v[92:95], off offset:916 ; 16-byte Folded Spill
	scratch_store_dwordx4 off, v[96:99], off offset:932 ; 16-byte Folded Spill
	;; [unrolled: 1-line block ×7, first 2 shown]
	v_pk_fma_f32 v[180:181], v[0:1], v[10:11], v[24:25] op_sel_hi:[0,1,1] neg_lo:[1,0,0] neg_hi:[1,0,0]
	v_mov_b32_e32 v112, v180
	v_mov_b32_e32 v113, v181
	;; [unrolled: 1-line block ×3, first 2 shown]
	scratch_store_dwordx4 off, v[88:91], off offset:644 ; 16-byte Folded Spill
	s_nop 0
	scratch_store_dwordx4 off, v[92:95], off offset:660 ; 16-byte Folded Spill
	scratch_store_dwordx4 off, v[96:99], off offset:676 ; 16-byte Folded Spill
	;; [unrolled: 1-line block ×7, first 2 shown]
	v_mov_b32_e32 v90, v204
	v_mov_b32_e32 v91, v205
	;; [unrolled: 1-line block ×15, first 2 shown]
	scratch_store_dwordx4 off, v[204:207], off offset:2180 ; 16-byte Folded Spill
	s_nop 0
	scratch_store_dwordx4 off, v[208:211], off offset:2196 ; 16-byte Folded Spill
	scratch_store_dwordx4 off, v[212:215], off offset:2212 ; 16-byte Folded Spill
	;; [unrolled: 1-line block ×7, first 2 shown]
	v_mov_b32_e32 v105, v0
	v_mov_b32_e32 v106, v144
	;; [unrolled: 1-line block ×13, first 2 shown]
	scratch_store_dwordx4 off, v[0:3], off offset:132 ; 16-byte Folded Spill
	s_nop 0
	scratch_store_dwordx4 off, v[4:7], off offset:148 ; 16-byte Folded Spill
	scratch_store_dwordx4 off, v[8:11], off offset:164 ; 16-byte Folded Spill
	;; [unrolled: 1-line block ×8, first 2 shown]
	s_nop 0
	scratch_store_dwordx4 off, v[132:135], off offset:1172 ; 16-byte Folded Spill
	scratch_store_dwordx4 off, v[136:139], off offset:1188 ; 16-byte Folded Spill
	;; [unrolled: 1-line block ×7, first 2 shown]
	v_mov_b32_e32 v138, v72
	scratch_store_dwordx4 off, v[54:57], off offset:1796 ; 16-byte Folded Spill
	s_nop 0
	scratch_store_dwordx4 off, v[58:61], off offset:1812 ; 16-byte Folded Spill
	scratch_store_dwordx4 off, v[62:65], off offset:1828 ; 16-byte Folded Spill
	;; [unrolled: 1-line block ×8, first 2 shown]
	s_nop 0
	scratch_store_dwordx4 off, v[186:189], off offset:1428 ; 16-byte Folded Spill
	scratch_store_dwordx4 off, v[190:193], off offset:1444 ; 16-byte Folded Spill
	;; [unrolled: 1-line block ×7, first 2 shown]
	v_mov_b32_e32 v134, v180
	v_mov_b64_e32 v[204:205], v[236:237]
	v_mov_b64_e32 v[210:211], v[242:243]
	;; [unrolled: 1-line block ×4, first 2 shown]
	v_mov_b32_e32 v152, v210
	v_mov_b32_e32 v153, v211
	scratch_store_dwordx4 off, v[156:159], off offset:772 ; 16-byte Folded Spill
	s_nop 0
	scratch_store_dwordx4 off, v[160:163], off offset:788 ; 16-byte Folded Spill
	scratch_store_dwordx4 off, v[164:167], off offset:804 ; 16-byte Folded Spill
	;; [unrolled: 1-line block ×7, first 2 shown]
	v_mov_b32_e32 v135, v203
	v_mov_b64_e32 v[188:189], v[220:221]
	v_mov_b32_e32 v143, v145
	v_mov_b32_e32 v83, v73
	v_mov_b64_e32 v[190:191], v[222:223]
	v_mov_b64_e32 v[192:193], v[224:225]
	;; [unrolled: 1-line block ×7, first 2 shown]
	v_mov_b32_e32 v62, v144
	v_mov_b32_e32 v89, v181
.LBB55_83:
	s_or_b64 exec, exec, s[2:3]
	v_cmp_eq_u32_e32 vcc, 16, v255
	s_waitcnt lgkmcnt(0)
	s_barrier
	s_and_saveexec_b64 s[2:3], vcc
	s_cbranch_execz .LBB55_86
; %bb.84:
	ds_write_b32 v250, v62
	ds_write2_b32 v254, v107, v108 offset0:17 offset1:18
	ds_write2_b32 v254, v109, v110 offset0:19 offset1:20
	;; [unrolled: 1-line block ×5, first 2 shown]
	scratch_load_dwordx4 v[0:3], off, off offset:132 ; 16-byte Folded Reload
	scratch_load_dwordx4 v[4:7], off, off offset:148 ; 16-byte Folded Reload
	;; [unrolled: 1-line block ×8, first 2 shown]
	s_waitcnt vmcnt(1)
	ds_write_b32 v254, v27 offset:108
	s_waitcnt vmcnt(0)
	ds_read_b32 v28, v250
	s_waitcnt lgkmcnt(0)
	v_cmp_neq_f32_e32 vcc, 0, v28
	s_and_b64 exec, exec, vcc
	s_cbranch_execz .LBB55_86
; %bb.85:
	v_div_scale_f32 v29, s[4:5], v28, v28, 1.0
	v_rcp_f32_e32 v30, v29
	v_div_scale_f32 v31, vcc, 1.0, v28, 1.0
	v_fma_f32 v54, -v29, v30, 1.0
	v_fmac_f32_e32 v30, v54, v30
	v_mul_f32_e32 v54, v31, v30
	v_fma_f32 v55, -v29, v54, v31
	v_fmac_f32_e32 v54, v55, v30
	v_fma_f32 v29, -v29, v54, v31
	v_div_fmas_f32 v29, v29, v30, v54
	v_div_fixup_f32 v28, v29, v28, 1.0
	ds_write_b32 v250, v28
.LBB55_86:
	s_or_b64 exec, exec, s[2:3]
	s_waitcnt lgkmcnt(0)
	s_barrier
	ds_read_b32 v249, v250
	v_cmp_lt_u32_e32 vcc, 16, v255
	s_and_saveexec_b64 s[2:3], vcc
	s_cbranch_execz .LBB55_88
; %bb.87:
	scratch_load_dwordx4 v[28:31], off, off offset:2180 ; 16-byte Folded Reload
	scratch_load_dwordx4 v[32:35], off, off offset:2196 ; 16-byte Folded Reload
	;; [unrolled: 1-line block ×8, first 2 shown]
	ds_read2_b32 v[0:1], v254 offset0:17 offset1:18
	ds_read2_b32 v[4:5], v254 offset0:19 offset1:20
	;; [unrolled: 1-line block ×4, first 2 shown]
	s_waitcnt lgkmcnt(4)
	v_mul_f32_e32 v80, v62, v249
	v_mov_b32_e32 v2, v107
	v_mov_b32_e32 v3, v108
	s_waitcnt vmcnt(1) lgkmcnt(3)
	v_pk_fma_f32 v[54:55], v[80:81], v[0:1], v[2:3] op_sel_hi:[0,1,1] neg_lo:[1,0,0] neg_hi:[1,0,0]
	v_mov_b32_e32 v0, v109
	v_mov_b32_e32 v1, v110
	s_waitcnt vmcnt(0) lgkmcnt(2)
	v_pk_fma_f32 v[56:57], v[80:81], v[4:5], v[0:1] op_sel_hi:[0,1,1] neg_lo:[1,0,0] neg_hi:[1,0,0]
	v_mov_b32_e32 v0, v111
	v_mov_b32_e32 v1, v112
	s_waitcnt lgkmcnt(1)
	v_pk_fma_f32 v[58:59], v[80:81], v[6:7], v[0:1] op_sel_hi:[0,1,1] neg_lo:[1,0,0] neg_hi:[1,0,0]
	v_mov_b32_e32 v1, v114
	v_mov_b32_e32 v0, v113
	ds_read2_b32 v[2:3], v254 offset0:25 offset1:26
	ds_read_b32 v4, v254 offset:108
	s_waitcnt lgkmcnt(2)
	v_pk_fma_f32 v[60:61], v[80:81], v[8:9], v[0:1] op_sel_hi:[0,1,1] neg_lo:[1,0,0] neg_hi:[1,0,0]
	v_mov_b32_e32 v1, v116
	v_mov_b32_e32 v0, v115
	s_waitcnt lgkmcnt(1)
	v_pk_fma_f32 v[62:63], v[80:81], v[2:3], v[0:1] op_sel_hi:[0,1,1] neg_lo:[1,0,0] neg_hi:[1,0,0]
	v_mov_b32_e32 v81, v54
	v_mov_b32_e32 v204, v80
	;; [unrolled: 1-line block ×14, first 2 shown]
	v_mov_b64_e32 v[78:79], v[42:43]
	v_mov_b64_e32 v[76:77], v[40:41]
	;; [unrolled: 1-line block ×8, first 2 shown]
	scratch_load_dwordx4 v[6:9], off, off offset:132 ; 16-byte Folded Reload
	scratch_load_dwordx4 v[10:13], off, off offset:148 ; 16-byte Folded Reload
	;; [unrolled: 1-line block ×8, first 2 shown]
	v_mov_b32_e32 v0, v64
	v_mov_b32_e32 v1, v65
	;; [unrolled: 1-line block ×5, first 2 shown]
	s_waitcnt vmcnt(7)
	v_mov_b32_e32 v6, v70
	v_mov_b32_e32 v7, v71
	v_mov_b32_e32 v8, v72
	v_mov_b32_e32 v9, v73
	s_waitcnt vmcnt(6)
	v_mov_b32_e32 v10, v74
	v_mov_b32_e32 v11, v75
	v_mov_b32_e32 v12, v76
	v_mov_b32_e32 v13, v77
	;; [unrolled: 5-line block ×4, first 2 shown]
	v_mov_b32_e32 v191, v67
	v_mov_b32_e32 v192, v68
	v_mov_b32_e32 v193, v69
	v_mov_b32_e32 v194, v70
	v_mov_b32_e32 v195, v71
	v_mov_b32_e32 v196, v72
	v_mov_b32_e32 v197, v73
	v_mov_b32_e32 v198, v74
	v_mov_b32_e32 v199, v75
	v_mov_b32_e32 v200, v76
	v_mov_b32_e32 v201, v77
	v_mov_b32_e32 v202, v78
	v_mov_b32_e32 v203, v79
	s_waitcnt vmcnt(1)
	v_mov_b32_e32 v32, v57
	v_mov_b32_e32 v27, v33
	s_waitcnt lgkmcnt(0)
	v_fma_f32 v27, -v80, v4, v27
	v_mov_b32_e32 v4, v68
	scratch_store_dwordx4 off, v[0:3], off offset:1796 ; 16-byte Folded Spill
	s_nop 0
	scratch_store_dwordx4 off, v[4:7], off offset:1812 ; 16-byte Folded Spill
	scratch_store_dwordx4 off, v[8:11], off offset:1828 ; 16-byte Folded Spill
	scratch_store_dwordx4 off, v[12:15], off offset:1844 ; 16-byte Folded Spill
	scratch_store_dwordx4 off, v[16:19], off offset:1860 ; 16-byte Folded Spill
	scratch_store_dwordx4 off, v[20:23], off offset:1876 ; 16-byte Folded Spill
	scratch_store_dwordx4 off, v[24:27], off offset:1892 ; 16-byte Folded Spill
	scratch_store_dwordx4 off, v[28:31], off offset:1908 ; 16-byte Folded Spill
	v_mov_b32_e32 v19, v56
	scratch_store_dwordx4 off, v[0:3], off offset:1668 ; 16-byte Folded Spill
	s_nop 0
	scratch_store_dwordx4 off, v[4:7], off offset:1684 ; 16-byte Folded Spill
	scratch_store_dwordx4 off, v[8:11], off offset:1700 ; 16-byte Folded Spill
	scratch_store_dwordx4 off, v[12:15], off offset:1716 ; 16-byte Folded Spill
	scratch_store_dwordx4 off, v[16:19], off offset:1732 ; 16-byte Folded Spill
	scratch_store_dwordx4 off, v[20:23], off offset:1748 ; 16-byte Folded Spill
	scratch_store_dwordx4 off, v[24:27], off offset:1764 ; 16-byte Folded Spill
	scratch_store_dwordx4 off, v[28:31], off offset:1780 ; 16-byte Folded Spill
	v_mov_b32_e32 v20, v57
	scratch_store_dwordx4 off, v[0:3], off offset:1412 ; 16-byte Folded Spill
	s_nop 0
	scratch_store_dwordx4 off, v[4:7], off offset:1428 ; 16-byte Folded Spill
	scratch_store_dwordx4 off, v[8:11], off offset:1444 ; 16-byte Folded Spill
	scratch_store_dwordx4 off, v[12:15], off offset:1460 ; 16-byte Folded Spill
	scratch_store_dwordx4 off, v[16:19], off offset:1476 ; 16-byte Folded Spill
	scratch_store_dwordx4 off, v[20:23], off offset:1492 ; 16-byte Folded Spill
	scratch_store_dwordx4 off, v[24:27], off offset:1508 ; 16-byte Folded Spill
	scratch_store_dwordx4 off, v[28:31], off offset:1524 ; 16-byte Folded Spill
	v_mov_b32_e32 v21, v58
	scratch_store_dwordx4 off, v[0:3], off offset:1284 ; 16-byte Folded Spill
	s_nop 0
	scratch_store_dwordx4 off, v[4:7], off offset:1300 ; 16-byte Folded Spill
	scratch_store_dwordx4 off, v[8:11], off offset:1316 ; 16-byte Folded Spill
	scratch_store_dwordx4 off, v[12:15], off offset:1332 ; 16-byte Folded Spill
	scratch_store_dwordx4 off, v[16:19], off offset:1348 ; 16-byte Folded Spill
	scratch_store_dwordx4 off, v[20:23], off offset:1364 ; 16-byte Folded Spill
	scratch_store_dwordx4 off, v[24:27], off offset:1380 ; 16-byte Folded Spill
	scratch_store_dwordx4 off, v[28:31], off offset:1396 ; 16-byte Folded Spill
	v_mov_b32_e32 v22, v59
	v_mov_b32_e32 v23, v60
	scratch_store_dwordx4 off, v[0:3], off offset:900 ; 16-byte Folded Spill
	s_nop 0
	scratch_store_dwordx4 off, v[4:7], off offset:916 ; 16-byte Folded Spill
	scratch_store_dwordx4 off, v[8:11], off offset:932 ; 16-byte Folded Spill
	;; [unrolled: 1-line block ×7, first 2 shown]
	s_nop 0
	v_mov_b32_e32 v24, v61
	scratch_store_dwordx4 off, v[0:3], off offset:772 ; 16-byte Folded Spill
	s_nop 0
	scratch_store_dwordx4 off, v[4:7], off offset:788 ; 16-byte Folded Spill
	scratch_store_dwordx4 off, v[8:11], off offset:804 ; 16-byte Folded Spill
	;; [unrolled: 1-line block ×7, first 2 shown]
	s_nop 0
	v_mov_b32_e32 v25, v62
	scratch_store_dwordx4 off, v[0:3], off offset:644 ; 16-byte Folded Spill
	s_nop 0
	scratch_store_dwordx4 off, v[4:7], off offset:660 ; 16-byte Folded Spill
	scratch_store_dwordx4 off, v[8:11], off offset:676 ; 16-byte Folded Spill
	scratch_store_dwordx4 off, v[12:15], off offset:692 ; 16-byte Folded Spill
	scratch_store_dwordx4 off, v[16:19], off offset:708 ; 16-byte Folded Spill
	scratch_store_dwordx4 off, v[20:23], off offset:724 ; 16-byte Folded Spill
	scratch_store_dwordx4 off, v[24:27], off offset:740 ; 16-byte Folded Spill
	scratch_store_dwordx4 off, v[28:31], off offset:756 ; 16-byte Folded Spill
	scratch_store_dwordx4 off, v[64:67], off offset:1924 ; 16-byte Folded Spill
	s_nop 0
	scratch_store_dwordx4 off, v[68:71], off offset:1940 ; 16-byte Folded Spill
	scratch_store_dwordx4 off, v[72:75], off offset:1956 ; 16-byte Folded Spill
	scratch_store_dwordx4 off, v[76:79], off offset:1972 ; 16-byte Folded Spill
	scratch_store_dwordx4 off, v[80:83], off offset:1988 ; 16-byte Folded Spill
	scratch_store_dwordx4 off, v[84:87], off offset:2004 ; 16-byte Folded Spill
	scratch_store_dwordx4 off, v[88:91], off offset:2020 ; 16-byte Folded Spill
	scratch_store_dwordx4 off, v[92:95], off offset:2036 ; 16-byte Folded Spill
	;; [unrolled: 9-line block ×3, first 2 shown]
	v_mov_b32_e32 v26, v63
	v_mov_b32_e32 v83, v56
	;; [unrolled: 1-line block ×3, first 2 shown]
	v_mov_b64_e32 v[120:121], v[30:31]
	v_mov_b64_e32 v[116:117], v[26:27]
	;; [unrolled: 1-line block ×16, first 2 shown]
	scratch_store_dwordx4 off, v[0:3], off offset:132 ; 16-byte Folded Spill
	s_nop 0
	scratch_store_dwordx4 off, v[4:7], off offset:148 ; 16-byte Folded Spill
	scratch_store_dwordx4 off, v[8:11], off offset:164 ; 16-byte Folded Spill
	;; [unrolled: 1-line block ×7, first 2 shown]
.LBB55_88:
	s_or_b64 exec, exec, s[2:3]
	v_cmp_eq_u32_e32 vcc, 17, v255
	s_waitcnt lgkmcnt(0)
	s_barrier
	s_and_saveexec_b64 s[2:3], vcc
	s_cbranch_execz .LBB55_91
; %bb.89:
	ds_write_b32 v250, v143
	ds_write2_b64 v254, v[108:109], v[110:111] offset0:9 offset1:10
	ds_write2_b64 v254, v[112:113], v[114:115] offset0:11 offset1:12
	ds_write_b64 v254, v[116:117] offset:104
	s_waitcnt vmcnt(0)
	ds_read_b32 v28, v250
	s_waitcnt lgkmcnt(0)
	v_cmp_neq_f32_e32 vcc, 0, v28
	s_and_b64 exec, exec, vcc
	s_cbranch_execz .LBB55_91
; %bb.90:
	v_div_scale_f32 v29, s[4:5], v28, v28, 1.0
	v_rcp_f32_e32 v30, v29
	v_div_scale_f32 v31, vcc, 1.0, v28, 1.0
	v_fma_f32 v54, -v29, v30, 1.0
	v_fmac_f32_e32 v30, v54, v30
	v_mul_f32_e32 v54, v31, v30
	v_fma_f32 v55, -v29, v54, v31
	v_fmac_f32_e32 v54, v55, v30
	v_fma_f32 v29, -v29, v54, v31
	v_div_fmas_f32 v29, v29, v30, v54
	v_div_fixup_f32 v28, v29, v28, 1.0
	ds_write_b32 v250, v28
.LBB55_91:
	s_or_b64 exec, exec, s[2:3]
	s_waitcnt lgkmcnt(0)
	s_barrier
	ds_read_b32 v251, v250
	v_cmp_lt_u32_e32 vcc, 17, v255
	s_and_saveexec_b64 s[2:3], vcc
	s_cbranch_execz .LBB55_93
; %bb.92:
	ds_read2_b64 v[2:5], v254 offset0:9 offset1:10
	ds_read2_b64 v[6:9], v254 offset0:11 offset1:12
	s_waitcnt lgkmcnt(2)
	v_mul_f32_e32 v0, v143, v251
	v_mov_b32_e32 v10, v108
	v_mov_b32_e32 v11, v109
	s_waitcnt lgkmcnt(1)
	v_pk_fma_f32 v[82:83], v[0:1], v[2:3], v[10:11] op_sel_hi:[0,1,1] neg_lo:[1,0,0] neg_hi:[1,0,0]
	scratch_load_dwordx4 v[10:13], off, off offset:1156 ; 16-byte Folded Reload
	scratch_load_dwordx4 v[14:17], off, off offset:1172 ; 16-byte Folded Reload
	;; [unrolled: 1-line block ×8, first 2 shown]
	v_mov_b32_e32 v45, v0
	v_mov_b32_e32 v46, v82
	;; [unrolled: 1-line block ×5, first 2 shown]
	v_pk_fma_f32 v[208:209], v[0:1], v[4:5], v[2:3] op_sel_hi:[0,1,1] neg_lo:[1,0,0] neg_hi:[1,0,0]
	v_mov_b32_e32 v2, v112
	v_mov_b32_e32 v3, v113
	s_waitcnt lgkmcnt(0)
	v_pk_fma_f32 v[242:243], v[0:1], v[6:7], v[2:3] op_sel_hi:[0,1,1] neg_lo:[1,0,0] neg_hi:[1,0,0]
	v_mov_b32_e32 v105, v0
	v_mov_b32_e32 v106, v82
	;; [unrolled: 1-line block ×11, first 2 shown]
	v_pk_fma_f32 v[180:181], v[0:1], v[8:9], v[2:3] op_sel_hi:[0,1,1] neg_lo:[1,0,0] neg_hi:[1,0,0]
	s_waitcnt vmcnt(3)
	v_mov_b32_e32 v27, v0
	v_mov_b32_e32 v145, v0
	;; [unrolled: 1-line block ×28, first 2 shown]
	s_waitcnt vmcnt(2)
	v_mov_b32_e32 v30, v12
	v_mov_b32_e32 v31, v13
	v_mov_b32_e32 v32, v14
	v_mov_b32_e32 v33, v15
	s_waitcnt vmcnt(1)
	v_mov_b32_e32 v34, v16
	v_mov_b32_e32 v35, v17
	v_mov_b32_e32 v36, v18
	v_mov_b32_e32 v37, v19
	;; [unrolled: 5-line block ×3, first 2 shown]
	v_mov_b32_e32 v42, v24
	v_mov_b32_e32 v43, v25
	;; [unrolled: 1-line block ×3, first 2 shown]
	scratch_store_dwordx4 off, v[28:31], off offset:1668 ; 16-byte Folded Spill
	s_nop 0
	scratch_store_dwordx4 off, v[32:35], off offset:1684 ; 16-byte Folded Spill
	scratch_store_dwordx4 off, v[36:39], off offset:1700 ; 16-byte Folded Spill
	;; [unrolled: 1-line block ×7, first 2 shown]
	v_mov_b32_e32 v48, v208
	v_mov_b32_e32 v49, v209
	;; [unrolled: 1-line block ×59, first 2 shown]
	scratch_store_dwordx4 off, v[28:31], off offset:1284 ; 16-byte Folded Spill
	s_nop 0
	scratch_store_dwordx4 off, v[32:35], off offset:1300 ; 16-byte Folded Spill
	scratch_store_dwordx4 off, v[36:39], off offset:1316 ; 16-byte Folded Spill
	scratch_store_dwordx4 off, v[40:43], off offset:1332 ; 16-byte Folded Spill
	scratch_store_dwordx4 off, v[44:47], off offset:1348 ; 16-byte Folded Spill
	scratch_store_dwordx4 off, v[48:51], off offset:1364 ; 16-byte Folded Spill
	scratch_store_dwordx4 off, v[52:55], off offset:1380 ; 16-byte Folded Spill
	scratch_store_dwordx4 off, v[56:59], off offset:1396 ; 16-byte Folded Spill
	scratch_store_dwordx4 off, v[88:91], off offset:900 ; 16-byte Folded Spill
	s_nop 0
	scratch_store_dwordx4 off, v[92:95], off offset:916 ; 16-byte Folded Spill
	scratch_store_dwordx4 off, v[96:99], off offset:932 ; 16-byte Folded Spill
	;; [unrolled: 1-line block ×7, first 2 shown]
	v_mov_b32_e32 v226, v16
	v_mov_b32_e32 v112, v180
	;; [unrolled: 1-line block ×30, first 2 shown]
	ds_read_b64 v[2:3], v254 offset:104
	v_mov_b32_e32 v128, v10
	v_mov_b32_e32 v129, v11
	v_mov_b32_e32 v130, v12
	v_mov_b32_e32 v131, v13
	v_mov_b32_e32 v132, v14
	v_mov_b32_e32 v133, v15
	v_mov_b32_e32 v134, v16
	v_mov_b32_e32 v135, v17
	v_mov_b32_e32 v136, v18
	v_mov_b32_e32 v137, v19
	v_mov_b32_e32 v138, v20
	v_mov_b32_e32 v139, v21
	v_mov_b32_e32 v140, v22
	v_mov_b32_e32 v141, v23
	v_mov_b32_e32 v142, v24
	v_mov_b32_e32 v143, v25
	v_mov_b32_e32 v144, v26
	s_waitcnt lgkmcnt(0)
	v_pk_fma_f32 v[154:155], v[0:1], v[2:3], v[4:5] op_sel_hi:[0,1,1] neg_lo:[1,0,0] neg_hi:[1,0,0]
	scratch_store_dwordx4 off, v[88:91], off offset:644 ; 16-byte Folded Spill
	s_nop 0
	scratch_store_dwordx4 off, v[92:95], off offset:660 ; 16-byte Folded Spill
	scratch_store_dwordx4 off, v[96:99], off offset:676 ; 16-byte Folded Spill
	;; [unrolled: 1-line block ×8, first 2 shown]
	s_nop 0
	scratch_store_dwordx4 off, v[14:17], off offset:1940 ; 16-byte Folded Spill
	scratch_store_dwordx4 off, v[18:21], off offset:1956 ; 16-byte Folded Spill
	;; [unrolled: 1-line block ×7, first 2 shown]
	v_mov_b64_e32 v[90:91], v[128:129]
	v_mov_b64_e32 v[26:27], v[154:155]
	;; [unrolled: 1-line block ×17, first 2 shown]
	v_mov_b32_e32 v138, v82
	v_mov_b32_e32 v32, v208
	;; [unrolled: 1-line block ×3, first 2 shown]
	scratch_store_dwordx4 off, v[0:3], off offset:132 ; 16-byte Folded Spill
	s_nop 0
	scratch_store_dwordx4 off, v[4:7], off offset:148 ; 16-byte Folded Spill
	scratch_store_dwordx4 off, v[8:11], off offset:164 ; 16-byte Folded Spill
	scratch_store_dwordx4 off, v[12:15], off offset:180 ; 16-byte Folded Spill
	scratch_store_dwordx4 off, v[16:19], off offset:196 ; 16-byte Folded Spill
	scratch_store_dwordx4 off, v[20:23], off offset:212 ; 16-byte Folded Spill
	scratch_store_dwordx4 off, v[24:27], off offset:228 ; 16-byte Folded Spill
	scratch_store_dwordx4 off, v[28:31], off offset:244 ; 16-byte Folded Spill
	scratch_store_dwordx4 off, v[64:67], off offset:1796 ; 16-byte Folded Spill
	s_nop 0
	scratch_store_dwordx4 off, v[68:71], off offset:1812 ; 16-byte Folded Spill
	scratch_store_dwordx4 off, v[72:75], off offset:1828 ; 16-byte Folded Spill
	scratch_store_dwordx4 off, v[76:79], off offset:1844 ; 16-byte Folded Spill
	scratch_store_dwordx4 off, v[80:83], off offset:1860 ; 16-byte Folded Spill
	scratch_store_dwordx4 off, v[84:87], off offset:1876 ; 16-byte Folded Spill
	scratch_store_dwordx4 off, v[88:91], off offset:1892 ; 16-byte Folded Spill
	scratch_store_dwordx4 off, v[92:95], off offset:1908 ; 16-byte Folded Spill
	;; [unrolled: 9-line block ×4, first 2 shown]
	v_mov_b64_e32 v[188:189], v[220:221]
	v_mov_b64_e32 v[190:191], v[222:223]
	v_mov_b64_e32 v[192:193], v[224:225]
	v_mov_b64_e32 v[194:195], v[226:227]
	v_mov_b64_e32 v[196:197], v[228:229]
	v_mov_b64_e32 v[198:199], v[230:231]
	v_mov_b64_e32 v[200:201], v[232:233]
	v_mov_b64_e32 v[202:203], v[234:235]
	v_mov_b32_e32 v135, v209
	v_mov_b64_e32 v[204:205], v[236:237]
	v_mov_b64_e32 v[210:211], v[242:243]
	;; [unrolled: 1-line block ×4, first 2 shown]
	v_mov_b32_e32 v152, v210
	v_mov_b32_e32 v153, v211
	;; [unrolled: 1-line block ×3, first 2 shown]
.LBB55_93:
	s_or_b64 exec, exec, s[2:3]
	v_cmp_eq_u32_e32 vcc, 18, v255
	s_waitcnt lgkmcnt(0)
	s_barrier
	s_and_saveexec_b64 s[2:3], vcc
	s_cbranch_execz .LBB55_96
; %bb.94:
	ds_write_b32 v250, v138
	ds_write2_b32 v254, v109, v110 offset0:19 offset1:20
	ds_write2_b32 v254, v111, v112 offset0:21 offset1:22
	;; [unrolled: 1-line block ×4, first 2 shown]
	scratch_load_dwordx4 v[0:3], off, off offset:132 ; 16-byte Folded Reload
	scratch_load_dwordx4 v[4:7], off, off offset:148 ; 16-byte Folded Reload
	;; [unrolled: 1-line block ×8, first 2 shown]
	s_waitcnt vmcnt(1)
	ds_write_b32 v254, v27 offset:108
	s_waitcnt vmcnt(0)
	ds_read_b32 v28, v250
	s_waitcnt lgkmcnt(0)
	v_cmp_neq_f32_e32 vcc, 0, v28
	s_and_b64 exec, exec, vcc
	s_cbranch_execz .LBB55_96
; %bb.95:
	v_div_scale_f32 v29, s[4:5], v28, v28, 1.0
	v_rcp_f32_e32 v30, v29
	v_div_scale_f32 v31, vcc, 1.0, v28, 1.0
	v_fma_f32 v54, -v29, v30, 1.0
	v_fmac_f32_e32 v30, v54, v30
	v_mul_f32_e32 v54, v31, v30
	v_fma_f32 v55, -v29, v54, v31
	v_fmac_f32_e32 v54, v55, v30
	v_fma_f32 v29, -v29, v54, v31
	v_div_fmas_f32 v29, v29, v30, v54
	v_div_fixup_f32 v28, v29, v28, 1.0
	ds_write_b32 v250, v28
.LBB55_96:
	s_or_b64 exec, exec, s[2:3]
	s_waitcnt lgkmcnt(0)
	s_barrier
	ds_read_b32 v82, v250
	v_cmp_lt_u32_e32 vcc, 18, v255
	s_and_saveexec_b64 s[2:3], vcc
	s_cbranch_execz .LBB55_98
; %bb.97:
	scratch_load_dwordx4 v[28:31], off, off offset:1924 ; 16-byte Folded Reload
	scratch_load_dwordx4 v[32:35], off, off offset:1940 ; 16-byte Folded Reload
	;; [unrolled: 1-line block ×8, first 2 shown]
	ds_read2_b32 v[0:1], v254 offset0:19 offset1:20
	ds_read2_b32 v[4:5], v254 offset0:21 offset1:22
	;; [unrolled: 1-line block ×4, first 2 shown]
	s_waitcnt lgkmcnt(4)
	v_mul_f32_e32 v80, v138, v82
	v_mov_b32_e32 v3, v110
	v_mov_b32_e32 v2, v109
	s_waitcnt vmcnt(1) lgkmcnt(3)
	v_pk_fma_f32 v[54:55], v[80:81], v[0:1], v[2:3] op_sel_hi:[0,1,1] neg_lo:[1,0,0] neg_hi:[1,0,0]
	v_mov_b32_e32 v1, v112
	v_mov_b32_e32 v0, v111
	s_waitcnt vmcnt(0) lgkmcnt(2)
	v_pk_fma_f32 v[56:57], v[80:81], v[4:5], v[0:1] op_sel_hi:[0,1,1] neg_lo:[1,0,0] neg_hi:[1,0,0]
	v_mov_b32_e32 v1, v114
	v_mov_b32_e32 v0, v113
	s_waitcnt lgkmcnt(1)
	v_pk_fma_f32 v[58:59], v[80:81], v[6:7], v[0:1] op_sel_hi:[0,1,1] neg_lo:[1,0,0] neg_hi:[1,0,0]
	v_mov_b32_e32 v1, v116
	v_mov_b32_e32 v0, v115
	ds_read_b32 v2, v254 offset:108
	s_waitcnt lgkmcnt(1)
	v_pk_fma_f32 v[60:61], v[80:81], v[8:9], v[0:1] op_sel_hi:[0,1,1] neg_lo:[1,0,0] neg_hi:[1,0,0]
	v_mov_b32_e32 v81, v54
	v_mov_b32_e32 v206, v80
	;; [unrolled: 1-line block ×10, first 2 shown]
	v_mov_b64_e32 v[76:77], v[42:43]
	v_mov_b64_e32 v[74:75], v[40:41]
	;; [unrolled: 1-line block ×8, first 2 shown]
	scratch_load_dwordx4 v[4:7], off, off offset:132 ; 16-byte Folded Reload
	scratch_load_dwordx4 v[8:11], off, off offset:148 ; 16-byte Folded Reload
	;; [unrolled: 1-line block ×8, first 2 shown]
	v_mov_b64_e32 v[78:79], v[44:45]
	v_mov_b32_e32 v0, v62
	v_mov_b32_e32 v1, v63
	v_mov_b32_e32 v3, v65
	s_waitcnt vmcnt(7)
	v_mov_b32_e32 v4, v66
	v_mov_b32_e32 v5, v67
	v_mov_b32_e32 v6, v68
	v_mov_b32_e32 v7, v69
	s_waitcnt vmcnt(6)
	v_mov_b32_e32 v8, v70
	;; [unrolled: 5-line block ×5, first 2 shown]
	v_mov_b32_e32 v188, v62
	v_mov_b32_e32 v189, v63
	;; [unrolled: 1-line block ×18, first 2 shown]
	s_waitcnt vmcnt(0)
	v_mov_b32_e32 v32, v55
	v_mov_b32_e32 v27, v31
	s_waitcnt lgkmcnt(0)
	v_fma_f32 v27, -v80, v2, v27
	v_mov_b32_e32 v2, v64
	scratch_store_dwordx4 off, v[0:3], off offset:1412 ; 16-byte Folded Spill
	s_nop 0
	scratch_store_dwordx4 off, v[4:7], off offset:1428 ; 16-byte Folded Spill
	scratch_store_dwordx4 off, v[8:11], off offset:1444 ; 16-byte Folded Spill
	;; [unrolled: 1-line block ×7, first 2 shown]
	v_mov_b32_e32 v21, v56
	scratch_store_dwordx4 off, v[0:3], off offset:1284 ; 16-byte Folded Spill
	s_nop 0
	scratch_store_dwordx4 off, v[4:7], off offset:1300 ; 16-byte Folded Spill
	scratch_store_dwordx4 off, v[8:11], off offset:1316 ; 16-byte Folded Spill
	;; [unrolled: 1-line block ×7, first 2 shown]
	v_mov_b32_e32 v22, v57
	v_mov_b32_e32 v23, v58
	scratch_store_dwordx4 off, v[0:3], off offset:900 ; 16-byte Folded Spill
	s_nop 0
	scratch_store_dwordx4 off, v[4:7], off offset:916 ; 16-byte Folded Spill
	scratch_store_dwordx4 off, v[8:11], off offset:932 ; 16-byte Folded Spill
	;; [unrolled: 1-line block ×7, first 2 shown]
	s_nop 0
	v_mov_b32_e32 v24, v59
	scratch_store_dwordx4 off, v[0:3], off offset:772 ; 16-byte Folded Spill
	s_nop 0
	scratch_store_dwordx4 off, v[4:7], off offset:788 ; 16-byte Folded Spill
	scratch_store_dwordx4 off, v[8:11], off offset:804 ; 16-byte Folded Spill
	;; [unrolled: 1-line block ×7, first 2 shown]
	s_nop 0
	v_mov_b32_e32 v25, v60
	scratch_store_dwordx4 off, v[0:3], off offset:644 ; 16-byte Folded Spill
	s_nop 0
	scratch_store_dwordx4 off, v[4:7], off offset:660 ; 16-byte Folded Spill
	scratch_store_dwordx4 off, v[8:11], off offset:676 ; 16-byte Folded Spill
	scratch_store_dwordx4 off, v[12:15], off offset:692 ; 16-byte Folded Spill
	scratch_store_dwordx4 off, v[16:19], off offset:708 ; 16-byte Folded Spill
	scratch_store_dwordx4 off, v[20:23], off offset:724 ; 16-byte Folded Spill
	scratch_store_dwordx4 off, v[24:27], off offset:740 ; 16-byte Folded Spill
	scratch_store_dwordx4 off, v[28:31], off offset:756 ; 16-byte Folded Spill
	scratch_store_dwordx4 off, v[62:65], off offset:1668 ; 16-byte Folded Spill
	s_nop 0
	scratch_store_dwordx4 off, v[66:69], off offset:1684 ; 16-byte Folded Spill
	scratch_store_dwordx4 off, v[70:73], off offset:1700 ; 16-byte Folded Spill
	scratch_store_dwordx4 off, v[74:77], off offset:1716 ; 16-byte Folded Spill
	scratch_store_dwordx4 off, v[78:81], off offset:1732 ; 16-byte Folded Spill
	scratch_store_dwordx4 off, v[82:85], off offset:1748 ; 16-byte Folded Spill
	scratch_store_dwordx4 off, v[86:89], off offset:1764 ; 16-byte Folded Spill
	scratch_store_dwordx4 off, v[90:93], off offset:1780 ; 16-byte Folded Spill
	;; [unrolled: 9-line block ×3, first 2 shown]
	v_mov_b32_e32 v26, v61
	v_mov_b32_e32 v83, v54
	;; [unrolled: 1-line block ×3, first 2 shown]
	v_mov_b64_e32 v[120:121], v[30:31]
	v_mov_b64_e32 v[116:117], v[26:27]
	;; [unrolled: 1-line block ×16, first 2 shown]
	scratch_store_dwordx4 off, v[0:3], off offset:132 ; 16-byte Folded Spill
	s_nop 0
	scratch_store_dwordx4 off, v[4:7], off offset:148 ; 16-byte Folded Spill
	scratch_store_dwordx4 off, v[8:11], off offset:164 ; 16-byte Folded Spill
	;; [unrolled: 1-line block ×7, first 2 shown]
.LBB55_98:
	s_or_b64 exec, exec, s[2:3]
	v_cmp_eq_u32_e32 vcc, 19, v255
	s_waitcnt lgkmcnt(0)
	s_barrier
	s_and_saveexec_b64 s[2:3], vcc
	s_cbranch_execz .LBB55_101
; %bb.99:
	ds_write_b32 v250, v83
	ds_write2_b64 v254, v[110:111], v[112:113] offset0:10 offset1:11
	ds_write2_b64 v254, v[114:115], v[116:117] offset0:12 offset1:13
	s_waitcnt vmcnt(0)
	ds_read_b32 v28, v250
	s_waitcnt lgkmcnt(0)
	v_cmp_neq_f32_e32 vcc, 0, v28
	s_and_b64 exec, exec, vcc
	s_cbranch_execz .LBB55_101
; %bb.100:
	v_div_scale_f32 v29, s[4:5], v28, v28, 1.0
	v_rcp_f32_e32 v30, v29
	v_div_scale_f32 v31, vcc, 1.0, v28, 1.0
	v_fma_f32 v54, -v29, v30, 1.0
	v_fmac_f32_e32 v30, v54, v30
	v_mul_f32_e32 v54, v31, v30
	v_fma_f32 v55, -v29, v54, v31
	v_fmac_f32_e32 v54, v55, v30
	v_fma_f32 v29, -v29, v54, v31
	v_div_fmas_f32 v29, v29, v30, v54
	v_div_fixup_f32 v28, v29, v28, 1.0
	ds_write_b32 v250, v28
.LBB55_101:
	s_or_b64 exec, exec, s[2:3]
	s_waitcnt lgkmcnt(0)
	s_barrier
	ds_read_b32 v76, v250
	v_cmp_lt_u32_e32 vcc, 19, v255
	s_and_saveexec_b64 s[2:3], vcc
	s_cbranch_execz .LBB55_103
; %bb.102:
	ds_read2_b64 v[0:3], v254 offset0:10 offset1:11
	ds_read2_b64 v[4:7], v254 offset0:12 offset1:13
	s_waitcnt lgkmcnt(2)
	v_mul_f32_e32 v8, v83, v76
	v_mov_b32_e32 v10, v110
	v_mov_b32_e32 v11, v111
	s_waitcnt lgkmcnt(1)
	v_pk_fma_f32 v[74:75], v[8:9], v[0:1], v[10:11] op_sel_hi:[0,1,1] neg_lo:[1,0,0] neg_hi:[1,0,0]
	scratch_load_dwordx4 v[10:13], off, off offset:1796 ; 16-byte Folded Reload
	scratch_load_dwordx4 v[14:17], off, off offset:1812 ; 16-byte Folded Reload
	scratch_load_dwordx4 v[18:21], off, off offset:1828 ; 16-byte Folded Reload
	scratch_load_dwordx4 v[22:25], off, off offset:1844 ; 16-byte Folded Reload
	scratch_load_dwordx4 v[26:29], off, off offset:1860 ; 16-byte Folded Reload
	scratch_load_dwordx4 v[30:33], off, off offset:1876 ; 16-byte Folded Reload
	scratch_load_dwordx4 v[34:37], off, off offset:1892 ; 16-byte Folded Reload
	scratch_load_dwordx4 v[38:41], off, off offset:1908 ; 16-byte Folded Reload
	v_mov_b32_e32 v0, v112
	v_mov_b32_e32 v1, v113
	v_pk_fma_f32 v[210:211], v[8:9], v[2:3], v[0:1] op_sel_hi:[0,1,1] neg_lo:[1,0,0] neg_hi:[1,0,0]
	v_mov_b32_e32 v0, v114
	v_mov_b32_e32 v1, v115
	;; [unrolled: 1-line block ×10, first 2 shown]
	s_waitcnt lgkmcnt(0)
	v_pk_fma_f32 v[180:181], v[8:9], v[4:5], v[0:1] op_sel_hi:[0,1,1] neg_lo:[1,0,0] neg_hi:[1,0,0]
	v_mov_b32_e32 v0, v116
	v_mov_b32_e32 v1, v117
	s_waitcnt vmcnt(3)
	v_mov_b32_e32 v29, v8
	v_pk_fma_f32 v[154:155], v[8:9], v[6:7], v[0:1] op_sel_hi:[0,1,1] neg_lo:[1,0,0] neg_hi:[1,0,0]
	v_mov_b32_e32 v73, v8
	v_mov_b32_e32 v175, v8
	v_mov_b32_e32 v176, v74
	v_mov_b32_e32 v177, v75
	v_mov_b32_e32 v178, v210
	v_mov_b32_e32 v179, v211
	v_mov_b32_e32 v147, v8
	v_mov_b32_e32 v148, v74
	v_mov_b32_e32 v149, v75
	v_mov_b32_e32 v150, v210
	v_mov_b32_e32 v151, v211
	v_mov_b32_e32 v152, v180
	v_mov_b32_e32 v153, v181
	v_mov_b32_e32 v207, v8
	v_mov_b32_e32 v208, v74
	v_mov_b32_e32 v209, v75
	v_mov_b32_e32 v54, v10
	v_mov_b32_e32 v55, v11
	v_mov_b32_e32 v56, v12
	v_mov_b32_e32 v57, v13
	v_mov_b32_e32 v58, v14
	v_mov_b32_e32 v59, v15
	v_mov_b32_e32 v60, v16
	v_mov_b32_e32 v61, v17
	s_waitcnt vmcnt(2)
	v_mov_b32_e32 v30, v10
	v_mov_b32_e32 v31, v11
	v_mov_b32_e32 v32, v12
	v_mov_b32_e32 v33, v13
	s_waitcnt vmcnt(1)
	v_mov_b32_e32 v34, v14
	v_mov_b32_e32 v35, v15
	v_mov_b32_e32 v36, v16
	v_mov_b32_e32 v37, v17
	;; [unrolled: 5-line block ×3, first 2 shown]
	v_mov_b32_e32 v42, v22
	v_mov_b32_e32 v43, v23
	;; [unrolled: 1-line block ×26, first 2 shown]
	scratch_store_dwordx4 off, v[30:33], off offset:1284 ; 16-byte Folded Spill
	s_nop 0
	scratch_store_dwordx4 off, v[34:37], off offset:1300 ; 16-byte Folded Spill
	scratch_store_dwordx4 off, v[38:41], off offset:1316 ; 16-byte Folded Spill
	;; [unrolled: 1-line block ×8, first 2 shown]
	s_nop 0
	scratch_store_dwordx4 off, v[92:95], off offset:916 ; 16-byte Folded Spill
	scratch_store_dwordx4 off, v[96:99], off offset:932 ; 16-byte Folded Spill
	;; [unrolled: 1-line block ×7, first 2 shown]
	v_mov_b32_e32 v62, v18
	v_mov_b32_e32 v112, v180
	;; [unrolled: 1-line block ×51, first 2 shown]
	scratch_store_dwordx4 off, v[88:91], off offset:644 ; 16-byte Folded Spill
	s_nop 0
	scratch_store_dwordx4 off, v[92:95], off offset:660 ; 16-byte Folded Spill
	scratch_store_dwordx4 off, v[96:99], off offset:676 ; 16-byte Folded Spill
	;; [unrolled: 1-line block ×7, first 2 shown]
	v_mov_b32_e32 v128, v10
	v_mov_b32_e32 v129, v11
	;; [unrolled: 1-line block ×19, first 2 shown]
	scratch_store_dwordx4 off, v[10:13], off offset:1668 ; 16-byte Folded Spill
	s_nop 0
	scratch_store_dwordx4 off, v[14:17], off offset:1684 ; 16-byte Folded Spill
	scratch_store_dwordx4 off, v[18:21], off offset:1700 ; 16-byte Folded Spill
	;; [unrolled: 1-line block ×7, first 2 shown]
	v_mov_b64_e32 v[26:27], v[154:155]
	v_mov_b64_e32 v[90:91], v[128:129]
	;; [unrolled: 1-line block ×9, first 2 shown]
	scratch_store_dwordx4 off, v[0:3], off offset:132 ; 16-byte Folded Spill
	s_nop 0
	scratch_store_dwordx4 off, v[4:7], off offset:148 ; 16-byte Folded Spill
	scratch_store_dwordx4 off, v[8:11], off offset:164 ; 16-byte Folded Spill
	;; [unrolled: 1-line block ×7, first 2 shown]
	v_mov_b64_e32 v[106:107], v[144:145]
	v_mov_b64_e32 v[108:109], v[146:147]
	;; [unrolled: 1-line block ×8, first 2 shown]
	v_mov_b32_e32 v32, v74
	scratch_store_dwordx4 off, v[54:57], off offset:1412 ; 16-byte Folded Spill
	s_nop 0
	scratch_store_dwordx4 off, v[58:61], off offset:1428 ; 16-byte Folded Spill
	scratch_store_dwordx4 off, v[62:65], off offset:1444 ; 16-byte Folded Spill
	;; [unrolled: 1-line block ×7, first 2 shown]
	v_mov_b32_e32 v134, v180
	scratch_store_dwordx4 off, v[156:159], off offset:772 ; 16-byte Folded Spill
	s_nop 0
	scratch_store_dwordx4 off, v[160:163], off offset:788 ; 16-byte Folded Spill
	scratch_store_dwordx4 off, v[164:167], off offset:804 ; 16-byte Folded Spill
	;; [unrolled: 1-line block ×7, first 2 shown]
	v_mov_b32_e32 v152, v210
	v_mov_b32_e32 v153, v211
	;; [unrolled: 1-line block ×4, first 2 shown]
.LBB55_103:
	s_or_b64 exec, exec, s[2:3]
	v_mov_b32_e32 v226, v210
	v_mov_b32_e32 v225, v209
	;; [unrolled: 1-line block ×7, first 2 shown]
	v_mov_b64_e32 v[218:219], v[202:203]
	v_mov_b64_e32 v[216:217], v[200:201]
	;; [unrolled: 1-line block ×8, first 2 shown]
	v_cmp_eq_u32_e32 vcc, 20, v255
	s_waitcnt lgkmcnt(0)
	s_barrier
	s_and_saveexec_b64 s[2:3], vcc
	s_cbranch_execz .LBB55_106
; %bb.104:
	ds_write_b32 v250, v32
	ds_write2_b32 v254, v111, v112 offset0:21 offset1:22
	ds_write2_b32 v254, v113, v114 offset0:23 offset1:24
	;; [unrolled: 1-line block ×3, first 2 shown]
	scratch_load_dwordx4 v[0:3], off, off offset:132 ; 16-byte Folded Reload
	scratch_load_dwordx4 v[4:7], off, off offset:148 ; 16-byte Folded Reload
	;; [unrolled: 1-line block ×8, first 2 shown]
	s_waitcnt vmcnt(1)
	ds_write_b32 v254, v27 offset:108
	s_waitcnt vmcnt(0)
	ds_read_b32 v28, v250
	s_waitcnt lgkmcnt(0)
	v_cmp_neq_f32_e32 vcc, 0, v28
	s_and_b64 exec, exec, vcc
	s_cbranch_execz .LBB55_106
; %bb.105:
	v_div_scale_f32 v29, s[4:5], v28, v28, 1.0
	v_rcp_f32_e32 v30, v29
	v_div_scale_f32 v31, vcc, 1.0, v28, 1.0
	v_fma_f32 v54, -v29, v30, 1.0
	v_fmac_f32_e32 v30, v54, v30
	v_mul_f32_e32 v54, v31, v30
	v_fma_f32 v55, -v29, v54, v31
	v_fmac_f32_e32 v54, v55, v30
	v_fma_f32 v29, -v29, v54, v31
	v_div_fmas_f32 v29, v29, v30, v54
	v_div_fixup_f32 v28, v29, v28, 1.0
	ds_write_b32 v250, v28
.LBB55_106:
	s_or_b64 exec, exec, s[2:3]
	s_waitcnt lgkmcnt(0)
	s_barrier
	ds_read_b32 v65, v250
	v_cmp_lt_u32_e32 vcc, 20, v255
	s_and_saveexec_b64 s[2:3], vcc
	s_cbranch_execz .LBB55_108
; %bb.107:
	scratch_load_dwordx4 v[182:185], off, off offset:1668 ; 16-byte Folded Reload
	scratch_load_dwordx4 v[186:189], off, off offset:1684 ; 16-byte Folded Reload
	;; [unrolled: 1-line block ×8, first 2 shown]
	s_waitcnt vmcnt(2) lgkmcnt(0)
	v_mul_f32_e32 v202, v32, v65
	ds_read2_b32 v[0:1], v254 offset0:21 offset1:22
	ds_read2_b32 v[4:5], v254 offset0:23 offset1:24
	;; [unrolled: 1-line block ×3, first 2 shown]
	ds_read_b32 v8, v254 offset:108
	scratch_load_dwordx4 v[10:13], off, off offset:132 ; 16-byte Folded Reload
	scratch_load_dwordx4 v[14:17], off, off offset:148 ; 16-byte Folded Reload
	;; [unrolled: 1-line block ×8, first 2 shown]
	v_mov_b32_e32 v3, v112
	v_mov_b32_e32 v2, v111
	s_waitcnt vmcnt(5)
	v_mov_b32_e32 v20, v202
	v_mov_b32_e32 v94, v182
	v_mov_b32_e32 v95, v183
	v_mov_b32_e32 v9, v191
	v_mov_b32_e32 v14, v196
	v_mov_b32_e32 v15, v197
	s_waitcnt lgkmcnt(3)
	v_pk_fma_f32 v[88:89], v[202:203], v[0:1], v[2:3] op_sel_hi:[0,1,1] neg_lo:[1,0,0] neg_hi:[1,0,0]
	v_mov_b32_e32 v1, v114
	v_mov_b32_e32 v0, v113
	s_waitcnt lgkmcnt(2)
	v_pk_fma_f32 v[90:91], v[202:203], v[4:5], v[0:1] op_sel_hi:[0,1,1] neg_lo:[1,0,0] neg_hi:[1,0,0]
	v_mov_b32_e32 v1, v116
	v_mov_b32_e32 v0, v115
	s_waitcnt vmcnt(1)
	v_mov_b32_e32 v121, v37
	v_mov_b32_e32 v22, v89
	s_waitcnt lgkmcnt(1)
	v_pk_fma_f32 v[92:93], v[202:203], v[6:7], v[0:1] op_sel_hi:[0,1,1] neg_lo:[1,0,0] neg_hi:[1,0,0]
	s_waitcnt lgkmcnt(0)
	v_fma_f32 v121, -v202, v8, v121
	v_mov_b32_e32 v0, v182
	v_mov_b32_e32 v1, v183
	;; [unrolled: 1-line block ×18, first 2 shown]
	v_mov_b64_e32 v[218:219], v[14:15]
	v_mov_b32_e32 v226, v22
	v_mov_b32_e32 v23, v90
	v_mov_b64_e32 v[216:217], v[12:13]
	v_mov_b64_e32 v[214:215], v[10:11]
	;; [unrolled: 1-line block ×7, first 2 shown]
	v_mov_b32_e32 v225, v21
	v_mov_b32_e32 v224, v20
	;; [unrolled: 1-line block ×6, first 2 shown]
	scratch_store_dwordx4 off, v[0:3], off offset:900 ; 16-byte Folded Spill
	s_nop 0
	scratch_store_dwordx4 off, v[4:7], off offset:916 ; 16-byte Folded Spill
	scratch_store_dwordx4 off, v[8:11], off offset:932 ; 16-byte Folded Spill
	scratch_store_dwordx4 off, v[12:15], off offset:948 ; 16-byte Folded Spill
	scratch_store_dwordx4 off, v[16:19], off offset:964 ; 16-byte Folded Spill
	scratch_store_dwordx4 off, v[20:23], off offset:980 ; 16-byte Folded Spill
	scratch_store_dwordx4 off, v[24:27], off offset:996 ; 16-byte Folded Spill
	scratch_store_dwordx4 off, v[28:31], off offset:1012 ; 16-byte Folded Spill
	v_mov_b32_e32 v203, v88
	v_mov_b32_e32 v24, v91
	;; [unrolled: 1-line block ×32, first 2 shown]
	scratch_store_dwordx4 off, v[0:3], off offset:772 ; 16-byte Folded Spill
	s_nop 0
	scratch_store_dwordx4 off, v[4:7], off offset:788 ; 16-byte Folded Spill
	scratch_store_dwordx4 off, v[8:11], off offset:804 ; 16-byte Folded Spill
	;; [unrolled: 1-line block ×7, first 2 shown]
	s_nop 0
	v_mov_b32_e32 v25, v92
	scratch_store_dwordx4 off, v[0:3], off offset:644 ; 16-byte Folded Spill
	s_nop 0
	scratch_store_dwordx4 off, v[4:7], off offset:660 ; 16-byte Folded Spill
	scratch_store_dwordx4 off, v[8:11], off offset:676 ; 16-byte Folded Spill
	;; [unrolled: 1-line block ×7, first 2 shown]
	v_mov_b64_e32 v[0:1], v[94:95]
	scratch_store_dwordx4 off, v[182:185], off offset:1284 ; 16-byte Folded Spill
	s_nop 0
	scratch_store_dwordx4 off, v[186:189], off offset:1300 ; 16-byte Folded Spill
	scratch_store_dwordx4 off, v[190:193], off offset:1316 ; 16-byte Folded Spill
	;; [unrolled: 1-line block ×8, first 2 shown]
	s_nop 0
	scratch_store_dwordx4 off, v[186:189], off offset:1428 ; 16-byte Folded Spill
	scratch_store_dwordx4 off, v[190:193], off offset:1444 ; 16-byte Folded Spill
	scratch_store_dwordx4 off, v[194:197], off offset:1460 ; 16-byte Folded Spill
	scratch_store_dwordx4 off, v[198:201], off offset:1476 ; 16-byte Folded Spill
	scratch_store_dwordx4 off, v[202:205], off offset:1492 ; 16-byte Folded Spill
	scratch_store_dwordx4 off, v[206:209], off offset:1508 ; 16-byte Folded Spill
	scratch_store_dwordx4 off, v[210:213], off offset:1524 ; 16-byte Folded Spill
	v_mov_b64_e32 v[2:3], v[96:97]
	v_mov_b64_e32 v[4:5], v[98:99]
	;; [unrolled: 1-line block ×15, first 2 shown]
	scratch_store_dwordx4 off, v[94:97], off offset:132 ; 16-byte Folded Spill
	s_nop 0
	scratch_store_dwordx4 off, v[98:101], off offset:148 ; 16-byte Folded Spill
	scratch_store_dwordx4 off, v[102:105], off offset:164 ; 16-byte Folded Spill
	;; [unrolled: 1-line block ×7, first 2 shown]
	v_mov_b64_e32 v[104:105], v[14:15]
	v_mov_b64_e32 v[116:117], v[26:27]
	;; [unrolled: 1-line block ×14, first 2 shown]
.LBB55_108:
	s_or_b64 exec, exec, s[2:3]
	v_cmp_eq_u32_e32 vcc, 21, v255
	s_waitcnt lgkmcnt(0)
	s_barrier
	s_and_saveexec_b64 s[2:3], vcc
	s_cbranch_execz .LBB55_111
; %bb.109:
	ds_write_b32 v250, v135
	ds_write2_b64 v254, v[112:113], v[114:115] offset0:11 offset1:12
	ds_write_b64 v254, v[116:117] offset:104
	s_waitcnt vmcnt(0)
	ds_read_b32 v28, v250
	s_waitcnt lgkmcnt(0)
	v_cmp_neq_f32_e32 vcc, 0, v28
	s_and_b64 exec, exec, vcc
	s_cbranch_execz .LBB55_111
; %bb.110:
	v_div_scale_f32 v29, s[4:5], v28, v28, 1.0
	v_rcp_f32_e32 v30, v29
	v_div_scale_f32 v31, vcc, 1.0, v28, 1.0
	v_fma_f32 v54, -v29, v30, 1.0
	v_fmac_f32_e32 v30, v54, v30
	v_mul_f32_e32 v54, v31, v30
	v_fma_f32 v55, -v29, v54, v31
	v_fmac_f32_e32 v54, v55, v30
	v_fma_f32 v29, -v29, v54, v31
	v_div_fmas_f32 v29, v29, v30, v54
	v_div_fixup_f32 v28, v29, v28, 1.0
	ds_write_b32 v250, v28
.LBB55_111:
	s_or_b64 exec, exec, s[2:3]
	s_waitcnt lgkmcnt(0)
	s_barrier
	ds_read_b32 v64, v250
	v_cmp_lt_u32_e32 vcc, 21, v255
	s_mov_b64 s[2:3], exec
	v_mov_b64_e32 v[182:183], v[204:205]
	v_mov_b64_e32 v[184:185], v[206:207]
	;; [unrolled: 1-line block ×8, first 2 shown]
	v_mov_b32_e32 v198, v220
	s_and_b64 s[4:5], s[2:3], vcc
	v_mov_b32_e32 v199, v221
	v_mov_b32_e32 v200, v222
	;; [unrolled: 1-line block ×6, first 2 shown]
	s_mov_b64 exec, s[4:5]
	s_cbranch_execz .LBB55_113
; %bb.112:
	ds_read2_b64 v[0:3], v254 offset0:11 offset1:12
	ds_read_b64 v[8:9], v254 offset:104
	scratch_load_dwordx4 v[32:35], off, off offset:1412 ; 16-byte Folded Reload
	scratch_load_dwordx4 v[36:39], off, off offset:1428 ; 16-byte Folded Reload
	;; [unrolled: 1-line block ×8, first 2 shown]
	s_waitcnt lgkmcnt(2)
	v_mul_f32_e32 v4, v135, v64
	v_mov_b32_e32 v6, v112
	v_mov_b32_e32 v7, v113
	s_waitcnt lgkmcnt(1)
	v_pk_fma_f32 v[204:205], v[4:5], v[0:1], v[6:7] op_sel_hi:[0,1,1] neg_lo:[1,0,0] neg_hi:[1,0,0]
	v_mov_b32_e32 v0, v114
	v_mov_b32_e32 v1, v115
	v_pk_fma_f32 v[112:113], v[4:5], v[2:3], v[0:1] op_sel_hi:[0,1,1] neg_lo:[1,0,0] neg_hi:[1,0,0]
	v_mov_b32_e32 v0, v116
	v_mov_b32_e32 v1, v117
	s_waitcnt lgkmcnt(0)
	v_pk_fma_f32 v[154:155], v[4:5], v[8:9], v[0:1] op_sel_hi:[0,1,1] neg_lo:[1,0,0] neg_hi:[1,0,0]
	s_waitcnt vmcnt(9)
	v_mov_b32_e32 v27, v4
	s_waitcnt vmcnt(8)
	v_mov_b32_e32 v28, v204
	v_mov_b32_e32 v29, v205
	s_waitcnt vmcnt(2)
	v_mov_b32_e32 v53, v4
	v_mov_b32_e32 v203, v4
	;; [unrolled: 1-line block ×37, first 2 shown]
	scratch_store_dwordx4 off, v[6:9], off offset:900 ; 16-byte Folded Spill
	s_nop 0
	scratch_store_dwordx4 off, v[10:13], off offset:916 ; 16-byte Folded Spill
	scratch_store_dwordx4 off, v[14:17], off offset:932 ; 16-byte Folded Spill
	;; [unrolled: 1-line block ×7, first 2 shown]
	v_mov_b32_e32 v94, v38
	v_mov_b32_e32 v30, v112
	;; [unrolled: 1-line block ×53, first 2 shown]
	scratch_store_dwordx4 off, v[6:9], off offset:644 ; 16-byte Folded Spill
	s_nop 0
	scratch_store_dwordx4 off, v[10:13], off offset:660 ; 16-byte Folded Spill
	scratch_store_dwordx4 off, v[14:17], off offset:676 ; 16-byte Folded Spill
	;; [unrolled: 1-line block ×7, first 2 shown]
	v_mov_b64_e32 v[26:27], v[154:155]
	scratch_store_dwordx4 off, v[0:3], off offset:132 ; 16-byte Folded Spill
	s_nop 0
	scratch_store_dwordx4 off, v[4:7], off offset:148 ; 16-byte Folded Spill
	scratch_store_dwordx4 off, v[8:11], off offset:164 ; 16-byte Folded Spill
	;; [unrolled: 1-line block ×7, first 2 shown]
	v_mov_b32_e32 v128, v32
	v_mov_b32_e32 v129, v33
	;; [unrolled: 1-line block ×6, first 2 shown]
	v_mov_b64_e32 v[0:1], v[128:129]
	v_mov_b64_e32 v[2:3], v[130:131]
	;; [unrolled: 1-line block ×16, first 2 shown]
	scratch_store_dwordx4 off, v[32:35], off offset:1284 ; 16-byte Folded Spill
	s_nop 0
	scratch_store_dwordx4 off, v[36:39], off offset:1300 ; 16-byte Folded Spill
	scratch_store_dwordx4 off, v[40:43], off offset:1316 ; 16-byte Folded Spill
	;; [unrolled: 1-line block ×5, first 2 shown]
	s_waitcnt vmcnt(31)
	scratch_store_dwordx4 off, v[56:59], off offset:1380 ; 16-byte Folded Spill
	s_waitcnt vmcnt(31)
	scratch_store_dwordx4 off, v[60:63], off offset:1396 ; 16-byte Folded Spill
	v_mov_b32_e32 v134, v112
	scratch_store_dwordx4 off, v[88:91], off offset:772 ; 16-byte Folded Spill
	s_nop 0
	scratch_store_dwordx4 off, v[92:95], off offset:788 ; 16-byte Folded Spill
	scratch_store_dwordx4 off, v[96:99], off offset:804 ; 16-byte Folded Spill
	;; [unrolled: 1-line block ×7, first 2 shown]
	v_mov_b64_e32 v[104:105], v[14:15]
	v_mov_b32_e32 v152, v204
	v_mov_b32_e32 v153, v205
	v_mov_b64_e32 v[102:103], v[12:13]
	v_mov_b64_e32 v[100:101], v[10:11]
	;; [unrolled: 1-line block ×7, first 2 shown]
	v_mov_b32_e32 v89, v113
	v_mov_b64_e32 v[116:117], v[26:27]
	v_mov_b64_e32 v[114:115], v[24:25]
	;; [unrolled: 1-line block ×6, first 2 shown]
.LBB55_113:
	s_or_b64 exec, exec, s[2:3]
	v_cmp_eq_u32_e32 vcc, 22, v255
	s_waitcnt lgkmcnt(0)
	s_barrier
	s_and_saveexec_b64 s[2:3], vcc
	s_cbranch_execz .LBB55_116
; %bb.114:
	ds_write_b32 v250, v152
	ds_write2_b32 v254, v113, v114 offset0:23 offset1:24
	ds_write2_b32 v254, v115, v116 offset0:25 offset1:26
	scratch_load_dwordx4 v[0:3], off, off offset:132 ; 16-byte Folded Reload
	scratch_load_dwordx4 v[4:7], off, off offset:148 ; 16-byte Folded Reload
	;; [unrolled: 1-line block ×8, first 2 shown]
	s_waitcnt vmcnt(1)
	ds_write_b32 v254, v27 offset:108
	s_waitcnt vmcnt(0)
	ds_read_b32 v28, v250
	s_waitcnt lgkmcnt(0)
	v_cmp_neq_f32_e32 vcc, 0, v28
	s_and_b64 exec, exec, vcc
	s_cbranch_execz .LBB55_116
; %bb.115:
	v_div_scale_f32 v29, s[4:5], v28, v28, 1.0
	v_rcp_f32_e32 v30, v29
	v_div_scale_f32 v31, vcc, 1.0, v28, 1.0
	v_fma_f32 v54, -v29, v30, 1.0
	v_fmac_f32_e32 v30, v54, v30
	v_mul_f32_e32 v54, v31, v30
	v_fma_f32 v55, -v29, v54, v31
	v_fmac_f32_e32 v54, v55, v30
	v_fma_f32 v29, -v29, v54, v31
	v_div_fmas_f32 v29, v29, v30, v54
	v_div_fixup_f32 v28, v29, v28, 1.0
	ds_write_b32 v250, v28
.LBB55_116:
	s_or_b64 exec, exec, s[2:3]
	s_waitcnt lgkmcnt(0)
	s_barrier
	ds_read_b32 v56, v250
	v_cmp_lt_u32_e32 vcc, 22, v255
	s_and_saveexec_b64 s[2:3], vcc
	s_cbranch_execz .LBB55_118
; %bb.117:
	scratch_load_dwordx4 v[182:185], off, off offset:1284 ; 16-byte Folded Reload
	scratch_load_dwordx4 v[186:189], off, off offset:1300 ; 16-byte Folded Reload
	;; [unrolled: 1-line block ×8, first 2 shown]
	ds_read2_b32 v[0:1], v254 offset0:23 offset1:24
	s_waitcnt vmcnt(2) lgkmcnt(1)
	v_mul_f32_e32 v204, v152, v56
	v_mov_b32_e32 v3, v114
	v_mov_b32_e32 v2, v113
	ds_read2_b32 v[4:5], v254 offset0:25 offset1:26
	ds_read_b32 v6, v254 offset:108
	v_mov_b32_e32 v22, v204
	v_mov_b32_e32 v7, v189
	;; [unrolled: 1-line block ×5, first 2 shown]
	s_waitcnt lgkmcnt(2)
	v_pk_fma_f32 v[58:59], v[204:205], v[0:1], v[2:3] op_sel_hi:[0,1,1] neg_lo:[1,0,0] neg_hi:[1,0,0]
	v_mov_b32_e32 v1, v116
	v_mov_b32_e32 v0, v115
	scratch_load_dwordx4 v[88:91], off, off offset:132 ; 16-byte Folded Reload
	scratch_load_dwordx4 v[92:95], off, off offset:148 ; 16-byte Folded Reload
	;; [unrolled: 1-line block ×8, first 2 shown]
	s_waitcnt lgkmcnt(1)
	v_pk_fma_f32 v[60:61], v[204:205], v[4:5], v[0:1] op_sel_hi:[0,1,1] neg_lo:[1,0,0] neg_hi:[1,0,0]
	v_mov_b32_e32 v0, v182
	v_mov_b32_e32 v1, v183
	;; [unrolled: 1-line block ×22, first 2 shown]
	s_waitcnt vmcnt(7)
	v_mov_b32_e32 v89, v60
	s_waitcnt vmcnt(1)
	v_mov_b32_e32 v27, v115
	s_waitcnt lgkmcnt(0)
	v_fma_f32 v27, -v204, v6, v27
	v_mov_b32_e32 v6, v188
	scratch_store_dwordx4 off, v[0:3], off offset:772 ; 16-byte Folded Spill
	s_nop 0
	scratch_store_dwordx4 off, v[4:7], off offset:788 ; 16-byte Folded Spill
	scratch_store_dwordx4 off, v[8:11], off offset:804 ; 16-byte Folded Spill
	scratch_store_dwordx4 off, v[12:15], off offset:820 ; 16-byte Folded Spill
	scratch_store_dwordx4 off, v[16:19], off offset:836 ; 16-byte Folded Spill
	scratch_store_dwordx4 off, v[20:23], off offset:852 ; 16-byte Folded Spill
	scratch_store_dwordx4 off, v[24:27], off offset:868 ; 16-byte Folded Spill
	scratch_store_dwordx4 off, v[28:31], off offset:884 ; 16-byte Folded Spill
	s_nop 0
	v_mov_b32_e32 v25, v60
	scratch_store_dwordx4 off, v[0:3], off offset:644 ; 16-byte Folded Spill
	s_nop 0
	scratch_store_dwordx4 off, v[4:7], off offset:660 ; 16-byte Folded Spill
	scratch_store_dwordx4 off, v[8:11], off offset:676 ; 16-byte Folded Spill
	;; [unrolled: 1-line block ×7, first 2 shown]
	s_nop 0
	v_mov_b32_e32 v26, v61
	scratch_store_dwordx4 off, v[182:185], off offset:900 ; 16-byte Folded Spill
	s_nop 0
	scratch_store_dwordx4 off, v[186:189], off offset:916 ; 16-byte Folded Spill
	scratch_store_dwordx4 off, v[190:193], off offset:932 ; 16-byte Folded Spill
	;; [unrolled: 1-line block ×7, first 2 shown]
	s_waitcnt vmcnt(24)
	v_mov_b64_e32 v[120:121], v[30:31]
	v_mov_b64_e32 v[116:117], v[26:27]
	;; [unrolled: 1-line block ×16, first 2 shown]
	scratch_store_dwordx4 off, v[0:3], off offset:132 ; 16-byte Folded Spill
	s_nop 0
	scratch_store_dwordx4 off, v[4:7], off offset:148 ; 16-byte Folded Spill
	scratch_store_dwordx4 off, v[8:11], off offset:164 ; 16-byte Folded Spill
	;; [unrolled: 1-line block ×7, first 2 shown]
.LBB55_118:
	s_or_b64 exec, exec, s[2:3]
	v_cmp_eq_u32_e32 vcc, 23, v255
	s_waitcnt lgkmcnt(0)
	s_barrier
	s_and_saveexec_b64 s[2:3], vcc
	s_cbranch_execz .LBB55_121
; %bb.119:
	ds_write_b32 v250, v153
	ds_write2_b64 v254, v[114:115], v[116:117] offset0:12 offset1:13
	s_waitcnt vmcnt(0)
	ds_read_b32 v28, v250
	s_waitcnt lgkmcnt(0)
	v_cmp_neq_f32_e32 vcc, 0, v28
	s_and_b64 exec, exec, vcc
	s_cbranch_execz .LBB55_121
; %bb.120:
	v_div_scale_f32 v29, s[4:5], v28, v28, 1.0
	v_rcp_f32_e32 v30, v29
	v_div_scale_f32 v31, vcc, 1.0, v28, 1.0
	v_fma_f32 v32, -v29, v30, 1.0
	v_fmac_f32_e32 v30, v32, v30
	v_mul_f32_e32 v32, v31, v30
	v_fma_f32 v33, -v29, v32, v31
	v_fmac_f32_e32 v32, v33, v30
	v_fma_f32 v29, -v29, v32, v31
	v_div_fmas_f32 v29, v29, v30, v32
	v_div_fixup_f32 v28, v29, v28, 1.0
	ds_write_b32 v250, v28
.LBB55_121:
	s_or_b64 exec, exec, s[2:3]
	s_waitcnt lgkmcnt(0)
	s_barrier
	ds_read_b32 v32, v250
	v_cmp_lt_u32_e32 vcc, 23, v255
	s_and_saveexec_b64 s[2:3], vcc
	s_cbranch_execz .LBB55_123
; %bb.122:
	ds_read2_b64 v[0:3], v254 offset0:12 offset1:13
	s_waitcnt lgkmcnt(1)
	v_mul_f32_e32 v4, v153, v32
	v_mov_b32_e32 v6, v114
	v_mov_b32_e32 v7, v115
	;; [unrolled: 1-line block ×3, first 2 shown]
	s_waitcnt lgkmcnt(0)
	v_pk_fma_f32 v[112:113], v[4:5], v[0:1], v[6:7] op_sel_hi:[0,1,1] neg_lo:[1,0,0] neg_hi:[1,0,0]
	v_mov_b32_e32 v9, v117
	v_pk_fma_f32 v[154:155], v[4:5], v[2:3], v[8:9] op_sel_hi:[0,1,1] neg_lo:[1,0,0] neg_hi:[1,0,0]
	v_mov_b32_e32 v6, v182
	v_mov_b32_e32 v7, v183
	;; [unrolled: 1-line block ×10, first 2 shown]
	s_waitcnt vmcnt(3)
	v_mov_b32_e32 v16, v192
	v_mov_b32_e32 v17, v193
	v_mov_b32_e32 v18, v194
	v_mov_b32_e32 v19, v195
	s_waitcnt vmcnt(2)
	v_mov_b32_e32 v20, v196
	v_mov_b32_e32 v21, v197
	v_mov_b32_e32 v22, v198
	v_mov_b32_e32 v23, v199
	;; [unrolled: 5-line block ×4, first 2 shown]
	scratch_store_dwordx4 off, v[6:9], off offset:644 ; 16-byte Folded Spill
	s_nop 0
	scratch_store_dwordx4 off, v[10:13], off offset:660 ; 16-byte Folded Spill
	scratch_store_dwordx4 off, v[14:17], off offset:676 ; 16-byte Folded Spill
	;; [unrolled: 1-line block ×7, first 2 shown]
	v_mov_b64_e32 v[26:27], v[154:155]
	v_mov_b32_e32 v205, v4
	v_mov_b32_e32 v111, v4
	;; [unrolled: 1-line block ×44, first 2 shown]
	scratch_store_dwordx4 off, v[0:3], off offset:132 ; 16-byte Folded Spill
	s_nop 0
	scratch_store_dwordx4 off, v[4:7], off offset:148 ; 16-byte Folded Spill
	scratch_store_dwordx4 off, v[8:11], off offset:164 ; 16-byte Folded Spill
	;; [unrolled: 1-line block ×7, first 2 shown]
	v_mov_b32_e32 v146, v200
	v_mov_b32_e32 v147, v201
	v_mov_b32_e32 v148, v202
	v_mov_b32_e32 v149, v203
	v_mov_b32_e32 v150, v204
	v_mov_b32_e32 v152, v112
	v_mov_b32_e32 v153, v113
	v_mov_b64_e32 v[0:1], v[128:129]
	v_mov_b64_e32 v[2:3], v[130:131]
	;; [unrolled: 1-line block ×16, first 2 shown]
	scratch_store_dwordx4 off, v[182:185], off offset:900 ; 16-byte Folded Spill
	s_nop 0
	scratch_store_dwordx4 off, v[186:189], off offset:916 ; 16-byte Folded Spill
	scratch_store_dwordx4 off, v[190:193], off offset:932 ; 16-byte Folded Spill
	;; [unrolled: 1-line block ×7, first 2 shown]
	v_mov_b32_e32 v134, v112
	scratch_store_dwordx4 off, v[88:91], off offset:772 ; 16-byte Folded Spill
	s_nop 0
	scratch_store_dwordx4 off, v[92:95], off offset:788 ; 16-byte Folded Spill
	scratch_store_dwordx4 off, v[96:99], off offset:804 ; 16-byte Folded Spill
	;; [unrolled: 1-line block ×7, first 2 shown]
	v_mov_b64_e32 v[104:105], v[14:15]
	v_mov_b64_e32 v[102:103], v[12:13]
	;; [unrolled: 1-line block ×8, first 2 shown]
	v_mov_b32_e32 v89, v113
	v_mov_b64_e32 v[116:117], v[26:27]
	v_mov_b64_e32 v[114:115], v[24:25]
	;; [unrolled: 1-line block ×6, first 2 shown]
.LBB55_123:
	s_or_b64 exec, exec, s[2:3]
	v_cmp_eq_u32_e32 vcc, 24, v255
	s_waitcnt lgkmcnt(0)
	s_barrier
	s_and_saveexec_b64 s[2:3], vcc
	s_cbranch_execz .LBB55_126
; %bb.124:
	ds_write_b32 v250, v134
	ds_write2_b32 v254, v115, v116 offset0:25 offset1:26
	scratch_load_dwordx4 v[0:3], off, off offset:132 ; 16-byte Folded Reload
	scratch_load_dwordx4 v[4:7], off, off offset:148 ; 16-byte Folded Reload
	;; [unrolled: 1-line block ×8, first 2 shown]
	s_waitcnt vmcnt(1)
	ds_write_b32 v254, v27 offset:108
	s_waitcnt vmcnt(0)
	ds_read_b32 v28, v250
	s_waitcnt lgkmcnt(0)
	v_cmp_neq_f32_e32 vcc, 0, v28
	s_and_b64 exec, exec, vcc
	s_cbranch_execz .LBB55_126
; %bb.125:
	v_div_scale_f32 v29, s[4:5], v28, v28, 1.0
	v_rcp_f32_e32 v30, v29
	v_div_scale_f32 v31, vcc, 1.0, v28, 1.0
	v_fma_f32 v33, -v29, v30, 1.0
	v_fmac_f32_e32 v30, v33, v30
	v_mul_f32_e32 v33, v31, v30
	v_fma_f32 v34, -v29, v33, v31
	v_fmac_f32_e32 v33, v34, v30
	v_fma_f32 v29, -v29, v33, v31
	v_div_fmas_f32 v29, v29, v30, v33
	v_div_fixup_f32 v28, v29, v28, 1.0
	ds_write_b32 v250, v28
.LBB55_126:
	s_or_b64 exec, exec, s[2:3]
	s_waitcnt lgkmcnt(0)
	s_barrier
	ds_read_b32 v33, v250
	v_cmp_lt_u32_e32 vcc, 24, v255
	s_mov_b64 s[2:3], exec
	scratch_load_dwordx4 v[156:159], off, off offset:644 ; 16-byte Folded Reload
	scratch_load_dwordx4 v[160:163], off, off offset:660 ; 16-byte Folded Reload
	;; [unrolled: 1-line block ×8, first 2 shown]
	s_and_b64 s[4:5], s[2:3], vcc
                                        ; kill: def $vgpr156_vgpr157_vgpr158_vgpr159_vgpr160_vgpr161_vgpr162_vgpr163_vgpr164_vgpr165_vgpr166_vgpr167_vgpr168_vgpr169_vgpr170_vgpr171 killed $vgpr156_vgpr157_vgpr158_vgpr159_vgpr160_vgpr161_vgpr162_vgpr163_vgpr164_vgpr165_vgpr166_vgpr167_vgpr168_vgpr169_vgpr170_vgpr171 def $vgpr184_vgpr185_vgpr186_vgpr187
	s_mov_b64 exec, s[4:5]
	s_cbranch_execz .LBB55_128
; %bb.127:
	s_waitcnt vmcnt(9)
	v_mov_b32_e32 v25, v115
	ds_read2_b32 v[0:1], v254 offset0:25 offset1:26
	ds_read_b32 v4, v254 offset:108
	v_mov_b32_e32 v26, v116
	scratch_load_dwordx4 v[88:91], off, off offset:900 ; 16-byte Folded Reload
	scratch_load_dwordx4 v[92:95], off, off offset:916 ; 16-byte Folded Reload
	;; [unrolled: 1-line block ×8, first 2 shown]
	s_waitcnt lgkmcnt(2)
	v_mul_f32_e32 v120, v134, v33
	scratch_load_dwordx4 v[128:131], off, off offset:132 ; 16-byte Folded Reload
	scratch_load_dwordx4 v[132:135], off, off offset:148 ; 16-byte Folded Reload
	;; [unrolled: 1-line block ×8, first 2 shown]
	v_mov_b32_e32 v3, v26
	v_mov_b32_e32 v2, v25
	s_waitcnt lgkmcnt(1)
	v_pk_fma_f32 v[34:35], v[120:121], v[0:1], v[2:3] op_sel_hi:[0,1,1] neg_lo:[1,0,0] neg_hi:[1,0,0]
	s_waitcnt vmcnt(1)
	v_mov_b32_e32 v152, v120
	v_mov_b32_e32 v153, v34
	v_mov_b32_e32 v154, v35
	v_mov_b32_e32 v121, v34
	v_mov_b64_e32 v[118:119], v[110:111]
	v_mov_b64_e32 v[116:117], v[108:109]
	;; [unrolled: 1-line block ×12, first 2 shown]
	v_mov_b32_e32 v128, v96
	v_mov_b32_e32 v129, v97
	s_waitcnt lgkmcnt(0)
	v_fma_f32 v155, -v120, v4, v155
	v_mov_b32_e32 v130, v98
	v_mov_b32_e32 v131, v99
	;; [unrolled: 1-line block ×22, first 2 shown]
	s_waitcnt vmcnt(0)
	v_mov_b64_e32 v[0:1], v[128:129]
	v_mov_b64_e32 v[2:3], v[130:131]
	;; [unrolled: 1-line block ×32, first 2 shown]
	v_mov_b32_e32 v30, v123
	scratch_store_dwordx4 off, v[96:99], off offset:772 ; 16-byte Folded Spill
	s_nop 0
	scratch_store_dwordx4 off, v[100:103], off offset:788 ; 16-byte Folded Spill
	scratch_store_dwordx4 off, v[104:107], off offset:804 ; 16-byte Folded Spill
	;; [unrolled: 1-line block ×7, first 2 shown]
	v_mov_b64_e32 v[104:105], v[14:15]
	v_mov_b64_e32 v[116:117], v[26:27]
	;; [unrolled: 1-line block ×14, first 2 shown]
	v_mov_b32_e32 v123, v30
	v_mov_b32_e32 v89, v34
	scratch_store_dwordx4 off, v[128:131], off offset:132 ; 16-byte Folded Spill
	s_nop 0
	scratch_store_dwordx4 off, v[132:135], off offset:148 ; 16-byte Folded Spill
	scratch_store_dwordx4 off, v[136:139], off offset:164 ; 16-byte Folded Spill
	;; [unrolled: 1-line block ×7, first 2 shown]
.LBB55_128:
	s_or_b64 exec, exec, s[2:3]
	v_cmp_eq_u32_e32 vcc, 25, v255
	s_waitcnt lgkmcnt(0)
	s_barrier
	s_and_saveexec_b64 s[2:3], vcc
	s_cbranch_execz .LBB55_131
; %bb.129:
	ds_write_b32 v250, v89
	ds_write_b64 v254, v[116:117] offset:104
	s_waitcnt vmcnt(8)
	ds_read_b32 v28, v250
	s_waitcnt lgkmcnt(0)
	v_cmp_neq_f32_e32 vcc, 0, v28
	s_and_b64 exec, exec, vcc
	s_cbranch_execz .LBB55_131
; %bb.130:
	v_div_scale_f32 v29, s[4:5], v28, v28, 1.0
	v_rcp_f32_e32 v30, v29
	v_div_scale_f32 v31, vcc, 1.0, v28, 1.0
	v_fma_f32 v34, -v29, v30, 1.0
	v_fmac_f32_e32 v30, v34, v30
	v_mul_f32_e32 v34, v31, v30
	v_fma_f32 v35, -v29, v34, v31
	v_fmac_f32_e32 v34, v35, v30
	v_fma_f32 v29, -v29, v34, v31
	v_div_fmas_f32 v29, v29, v30, v34
	v_div_fixup_f32 v28, v29, v28, 1.0
	ds_write_b32 v250, v28
.LBB55_131:
	s_or_b64 exec, exec, s[2:3]
	s_waitcnt lgkmcnt(0)
	s_barrier
	ds_read_b32 v34, v250
	v_cmp_lt_u32_e32 vcc, 25, v255
	s_and_saveexec_b64 s[2:3], vcc
	s_cbranch_execz .LBB55_133
; %bb.132:
	ds_read_b64 v[0:1], v254 offset:104
	scratch_load_dwordx4 v[156:159], off, off offset:772 ; 16-byte Folded Reload
	scratch_load_dwordx4 v[160:163], off, off offset:788 ; 16-byte Folded Reload
	;; [unrolled: 1-line block ×8, first 2 shown]
	s_waitcnt lgkmcnt(1)
	v_mul_f32_e32 v2, v89, v34
	v_mov_b32_e32 v4, v116
	v_mov_b32_e32 v5, v117
	s_waitcnt lgkmcnt(0)
	v_pk_fma_f32 v[116:117], v[2:3], v[0:1], v[4:5] op_sel_hi:[0,1,1] neg_lo:[1,0,0] neg_hi:[1,0,0]
	s_waitcnt vmcnt(1)
	v_mov_b32_e32 v181, v2
	v_mov_b32_e32 v115, v2
	v_mov_b64_e32 v[26:27], v[116:117]
	scratch_store_dwordx4 off, v[0:3], off offset:132 ; 16-byte Folded Spill
	s_nop 0
	scratch_store_dwordx4 off, v[4:7], off offset:148 ; 16-byte Folded Spill
	scratch_store_dwordx4 off, v[8:11], off offset:164 ; 16-byte Folded Spill
	scratch_store_dwordx4 off, v[12:15], off offset:180 ; 16-byte Folded Spill
	scratch_store_dwordx4 off, v[16:19], off offset:196 ; 16-byte Folded Spill
	scratch_store_dwordx4 off, v[20:23], off offset:212 ; 16-byte Folded Spill
	scratch_store_dwordx4 off, v[24:27], off offset:228 ; 16-byte Folded Spill
	scratch_store_dwordx4 off, v[28:31], off offset:244 ; 16-byte Folded Spill
	v_mov_b32_e32 v90, v156
	v_mov_b32_e32 v91, v157
	;; [unrolled: 1-line block ×25, first 2 shown]
.LBB55_133:
	s_or_b64 exec, exec, s[2:3]
	v_cmp_eq_u32_e32 vcc, 26, v255
	s_waitcnt lgkmcnt(0)
	s_barrier
	s_and_saveexec_b64 s[2:3], vcc
	s_cbranch_execz .LBB55_136
; %bb.134:
	scratch_load_dwordx4 v[0:3], off, off offset:132 ; 16-byte Folded Reload
	scratch_load_dwordx4 v[4:7], off, off offset:148 ; 16-byte Folded Reload
	scratch_load_dwordx4 v[8:11], off, off offset:164 ; 16-byte Folded Reload
	scratch_load_dwordx4 v[12:15], off, off offset:180 ; 16-byte Folded Reload
	scratch_load_dwordx4 v[16:19], off, off offset:196 ; 16-byte Folded Reload
	scratch_load_dwordx4 v[20:23], off, off offset:212 ; 16-byte Folded Reload
	scratch_load_dwordx4 v[24:27], off, off offset:228 ; 16-byte Folded Reload
	scratch_load_dwordx4 v[28:31], off, off offset:244 ; 16-byte Folded Reload
	s_waitcnt vmcnt(1)
	ds_write_b32 v250, v26
	ds_write_b32 v254, v27 offset:108
	s_waitcnt vmcnt(0)
	ds_read_b32 v28, v250
	s_waitcnt lgkmcnt(0)
	v_cmp_neq_f32_e32 vcc, 0, v28
	s_and_b64 exec, exec, vcc
	s_cbranch_execz .LBB55_136
; %bb.135:
	v_div_scale_f32 v29, s[4:5], v28, v28, 1.0
	v_rcp_f32_e32 v30, v29
	v_div_scale_f32 v31, vcc, 1.0, v28, 1.0
	v_fma_f32 v35, -v29, v30, 1.0
	v_fmac_f32_e32 v30, v35, v30
	v_mul_f32_e32 v35, v31, v30
	v_fma_f32 v36, -v29, v35, v31
	v_fmac_f32_e32 v35, v36, v30
	v_fma_f32 v29, -v29, v35, v31
	v_div_fmas_f32 v29, v29, v30, v35
	v_div_fixup_f32 v28, v29, v28, 1.0
	ds_write_b32 v250, v28
.LBB55_136:
	s_or_b64 exec, exec, s[2:3]
	s_waitcnt lgkmcnt(0)
	s_barrier
	ds_read_b32 v35, v250
	v_cmp_lt_u32_e32 vcc, 26, v255
	s_and_saveexec_b64 s[2:3], vcc
	s_cbranch_execz .LBB55_138
; %bb.137:
	ds_read_b32 v0, v254 offset:108
	scratch_load_dwordx4 v[88:91], off, off offset:132 ; 16-byte Folded Reload
	scratch_load_dwordx4 v[92:95], off, off offset:148 ; 16-byte Folded Reload
	;; [unrolled: 1-line block ×8, first 2 shown]
	s_waitcnt vmcnt(1)
	v_mov_b64_e32 v[26:27], v[114:115]
	s_waitcnt lgkmcnt(1)
	v_mul_f32_e32 v182, v26, v35
	s_waitcnt lgkmcnt(0)
	v_fma_f32 v183, -v182, v0, v27
	s_waitcnt vmcnt(0)
	v_mov_b64_e32 v[90:91], v[156:157]
	v_mov_b64_e32 v[92:93], v[158:159]
	;; [unrolled: 1-line block ×16, first 2 shown]
	scratch_store_dwordx4 off, v[156:159], off offset:132 ; 16-byte Folded Spill
	s_nop 0
	scratch_store_dwordx4 off, v[160:163], off offset:148 ; 16-byte Folded Spill
	scratch_store_dwordx4 off, v[164:167], off offset:164 ; 16-byte Folded Spill
	;; [unrolled: 1-line block ×7, first 2 shown]
.LBB55_138:
	s_or_b64 exec, exec, s[2:3]
	v_cmp_eq_u32_e32 vcc, 27, v255
	s_waitcnt lgkmcnt(0)
	s_barrier
	s_and_saveexec_b64 s[2:3], vcc
	s_cbranch_execz .LBB55_141
; %bb.139:
	scratch_load_dwordx4 v[0:3], off, off offset:132 ; 16-byte Folded Reload
	scratch_load_dwordx4 v[4:7], off, off offset:148 ; 16-byte Folded Reload
	;; [unrolled: 1-line block ×8, first 2 shown]
	s_waitcnt vmcnt(1)
	v_cmp_neq_f32_e32 vcc, 0, v27
	ds_write_b32 v250, v27
	s_and_b64 exec, exec, vcc
	s_cbranch_execz .LBB55_141
; %bb.140:
	scratch_load_dwordx4 v[0:3], off, off offset:132 ; 16-byte Folded Reload
	scratch_load_dwordx4 v[4:7], off, off offset:148 ; 16-byte Folded Reload
	;; [unrolled: 1-line block ×8, first 2 shown]
	s_waitcnt vmcnt(0)
	v_div_scale_f32 v28, s[4:5], v27, v27, 1.0
	v_rcp_f32_e32 v29, v28
	v_div_scale_f32 v30, vcc, 1.0, v27, 1.0
	v_fma_f32 v31, -v28, v29, 1.0
	v_fmac_f32_e32 v29, v31, v29
	v_mul_f32_e32 v31, v30, v29
	v_fma_f32 v36, -v28, v31, v30
	v_fmac_f32_e32 v31, v36, v29
	v_fma_f32 v28, -v28, v31, v30
	v_div_fmas_f32 v28, v28, v29, v31
	v_div_fixup_f32 v28, v28, v27, 1.0
	ds_write_b32 v250, v28
.LBB55_141:
	s_or_b64 exec, exec, s[2:3]
	s_waitcnt lgkmcnt(0)
	s_barrier
	s_waitcnt vmcnt(0)
	ds_read_b32 v30, v250
	s_waitcnt lgkmcnt(0)
	s_barrier
	s_and_saveexec_b64 s[2:3], s[0:1]
	s_cbranch_execz .LBB55_144
; %bb.142:
	s_movk_i32 s0, 0x15e4
	scratch_load_dword v28, off, s0         ; 4-byte Folded Reload
	s_movk_i32 s0, 0x15e8
	scratch_load_dword v29, off, s0         ; 4-byte Folded Reload
	scratch_load_dword v0, off, off offset:2308 ; 4-byte Folded Reload
	s_waitcnt vmcnt(2)
	v_cmp_eq_f32_e32 vcc, 0, v28
	s_nop 1
	v_cndmask_b32_e64 v28, 0, 1, vcc
	s_waitcnt vmcnt(1)
	v_cmp_neq_f32_e64 s[0:1], 0, v29
	s_or_b64 vcc, s[0:1], vcc
	v_cndmask_b32_e32 v28, 2, v28, vcc
	s_waitcnt vmcnt(0)
	v_cmp_eq_f32_e32 vcc, 0, v0
	v_cmp_eq_u32_e64 s[0:1], 0, v28
	s_and_b64 s[0:1], vcc, s[0:1]
	v_cmp_eq_f32_e32 vcc, 0, v124
	v_cndmask_b32_e64 v28, v28, 3, s[0:1]
	v_cmp_eq_u32_e64 s[0:1], 0, v28
	s_and_b64 s[0:1], vcc, s[0:1]
	v_cmp_eq_f32_e32 vcc, 0, v123
	v_cndmask_b32_e64 v28, v28, 4, s[0:1]
	v_cmp_eq_u32_e64 s[0:1], 0, v28
	s_and_b64 s[0:1], vcc, s[0:1]
	v_cmp_eq_f32_e32 vcc, 0, v125
	v_cndmask_b32_e64 v28, v28, 5, s[0:1]
	v_cmp_eq_u32_e64 s[0:1], 0, v28
	s_and_b64 s[0:1], vcc, s[0:1]
	v_cmp_eq_f32_e32 vcc, 0, v126
	v_cndmask_b32_e64 v28, v28, 6, s[0:1]
	v_cmp_eq_u32_e64 s[0:1], 0, v28
	s_and_b64 s[0:1], vcc, s[0:1]
	v_cmp_eq_f32_e32 vcc, 0, v127
	v_cndmask_b32_e64 v28, v28, 7, s[0:1]
	v_cmp_eq_u32_e64 s[0:1], 0, v28
	s_and_b64 s[0:1], vcc, s[0:1]
	v_mov_b32_e32 v29, s7
	v_cndmask_b32_e64 v31, v28, 8, s[0:1]
	s_movk_i32 s0, 0x166c
	v_mov_b32_e32 v28, s6
	scratch_load_dwordx2 v[36:37], off, s0  ; 8-byte Folded Reload
	v_cmp_eq_f32_e32 vcc, 0, v246
	v_cmp_eq_u32_e64 s[0:1], 0, v31
	s_and_b64 s[0:1], vcc, s[0:1]
	v_cmp_eq_f32_e32 vcc, 0, v247
	v_cndmask_b32_e64 v31, v31, 9, s[0:1]
	v_cmp_eq_u32_e64 s[0:1], 0, v31
	s_and_b64 s[0:1], vcc, s[0:1]
	v_cmp_eq_f32_e32 vcc, 0, v86
	v_cndmask_b32_e64 v31, v31, 10, s[0:1]
	;; [unrolled: 4-line block ×19, first 2 shown]
	v_cmp_eq_u32_e64 s[0:1], 0, v31
	s_and_b64 s[0:1], vcc, s[0:1]
	s_waitcnt vmcnt(0)
	v_lshl_add_u64 v[28:29], v[36:37], 2, v[28:29]
	global_load_dword v36, v[28:29], off
	v_cndmask_b32_e64 v31, v31, 28, s[0:1]
	v_cmp_ne_u32_e64 s[0:1], 0, v31
	s_waitcnt vmcnt(0)
	v_cmp_eq_u32_e32 vcc, 0, v36
	s_and_b64 s[0:1], vcc, s[0:1]
	s_and_b64 exec, exec, s[0:1]
	s_cbranch_execz .LBB55_144
; %bb.143:
	v_add_u32_e32 v31, s9, v31
	global_store_dword v[28:29], v31, off
.LBB55_144:
	s_or_b64 exec, exec, s[2:3]
	scratch_load_dwordx4 v[32:35], off, off offset:132 ; 16-byte Folded Reload
	scratch_load_dwordx4 v[36:39], off, off offset:148 ; 16-byte Folded Reload
	;; [unrolled: 1-line block ×8, first 2 shown]
	v_cmp_lt_u32_e32 vcc, 27, v255
	s_movk_i32 s0, 0x1504
	s_waitcnt vmcnt(1)
	v_mul_f32_e32 v28, v59, v30
	v_cndmask_b32_e32 v27, v117, v28, vcc
	scratch_load_dwordx2 v[28:29], off, s0  ; 8-byte Folded Reload
	s_movk_i32 s0, 0x15dc
	s_waitcnt vmcnt(0)
	global_store_dword v[28:29], v90, off
	scratch_load_dwordx2 v[28:29], off, s0  ; 8-byte Folded Reload
	s_movk_i32 s0, 0x150c
	scratch_load_dwordx2 v[0:1], off, s0    ; 8-byte Folded Reload
	s_movk_i32 s0, 0x1514
	s_waitcnt vmcnt(1)
	global_store_dword v[28:29], v91, off
	s_waitcnt vmcnt(1)
	global_store_dword v[0:1], v92, off
	scratch_load_dwordx2 v[0:1], off, s0    ; 8-byte Folded Reload
	s_movk_i32 s0, 0x151c
	s_waitcnt vmcnt(0)
	global_store_dword v[0:1], v93, off
	scratch_load_dwordx2 v[0:1], off, s0    ; 8-byte Folded Reload
	s_movk_i32 s0, 0x1524
	;; [unrolled: 4-line block ×24, first 2 shown]
	s_waitcnt vmcnt(0)
	global_store_dword v[0:1], v116, off
	scratch_load_dwordx2 v[0:1], off, s0    ; 8-byte Folded Reload
	s_waitcnt vmcnt(0)
	global_store_dword v[0:1], v27, off
.LBB55_145:
	s_endpgm
	.section	.rodata,"a",@progbits
	.p2align	6, 0x0
	.amdhsa_kernel _ZN9rocsolver6v33100L23getf2_npvt_small_kernelILi28EfiiPfEEvT1_T3_lS3_lPT2_S3_S3_
		.amdhsa_group_segment_fixed_size 0
		.amdhsa_private_segment_fixed_size 5748
		.amdhsa_kernarg_size 312
		.amdhsa_user_sgpr_count 2
		.amdhsa_user_sgpr_dispatch_ptr 0
		.amdhsa_user_sgpr_queue_ptr 0
		.amdhsa_user_sgpr_kernarg_segment_ptr 1
		.amdhsa_user_sgpr_dispatch_id 0
		.amdhsa_user_sgpr_kernarg_preload_length 0
		.amdhsa_user_sgpr_kernarg_preload_offset 0
		.amdhsa_user_sgpr_private_segment_size 0
		.amdhsa_uses_dynamic_stack 0
		.amdhsa_enable_private_segment 1
		.amdhsa_system_sgpr_workgroup_id_x 1
		.amdhsa_system_sgpr_workgroup_id_y 1
		.amdhsa_system_sgpr_workgroup_id_z 0
		.amdhsa_system_sgpr_workgroup_info 0
		.amdhsa_system_vgpr_workitem_id 1
		.amdhsa_next_free_vgpr 256
		.amdhsa_next_free_sgpr 16
		.amdhsa_accum_offset 256
		.amdhsa_reserve_vcc 1
		.amdhsa_float_round_mode_32 0
		.amdhsa_float_round_mode_16_64 0
		.amdhsa_float_denorm_mode_32 3
		.amdhsa_float_denorm_mode_16_64 3
		.amdhsa_dx10_clamp 1
		.amdhsa_ieee_mode 1
		.amdhsa_fp16_overflow 0
		.amdhsa_tg_split 0
		.amdhsa_exception_fp_ieee_invalid_op 0
		.amdhsa_exception_fp_denorm_src 0
		.amdhsa_exception_fp_ieee_div_zero 0
		.amdhsa_exception_fp_ieee_overflow 0
		.amdhsa_exception_fp_ieee_underflow 0
		.amdhsa_exception_fp_ieee_inexact 0
		.amdhsa_exception_int_div_zero 0
	.end_amdhsa_kernel
	.section	.text._ZN9rocsolver6v33100L23getf2_npvt_small_kernelILi28EfiiPfEEvT1_T3_lS3_lPT2_S3_S3_,"axG",@progbits,_ZN9rocsolver6v33100L23getf2_npvt_small_kernelILi28EfiiPfEEvT1_T3_lS3_lPT2_S3_S3_,comdat
.Lfunc_end55:
	.size	_ZN9rocsolver6v33100L23getf2_npvt_small_kernelILi28EfiiPfEEvT1_T3_lS3_lPT2_S3_S3_, .Lfunc_end55-_ZN9rocsolver6v33100L23getf2_npvt_small_kernelILi28EfiiPfEEvT1_T3_lS3_lPT2_S3_S3_
                                        ; -- End function
	.set _ZN9rocsolver6v33100L23getf2_npvt_small_kernelILi28EfiiPfEEvT1_T3_lS3_lPT2_S3_S3_.num_vgpr, 256
	.set _ZN9rocsolver6v33100L23getf2_npvt_small_kernelILi28EfiiPfEEvT1_T3_lS3_lPT2_S3_S3_.num_agpr, 0
	.set _ZN9rocsolver6v33100L23getf2_npvt_small_kernelILi28EfiiPfEEvT1_T3_lS3_lPT2_S3_S3_.numbered_sgpr, 16
	.set _ZN9rocsolver6v33100L23getf2_npvt_small_kernelILi28EfiiPfEEvT1_T3_lS3_lPT2_S3_S3_.num_named_barrier, 0
	.set _ZN9rocsolver6v33100L23getf2_npvt_small_kernelILi28EfiiPfEEvT1_T3_lS3_lPT2_S3_S3_.private_seg_size, 5748
	.set _ZN9rocsolver6v33100L23getf2_npvt_small_kernelILi28EfiiPfEEvT1_T3_lS3_lPT2_S3_S3_.uses_vcc, 1
	.set _ZN9rocsolver6v33100L23getf2_npvt_small_kernelILi28EfiiPfEEvT1_T3_lS3_lPT2_S3_S3_.uses_flat_scratch, 0
	.set _ZN9rocsolver6v33100L23getf2_npvt_small_kernelILi28EfiiPfEEvT1_T3_lS3_lPT2_S3_S3_.has_dyn_sized_stack, 0
	.set _ZN9rocsolver6v33100L23getf2_npvt_small_kernelILi28EfiiPfEEvT1_T3_lS3_lPT2_S3_S3_.has_recursion, 0
	.set _ZN9rocsolver6v33100L23getf2_npvt_small_kernelILi28EfiiPfEEvT1_T3_lS3_lPT2_S3_S3_.has_indirect_call, 0
	.section	.AMDGPU.csdata,"",@progbits
; Kernel info:
; codeLenInByte = 87256
; TotalNumSgprs: 22
; NumVgprs: 256
; NumAgprs: 0
; TotalNumVgprs: 256
; ScratchSize: 5748
; MemoryBound: 0
; FloatMode: 240
; IeeeMode: 1
; LDSByteSize: 0 bytes/workgroup (compile time only)
; SGPRBlocks: 2
; VGPRBlocks: 31
; NumSGPRsForWavesPerEU: 22
; NumVGPRsForWavesPerEU: 256
; AccumOffset: 256
; Occupancy: 2
; WaveLimiterHint : 0
; COMPUTE_PGM_RSRC2:SCRATCH_EN: 1
; COMPUTE_PGM_RSRC2:USER_SGPR: 2
; COMPUTE_PGM_RSRC2:TRAP_HANDLER: 0
; COMPUTE_PGM_RSRC2:TGID_X_EN: 1
; COMPUTE_PGM_RSRC2:TGID_Y_EN: 1
; COMPUTE_PGM_RSRC2:TGID_Z_EN: 0
; COMPUTE_PGM_RSRC2:TIDIG_COMP_CNT: 1
; COMPUTE_PGM_RSRC3_GFX90A:ACCUM_OFFSET: 63
; COMPUTE_PGM_RSRC3_GFX90A:TG_SPLIT: 0
	.section	.text._ZN9rocsolver6v33100L18getf2_small_kernelILi29EfiiPfEEvT1_T3_lS3_lPS3_llPT2_S3_S3_S5_l,"axG",@progbits,_ZN9rocsolver6v33100L18getf2_small_kernelILi29EfiiPfEEvT1_T3_lS3_lPS3_llPT2_S3_S3_S5_l,comdat
	.globl	_ZN9rocsolver6v33100L18getf2_small_kernelILi29EfiiPfEEvT1_T3_lS3_lPS3_llPT2_S3_S3_S5_l ; -- Begin function _ZN9rocsolver6v33100L18getf2_small_kernelILi29EfiiPfEEvT1_T3_lS3_lPS3_llPT2_S3_S3_S5_l
	.p2align	8
	.type	_ZN9rocsolver6v33100L18getf2_small_kernelILi29EfiiPfEEvT1_T3_lS3_lPS3_llPT2_S3_S3_S5_l,@function
_ZN9rocsolver6v33100L18getf2_small_kernelILi29EfiiPfEEvT1_T3_lS3_lPS3_llPT2_S3_S3_S5_l: ; @_ZN9rocsolver6v33100L18getf2_small_kernelILi29EfiiPfEEvT1_T3_lS3_lPS3_llPT2_S3_S3_S5_l
; %bb.0:
	s_load_dword s2, s[0:1], 0x6c
	s_load_dwordx2 s[14:15], s[0:1], 0x48
	v_bfe_u32 v3, v0, 10, 10
	s_waitcnt lgkmcnt(0)
	s_lshr_b32 s2, s2, 16
	s_mul_i32 s3, s3, s2
	v_add_u32_e32 v6, s3, v3
	v_cmp_gt_i32_e32 vcc, s14, v6
	s_and_saveexec_b64 s[2:3], vcc
	s_cbranch_execz .LBB56_493
; %bb.1:
	s_load_dwordx4 s[4:7], s[0:1], 0x50
	v_ashrrev_i32_e32 v7, 31, v6
	v_mov_b64_e32 v[4:5], 0
	s_movk_i32 s2, 0x1098
	scratch_store_dwordx2 off, v[4:5], s2   ; 8-byte Folded Spill
	s_waitcnt lgkmcnt(0)
	s_cmp_eq_u64 s[4:5], 0
	s_cselect_b64 s[16:17], -1, 0
	s_and_b64 vcc, exec, s[16:17]
	s_cbranch_vccnz .LBB56_3
; %bb.2:
	v_mul_lo_u32 v1, s7, v6
	v_mul_lo_u32 v2, s6, v7
	v_mad_u64_u32 v[4:5], s[2:3], s6, v6, 0
	v_add3_u32 v5, v5, v2, v1
	v_lshl_add_u64 v[4:5], v[4:5], 2, s[4:5]
	s_movk_i32 s2, 0x1098
	s_nop 1
	scratch_store_dwordx2 off, v[4:5], s2   ; 8-byte Folded Spill
.LBB56_3:
	s_load_dwordx4 s[20:23], s[0:1], 0x8
	s_load_dwordx8 s[4:11], s[0:1], 0x20
	s_load_dword s12, s[0:1], 0x18
	s_load_dword s14, s[0:1], 0x0
	s_movk_i32 s2, 0x1628
	scratch_store_dwordx2 off, v[6:7], s2   ; 8-byte Folded Spill
	s_waitcnt lgkmcnt(0)
	v_mul_lo_u32 v1, s5, v6
	v_mul_lo_u32 v2, s4, v7
	v_mad_u64_u32 v[6:7], s[2:3], s4, v6, 0
	v_mov_b32_e32 v4, s20
	v_mov_b32_e32 v5, s21
	v_add3_u32 v7, v7, v2, v1
	v_lshl_add_u64 v[4:5], v[6:7], 2, v[4:5]
	v_lshl_add_u64 v[60:61], s[22:23], 2, v[4:5]
	v_and_b32_e32 v2, 0x3ff, v0
	s_add_i32 s22, s12, s12
	v_add_u32_e32 v6, s22, v2
	v_add_u32_e32 v8, s12, v6
	;; [unrolled: 1-line block ×26, first 2 shown]
	v_lshlrev_b32_e32 v0, 2, v2
	v_mov_b32_e32 v1, 0
	v_ashrrev_i32_e32 v57, 31, v56
	v_add_u32_e32 v58, s12, v56
	v_lshl_add_u64 v[4:5], v[60:61], 0, v[0:1]
	v_lshl_add_u64 v[56:57], v[56:57], 2, v[60:61]
	v_ashrrev_i32_e32 v59, 31, v58
	global_load_dword v136, v[4:5], off
	v_lshl_add_u64 v[58:59], v[58:59], 2, v[60:61]
	global_load_dword v62, v[56:57], off
	global_load_dword v63, v[58:59], off
	s_max_i32 s2, s14, 29
	v_mul_lo_u32 v3, s2, v3
	s_ashr_i32 s13, s12, 31
	v_lshl_add_u32 v64, v3, 2, 0
	v_ashrrev_i32_e32 v9, 31, v8
	v_ashrrev_i32_e32 v11, 31, v10
	v_ashrrev_i32_e32 v13, 31, v12
	v_ashrrev_i32_e32 v7, 31, v6
	v_add_u32_e32 v0, v64, v0
	v_lshl_add_u64 v[8:9], v[8:9], 2, v[60:61]
	v_lshl_add_u64 v[10:11], v[10:11], 2, v[60:61]
	;; [unrolled: 1-line block ×4, first 2 shown]
	v_ashrrev_i32_e32 v15, 31, v14
	v_ashrrev_i32_e32 v17, 31, v16
	s_load_dwordx2 s[4:5], s[0:1], 0x40
	v_ashrrev_i32_e32 v23, 31, v22
	v_ashrrev_i32_e32 v25, 31, v24
	v_ashrrev_i32_e32 v27, 31, v26
	v_ashrrev_i32_e32 v37, 31, v36
	v_ashrrev_i32_e32 v39, 31, v38
	v_ashrrev_i32_e32 v41, 31, v40
	v_ashrrev_i32_e32 v51, 31, v50
	v_ashrrev_i32_e32 v53, 31, v52
	s_movk_i32 s0, 0x1620
	v_lshl_add_u64 v[6:7], v[6:7], 2, v[60:61]
	v_lshl_add_u64 v[14:15], v[14:15], 2, v[60:61]
	;; [unrolled: 1-line block ×3, first 2 shown]
	v_ashrrev_i32_e32 v19, 31, v18
	v_ashrrev_i32_e32 v21, 31, v20
	;; [unrolled: 1-line block ×11, first 2 shown]
                                        ; kill: killed $vgpr6_vgpr7
	s_cmp_lt_i32 s14, 2
                                        ; kill: killed $vgpr56_vgpr57
                                        ; kill: killed $vgpr58_vgpr59
	s_waitcnt vmcnt(0)
	scratch_store_dwordx2 off, v[62:63], off offset:264 ; 8-byte Folded Spill
	global_load_dword v123, v[4:5], off
	global_load_dword v70, v[6:7], off
	;; [unrolled: 1-line block ×7, first 2 shown]
	ds_write_b32 v0, v136
	v_lshl_add_u64 v[8:9], v[22:23], 2, v[60:61]
	v_lshl_add_u64 v[10:11], v[24:25], 2, v[60:61]
	;; [unrolled: 1-line block ×8, first 2 shown]
	scratch_store_dwordx2 off, v[60:61], s0 ; 8-byte Folded Spill
	v_lshl_add_u64 v[4:5], v[18:19], 2, v[60:61]
	v_lshl_add_u64 v[6:7], v[20:21], 2, v[60:61]
	;; [unrolled: 1-line block ×11, first 2 shown]
	global_load_dword v196, v[36:37], off
	global_load_dword v43, v[38:39], off
	;; [unrolled: 1-line block ×15, first 2 shown]
                                        ; kill: killed $vgpr12_vgpr13
                                        ; kill: killed $vgpr14_vgpr15
                                        ; kill: killed $vgpr16_vgpr17
                                        ; kill: killed $vgpr36_vgpr37
                                        ; kill: killed $vgpr18_vgpr19
                                        ; kill: killed $vgpr38_vgpr39
                                        ; kill: killed $vgpr20_vgpr21
                                        ; kill: killed $vgpr40_vgpr41
                                        ; kill: killed $vgpr22_vgpr23
                                        ; kill: killed $vgpr4_vgpr5
                                        ; kill: killed $vgpr24_vgpr25
                                        ; kill: killed $vgpr6_vgpr7
                                        ; kill: killed $vgpr26_vgpr27
                                        ; kill: killed $vgpr8_vgpr9
                                        ; kill: killed $vgpr10_vgpr11
	s_nop 0
	global_load_dword v26, v[28:29], off
	global_load_dword v37, v[30:31], off
	;; [unrolled: 1-line block ×4, first 2 shown]
	s_waitcnt lgkmcnt(0)
	s_barrier
	ds_read_b32 v0, v64
	v_lshlrev_b32_e32 v6, 2, v3
                                        ; kill: killed $vgpr30_vgpr31
                                        ; kill: killed $vgpr32_vgpr33
                                        ; kill: killed $vgpr34_vgpr35
                                        ; kill: killed $vgpr28_vgpr29
	scratch_store_dword off, v64, off offset:132 ; 4-byte Folded Spill
	s_cbranch_scc1 .LBB56_6
; %bb.4:
	v_add3_u32 v3, v6, 0, 4
	v_mov_b32_e32 v1, 0
	s_mov_b32 s0, 1
.LBB56_5:                               ; =>This Inner Loop Header: Depth=1
	ds_read_b32 v4, v3
	v_mov_b32_e32 v5, s0
	s_add_i32 s0, s0, 1
	v_add_u32_e32 v3, 4, v3
	s_cmp_eq_u32 s14, s0
	s_waitcnt lgkmcnt(0)
	v_cmp_lt_f32_e64 vcc, |v0|, |v4|
	s_nop 1
	v_cndmask_b32_e32 v0, v0, v4, vcc
	v_cndmask_b32_e32 v1, v1, v5, vcc
	s_cbranch_scc0 .LBB56_5
.LBB56_6:
	v_cmp_ne_u32_e32 vcc, v2, v1
	scratch_store_dword off, v6, off offset:2836 ; 4-byte Folded Spill
                                        ; implicit-def: $vgpr36
	s_and_saveexec_b64 s[0:1], vcc
	s_xor_b64 s[0:1], exec, s[0:1]
	s_cbranch_execz .LBB56_12
; %bb.7:
	v_cmp_eq_u32_e32 vcc, 0, v2
	s_and_saveexec_b64 s[2:3], vcc
	s_cbranch_execz .LBB56_11
; %bb.8:
	v_cmp_ne_u32_e32 vcc, 0, v1
	s_xor_b64 s[18:19], s[16:17], -1
	s_and_b64 s[20:21], s[18:19], vcc
	s_and_saveexec_b64 s[18:19], s[20:21]
	s_cbranch_execz .LBB56_10
; %bb.9:
	s_movk_i32 s20, 0x1098
	scratch_load_dwordx2 v[6:7], off, s20   ; 8-byte Folded Reload
	v_ashrrev_i32_e32 v3, 31, v1
	v_mov_b32_e32 v2, v1
	s_waitcnt vmcnt(0)
	v_lshl_add_u64 v[2:3], v[2:3], 2, v[6:7]
	global_load_dword v4, v[2:3], off
	global_load_dword v5, v[6:7], off
	s_waitcnt vmcnt(1)
	global_store_dword v[6:7], v4, off
	s_waitcnt vmcnt(1)
	global_store_dword v[2:3], v5, off
.LBB56_10:
	s_or_b64 exec, exec, s[18:19]
	v_mov_b32_e32 v2, v1
.LBB56_11:
	s_or_b64 exec, exec, s[2:3]
	v_mov_b32_e32 v36, v2
                                        ; implicit-def: $vgpr2
.LBB56_12:
	s_or_saveexec_b64 s[0:1], s[0:1]
	scratch_store_dword off, v36, off offset:2704 ; 4-byte Folded Spill
	s_xor_b64 exec, exec, s[0:1]
	s_cbranch_execz .LBB56_14
; %bb.13:
	scratch_load_dword v1, off, off offset:132 ; 4-byte Folded Reload
	v_mov_b32_e32 v36, 0
	s_waitcnt vmcnt(0)
	ds_write2_b32 v1, v123, v70 offset0:1 offset1:2
	ds_write2_b32 v1, v69, v68 offset0:3 offset1:4
	;; [unrolled: 1-line block ×13, first 2 shown]
	scratch_load_dwordx2 v[4:5], off, off offset:264 ; 8-byte Folded Reload
	s_waitcnt vmcnt(0)
	ds_write2_b32 v1, v4, v5 offset0:27 offset1:28
	scratch_store_dword off, v2, off offset:2704 ; 4-byte Folded Spill
.LBB56_14:
	s_or_b64 exec, exec, s[0:1]
	s_waitcnt lgkmcnt(0)
	v_cmp_eq_f32_e64 s[0:1], 0, v0
	v_cmp_gt_i32_e32 vcc, 1, v36
	s_barrier
	s_and_saveexec_b64 s[2:3], vcc
	s_xor_b64 s[2:3], exec, s[2:3]
; %bb.15:
                                        ; implicit-def: $vgpr0
; %bb.16:
	s_andn2_saveexec_b64 s[2:3], s[2:3]
	s_cbranch_execz .LBB56_18
; %bb.17:
	scratch_load_dword v34, off, off offset:132 ; 4-byte Folded Reload
	v_div_scale_f32 v1, s[18:19], v0, v0, 1.0
	v_rcp_f32_e32 v28, v1
	s_waitcnt vmcnt(30)
	v_mov_b32_e32 v2, v123
	s_waitcnt vmcnt(29)
	v_mov_b32_e32 v3, v70
	;; [unrolled: 2-line block ×3, first 2 shown]
	v_fma_f32 v29, -v1, v28, 1.0
	v_fmac_f32_e32 v28, v29, v28
	v_div_scale_f32 v29, vcc, 1.0, v0, 1.0
	v_mul_f32_e32 v30, v29, v28
	v_fma_f32 v31, -v1, v30, v29
	v_fmac_f32_e32 v30, v31, v28
	v_fma_f32 v1, -v1, v30, v29
	v_div_fmas_f32 v1, v1, v28, v30
	v_div_fixup_f32 v1, v1, v0, 1.0
	v_cndmask_b32_e64 v32, v1, v0, s[0:1]
	s_waitcnt vmcnt(27)
	v_mov_b32_e32 v5, v68
	s_waitcnt vmcnt(26)
	v_mov_b32_e32 v6, v67
	;; [unrolled: 2-line block ×3, first 2 shown]
	v_mul_f32_e32 v136, v136, v32
	s_waitcnt vmcnt(24)
	v_mov_b32_e32 v8, v63
	s_waitcnt vmcnt(19)
	v_mov_b32_e32 v9, v92
	;; [unrolled: 2-line block ×14, first 2 shown]
	v_mov_b32_e32 v26, v43
	v_mov_b32_e32 v27, v42
	;; [unrolled: 1-line block ×6, first 2 shown]
	s_waitcnt vmcnt(0)
	ds_read2_b32 v[0:1], v34 offset0:1 offset1:2
	ds_read2_b32 v[28:29], v34 offset0:3 offset1:4
	ds_read2_b32 v[30:31], v34 offset0:5 offset1:6
	ds_read2_b32 v[32:33], v34 offset0:7 offset1:8
	s_waitcnt lgkmcnt(3)
	v_pk_fma_f32 v[0:1], v[136:137], v[0:1], v[2:3] op_sel_hi:[0,1,1] neg_lo:[1,0,0] neg_hi:[1,0,0]
	s_waitcnt lgkmcnt(2)
	v_pk_fma_f32 v[2:3], v[136:137], v[28:29], v[4:5] op_sel_hi:[0,1,1] neg_lo:[1,0,0] neg_hi:[1,0,0]
	;; [unrolled: 2-line block ×3, first 2 shown]
	ds_read2_b32 v[6:7], v34 offset0:9 offset1:10
	ds_read2_b32 v[28:29], v34 offset0:11 offset1:12
	ds_read2_b32 v[30:31], v34 offset0:13 offset1:14
	s_waitcnt lgkmcnt(3)
	v_pk_fma_f32 v[8:9], v[136:137], v[32:33], v[8:9] op_sel_hi:[0,1,1] neg_lo:[1,0,0] neg_hi:[1,0,0]
	ds_read2_b32 v[32:33], v34 offset0:15 offset1:16
	s_waitcnt lgkmcnt(3)
	v_pk_fma_f32 v[6:7], v[136:137], v[6:7], v[10:11] op_sel_hi:[0,1,1] neg_lo:[1,0,0] neg_hi:[1,0,0]
	s_waitcnt lgkmcnt(2)
	v_pk_fma_f32 v[10:11], v[136:137], v[28:29], v[12:13] op_sel_hi:[0,1,1] neg_lo:[1,0,0] neg_hi:[1,0,0]
	;; [unrolled: 2-line block ×3, first 2 shown]
	ds_read2_b32 v[14:15], v34 offset0:17 offset1:18
	s_waitcnt lgkmcnt(1)
	v_pk_fma_f32 v[16:17], v[136:137], v[32:33], v[16:17] op_sel_hi:[0,1,1] neg_lo:[1,0,0] neg_hi:[1,0,0]
	ds_read2_b32 v[28:29], v34 offset0:19 offset1:20
	ds_read2_b32 v[30:31], v34 offset0:21 offset1:22
	;; [unrolled: 1-line block ×3, first 2 shown]
	v_mov_b32_e32 v123, v0
	v_mov_b32_e32 v70, v1
	s_waitcnt lgkmcnt(3)
	v_pk_fma_f32 v[14:15], v[136:137], v[14:15], v[18:19] op_sel_hi:[0,1,1] neg_lo:[1,0,0] neg_hi:[1,0,0]
	ds_read2_b32 v[18:19], v34 offset0:25 offset1:26
	ds_read2_b32 v[34:35], v34 offset0:27 offset1:28
	s_waitcnt lgkmcnt(4)
	v_pk_fma_f32 v[20:21], v[136:137], v[28:29], v[20:21] op_sel_hi:[0,1,1] neg_lo:[1,0,0] neg_hi:[1,0,0]
	s_waitcnt lgkmcnt(3)
	v_pk_fma_f32 v[22:23], v[136:137], v[30:31], v[22:23] op_sel_hi:[0,1,1] neg_lo:[1,0,0] neg_hi:[1,0,0]
	;; [unrolled: 2-line block ×4, first 2 shown]
	scratch_load_dwordx2 v[26:27], off, off offset:264 ; 8-byte Folded Reload
	v_mov_b32_e32 v69, v2
	v_mov_b32_e32 v68, v3
	;; [unrolled: 1-line block ×22, first 2 shown]
	s_waitcnt vmcnt(0) lgkmcnt(0)
	v_pk_fma_f32 v[26:27], v[136:137], v[34:35], v[26:27] op_sel_hi:[0,1,1] neg_lo:[1,0,0] neg_hi:[1,0,0]
	scratch_store_dwordx2 off, v[26:27], off offset:264 ; 8-byte Folded Spill
	v_mov_b32_e32 v26, v21
	v_mov_b32_e32 v27, v24
.LBB56_18:
	s_or_b64 exec, exec, s[2:3]
	s_barrier
	scratch_load_dword v1, off, off offset:132 ; 4-byte Folded Reload
	s_mov_b32 s2, 2
	s_cmp_lt_i32 s14, 3
	s_waitcnt vmcnt(0)
	v_lshl_add_u32 v0, v36, 2, v1
	ds_write_b32 v0, v123
	s_waitcnt lgkmcnt(0)
	s_barrier
	ds_read_b32 v35, v1 offset:4
	v_mov_b32_e32 v0, 1
	s_cbranch_scc1 .LBB56_21
; %bb.19:
	scratch_load_dword v0, off, off offset:2836 ; 4-byte Folded Reload
	s_waitcnt vmcnt(0)
	v_add3_u32 v1, v0, 0, 8
	v_mov_b32_e32 v0, 1
.LBB56_20:                              ; =>This Inner Loop Header: Depth=1
	ds_read_b32 v2, v1
	v_mov_b32_e32 v3, s2
	s_add_i32 s2, s2, 1
	v_add_u32_e32 v1, 4, v1
	s_cmp_lg_u32 s14, s2
	s_waitcnt lgkmcnt(0)
	v_cmp_lt_f32_e64 vcc, |v35|, |v2|
	s_nop 1
	v_cndmask_b32_e32 v35, v35, v2, vcc
	v_cndmask_b32_e32 v0, v0, v3, vcc
	s_cbranch_scc1 .LBB56_20
.LBB56_21:
	v_cmp_ne_u32_e32 vcc, v36, v0
	s_and_saveexec_b64 s[2:3], vcc
	s_xor_b64 s[2:3], exec, s[2:3]
	s_cbranch_execz .LBB56_27
; %bb.22:
	v_cmp_eq_u32_e32 vcc, 1, v36
	s_and_saveexec_b64 s[18:19], vcc
	s_cbranch_execz .LBB56_26
; %bb.23:
	v_cmp_ne_u32_e32 vcc, 1, v0
	s_xor_b64 s[20:21], s[16:17], -1
	s_and_b64 s[24:25], s[20:21], vcc
	s_and_saveexec_b64 s[20:21], s[24:25]
	s_cbranch_execz .LBB56_25
; %bb.24:
	s_movk_i32 s23, 0x1098
	scratch_load_dwordx2 v[6:7], off, s23   ; 8-byte Folded Reload
	v_ashrrev_i32_e32 v1, 31, v0
	s_waitcnt vmcnt(0)
	v_lshl_add_u64 v[2:3], v[0:1], 2, v[6:7]
	global_load_dword v1, v[2:3], off
	global_load_dword v4, v[6:7], off offset:4
	s_waitcnt vmcnt(1)
	global_store_dword v[6:7], v1, off offset:4
	s_waitcnt vmcnt(1)
	global_store_dword v[2:3], v4, off
.LBB56_25:
	s_or_b64 exec, exec, s[20:21]
	v_mov_b32_e32 v1, v0
	v_mov_b32_e32 v36, v0
	scratch_store_dword off, v1, off offset:2704 ; 4-byte Folded Spill
.LBB56_26:
	s_or_b64 exec, exec, s[18:19]
.LBB56_27:
	s_or_saveexec_b64 s[2:3], s[2:3]
	scratch_load_dwordx2 v[0:1], off, off offset:264 ; 8-byte Folded Reload
	v_mov_b32_e32 v150, v130
	v_mov_b32_e32 v151, v101
	v_mov_b32_e32 v137, v123
	v_mov_b32_e32 v138, v70
	v_mov_b32_e32 v139, v69
	v_mov_b32_e32 v140, v68
	v_mov_b32_e32 v141, v67
	v_mov_b32_e32 v142, v66
	v_mov_b32_e32 v143, v63
	v_mov_b32_e32 v144, v92
	v_mov_b32_e32 v145, v195
	v_mov_b32_e32 v146, v164
	v_mov_b32_e32 v147, v53
	v_mov_b32_e32 v148, v134
	v_mov_b32_e32 v149, v49
	v_mov_b64_e32 v[216:217], v[150:151]
	v_mov_b32_e32 v29, v123
	v_mov_b32_e32 v3, v69
	;; [unrolled: 1-line block ×10, first 2 shown]
	v_mov_b64_e32 v[214:215], v[148:149]
	v_mov_b64_e32 v[212:213], v[146:147]
	;; [unrolled: 1-line block ×7, first 2 shown]
	v_mov_b32_e32 v218, v62
	v_mov_b32_e32 v149, v51
	v_mov_b32_e32 v219, v51
	v_mov_b32_e32 v220, v46
	v_mov_b32_e32 v221, v45
	v_mov_b32_e32 v222, v26
	v_mov_b32_e32 v223, v37
	v_mov_b32_e32 v34, v38
	v_mov_b32_e32 v224, v38
	v_mov_b32_e32 v225, v27
	v_mov_b32_e32 v226, v196
	v_mov_b32_e32 v227, v43
	v_mov_b32_e32 v228, v42
	s_waitcnt vmcnt(0)
	v_mov_b32_e32 v229, v0
	v_mov_b32_e32 v230, v1
	s_xor_b64 exec, exec, s[2:3]
	s_cbranch_execz .LBB56_29
; %bb.28:
	scratch_load_dword v2, off, off offset:132 ; 4-byte Folded Reload
	v_mov_b32_e32 v36, 1
	s_waitcnt vmcnt(0)
	ds_write2_b32 v2, v24, v3 offset0:2 offset1:3
	ds_write2_b32 v2, v32, v5 offset0:4 offset1:5
	;; [unrolled: 1-line block ×12, first 2 shown]
	scratch_load_dwordx2 v[0:1], off, off offset:264 ; 8-byte Folded Reload
	s_waitcnt vmcnt(0)
	ds_write2_b32 v2, v42, v0 offset0:26 offset1:27
	ds_write_b32 v2, v1 offset:112
.LBB56_29:
	s_or_b64 exec, exec, s[2:3]
	v_mov_b32_e32 v242, v230
	v_mov_b64_e32 v[240:241], v[228:229]
	v_mov_b64_e32 v[238:239], v[226:227]
	;; [unrolled: 1-line block ×14, first 2 shown]
	v_mov_b32_e32 v1, v29
	v_mov_b32_e32 v0, v214
	;; [unrolled: 1-line block ×12, first 2 shown]
	v_mov_b64_e32 v[58:59], v[14:15]
	v_mov_b64_e32 v[38:39], v[0:1]
	;; [unrolled: 1-line block ×3, first 2 shown]
	v_mov_b32_e32 v76, v214
	v_mov_b32_e32 v77, v39
	;; [unrolled: 1-line block ×8, first 2 shown]
	scratch_store_dwordx4 off, v[76:79], off offset:1296 ; 16-byte Folded Spill
	s_nop 0
	scratch_store_dwordx4 off, v[80:83], off offset:1312 ; 16-byte Folded Spill
	scratch_store_dwordx4 off, v[84:87], off offset:1328 ; 16-byte Folded Spill
	;; [unrolled: 1-line block ×7, first 2 shown]
	v_mov_b64_e32 v[56:57], v[12:13]
	v_mov_b32_e32 v116, v214
	v_mov_b32_e32 v117, v29
	;; [unrolled: 1-line block ×6, first 2 shown]
	s_movk_i32 s2, 0x1018
	v_mov_b32_e32 v6, v122
	v_mov_b32_e32 v192, v122
	;; [unrolled: 1-line block ×6, first 2 shown]
	scratch_store_dwordx4 off, v[116:119], s2 ; 16-byte Folded Spill
	s_nop 0
	scratch_store_dwordx4 off, v[120:123], s2 offset:16 ; 16-byte Folded Spill
	scratch_store_dwordx4 off, v[124:127], s2 offset:32 ; 16-byte Folded Spill
	;; [unrolled: 1-line block ×7, first 2 shown]
	v_mov_b64_e32 v[68:69], v[14:15]
	v_mov_b64_e32 v[54:55], v[10:11]
	;; [unrolled: 1-line block ×4, first 2 shown]
	v_mov_b32_e32 v213, v53
	v_mov_b32_e32 v154, v214
	;; [unrolled: 1-line block ×31, first 2 shown]
	v_mov_b64_e32 v[58:59], v[6:7]
	v_mov_b64_e32 v[52:53], v[0:1]
	;; [unrolled: 1-line block ×3, first 2 shown]
	v_mov_b32_e32 v18, v46
	v_mov_b64_e32 v[56:57], v[4:5]
	v_mov_b64_e32 v[54:55], v[2:3]
	;; [unrolled: 1-line block ×3, first 2 shown]
	v_mov_b32_e32 v212, v164
	v_mov_b32_e32 v98, v164
	;; [unrolled: 1-line block ×8, first 2 shown]
	v_mov_b64_e32 v[48:49], v[54:55]
	v_mov_b64_e32 v[50:51], v[56:57]
	v_mov_b64_e32 v[52:53], v[58:59]
	v_mov_b32_e32 v129, v63
	v_mov_b32_e32 v88, v214
	;; [unrolled: 1-line block ×3, first 2 shown]
	v_mov_b64_e32 v[106:107], v[14:15]
	v_mov_b32_e32 v162, v84
	v_mov_b32_e32 v132, v154
	;; [unrolled: 1-line block ×12, first 2 shown]
	scratch_store_dwordx4 off, v[132:135], off offset:656 ; 16-byte Folded Spill
	s_nop 0
	scratch_store_dwordx4 off, v[136:139], off offset:672 ; 16-byte Folded Spill
	scratch_store_dwordx4 off, v[140:143], off offset:688 ; 16-byte Folded Spill
	;; [unrolled: 1-line block ×7, first 2 shown]
	v_mov_b32_e32 v72, v84
	v_mov_b32_e32 v76, v100
	scratch_load_dwordx4 v[154:157], off, s2 ; 16-byte Folded Reload
	scratch_load_dwordx4 v[158:161], off, s2 offset:16 ; 16-byte Folded Reload
	scratch_load_dwordx4 v[162:165], off, s2 offset:32 ; 16-byte Folded Reload
	;; [unrolled: 1-line block ×7, first 2 shown]
	s_nop 0
	scratch_store_dwordx4 off, v[46:49], off offset:2320 ; 16-byte Folded Spill
	s_nop 0
	scratch_store_dwordx4 off, v[50:53], off offset:2336 ; 16-byte Folded Spill
	scratch_store_dwordx4 off, v[54:57], off offset:2352 ; 16-byte Folded Spill
	;; [unrolled: 1-line block ×7, first 2 shown]
	v_mov_b32_e32 v193, v7
	v_mov_b32_e32 v209, v7
	;; [unrolled: 1-line block ×8, first 2 shown]
	v_mov_b64_e32 v[104:105], v[12:13]
	v_mov_b64_e32 v[102:103], v[10:11]
	v_mov_b32_e32 v123, v7
	v_mov_b64_e32 v[0:1], v[88:89]
	v_mov_b32_e32 v117, v39
	v_mov_b32_e32 v128, v100
	v_mov_b64_e32 v[2:3], v[90:91]
	v_mov_b64_e32 v[4:5], v[92:93]
	;; [unrolled: 1-line block ×5, first 2 shown]
	v_mov_b32_e32 v12, v100
	v_mov_b32_e32 v86, v214
	;; [unrolled: 1-line block ×7, first 2 shown]
	v_mov_b64_e32 v[78:79], v[102:103]
	v_mov_b32_e32 v94, v84
	v_mov_b32_e32 v95, v195
	;; [unrolled: 1-line block ×6, first 2 shown]
	v_mov_b64_e32 v[80:81], v[104:105]
	v_mov_b64_e32 v[82:83], v[106:107]
	v_mov_b32_e32 v132, v214
	v_mov_b32_e32 v133, v39
	v_mov_b32_e32 v134, v24
	v_mov_b32_e32 v135, v201
	v_mov_b32_e32 v136, v32
	v_mov_b32_e32 v137, v83
	v_mov_b32_e32 v140, v84
	v_mov_b32_e32 v141, v195
	v_mov_b32_e32 v143, v213
	v_mov_b32_e32 v144, v12
	v_mov_b32_e32 v146, v130
	v_mov_b32_e32 v22, v214
	v_mov_b32_e32 v28, v214
	v_mov_b32_e32 v30, v24
	v_mov_b32_e32 v186, v214
	v_mov_b32_e32 v202, v214
	v_mov_b32_e32 v46, v214
	v_mov_b32_e32 v47, v39
	v_mov_b32_e32 v48, v24
	v_mov_b32_e32 v49, v201
	v_mov_b32_e32 v50, v32
	v_mov_b32_e32 v51, v83
	v_mov_b32_e32 v54, v84
	v_mov_b32_e32 v55, v195
	v_mov_b32_e32 v57, v213
	v_mov_b32_e32 v23, v29
	v_mov_b32_e32 v187, v39
	v_mov_b32_e32 v190, v32
	v_mov_b32_e32 v203, v39
	v_mov_b32_e32 v206, v32
	v_mov_b32_e32 v119, v201
	v_mov_b32_e32 v124, v84
	v_mov_b32_e32 v125, v195
	v_mov_b32_e32 v96, v142
	v_mov_b32_e32 v127, v213
	v_mov_b32_e32 v58, v12
	v_mov_b32_e32 v60, v130
	s_waitcnt vmcnt(14)
	v_mov_b32_e32 v92, v160
	v_mov_b32_e32 v93, v53
	;; [unrolled: 1-line block ×3, first 2 shown]
	scratch_store_dwordx4 off, v[86:89], off offset:2448 ; 16-byte Folded Spill
	s_nop 0
	scratch_store_dwordx4 off, v[90:93], off offset:2464 ; 16-byte Folded Spill
	scratch_store_dwordx4 off, v[94:97], off offset:2480 ; 16-byte Folded Spill
	;; [unrolled: 1-line block ×7, first 2 shown]
	scratch_load_dwordx4 v[154:157], off, s2 ; 16-byte Folded Reload
	scratch_load_dwordx4 v[158:161], off, s2 offset:16 ; 16-byte Folded Reload
	scratch_load_dwordx4 v[162:165], off, s2 offset:32 ; 16-byte Folded Reload
	;; [unrolled: 1-line block ×7, first 2 shown]
	v_mov_b32_e32 v145, v63
	v_mov_b32_e32 v148, v62
	;; [unrolled: 1-line block ×15, first 2 shown]
	s_movk_i32 s18, 0x13a0
	v_mov_b32_e32 v147, v101
	v_mov_b32_e32 v61, v101
	s_waitcnt vmcnt(6)
	v_mov_b32_e32 v52, v160
	scratch_load_dwordx4 v[150:153], off, off offset:656 ; 16-byte Folded Reload
	scratch_load_dwordx4 v[154:157], off, off offset:672 ; 16-byte Folded Reload
	;; [unrolled: 1-line block ×8, first 2 shown]
	s_waitcnt vmcnt(5)
	v_mov_b32_e32 v56, v160
	scratch_load_dwordx4 v[154:157], off, s2 ; 16-byte Folded Reload
	scratch_load_dwordx4 v[158:161], off, s2 offset:16 ; 16-byte Folded Reload
	scratch_load_dwordx4 v[162:165], off, s2 offset:32 ; 16-byte Folded Reload
	;; [unrolled: 1-line block ×7, first 2 shown]
	s_waitcnt vmcnt(6)
	v_mov_b32_e32 v138, v160
	scratch_load_dwordx4 v[150:153], off, off offset:2320 ; 16-byte Folded Reload
	scratch_load_dwordx4 v[154:157], off, off offset:2336 ; 16-byte Folded Reload
	;; [unrolled: 1-line block ×8, first 2 shown]
	s_waitcnt vmcnt(6)
	v_mov_b32_e32 v139, v157
	scratch_load_dwordx4 v[150:153], off, off offset:656 ; 16-byte Folded Reload
	scratch_load_dwordx4 v[154:157], off, off offset:672 ; 16-byte Folded Reload
	scratch_load_dwordx4 v[158:161], off, off offset:688 ; 16-byte Folded Reload
	scratch_load_dwordx4 v[162:165], off, off offset:704 ; 16-byte Folded Reload
	scratch_load_dwordx4 v[166:169], off, off offset:720 ; 16-byte Folded Reload
	scratch_load_dwordx4 v[170:173], off, off offset:736 ; 16-byte Folded Reload
	scratch_load_dwordx4 v[174:177], off, off offset:752 ; 16-byte Folded Reload
	scratch_load_dwordx4 v[178:181], off, off offset:768 ; 16-byte Folded Reload
	s_waitcnt vmcnt(4)
	v_mov_b32_e32 v162, v12
	v_mov_b32_e32 v12, v128
	;; [unrolled: 1-line block ×5, first 2 shown]
	v_mov_b64_e32 v[160:161], v[10:11]
	v_mov_b64_e32 v[158:159], v[8:9]
	;; [unrolled: 1-line block ×6, first 2 shown]
	scratch_store_dwordx4 off, v[132:135], off offset:3096 ; 16-byte Folded Spill
	s_nop 0
	scratch_store_dwordx4 off, v[136:139], off offset:3112 ; 16-byte Folded Spill
	scratch_store_dwordx4 off, v[140:143], off offset:3128 ; 16-byte Folded Spill
	;; [unrolled: 1-line block ×8, first 2 shown]
	s_nop 0
	scratch_store_dwordx4 off, v[218:221], off offset:1184 ; 16-byte Folded Spill
	scratch_store_dwordx4 off, v[222:225], off offset:1200 ; 16-byte Folded Spill
	;; [unrolled: 1-line block ×7, first 2 shown]
	v_mov_b64_e32 v[0:1], v[116:117]
	v_mov_b64_e32 v[2:3], v[118:119]
	;; [unrolled: 1-line block ×13, first 2 shown]
	v_mov_b32_e32 v115, v227
	v_mov_b32_e32 v118, v62
	;; [unrolled: 1-line block ×3, first 2 shown]
	v_mov_b64_e32 v[16:17], v[78:79]
	v_mov_b64_e32 v[20:21], v[82:83]
	v_mov_b32_e32 v107, v21
	v_mov_b32_e32 v116, v14
	v_mov_b64_e32 v[18:19], v[80:81]
	v_mov_b64_e32 v[88:89], v[150:151]
	;; [unrolled: 1-line block ×7, first 2 shown]
	v_mov_b32_e32 v100, v162
	scratch_load_dwordx4 v[154:157], off, off offset:656 ; 16-byte Folded Reload
	scratch_load_dwordx4 v[158:161], off, off offset:672 ; 16-byte Folded Reload
	;; [unrolled: 1-line block ×8, first 2 shown]
	s_nop 0
	scratch_store_dwordx4 off, v[26:29], off offset:136 ; 16-byte Folded Spill
	s_nop 0
	scratch_store_dwordx4 off, v[30:33], off offset:152 ; 16-byte Folded Spill
	s_waitcnt lgkmcnt(0)
	scratch_store_dwordx4 off, v[34:37], off offset:168 ; 16-byte Folded Spill
	scratch_store_dwordx4 off, v[38:41], off offset:184 ; 16-byte Folded Spill
	;; [unrolled: 1-line block ×6, first 2 shown]
	scratch_load_dwordx4 v[122:125], off, off offset:1168 ; 16-byte Folded Reload
	scratch_load_dwordx4 v[126:129], off, off offset:1184 ; 16-byte Folded Reload
	;; [unrolled: 1-line block ×8, first 2 shown]
	v_mov_b32_e32 v114, v100
	v_mov_b32_e32 v103, v39
	s_waitcnt vmcnt(7)
	v_mov_b32_e32 v102, v122
	scratch_load_dwordx4 v[122:125], off, s2 ; 16-byte Folded Reload
	scratch_load_dwordx4 v[126:129], off, s2 offset:16 ; 16-byte Folded Reload
	scratch_load_dwordx4 v[130:133], off, s2 offset:32 ; 16-byte Folded Reload
	scratch_load_dwordx4 v[134:137], off, s2 offset:48 ; 16-byte Folded Reload
	scratch_load_dwordx4 v[138:141], off, s2 offset:64 ; 16-byte Folded Reload
	scratch_load_dwordx4 v[142:145], off, s2 offset:80 ; 16-byte Folded Reload
	scratch_load_dwordx4 v[146:149], off, s2 offset:96 ; 16-byte Folded Reload
	scratch_load_dwordx4 v[150:153], off, s2 offset:112 ; 16-byte Folded Reload
	v_mov_b32_e32 v64, v154
	v_mov_b32_e32 v112, v164
	;; [unrolled: 1-line block ×12, first 2 shown]
	v_mov_b64_e32 v[156:157], v[202:203]
	v_mov_b64_e32 v[158:159], v[204:205]
	;; [unrolled: 1-line block ×6, first 2 shown]
	v_mov_b32_e32 v106, v32
	s_waitcnt vmcnt(6)
	v_mov_b32_e32 v108, v128
	scratch_load_dwordx4 v[122:125], off, off offset:2320 ; 16-byte Folded Reload
	scratch_load_dwordx4 v[126:129], off, off offset:2336 ; 16-byte Folded Reload
	;; [unrolled: 1-line block ×8, first 2 shown]
	s_nop 0
	scratch_store_dwordx4 off, v[156:159], off offset:1680 ; 16-byte Folded Spill
	s_nop 0
	scratch_store_dwordx4 off, v[160:163], off offset:1696 ; 16-byte Folded Spill
	scratch_store_dwordx4 off, v[164:167], off offset:1712 ; 16-byte Folded Spill
	;; [unrolled: 1-line block ×8, first 2 shown]
	s_nop 0
	scratch_store_dwordx4 off, v[218:221], off offset:3240 ; 16-byte Folded Spill
	scratch_store_dwordx4 off, v[222:225], off offset:3256 ; 16-byte Folded Spill
	;; [unrolled: 1-line block ×7, first 2 shown]
	v_mov_b64_e32 v[164:165], v[98:99]
	v_mov_b64_e32 v[162:163], v[96:97]
	;; [unrolled: 1-line block ×6, first 2 shown]
	v_mov_b32_e32 v166, v100
	s_waitcnt vmcnt(22)
	v_mov_b32_e32 v109, v129
	scratch_load_dwordx4 v[122:125], off, off offset:2448 ; 16-byte Folded Reload
	scratch_load_dwordx4 v[126:129], off, off offset:2464 ; 16-byte Folded Reload
	;; [unrolled: 1-line block ×8, first 2 shown]
	s_waitcnt vmcnt(4)
	v_mov_b64_e32 v[182:183], v[136:137]
	v_mov_b64_e32 v[180:181], v[134:135]
	;; [unrolled: 1-line block ×8, first 2 shown]
	scratch_load_dwordx4 v[122:125], off, off offset:3096 ; 16-byte Folded Reload
	scratch_load_dwordx4 v[126:129], off, off offset:3112 ; 16-byte Folded Reload
	;; [unrolled: 1-line block ×8, first 2 shown]
	s_nop 0
	scratch_store_dwordx4 off, v[46:49], off offset:784 ; 16-byte Folded Spill
	s_nop 0
	scratch_store_dwordx4 off, v[50:53], off offset:800 ; 16-byte Folded Spill
	scratch_store_dwordx4 off, v[54:57], off offset:816 ; 16-byte Folded Spill
	;; [unrolled: 1-line block ×7, first 2 shown]
	v_mov_b32_e32 v117, v183
	v_mov_b64_e32 v[88:89], v[102:103]
	v_mov_b64_e32 v[90:91], v[104:105]
	;; [unrolled: 1-line block ×8, first 2 shown]
	s_waitcnt vmcnt(11)
	v_mov_b32_e32 v119, v139
	scratch_load_dwordx4 v[122:125], off, off offset:1168 ; 16-byte Folded Reload
	scratch_load_dwordx4 v[126:129], off, off offset:1184 ; 16-byte Folded Reload
	;; [unrolled: 1-line block ×16, first 2 shown]
	v_mov_b32_e32 v104, v118
	v_mov_b32_e32 v105, v119
	;; [unrolled: 1-line block ×3, first 2 shown]
	v_mov_b64_e32 v[120:121], v[82:83]
	v_mov_b64_e32 v[118:119], v[80:81]
	;; [unrolled: 1-line block ×3, first 2 shown]
	s_waitcnt vmcnt(7)
	v_mov_b32_e32 v224, v122
	scratch_store_dwordx4 off, v[224:227], off offset:136 ; 16-byte Folded Spill
	s_waitcnt vmcnt(7)
	scratch_store_dwordx4 off, v[228:231], off offset:152 ; 16-byte Folded Spill
	s_waitcnt vmcnt(7)
	;; [unrolled: 2-line block ×7, first 2 shown]
	scratch_store_dwordx4 off, v[252:255], off offset:248 ; 16-byte Folded Spill
	scratch_load_dwordx4 v[122:125], off, off offset:136 ; 16-byte Folded Reload
	scratch_load_dwordx4 v[126:129], off, off offset:152 ; 16-byte Folded Reload
	;; [unrolled: 1-line block ×8, first 2 shown]
	s_waitcnt vmcnt(7)
	v_mov_b32_e32 v123, v39
	scratch_store_dwordx4 off, v[122:125], off offset:136 ; 16-byte Folded Spill
	s_waitcnt vmcnt(7)
	scratch_store_dwordx4 off, v[126:129], off offset:152 ; 16-byte Folded Spill
	s_waitcnt vmcnt(7)
	scratch_store_dwordx4 off, v[130:133], off offset:168 ; 16-byte Folded Spill
	s_waitcnt vmcnt(7)
	scratch_store_dwordx4 off, v[134:137], off offset:184 ; 16-byte Folded Spill
	s_waitcnt vmcnt(7)
	scratch_store_dwordx4 off, v[138:141], off offset:200 ; 16-byte Folded Spill
	s_waitcnt vmcnt(7)
	scratch_store_dwordx4 off, v[142:145], off offset:216 ; 16-byte Folded Spill
	s_waitcnt vmcnt(7)
	scratch_store_dwordx4 off, v[146:149], off offset:232 ; 16-byte Folded Spill
	s_waitcnt vmcnt(7)
	scratch_store_dwordx4 off, v[150:153], off offset:248 ; 16-byte Folded Spill
	scratch_load_dwordx4 v[122:125], off, off offset:136 ; 16-byte Folded Reload
	s_nop 0
	scratch_load_dwordx4 v[126:129], off, off offset:152 ; 16-byte Folded Reload
	scratch_load_dwordx4 v[130:133], off, off offset:168 ; 16-byte Folded Reload
	scratch_load_dwordx4 v[134:137], off, off offset:184 ; 16-byte Folded Reload
	scratch_load_dwordx4 v[138:141], off, off offset:200 ; 16-byte Folded Reload
	scratch_load_dwordx4 v[142:145], off, off offset:216 ; 16-byte Folded Reload
	scratch_load_dwordx4 v[146:149], off, off offset:232 ; 16-byte Folded Reload
	scratch_load_dwordx4 v[150:153], off, off offset:248 ; 16-byte Folded Reload
	s_waitcnt vmcnt(7)
	v_mov_b32_e32 v124, v24
	scratch_store_dwordx4 off, v[122:125], off offset:136 ; 16-byte Folded Spill
	s_waitcnt vmcnt(7)
	scratch_store_dwordx4 off, v[126:129], off offset:152 ; 16-byte Folded Spill
	s_waitcnt vmcnt(7)
	scratch_store_dwordx4 off, v[130:133], off offset:168 ; 16-byte Folded Spill
	s_waitcnt vmcnt(7)
	scratch_store_dwordx4 off, v[134:137], off offset:184 ; 16-byte Folded Spill
	s_waitcnt vmcnt(7)
	scratch_store_dwordx4 off, v[138:141], off offset:200 ; 16-byte Folded Spill
	s_waitcnt vmcnt(7)
	scratch_store_dwordx4 off, v[142:145], off offset:216 ; 16-byte Folded Spill
	s_waitcnt vmcnt(7)
	scratch_store_dwordx4 off, v[146:149], off offset:232 ; 16-byte Folded Spill
	s_waitcnt vmcnt(7)
	scratch_store_dwordx4 off, v[150:153], off offset:248 ; 16-byte Folded Spill
	scratch_load_dwordx4 v[122:125], off, off offset:136 ; 16-byte Folded Reload
	s_nop 0
	scratch_load_dwordx4 v[126:129], off, off offset:152 ; 16-byte Folded Reload
	scratch_load_dwordx4 v[130:133], off, off offset:168 ; 16-byte Folded Reload
	scratch_load_dwordx4 v[134:137], off, off offset:184 ; 16-byte Folded Reload
	scratch_load_dwordx4 v[138:141], off, off offset:200 ; 16-byte Folded Reload
	scratch_load_dwordx4 v[142:145], off, off offset:216 ; 16-byte Folded Reload
	scratch_load_dwordx4 v[146:149], off, off offset:232 ; 16-byte Folded Reload
	scratch_load_dwordx4 v[150:153], off, off offset:248 ; 16-byte Folded Reload
	;; [unrolled: 26-line block ×3, first 2 shown]
	s_waitcnt vmcnt(6)
	v_mov_b32_e32 v126, v32
	scratch_store_dwordx4 off, v[122:125], off offset:136 ; 16-byte Folded Spill
	s_nop 0
	scratch_store_dwordx4 off, v[126:129], off offset:152 ; 16-byte Folded Spill
	s_waitcnt vmcnt(7)
	scratch_store_dwordx4 off, v[130:133], off offset:168 ; 16-byte Folded Spill
	s_waitcnt vmcnt(7)
	;; [unrolled: 2-line block ×6, first 2 shown]
	scratch_store_dwordx4 off, v[150:153], off offset:248 ; 16-byte Folded Spill
	scratch_load_dwordx4 v[122:125], off, off offset:136 ; 16-byte Folded Reload
	s_nop 0
	scratch_load_dwordx4 v[126:129], off, off offset:152 ; 16-byte Folded Reload
	scratch_load_dwordx4 v[130:133], off, off offset:168 ; 16-byte Folded Reload
	;; [unrolled: 1-line block ×7, first 2 shown]
	s_waitcnt vmcnt(6)
	v_mov_b32_e32 v127, v21
	scratch_store_dwordx4 off, v[122:125], off offset:136 ; 16-byte Folded Spill
	s_nop 0
	scratch_store_dwordx4 off, v[126:129], off offset:152 ; 16-byte Folded Spill
	s_waitcnt vmcnt(7)
	scratch_store_dwordx4 off, v[130:133], off offset:168 ; 16-byte Folded Spill
	s_waitcnt vmcnt(7)
	;; [unrolled: 2-line block ×6, first 2 shown]
	scratch_store_dwordx4 off, v[150:153], off offset:248 ; 16-byte Folded Spill
	scratch_load_dwordx4 v[122:125], off, off offset:136 ; 16-byte Folded Reload
	s_nop 0
	scratch_load_dwordx4 v[126:129], off, off offset:152 ; 16-byte Folded Reload
	scratch_load_dwordx4 v[130:133], off, off offset:168 ; 16-byte Folded Reload
	;; [unrolled: 1-line block ×7, first 2 shown]
	scratch_load_dwordx4 v[224:227], off, s2 ; 16-byte Folded Reload
	scratch_load_dwordx4 v[228:231], off, s2 offset:16 ; 16-byte Folded Reload
	scratch_load_dwordx4 v[232:235], off, s2 offset:32 ; 16-byte Folded Reload
	;; [unrolled: 1-line block ×7, first 2 shown]
	s_movk_i32 s2, 0xf98
	s_waitcnt vmcnt(6)
	v_mov_b32_e32 v108, v224
	v_mov_b32_e32 v114, v230
	;; [unrolled: 1-line block ×3, first 2 shown]
	scratch_store_dwordx4 off, v[122:125], off offset:136 ; 16-byte Folded Spill
	s_nop 0
	scratch_store_dwordx4 off, v[126:129], off offset:152 ; 16-byte Folded Spill
	scratch_store_dwordx4 off, v[130:133], off offset:168 ; 16-byte Folded Spill
	;; [unrolled: 1-line block ×7, first 2 shown]
	v_mov_b32_e32 v109, v225
	v_mov_b32_e32 v110, v226
	v_mov_b32_e32 v111, v227
	v_mov_b32_e32 v112, v228
	v_mov_b32_e32 v113, v229
	scratch_load_dwordx4 v[122:125], off, off offset:136 ; 16-byte Folded Reload
	scratch_load_dwordx4 v[126:129], off, off offset:152 ; 16-byte Folded Reload
	;; [unrolled: 1-line block ×16, first 2 shown]
	s_waitcnt vmcnt(6)
	v_mov_b32_e32 v129, v209
	scratch_store_dwordx4 off, v[122:125], off offset:136 ; 16-byte Folded Spill
	s_nop 0
	scratch_store_dwordx4 off, v[126:129], off offset:152 ; 16-byte Folded Spill
	scratch_store_dwordx4 off, v[130:133], off offset:168 ; 16-byte Folded Spill
	;; [unrolled: 1-line block ×7, first 2 shown]
	scratch_load_dwordx4 v[122:125], off, off offset:136 ; 16-byte Folded Reload
	s_nop 0
	scratch_load_dwordx4 v[126:129], off, off offset:152 ; 16-byte Folded Reload
	scratch_load_dwordx4 v[130:133], off, off offset:168 ; 16-byte Folded Reload
	scratch_load_dwordx4 v[134:137], off, off offset:184 ; 16-byte Folded Reload
	scratch_load_dwordx4 v[138:141], off, off offset:200 ; 16-byte Folded Reload
	scratch_load_dwordx4 v[142:145], off, off offset:216 ; 16-byte Folded Reload
	scratch_load_dwordx4 v[146:149], off, off offset:232 ; 16-byte Folded Reload
	scratch_load_dwordx4 v[150:153], off, off offset:248 ; 16-byte Folded Reload
	s_waitcnt vmcnt(5)
	v_mov_b32_e32 v130, v84
	scratch_store_dwordx4 off, v[122:125], off offset:136 ; 16-byte Folded Spill
	s_nop 0
	scratch_store_dwordx4 off, v[126:129], off offset:152 ; 16-byte Folded Spill
	scratch_store_dwordx4 off, v[130:133], off offset:168 ; 16-byte Folded Spill
	s_waitcnt vmcnt(7)
	scratch_store_dwordx4 off, v[134:137], off offset:184 ; 16-byte Folded Spill
	s_waitcnt vmcnt(7)
	scratch_store_dwordx4 off, v[138:141], off offset:200 ; 16-byte Folded Spill
	s_waitcnt vmcnt(7)
	scratch_store_dwordx4 off, v[142:145], off offset:216 ; 16-byte Folded Spill
	s_waitcnt vmcnt(7)
	scratch_store_dwordx4 off, v[146:149], off offset:232 ; 16-byte Folded Spill
	s_waitcnt vmcnt(7)
	scratch_store_dwordx4 off, v[150:153], off offset:248 ; 16-byte Folded Spill
	scratch_load_dwordx4 v[122:125], off, off offset:136 ; 16-byte Folded Reload
	s_nop 0
	scratch_load_dwordx4 v[126:129], off, off offset:152 ; 16-byte Folded Reload
	scratch_load_dwordx4 v[130:133], off, off offset:168 ; 16-byte Folded Reload
	scratch_load_dwordx4 v[134:137], off, off offset:184 ; 16-byte Folded Reload
	scratch_load_dwordx4 v[138:141], off, off offset:200 ; 16-byte Folded Reload
	scratch_load_dwordx4 v[142:145], off, off offset:216 ; 16-byte Folded Reload
	scratch_load_dwordx4 v[146:149], off, off offset:232 ; 16-byte Folded Reload
	scratch_load_dwordx4 v[150:153], off, off offset:248 ; 16-byte Folded Reload
	s_waitcnt vmcnt(5)
	v_mov_b32_e32 v131, v195
	scratch_store_dwordx4 off, v[122:125], off offset:136 ; 16-byte Folded Spill
	s_nop 0
	scratch_store_dwordx4 off, v[126:129], off offset:152 ; 16-byte Folded Spill
	scratch_store_dwordx4 off, v[130:133], off offset:168 ; 16-byte Folded Spill
	s_waitcnt vmcnt(7)
	scratch_store_dwordx4 off, v[134:137], off offset:184 ; 16-byte Folded Spill
	s_waitcnt vmcnt(7)
	scratch_store_dwordx4 off, v[138:141], off offset:200 ; 16-byte Folded Spill
	s_waitcnt vmcnt(7)
	scratch_store_dwordx4 off, v[142:145], off offset:216 ; 16-byte Folded Spill
	s_waitcnt vmcnt(7)
	scratch_store_dwordx4 off, v[146:149], off offset:232 ; 16-byte Folded Spill
	s_waitcnt vmcnt(7)
	scratch_store_dwordx4 off, v[150:153], off offset:248 ; 16-byte Folded Spill
	;; [unrolled: 25-line block ×3, first 2 shown]
	v_mov_b32_e32 v86, v74
	v_mov_b32_e32 v85, v73
	;; [unrolled: 1-line block ×11, first 2 shown]
	scratch_load_dwordx4 v[44:47], off, off offset:136 ; 16-byte Folded Reload
	scratch_load_dwordx4 v[48:51], off, off offset:152 ; 16-byte Folded Reload
	;; [unrolled: 1-line block ×8, first 2 shown]
	s_waitcnt vmcnt(5)
	v_mov_b32_e32 v55, v167
	scratch_store_dwordx4 off, v[44:47], off offset:136 ; 16-byte Folded Spill
	s_nop 0
	scratch_store_dwordx4 off, v[48:51], off offset:152 ; 16-byte Folded Spill
	scratch_store_dwordx4 off, v[52:55], off offset:168 ; 16-byte Folded Spill
	s_waitcnt vmcnt(7)
	scratch_store_dwordx4 off, v[56:59], off offset:184 ; 16-byte Folded Spill
	s_waitcnt vmcnt(7)
	;; [unrolled: 2-line block ×5, first 2 shown]
	scratch_store_dwordx4 off, v[72:75], off offset:248 ; 16-byte Folded Spill
	scratch_load_dwordx4 v[44:47], off, off offset:136 ; 16-byte Folded Reload
	s_nop 0
	scratch_load_dwordx4 v[48:51], off, off offset:152 ; 16-byte Folded Reload
	scratch_load_dwordx4 v[52:55], off, off offset:168 ; 16-byte Folded Reload
	scratch_load_dwordx4 v[56:59], off, off offset:184 ; 16-byte Folded Reload
	scratch_load_dwordx4 v[60:63], off, off offset:200 ; 16-byte Folded Reload
	scratch_load_dwordx4 v[64:67], off, off offset:216 ; 16-byte Folded Reload
	scratch_load_dwordx4 v[68:71], off, off offset:232 ; 16-byte Folded Reload
	scratch_load_dwordx4 v[72:75], off, off offset:248 ; 16-byte Folded Reload
	s_waitcnt vmcnt(4)
	v_mov_b32_e32 v56, v166
	scratch_store_dwordx4 off, v[44:47], off offset:136 ; 16-byte Folded Spill
	s_nop 0
	scratch_store_dwordx4 off, v[48:51], off offset:152 ; 16-byte Folded Spill
	scratch_store_dwordx4 off, v[52:55], off offset:168 ; 16-byte Folded Spill
	;; [unrolled: 1-line block ×3, first 2 shown]
	s_waitcnt vmcnt(7)
	scratch_store_dwordx4 off, v[60:63], off offset:200 ; 16-byte Folded Spill
	s_waitcnt vmcnt(7)
	scratch_store_dwordx4 off, v[64:67], off offset:216 ; 16-byte Folded Spill
	;; [unrolled: 2-line block ×4, first 2 shown]
	scratch_store_dwordx4 off, v[154:157], off offset:3352 ; 16-byte Folded Spill
	s_nop 0
	scratch_store_dwordx4 off, v[158:161], off offset:3368 ; 16-byte Folded Spill
	scratch_store_dwordx4 off, v[162:165], off offset:3384 ; 16-byte Folded Spill
	;; [unrolled: 1-line block ×7, first 2 shown]
	scratch_load_dwordx4 v[44:47], off, off offset:3224 ; 16-byte Folded Reload
	scratch_load_dwordx4 v[48:51], off, off offset:3240 ; 16-byte Folded Reload
	;; [unrolled: 1-line block ×16, first 2 shown]
	s_waitcnt vmcnt(9)
	v_mov_b64_e32 v[70:71], v[56:57]
	s_waitcnt vmcnt(4)
	v_mov_b32_e32 v135, v71
	scratch_store_dwordx4 off, v[122:125], off offset:136 ; 16-byte Folded Spill
	s_nop 0
	scratch_store_dwordx4 off, v[126:129], off offset:152 ; 16-byte Folded Spill
	scratch_store_dwordx4 off, v[130:133], off offset:168 ; 16-byte Folded Spill
	;; [unrolled: 1-line block ×3, first 2 shown]
	s_waitcnt vmcnt(7)
	scratch_store_dwordx4 off, v[138:141], off offset:200 ; 16-byte Folded Spill
	s_waitcnt vmcnt(7)
	scratch_store_dwordx4 off, v[142:145], off offset:216 ; 16-byte Folded Spill
	;; [unrolled: 2-line block ×4, first 2 shown]
	scratch_load_dwordx4 v[122:125], off, off offset:136 ; 16-byte Folded Reload
	s_nop 0
	scratch_load_dwordx4 v[126:129], off, off offset:152 ; 16-byte Folded Reload
	scratch_load_dwordx4 v[130:133], off, off offset:168 ; 16-byte Folded Reload
	;; [unrolled: 1-line block ×7, first 2 shown]
	s_waitcnt vmcnt(4)
	v_mov_b32_e32 v136, v14
	scratch_store_dwordx4 off, v[122:125], off offset:136 ; 16-byte Folded Spill
	s_nop 0
	scratch_store_dwordx4 off, v[126:129], off offset:152 ; 16-byte Folded Spill
	scratch_store_dwordx4 off, v[130:133], off offset:168 ; 16-byte Folded Spill
	;; [unrolled: 1-line block ×3, first 2 shown]
	s_waitcnt vmcnt(7)
	scratch_store_dwordx4 off, v[138:141], off offset:200 ; 16-byte Folded Spill
	s_waitcnt vmcnt(7)
	scratch_store_dwordx4 off, v[142:145], off offset:216 ; 16-byte Folded Spill
	;; [unrolled: 2-line block ×4, first 2 shown]
	scratch_store_dwordx4 off, v[0:3], off offset:400 ; 16-byte Folded Spill
	s_nop 0
	scratch_store_dwordx4 off, v[4:7], off offset:416 ; 16-byte Folded Spill
	scratch_store_dwordx4 off, v[8:11], off offset:432 ; 16-byte Folded Spill
	scratch_store_dwordx4 off, v[12:15], off offset:448 ; 16-byte Folded Spill
	scratch_store_dwordx4 off, v[16:19], off offset:464 ; 16-byte Folded Spill
	scratch_store_dwordx4 off, v[20:23], off offset:480 ; 16-byte Folded Spill
	scratch_store_dwordx4 off, v[24:27], off offset:496 ; 16-byte Folded Spill
	scratch_store_dwordx4 off, v[28:31], off offset:512 ; 16-byte Folded Spill
	scratch_load_dwordx4 v[122:125], off, off offset:136 ; 16-byte Folded Reload
	scratch_load_dwordx4 v[126:129], off, off offset:152 ; 16-byte Folded Reload
	;; [unrolled: 1-line block ×8, first 2 shown]
	s_waitcnt vmcnt(4)
	v_mov_b32_e32 v137, v183
	v_mov_b64_e32 v[6:7], v[202:203]
	scratch_store_dwordx4 off, v[122:125], off offset:136 ; 16-byte Folded Spill
	s_nop 0
	scratch_store_dwordx4 off, v[126:129], off offset:152 ; 16-byte Folded Spill
	scratch_store_dwordx4 off, v[130:133], off offset:168 ; 16-byte Folded Spill
	;; [unrolled: 1-line block ×3, first 2 shown]
	s_waitcnt vmcnt(7)
	scratch_store_dwordx4 off, v[138:141], off offset:200 ; 16-byte Folded Spill
	s_waitcnt vmcnt(7)
	scratch_store_dwordx4 off, v[142:145], off offset:216 ; 16-byte Folded Spill
	;; [unrolled: 2-line block ×4, first 2 shown]
	v_mov_b64_e32 v[8:9], v[204:205]
	v_mov_b64_e32 v[10:11], v[206:207]
	v_mov_b64_e32 v[12:13], v[208:209]
	scratch_store_dwordx4 off, v[186:189], off offset:3736 ; 16-byte Folded Spill
	s_nop 0
	scratch_store_dwordx4 off, v[190:193], off offset:3752 ; 16-byte Folded Spill
	scratch_store_dwordx4 off, v[194:197], off offset:3768 ; 16-byte Folded Spill
	;; [unrolled: 1-line block ×7, first 2 shown]
	scratch_load_dwordx4 v[210:213], off, off offset:784 ; 16-byte Folded Reload
	s_nop 0
	scratch_load_dwordx4 v[214:217], off, off offset:800 ; 16-byte Folded Reload
	scratch_load_dwordx4 v[218:221], off, off offset:816 ; 16-byte Folded Reload
	;; [unrolled: 1-line block ×15, first 2 shown]
	v_mov_b32_e32 v48, v32
	v_mov_b32_e32 v50, v108
	;; [unrolled: 1-line block ×22, first 2 shown]
	v_mov_b64_e32 v[108:109], v[116:117]
	v_mov_b32_e32 v11, v121
	v_mov_b64_e32 v[110:111], v[118:119]
	v_mov_b64_e32 v[112:113], v[120:121]
	v_mov_b32_e32 v0, v22
	v_mov_b32_e32 v1, v23
	;; [unrolled: 1-line block ×8, first 2 shown]
	v_mov_b64_e32 v[188:189], v[38:39]
	v_mov_b32_e32 v191, v189
	v_mov_b32_e32 v192, v2
	s_waitcnt vmcnt(3)
	v_mov_b32_e32 v138, v226
	scratch_store_dwordx4 off, v[122:125], off offset:136 ; 16-byte Folded Spill
	s_nop 0
	scratch_store_dwordx4 off, v[126:129], off offset:152 ; 16-byte Folded Spill
	scratch_store_dwordx4 off, v[130:133], off offset:168 ; 16-byte Folded Spill
	;; [unrolled: 1-line block ×4, first 2 shown]
	s_waitcnt vmcnt(7)
	scratch_store_dwordx4 off, v[142:145], off offset:216 ; 16-byte Folded Spill
	s_waitcnt vmcnt(7)
	scratch_store_dwordx4 off, v[146:149], off offset:232 ; 16-byte Folded Spill
	;; [unrolled: 2-line block ×3, first 2 shown]
	scratch_load_dwordx4 v[154:157], off, off offset:3096 ; 16-byte Folded Reload
	scratch_load_dwordx4 v[158:161], off, off offset:3112 ; 16-byte Folded Reload
	;; [unrolled: 1-line block ×16, first 2 shown]
	v_mov_b32_e32 v9, v201
	v_mov_b32_e32 v15, v195
	s_waitcnt vmcnt(13)
	v_mov_b32_e32 v165, v189
	s_waitcnt vmcnt(12)
	v_mov_b32_e32 v166, v2
	s_waitcnt vmcnt(3)
	v_mov_b32_e32 v139, v171
	scratch_store_dwordx4 off, v[122:125], off offset:136 ; 16-byte Folded Spill
	s_nop 0
	scratch_store_dwordx4 off, v[126:129], off offset:152 ; 16-byte Folded Spill
	scratch_store_dwordx4 off, v[130:133], off offset:168 ; 16-byte Folded Spill
	;; [unrolled: 1-line block ×4, first 2 shown]
	s_waitcnt vmcnt(7)
	scratch_store_dwordx4 off, v[142:145], off offset:216 ; 16-byte Folded Spill
	s_waitcnt vmcnt(7)
	scratch_store_dwordx4 off, v[146:149], off offset:232 ; 16-byte Folded Spill
	;; [unrolled: 2-line block ×3, first 2 shown]
	scratch_load_dwordx4 v[122:125], off, off offset:136 ; 16-byte Folded Reload
	s_nop 0
	scratch_load_dwordx4 v[126:129], off, off offset:152 ; 16-byte Folded Reload
	scratch_load_dwordx4 v[130:133], off, off offset:168 ; 16-byte Folded Reload
	;; [unrolled: 1-line block ×7, first 2 shown]
	s_waitcnt vmcnt(3)
	v_mov_b32_e32 v140, v106
	scratch_store_dwordx4 off, v[122:125], off offset:136 ; 16-byte Folded Spill
	s_nop 0
	scratch_store_dwordx4 off, v[126:129], off offset:152 ; 16-byte Folded Spill
	scratch_store_dwordx4 off, v[130:133], off offset:168 ; 16-byte Folded Spill
	;; [unrolled: 1-line block ×4, first 2 shown]
	s_waitcnt vmcnt(7)
	scratch_store_dwordx4 off, v[142:145], off offset:216 ; 16-byte Folded Spill
	s_waitcnt vmcnt(7)
	scratch_store_dwordx4 off, v[146:149], off offset:232 ; 16-byte Folded Spill
	;; [unrolled: 2-line block ×3, first 2 shown]
	scratch_load_dwordx4 v[122:125], off, off offset:1168 ; 16-byte Folded Reload
	s_nop 0
	scratch_load_dwordx4 v[126:129], off, off offset:1184 ; 16-byte Folded Reload
	scratch_load_dwordx4 v[130:133], off, off offset:1200 ; 16-byte Folded Reload
	;; [unrolled: 1-line block ×7, first 2 shown]
	v_mov_b32_e32 v23, v171
	s_waitcnt vmcnt(7)
	v_mov_b32_e32 v6, v122
	scratch_load_dwordx4 v[122:125], off, off offset:1296 ; 16-byte Folded Reload
	scratch_load_dwordx4 v[126:129], off, off offset:1312 ; 16-byte Folded Reload
	;; [unrolled: 1-line block ×8, first 2 shown]
	s_waitcnt vmcnt(5)
	v_mov_b32_e32 v14, v130
	scratch_load_dwordx4 v[122:125], off, off offset:1680 ; 16-byte Folded Reload
	scratch_load_dwordx4 v[126:129], off, off offset:1696 ; 16-byte Folded Reload
	;; [unrolled: 1-line block ×8, first 2 shown]
	s_waitcnt vmcnt(5)
	v_mov_b64_e32 v[182:183], v[132:133]
	v_mov_b64_e32 v[180:181], v[130:131]
	v_mov_b64_e32 v[178:179], v[128:129]
	v_mov_b64_e32 v[176:177], v[126:127]
	v_mov_b64_e32 v[174:175], v[124:125]
	v_mov_b64_e32 v[172:173], v[122:123]
	scratch_load_dwordx4 v[122:125], off, off offset:3352 ; 16-byte Folded Reload
	scratch_load_dwordx4 v[126:129], off, off offset:3368 ; 16-byte Folded Reload
	;; [unrolled: 1-line block ×16, first 2 shown]
	v_mov_b32_e32 v17, v183
	s_waitcnt vmcnt(12)
	v_mov_b32_e32 v18, v134
	s_waitcnt vmcnt(4)
	v_mov_b32_e32 v20, v58
	scratch_load_dwordx4 v[44:47], off, off offset:2448 ; 16-byte Folded Reload
	scratch_load_dwordx4 v[48:51], off, off offset:2464 ; 16-byte Folded Reload
	;; [unrolled: 1-line block ×16, first 2 shown]
	s_waitcnt vmcnt(12)
	v_mov_b32_e32 v21, v59
	scratch_load_dwordx4 v[44:47], off, off offset:136 ; 16-byte Folded Reload
	scratch_load_dwordx4 v[48:51], off, off offset:152 ; 16-byte Folded Reload
	;; [unrolled: 1-line block ×16, first 2 shown]
	s_waitcnt vmcnt(14)
	v_mov_b32_e32 v49, v121
	v_mov_b32_e32 v22, v226
	s_waitcnt vmcnt(10)
	v_mov_b32_e32 v65, v37
	v_mov_b32_e32 v64, v26
	;; [unrolled: 1-line block ×11, first 2 shown]
	s_waitcnt vmcnt(7)
	v_mov_b32_e32 v44, v122
	scratch_load_dwordx4 v[114:117], off, off offset:2320 ; 16-byte Folded Reload
	scratch_load_dwordx4 v[118:121], off, off offset:2336 ; 16-byte Folded Reload
	;; [unrolled: 1-line block ×8, first 2 shown]
	v_mov_b32_e32 v25, v63
	s_waitcnt vmcnt(6)
	v_mov_b32_e32 v51, v121
	scratch_load_dwordx4 v[114:117], off, off offset:1296 ; 16-byte Folded Reload
	scratch_load_dwordx4 v[118:121], off, off offset:1312 ; 16-byte Folded Reload
	scratch_load_dwordx4 v[122:125], off, off offset:1328 ; 16-byte Folded Reload
	scratch_load_dwordx4 v[126:129], off, off offset:1344 ; 16-byte Folded Reload
	scratch_load_dwordx4 v[130:133], off, off offset:1360 ; 16-byte Folded Reload
	scratch_load_dwordx4 v[134:137], off, off offset:1376 ; 16-byte Folded Reload
	scratch_load_dwordx4 v[138:141], off, off offset:1392 ; 16-byte Folded Reload
	scratch_load_dwordx4 v[142:145], off, off offset:1408 ; 16-byte Folded Reload
	s_waitcnt vmcnt(5)
	v_mov_b32_e32 v52, v122
	scratch_load_dwordx4 v[114:117], off, off offset:3736 ; 16-byte Folded Reload
	scratch_load_dwordx4 v[118:121], off, off offset:3752 ; 16-byte Folded Reload
	scratch_load_dwordx4 v[122:125], off, off offset:3768 ; 16-byte Folded Reload
	scratch_load_dwordx4 v[126:129], off, off offset:3784 ; 16-byte Folded Reload
	scratch_load_dwordx4 v[130:133], off, off offset:3800 ; 16-byte Folded Reload
	scratch_load_dwordx4 v[134:137], off, off offset:3816 ; 16-byte Folded Reload
	scratch_load_dwordx4 v[138:141], off, off offset:3832 ; 16-byte Folded Reload
	scratch_load_dwordx4 v[142:145], off, off offset:3848 ; 16-byte Folded Reload
	;; [unrolled: 10-line block ×6, first 2 shown]
	scratch_load_dwordx4 v[210:213], off, off offset:784 ; 16-byte Folded Reload
	scratch_load_dwordx4 v[214:217], off, off offset:800 ; 16-byte Folded Reload
	;; [unrolled: 1-line block ×8, first 2 shown]
	s_waitcnt vmcnt(14)
	v_mov_b32_e32 v120, v196
	s_waitcnt vmcnt(12)
	v_mov_b32_e32 v59, v129
	scratch_load_dwordx4 v[122:125], off, off offset:136 ; 16-byte Folded Reload
	scratch_load_dwordx4 v[126:129], off, off offset:152 ; 16-byte Folded Reload
	;; [unrolled: 1-line block ×8, first 2 shown]
	s_waitcnt vmcnt(11)
	v_mov_b32_e32 v60, v226
	s_waitcnt vmcnt(5)
	v_mov_b32_e32 v132, v42
	;; [unrolled: 2-line block ×3, first 2 shown]
	v_mov_b32_e32 v153, v1
	v_mov_b32_e32 v152, v0
	;; [unrolled: 1-line block ×5, first 2 shown]
	v_mov_b64_e32 v[84:85], v[64:65]
	v_mov_b64_e32 v[82:83], v[62:63]
	;; [unrolled: 1-line block ×11, first 2 shown]
	scratch_store_dwordx4 off, v[64:67], s2 ; 16-byte Folded Spill
	s_nop 0
	scratch_store_dwordx4 off, v[68:71], s2 offset:16 ; 16-byte Folded Spill
	scratch_store_dwordx4 off, v[72:75], s2 offset:32 ; 16-byte Folded Spill
	;; [unrolled: 1-line block ×7, first 2 shown]
	s_movk_i32 s2, 0x12a0
	scratch_store_dwordx4 off, v[96:99], off offset:4 ; 16-byte Folded Spill
	s_nop 0
	scratch_store_dwordx4 off, v[100:103], off offset:20 ; 16-byte Folded Spill
	scratch_store_dwordx4 off, v[104:107], off offset:36 ; 16-byte Folded Spill
	;; [unrolled: 1-line block ×7, first 2 shown]
	scratch_store_dwordx4 off, v[6:9], s2   ; 16-byte Folded Spill
	s_nop 0
	scratch_store_dwordx4 off, v[10:13], s2 offset:16 ; 16-byte Folded Spill
	scratch_store_dwordx4 off, v[14:17], s2 offset:32 ; 16-byte Folded Spill
	;; [unrolled: 1-line block ×7, first 2 shown]
	v_mov_b32_e32 v25, v43
	scratch_load_dwordx4 v[38:41], off, off offset:1168 ; 16-byte Folded Reload
	scratch_load_dwordx4 v[42:45], off, off offset:1184 ; 16-byte Folded Reload
	;; [unrolled: 1-line block ×8, first 2 shown]
	v_mov_b64_e32 v[116:117], v[198:199]
	v_mov_b64_e32 v[118:119], v[200:201]
	s_movk_i32 s2, 0x1220
	scratch_store_dwordx4 off, v[116:119], s2 ; 16-byte Folded Spill
	s_nop 0
	scratch_store_dwordx4 off, v[120:123], s2 offset:16 ; 16-byte Folded Spill
	scratch_store_dwordx4 off, v[124:127], s2 offset:32 ; 16-byte Folded Spill
	;; [unrolled: 1-line block ×7, first 2 shown]
	v_mov_b32_e32 v18, v28
	v_mov_b32_e32 v19, v29
	;; [unrolled: 1-line block ×5, first 2 shown]
	s_movk_i32 s2, 0x11a0
	v_mov_b32_e32 v212, v34
	s_waitcnt vmcnt(15)
	v_mov_b32_e32 v190, v38
	scratch_store_dwordx4 off, v[18:21], s2 ; 16-byte Folded Spill
	s_nop 0
	scratch_store_dwordx4 off, v[22:25], s2 offset:16 ; 16-byte Folded Spill
	scratch_store_dwordx4 off, v[26:29], s2 offset:32 ; 16-byte Folded Spill
	;; [unrolled: 1-line block ×5, first 2 shown]
	s_waitcnt vmcnt(20)
	scratch_store_dwordx4 off, v[42:45], s2 offset:96 ; 16-byte Folded Spill
	s_waitcnt vmcnt(20)
	scratch_store_dwordx4 off, v[46:49], s2 offset:112 ; 16-byte Folded Spill
	scratch_load_dwordx4 v[38:41], off, off offset:2320 ; 16-byte Folded Reload
	s_nop 0
	scratch_load_dwordx4 v[42:45], off, off offset:2336 ; 16-byte Folded Reload
	scratch_load_dwordx4 v[46:49], off, off offset:2352 ; 16-byte Folded Reload
	;; [unrolled: 1-line block ×7, first 2 shown]
	v_mov_b32_e32 v144, v202
	v_mov_b32_e32 v145, v203
	v_mov_b32_e32 v146, v204
	v_mov_b32_e32 v147, v205
	v_mov_b32_e32 v148, v206
	v_mov_b32_e32 v149, v207
	v_mov_b32_e32 v150, v208
	v_mov_b64_e32 v[86:87], v[88:89]
	v_mov_b64_e32 v[88:89], v[90:91]
	v_mov_b64_e32 v[90:91], v[92:93]
	v_mov_b64_e32 v[92:93], v[94:95]
	v_mov_b64_e32 v[94:95], v[96:97]
	v_mov_b64_e32 v[96:97], v[98:99]
	v_mov_b64_e32 v[98:99], v[100:101]
	v_mov_b64_e32 v[100:101], v[102:103]
	v_mov_b32_e32 v102, v104
	v_mov_b32_e32 v103, v105
	;; [unrolled: 1-line block ×3, first 2 shown]
	v_mov_b64_e32 v[4:5], v[108:109]
	v_mov_b64_e32 v[6:7], v[110:111]
	;; [unrolled: 1-line block ×3, first 2 shown]
	v_mov_b32_e32 v208, v104
	s_movk_i32 s2, 0x12a0
	v_mov_b64_e32 v[72:73], v[172:173]
	v_mov_b64_e32 v[82:83], v[182:183]
	v_mov_b32_e32 v195, v9
	v_mov_b32_e32 v196, v150
	v_mov_b32_e32 v201, v83
	v_mov_b32_e32 v207, v171
	v_mov_b64_e32 v[74:75], v[174:175]
	v_mov_b64_e32 v[76:77], v[176:177]
	;; [unrolled: 1-line block ×4, first 2 shown]
	v_mov_b32_e32 v6, v150
	v_mov_b32_e32 v193, v119
	;; [unrolled: 1-line block ×5, first 2 shown]
	s_waitcnt vmcnt(6)
	v_mov_b64_e32 v[14:15], v[38:39]
	v_mov_b64_e32 v[16:17], v[40:41]
	;; [unrolled: 1-line block ×4, first 2 shown]
	scratch_load_dwordx4 v[38:41], off, off offset:1296 ; 16-byte Folded Reload
	scratch_load_dwordx4 v[42:45], off, off offset:1312 ; 16-byte Folded Reload
	;; [unrolled: 1-line block ×8, first 2 shown]
	v_mov_b32_e32 v197, v21
	v_mov_b32_e32 v131, v25
	s_waitcnt vmcnt(5)
	v_mov_b32_e32 v26, v38
	v_mov_b32_e32 v27, v39
	;; [unrolled: 1-line block ×9, first 2 shown]
	scratch_load_dwordx4 v[38:41], off, off offset:3736 ; 16-byte Folded Reload
	scratch_load_dwordx4 v[42:45], off, off offset:3752 ; 16-byte Folded Reload
	;; [unrolled: 1-line block ×8, first 2 shown]
	v_mov_b32_e32 v198, v34
	v_mov_b64_e32 v[28:29], v[188:189]
	v_mov_b64_e32 v[26:27], v[188:189]
	s_waitcnt vmcnt(0)
	v_mov_b64_e32 v[70:71], v[46:47]
	v_mov_b64_e32 v[68:69], v[44:45]
	;; [unrolled: 1-line block ×5, first 2 shown]
	scratch_load_dwordx4 v[38:41], off, off offset:656 ; 16-byte Folded Reload
	scratch_load_dwordx4 v[42:45], off, off offset:672 ; 16-byte Folded Reload
	;; [unrolled: 1-line block ×16, first 2 shown]
	v_mov_b32_e32 v199, v71
	s_waitcnt vmcnt(13)
	v_mov_b32_e32 v10, v38
	v_mov_b32_e32 v11, v39
	;; [unrolled: 1-line block ×11, first 2 shown]
	scratch_load_dwordx4 v[38:41], off, off offset:3224 ; 16-byte Folded Reload
	scratch_load_dwordx4 v[42:45], off, off offset:3240 ; 16-byte Folded Reload
	;; [unrolled: 1-line block ×8, first 2 shown]
	v_mov_b32_e32 v200, v20
	s_waitcnt vmcnt(12)
	v_mov_b32_e32 v202, v226
	s_waitcnt vmcnt(4)
	v_mov_b32_e32 v203, v51
	scratch_load_dwordx4 v[38:41], off, off offset:400 ; 16-byte Folded Reload
	scratch_load_dwordx4 v[42:45], off, off offset:416 ; 16-byte Folded Reload
	;; [unrolled: 1-line block ×8, first 2 shown]
	s_waitcnt vmcnt(4)
	v_mov_b32_e32 v186, v52
	v_mov_b32_e32 v185, v51
	v_mov_b32_e32 v184, v50
	scratch_load_dwordx4 v[38:41], off, off offset:2448 ; 16-byte Folded Reload
	scratch_load_dwordx4 v[42:45], off, off offset:2464 ; 16-byte Folded Reload
	;; [unrolled: 1-line block ×8, first 2 shown]
	v_mov_b32_e32 v204, v186
	s_waitcnt vmcnt(4)
	v_mov_b32_e32 v205, v53
	scratch_load_dwordx4 v[38:41], off, off offset:784 ; 16-byte Folded Reload
	scratch_load_dwordx4 v[42:45], off, off offset:800 ; 16-byte Folded Reload
	scratch_load_dwordx4 v[46:49], off, off offset:816 ; 16-byte Folded Reload
	scratch_load_dwordx4 v[50:53], off, off offset:832 ; 16-byte Folded Reload
	scratch_load_dwordx4 v[54:57], off, off offset:848 ; 16-byte Folded Reload
	scratch_load_dwordx4 v[58:61], off, off offset:864 ; 16-byte Folded Reload
	scratch_load_dwordx4 v[62:65], off, off offset:880 ; 16-byte Folded Reload
	scratch_load_dwordx4 v[66:69], off, off offset:896 ; 16-byte Folded Reload
	s_nop 0
	scratch_store_dwordx4 off, v[86:89], off offset:528 ; 16-byte Folded Spill
	s_nop 0
	scratch_store_dwordx4 off, v[90:93], off offset:544 ; 16-byte Folded Spill
	scratch_store_dwordx4 off, v[94:97], off offset:560 ; 16-byte Folded Spill
	;; [unrolled: 1-line block ×7, first 2 shown]
	s_waitcnt vmcnt(11)
	v_mov_b32_e32 v206, v54
	scratch_load_dwordx4 v[38:41], off, off offset:136 ; 16-byte Folded Reload
	scratch_load_dwordx4 v[42:45], off, off offset:152 ; 16-byte Folded Reload
	;; [unrolled: 1-line block ×8, first 2 shown]
	s_waitcnt vmcnt(3)
	v_mov_b32_e32 v209, v57
	scratch_load_dwordx4 v[38:41], off, s2  ; 16-byte Folded Reload
	scratch_load_dwordx4 v[42:45], off, s2 offset:16 ; 16-byte Folded Reload
	scratch_load_dwordx4 v[46:49], off, s2 offset:32 ; 16-byte Folded Reload
	;; [unrolled: 1-line block ×7, first 2 shown]
	s_movk_i32 s2, 0xf98
	s_waitcnt vmcnt(2)
	v_mov_b32_e32 v210, v58
	scratch_load_dwordx4 v[38:41], off, s2  ; 16-byte Folded Reload
	scratch_load_dwordx4 v[42:45], off, s2 offset:16 ; 16-byte Folded Reload
	scratch_load_dwordx4 v[46:49], off, s2 offset:32 ; 16-byte Folded Reload
	;; [unrolled: 1-line block ×7, first 2 shown]
	s_movk_i32 s2, 0x12a0
	s_waitcnt vmcnt(2)
	v_mov_b32_e32 v211, v59
	scratch_store_dwordx4 off, v[190:193], off offset:272 ; 16-byte Folded Spill
	s_nop 0
	scratch_store_dwordx4 off, v[194:197], off offset:288 ; 16-byte Folded Spill
	scratch_store_dwordx4 off, v[198:201], off offset:304 ; 16-byte Folded Spill
	;; [unrolled: 1-line block ×7, first 2 shown]
	v_mov_b64_e32 v[194:195], v[112:113]
	scratch_load_dwordx4 v[38:41], off, off offset:1168 ; 16-byte Folded Reload
	scratch_load_dwordx4 v[42:45], off, off offset:1184 ; 16-byte Folded Reload
	;; [unrolled: 1-line block ×8, first 2 shown]
	v_mov_b64_e32 v[192:193], v[110:111]
	v_mov_b64_e32 v[190:191], v[108:109]
	scratch_load_dwordx4 v[94:97], off, off offset:3224 ; 16-byte Folded Reload
	scratch_load_dwordx4 v[98:101], off, off offset:3240 ; 16-byte Folded Reload
	;; [unrolled: 1-line block ×8, first 2 shown]
	s_waitcnt vmcnt(13)
	v_mov_b32_e32 v47, v71
	v_mov_b32_e32 v49, v83
	scratch_load_dwordx4 v[62:65], off, off offset:2448 ; 16-byte Folded Reload
	scratch_load_dwordx4 v[66:69], off, off offset:2464 ; 16-byte Folded Reload
	scratch_load_dwordx4 v[70:73], off, off offset:2480 ; 16-byte Folded Reload
	scratch_load_dwordx4 v[74:77], off, off offset:2496 ; 16-byte Folded Reload
	scratch_load_dwordx4 v[78:81], off, off offset:2512 ; 16-byte Folded Reload
	scratch_load_dwordx4 v[82:85], off, off offset:2528 ; 16-byte Folded Reload
	scratch_load_dwordx4 v[86:89], off, off offset:2544 ; 16-byte Folded Reload
	scratch_load_dwordx4 v[90:93], off, off offset:2560 ; 16-byte Folded Reload
	s_waitcnt vmcnt(20)
	v_mov_b32_e32 v50, v226
	scratch_load_dwordx4 v[210:213], off, off offset:784 ; 16-byte Folded Reload
	scratch_load_dwordx4 v[214:217], off, off offset:800 ; 16-byte Folded Reload
	;; [unrolled: 1-line block ×8, first 2 shown]
	v_mov_b32_e32 v48, v20
	s_waitcnt vmcnt(26)
	v_mov_b32_e32 v61, v187
	v_mov_b32_e32 v43, v9
	;; [unrolled: 1-line block ×13, first 2 shown]
	s_waitcnt vmcnt(20)
	v_mov_b32_e32 v51, v107
	scratch_load_dwordx4 v[94:97], off, off offset:3096 ; 16-byte Folded Reload
	scratch_load_dwordx4 v[98:101], off, off offset:3112 ; 16-byte Folded Reload
	;; [unrolled: 1-line block ×8, first 2 shown]
	s_waitcnt vmcnt(20)
	v_mov_b32_e32 v53, v77
	scratch_load_dwordx4 v[62:65], off, off offset:528 ; 16-byte Folded Reload
	scratch_load_dwordx4 v[66:69], off, off offset:544 ; 16-byte Folded Reload
	;; [unrolled: 1-line block ×8, first 2 shown]
	s_waitcnt vmcnt(19)
	v_mov_b32_e32 v54, v226
	s_waitcnt vmcnt(11)
	v_mov_b32_e32 v55, v111
	scratch_load_dwordx4 v[90:93], off, off offset:136 ; 16-byte Folded Reload
	scratch_load_dwordx4 v[94:97], off, off offset:152 ; 16-byte Folded Reload
	;; [unrolled: 1-line block ×8, first 2 shown]
	s_waitcnt vmcnt(11)
	v_mov_b32_e32 v56, v80
	scratch_load_dwordx4 v[62:65], off, s2  ; 16-byte Folded Reload
	scratch_load_dwordx4 v[66:69], off, s2 offset:16 ; 16-byte Folded Reload
	scratch_load_dwordx4 v[70:73], off, s2 offset:32 ; 16-byte Folded Reload
	;; [unrolled: 1-line block ×7, first 2 shown]
	s_movk_i32 s2, 0xf98
	s_waitcnt vmcnt(11)
	v_mov_b32_e32 v57, v109
	s_waitcnt vmcnt(2)
	v_mov_b32_e32 v16, v78
	v_mov_b32_e32 v17, v79
	;; [unrolled: 1-line block ×5, first 2 shown]
	scratch_load_dwordx4 v[62:65], off, s2  ; 16-byte Folded Reload
	scratch_load_dwordx4 v[66:69], off, s2 offset:16 ; 16-byte Folded Reload
	scratch_load_dwordx4 v[70:73], off, s2 offset:32 ; 16-byte Folded Reload
	;; [unrolled: 1-line block ×7, first 2 shown]
	v_mov_b32_e32 v58, v20
	s_movk_i32 s2, 0x13a0
	s_waitcnt vmcnt(2)
	v_mov_b64_e32 v[114:115], v[82:83]
	v_mov_b64_e32 v[112:113], v[80:81]
	;; [unrolled: 1-line block ×3, first 2 shown]
	scratch_load_dwordx4 v[62:65], off, off offset:272 ; 16-byte Folded Reload
	scratch_load_dwordx4 v[66:69], off, off offset:288 ; 16-byte Folded Reload
	;; [unrolled: 1-line block ×8, first 2 shown]
	v_mov_b32_e32 v59, v115
	s_waitcnt vmcnt(2)
	v_mov_b32_e32 v60, v84
	scratch_store_dwordx4 off, v[38:41], s2 ; 16-byte Folded Spill
	s_nop 0
	scratch_store_dwordx4 off, v[42:45], s2 offset:16 ; 16-byte Folded Spill
	scratch_store_dwordx4 off, v[46:49], s2 offset:32 ; 16-byte Folded Spill
	;; [unrolled: 1-line block ×7, first 2 shown]
	scratch_load_dwordx4 v[156:159], off, off offset:1168 ; 16-byte Folded Reload
	scratch_load_dwordx4 v[160:163], off, off offset:1184 ; 16-byte Folded Reload
	;; [unrolled: 1-line block ×16, first 2 shown]
	s_movk_i32 s2, 0x1220
	s_waitcnt vmcnt(7)
	v_mov_b32_e32 v38, v156
	scratch_store_dwordx4 off, v[38:41], off offset:4 ; 16-byte Folded Spill
	s_waitcnt vmcnt(7)
	scratch_store_dwordx4 off, v[42:45], off offset:20 ; 16-byte Folded Spill
	s_waitcnt vmcnt(7)
	scratch_store_dwordx4 off, v[46:49], off offset:36 ; 16-byte Folded Spill
	s_waitcnt vmcnt(7)
	scratch_store_dwordx4 off, v[50:53], off offset:52 ; 16-byte Folded Spill
	s_waitcnt vmcnt(7)
	scratch_store_dwordx4 off, v[54:57], off offset:68 ; 16-byte Folded Spill
	s_waitcnt vmcnt(7)
	scratch_store_dwordx4 off, v[58:61], off offset:84 ; 16-byte Folded Spill
	s_waitcnt vmcnt(7)
	scratch_store_dwordx4 off, v[62:65], off offset:100 ; 16-byte Folded Spill
	s_waitcnt vmcnt(7)
	scratch_store_dwordx4 off, v[66:69], off offset:116 ; 16-byte Folded Spill
	scratch_load_dwordx4 v[38:41], off, off offset:4 ; 16-byte Folded Reload
	s_nop 0
	scratch_load_dwordx4 v[42:45], off, off offset:20 ; 16-byte Folded Reload
	scratch_load_dwordx4 v[46:49], off, off offset:36 ; 16-byte Folded Reload
	scratch_load_dwordx4 v[50:53], off, off offset:52 ; 16-byte Folded Reload
	scratch_load_dwordx4 v[54:57], off, off offset:68 ; 16-byte Folded Reload
	scratch_load_dwordx4 v[58:61], off, off offset:84 ; 16-byte Folded Reload
	scratch_load_dwordx4 v[62:65], off, off offset:100 ; 16-byte Folded Reload
	scratch_load_dwordx4 v[66:69], off, off offset:116 ; 16-byte Folded Reload
	s_waitcnt vmcnt(7)
	v_mov_b32_e32 v39, v189
	scratch_store_dwordx4 off, v[38:41], off offset:4 ; 16-byte Folded Spill
	s_waitcnt vmcnt(7)
	scratch_store_dwordx4 off, v[42:45], off offset:20 ; 16-byte Folded Spill
	s_waitcnt vmcnt(7)
	scratch_store_dwordx4 off, v[46:49], off offset:36 ; 16-byte Folded Spill
	s_waitcnt vmcnt(7)
	scratch_store_dwordx4 off, v[50:53], off offset:52 ; 16-byte Folded Spill
	s_waitcnt vmcnt(7)
	scratch_store_dwordx4 off, v[54:57], off offset:68 ; 16-byte Folded Spill
	s_waitcnt vmcnt(7)
	scratch_store_dwordx4 off, v[58:61], off offset:84 ; 16-byte Folded Spill
	s_waitcnt vmcnt(7)
	scratch_store_dwordx4 off, v[62:65], off offset:100 ; 16-byte Folded Spill
	s_waitcnt vmcnt(7)
	scratch_store_dwordx4 off, v[66:69], off offset:116 ; 16-byte Folded Spill
	scratch_load_dwordx4 v[38:41], off, off offset:4 ; 16-byte Folded Reload
	s_nop 0
	scratch_load_dwordx4 v[42:45], off, off offset:20 ; 16-byte Folded Reload
	scratch_load_dwordx4 v[46:49], off, off offset:36 ; 16-byte Folded Reload
	scratch_load_dwordx4 v[50:53], off, off offset:52 ; 16-byte Folded Reload
	scratch_load_dwordx4 v[54:57], off, off offset:68 ; 16-byte Folded Reload
	scratch_load_dwordx4 v[58:61], off, off offset:84 ; 16-byte Folded Reload
	scratch_load_dwordx4 v[62:65], off, off offset:100 ; 16-byte Folded Reload
	scratch_load_dwordx4 v[66:69], off, off offset:116 ; 16-byte Folded Reload
	;; [unrolled: 26-line block ×3, first 2 shown]
	scratch_load_dwordx4 v[156:159], off, s2 ; 16-byte Folded Reload
	scratch_load_dwordx4 v[160:163], off, s2 offset:16 ; 16-byte Folded Reload
	scratch_load_dwordx4 v[164:167], off, s2 offset:32 ; 16-byte Folded Reload
	;; [unrolled: 1-line block ×7, first 2 shown]
	s_movk_i32 s2, 0x11a0
	s_waitcnt vmcnt(7)
	v_mov_b32_e32 v41, v159
	scratch_store_dwordx4 off, v[38:41], off offset:4 ; 16-byte Folded Spill
	s_nop 0
	scratch_store_dwordx4 off, v[42:45], off offset:20 ; 16-byte Folded Spill
	scratch_store_dwordx4 off, v[46:49], off offset:36 ; 16-byte Folded Spill
	;; [unrolled: 1-line block ×7, first 2 shown]
	scratch_load_dwordx4 v[38:41], off, off offset:4 ; 16-byte Folded Reload
	s_nop 0
	scratch_load_dwordx4 v[42:45], off, off offset:20 ; 16-byte Folded Reload
	scratch_load_dwordx4 v[46:49], off, off offset:36 ; 16-byte Folded Reload
	;; [unrolled: 1-line block ×7, first 2 shown]
	scratch_load_dwordx4 v[156:159], off, s2 ; 16-byte Folded Reload
	scratch_load_dwordx4 v[160:163], off, s2 offset:16 ; 16-byte Folded Reload
	scratch_load_dwordx4 v[164:167], off, s2 offset:32 ; 16-byte Folded Reload
	scratch_load_dwordx4 v[168:171], off, s2 offset:48 ; 16-byte Folded Reload
	scratch_load_dwordx4 v[172:175], off, s2 offset:64 ; 16-byte Folded Reload
	scratch_load_dwordx4 v[176:179], off, s2 offset:80 ; 16-byte Folded Reload
	scratch_load_dwordx4 v[180:183], off, s2 offset:96 ; 16-byte Folded Reload
	scratch_load_dwordx4 v[184:187], off, s2 offset:112 ; 16-byte Folded Reload
	s_movk_i32 s2, 0x13a0
	s_waitcnt vmcnt(6)
	v_mov_b32_e32 v42, v160
	scratch_store_dwordx4 off, v[38:41], off offset:4 ; 16-byte Folded Spill
	s_nop 0
	scratch_store_dwordx4 off, v[42:45], off offset:20 ; 16-byte Folded Spill
	scratch_store_dwordx4 off, v[46:49], off offset:36 ; 16-byte Folded Spill
	scratch_store_dwordx4 off, v[50:53], off offset:52 ; 16-byte Folded Spill
	scratch_store_dwordx4 off, v[54:57], off offset:68 ; 16-byte Folded Spill
	scratch_store_dwordx4 off, v[58:61], off offset:84 ; 16-byte Folded Spill
	scratch_store_dwordx4 off, v[62:65], off offset:100 ; 16-byte Folded Spill
	scratch_store_dwordx4 off, v[66:69], off offset:116 ; 16-byte Folded Spill
	scratch_load_dwordx4 v[38:41], off, off offset:4 ; 16-byte Folded Reload
	s_nop 0
	scratch_load_dwordx4 v[42:45], off, off offset:20 ; 16-byte Folded Reload
	scratch_load_dwordx4 v[46:49], off, off offset:36 ; 16-byte Folded Reload
	;; [unrolled: 1-line block ×7, first 2 shown]
	s_waitcnt vmcnt(6)
	v_mov_b32_e32 v43, v195
	scratch_store_dwordx4 off, v[38:41], off offset:4 ; 16-byte Folded Spill
	s_nop 0
	scratch_store_dwordx4 off, v[42:45], off offset:20 ; 16-byte Folded Spill
	s_waitcnt vmcnt(7)
	scratch_store_dwordx4 off, v[46:49], off offset:36 ; 16-byte Folded Spill
	s_waitcnt vmcnt(7)
	;; [unrolled: 2-line block ×6, first 2 shown]
	scratch_store_dwordx4 off, v[66:69], off offset:116 ; 16-byte Folded Spill
	scratch_load_dwordx4 v[38:41], off, off offset:4 ; 16-byte Folded Reload
	s_nop 0
	scratch_load_dwordx4 v[42:45], off, off offset:20 ; 16-byte Folded Reload
	scratch_load_dwordx4 v[46:49], off, off offset:36 ; 16-byte Folded Reload
	;; [unrolled: 1-line block ×7, first 2 shown]
	s_waitcnt vmcnt(6)
	v_mov_b32_e32 v44, v150
	scratch_store_dwordx4 off, v[38:41], off offset:4 ; 16-byte Folded Spill
	s_nop 0
	scratch_store_dwordx4 off, v[42:45], off offset:20 ; 16-byte Folded Spill
	s_waitcnt vmcnt(7)
	scratch_store_dwordx4 off, v[46:49], off offset:36 ; 16-byte Folded Spill
	s_waitcnt vmcnt(7)
	;; [unrolled: 2-line block ×6, first 2 shown]
	scratch_store_dwordx4 off, v[66:69], off offset:116 ; 16-byte Folded Spill
	scratch_load_dwordx4 v[38:41], off, off offset:4 ; 16-byte Folded Reload
	s_nop 0
	scratch_load_dwordx4 v[42:45], off, off offset:20 ; 16-byte Folded Reload
	scratch_load_dwordx4 v[46:49], off, off offset:36 ; 16-byte Folded Reload
	scratch_load_dwordx4 v[50:53], off, off offset:52 ; 16-byte Folded Reload
	scratch_load_dwordx4 v[54:57], off, off offset:68 ; 16-byte Folded Reload
	scratch_load_dwordx4 v[58:61], off, off offset:84 ; 16-byte Folded Reload
	scratch_load_dwordx4 v[62:65], off, off offset:100 ; 16-byte Folded Reload
	scratch_load_dwordx4 v[66:69], off, off offset:116 ; 16-byte Folded Reload
	scratch_load_dwordx4 v[156:159], off, off offset:2320 ; 16-byte Folded Reload
	scratch_load_dwordx4 v[160:163], off, off offset:2336 ; 16-byte Folded Reload
	scratch_load_dwordx4 v[164:167], off, off offset:2352 ; 16-byte Folded Reload
	scratch_load_dwordx4 v[168:171], off, off offset:2368 ; 16-byte Folded Reload
	scratch_load_dwordx4 v[172:175], off, off offset:2384 ; 16-byte Folded Reload
	scratch_load_dwordx4 v[176:179], off, off offset:2400 ; 16-byte Folded Reload
	scratch_load_dwordx4 v[180:183], off, off offset:2416 ; 16-byte Folded Reload
	scratch_load_dwordx4 v[184:187], off, off offset:2432 ; 16-byte Folded Reload
	s_waitcnt vmcnt(6)
	v_mov_b32_e32 v45, v163
	scratch_store_dwordx4 off, v[38:41], off offset:4 ; 16-byte Folded Spill
	s_nop 0
	scratch_store_dwordx4 off, v[42:45], off offset:20 ; 16-byte Folded Spill
	scratch_store_dwordx4 off, v[46:49], off offset:36 ; 16-byte Folded Spill
	scratch_store_dwordx4 off, v[50:53], off offset:52 ; 16-byte Folded Spill
	scratch_store_dwordx4 off, v[54:57], off offset:68 ; 16-byte Folded Spill
	scratch_store_dwordx4 off, v[58:61], off offset:84 ; 16-byte Folded Spill
	scratch_store_dwordx4 off, v[62:65], off offset:100 ; 16-byte Folded Spill
	scratch_store_dwordx4 off, v[66:69], off offset:116 ; 16-byte Folded Spill
	scratch_load_dwordx4 v[38:41], off, off offset:4 ; 16-byte Folded Reload
	s_nop 0
	scratch_load_dwordx4 v[42:45], off, off offset:20 ; 16-byte Folded Reload
	scratch_load_dwordx4 v[46:49], off, off offset:36 ; 16-byte Folded Reload
	scratch_load_dwordx4 v[50:53], off, off offset:52 ; 16-byte Folded Reload
	scratch_load_dwordx4 v[54:57], off, off offset:68 ; 16-byte Folded Reload
	scratch_load_dwordx4 v[58:61], off, off offset:84 ; 16-byte Folded Reload
	scratch_load_dwordx4 v[62:65], off, off offset:100 ; 16-byte Folded Reload
	scratch_load_dwordx4 v[66:69], off, off offset:116 ; 16-byte Folded Reload
	scratch_load_dwordx4 v[156:159], off, off offset:1296 ; 16-byte Folded Reload
	scratch_load_dwordx4 v[160:163], off, off offset:1312 ; 16-byte Folded Reload
	scratch_load_dwordx4 v[164:167], off, off offset:1328 ; 16-byte Folded Reload
	scratch_load_dwordx4 v[168:171], off, off offset:1344 ; 16-byte Folded Reload
	scratch_load_dwordx4 v[172:175], off, off offset:1360 ; 16-byte Folded Reload
	scratch_load_dwordx4 v[176:179], off, off offset:1376 ; 16-byte Folded Reload
	scratch_load_dwordx4 v[180:183], off, off offset:1392 ; 16-byte Folded Reload
	scratch_load_dwordx4 v[184:187], off, off offset:1408 ; 16-byte Folded Reload
	s_waitcnt vmcnt(5)
	v_mov_b32_e32 v46, v164
	scratch_store_dwordx4 off, v[38:41], off offset:4 ; 16-byte Folded Spill
	s_nop 0
	scratch_store_dwordx4 off, v[42:45], off offset:20 ; 16-byte Folded Spill
	scratch_store_dwordx4 off, v[46:49], off offset:36 ; 16-byte Folded Spill
	scratch_store_dwordx4 off, v[50:53], off offset:52 ; 16-byte Folded Spill
	scratch_store_dwordx4 off, v[54:57], off offset:68 ; 16-byte Folded Spill
	scratch_store_dwordx4 off, v[58:61], off offset:84 ; 16-byte Folded Spill
	scratch_store_dwordx4 off, v[62:65], off offset:100 ; 16-byte Folded Spill
	;; [unrolled: 28-line block ×9, first 2 shown]
	scratch_store_dwordx4 off, v[66:69], off offset:116 ; 16-byte Folded Spill
	scratch_load_dwordx4 v[210:213], off, off offset:784 ; 16-byte Folded Reload
	scratch_load_dwordx4 v[214:217], off, off offset:800 ; 16-byte Folded Reload
	;; [unrolled: 1-line block ×16, first 2 shown]
	s_waitcnt vmcnt(3)
	v_mov_b32_e32 v54, v226
	scratch_store_dwordx4 off, v[38:41], off offset:4 ; 16-byte Folded Spill
	s_nop 0
	scratch_store_dwordx4 off, v[42:45], off offset:20 ; 16-byte Folded Spill
	scratch_store_dwordx4 off, v[46:49], off offset:36 ; 16-byte Folded Spill
	;; [unrolled: 1-line block ×4, first 2 shown]
	s_waitcnt vmcnt(7)
	scratch_store_dwordx4 off, v[58:61], off offset:84 ; 16-byte Folded Spill
	s_waitcnt vmcnt(7)
	scratch_store_dwordx4 off, v[62:65], off offset:100 ; 16-byte Folded Spill
	;; [unrolled: 2-line block ×3, first 2 shown]
	scratch_load_dwordx4 v[38:41], off, off offset:4 ; 16-byte Folded Reload
	s_nop 0
	scratch_load_dwordx4 v[42:45], off, off offset:20 ; 16-byte Folded Reload
	scratch_load_dwordx4 v[46:49], off, off offset:36 ; 16-byte Folded Reload
	scratch_load_dwordx4 v[50:53], off, off offset:52 ; 16-byte Folded Reload
	scratch_load_dwordx4 v[54:57], off, off offset:68 ; 16-byte Folded Reload
	scratch_load_dwordx4 v[58:61], off, off offset:84 ; 16-byte Folded Reload
	scratch_load_dwordx4 v[62:65], off, off offset:100 ; 16-byte Folded Reload
	scratch_load_dwordx4 v[66:69], off, off offset:116 ; 16-byte Folded Reload
	scratch_load_dwordx4 v[156:159], off, off offset:3096 ; 16-byte Folded Reload
	scratch_load_dwordx4 v[160:163], off, off offset:3112 ; 16-byte Folded Reload
	scratch_load_dwordx4 v[164:167], off, off offset:3128 ; 16-byte Folded Reload
	scratch_load_dwordx4 v[168:171], off, off offset:3144 ; 16-byte Folded Reload
	scratch_load_dwordx4 v[172:175], off, off offset:3160 ; 16-byte Folded Reload
	scratch_load_dwordx4 v[176:179], off, off offset:3176 ; 16-byte Folded Reload
	scratch_load_dwordx4 v[180:183], off, off offset:3192 ; 16-byte Folded Reload
	scratch_load_dwordx4 v[184:187], off, off offset:3208 ; 16-byte Folded Reload
	s_waitcnt vmcnt(3)
	v_mov_b32_e32 v55, v173
	scratch_store_dwordx4 off, v[38:41], off offset:4 ; 16-byte Folded Spill
	s_nop 0
	scratch_store_dwordx4 off, v[42:45], off offset:20 ; 16-byte Folded Spill
	scratch_store_dwordx4 off, v[46:49], off offset:36 ; 16-byte Folded Spill
	scratch_store_dwordx4 off, v[50:53], off offset:52 ; 16-byte Folded Spill
	scratch_store_dwordx4 off, v[54:57], off offset:68 ; 16-byte Folded Spill
	scratch_store_dwordx4 off, v[58:61], off offset:84 ; 16-byte Folded Spill
	scratch_store_dwordx4 off, v[62:65], off offset:100 ; 16-byte Folded Spill
	scratch_store_dwordx4 off, v[66:69], off offset:116 ; 16-byte Folded Spill
	scratch_load_dwordx4 v[38:41], off, off offset:4 ; 16-byte Folded Reload
	s_nop 0
	scratch_load_dwordx4 v[42:45], off, off offset:20 ; 16-byte Folded Reload
	scratch_load_dwordx4 v[46:49], off, off offset:36 ; 16-byte Folded Reload
	scratch_load_dwordx4 v[50:53], off, off offset:52 ; 16-byte Folded Reload
	scratch_load_dwordx4 v[54:57], off, off offset:68 ; 16-byte Folded Reload
	scratch_load_dwordx4 v[58:61], off, off offset:84 ; 16-byte Folded Reload
	scratch_load_dwordx4 v[62:65], off, off offset:100 ; 16-byte Folded Reload
	scratch_load_dwordx4 v[66:69], off, off offset:116 ; 16-byte Folded Reload
	scratch_load_dwordx4 v[156:159], off, off offset:528 ; 16-byte Folded Reload
	scratch_load_dwordx4 v[160:163], off, off offset:544 ; 16-byte Folded Reload
	scratch_load_dwordx4 v[164:167], off, off offset:560 ; 16-byte Folded Reload
	scratch_load_dwordx4 v[168:171], off, off offset:576 ; 16-byte Folded Reload
	scratch_load_dwordx4 v[172:175], off, off offset:592 ; 16-byte Folded Reload
	scratch_load_dwordx4 v[176:179], off, off offset:608 ; 16-byte Folded Reload
	scratch_load_dwordx4 v[180:183], off, off offset:624 ; 16-byte Folded Reload
	scratch_load_dwordx4 v[184:187], off, off offset:640 ; 16-byte Folded Reload
	s_waitcnt vmcnt(3)
	v_mov_b32_e32 v56, v174
	scratch_store_dwordx4 off, v[38:41], off offset:4 ; 16-byte Folded Spill
	s_nop 0
	scratch_store_dwordx4 off, v[42:45], off offset:20 ; 16-byte Folded Spill
	scratch_store_dwordx4 off, v[46:49], off offset:36 ; 16-byte Folded Spill
	scratch_store_dwordx4 off, v[50:53], off offset:52 ; 16-byte Folded Spill
	scratch_store_dwordx4 off, v[54:57], off offset:68 ; 16-byte Folded Spill
	scratch_store_dwordx4 off, v[58:61], off offset:84 ; 16-byte Folded Spill
	scratch_store_dwordx4 off, v[62:65], off offset:100 ; 16-byte Folded Spill
	scratch_store_dwordx4 off, v[66:69], off offset:116 ; 16-byte Folded Spill
	;; [unrolled: 28-line block ×3, first 2 shown]
	scratch_load_dwordx4 v[38:41], off, off offset:4 ; 16-byte Folded Reload
	s_nop 0
	scratch_load_dwordx4 v[42:45], off, off offset:20 ; 16-byte Folded Reload
	scratch_load_dwordx4 v[46:49], off, off offset:36 ; 16-byte Folded Reload
	scratch_load_dwordx4 v[50:53], off, off offset:52 ; 16-byte Folded Reload
	scratch_load_dwordx4 v[54:57], off, off offset:68 ; 16-byte Folded Reload
	scratch_load_dwordx4 v[58:61], off, off offset:84 ; 16-byte Folded Reload
	scratch_load_dwordx4 v[62:65], off, off offset:100 ; 16-byte Folded Reload
	scratch_load_dwordx4 v[66:69], off, off offset:116 ; 16-byte Folded Reload
	s_waitcnt vmcnt(2)
	v_mov_b32_e32 v58, v20
	scratch_store_dwordx4 off, v[38:41], off offset:4 ; 16-byte Folded Spill
	s_nop 0
	scratch_store_dwordx4 off, v[42:45], off offset:20 ; 16-byte Folded Spill
	scratch_store_dwordx4 off, v[46:49], off offset:36 ; 16-byte Folded Spill
	;; [unrolled: 1-line block ×5, first 2 shown]
	s_waitcnt vmcnt(7)
	scratch_store_dwordx4 off, v[62:65], off offset:100 ; 16-byte Folded Spill
	s_waitcnt vmcnt(7)
	scratch_store_dwordx4 off, v[66:69], off offset:116 ; 16-byte Folded Spill
	scratch_load_dwordx4 v[38:41], off, off offset:4 ; 16-byte Folded Reload
	s_nop 0
	scratch_load_dwordx4 v[42:45], off, off offset:20 ; 16-byte Folded Reload
	scratch_load_dwordx4 v[46:49], off, off offset:36 ; 16-byte Folded Reload
	;; [unrolled: 1-line block ×7, first 2 shown]
	s_waitcnt vmcnt(2)
	v_mov_b32_e32 v59, v115
	scratch_store_dwordx4 off, v[38:41], off offset:4 ; 16-byte Folded Spill
	s_nop 0
	scratch_store_dwordx4 off, v[42:45], off offset:20 ; 16-byte Folded Spill
	scratch_store_dwordx4 off, v[46:49], off offset:36 ; 16-byte Folded Spill
	;; [unrolled: 1-line block ×5, first 2 shown]
	s_waitcnt vmcnt(7)
	scratch_store_dwordx4 off, v[62:65], off offset:100 ; 16-byte Folded Spill
	s_waitcnt vmcnt(7)
	scratch_store_dwordx4 off, v[66:69], off offset:116 ; 16-byte Folded Spill
	scratch_load_dwordx4 v[38:41], off, off offset:4 ; 16-byte Folded Reload
	s_nop 0
	scratch_load_dwordx4 v[42:45], off, off offset:20 ; 16-byte Folded Reload
	scratch_load_dwordx4 v[46:49], off, off offset:36 ; 16-byte Folded Reload
	;; [unrolled: 1-line block ×15, first 2 shown]
	s_waitcnt vmcnt(2)
	v_mov_b32_e32 v60, v92
	scratch_store_dwordx4 off, v[38:41], off offset:4 ; 16-byte Folded Spill
	s_nop 0
	scratch_store_dwordx4 off, v[42:45], off offset:20 ; 16-byte Folded Spill
	scratch_store_dwordx4 off, v[46:49], off offset:36 ; 16-byte Folded Spill
	;; [unrolled: 1-line block ×7, first 2 shown]
	scratch_load_dwordx4 v[38:41], off, off offset:4 ; 16-byte Folded Reload
	s_nop 0
	scratch_load_dwordx4 v[42:45], off, off offset:20 ; 16-byte Folded Reload
	scratch_load_dwordx4 v[46:49], off, off offset:36 ; 16-byte Folded Reload
	;; [unrolled: 1-line block ×7, first 2 shown]
	scratch_load_dwordx4 v[94:97], off, s2  ; 16-byte Folded Reload
	scratch_load_dwordx4 v[98:101], off, s2 offset:16 ; 16-byte Folded Reload
	scratch_load_dwordx4 v[102:105], off, s2 offset:32 ; 16-byte Folded Reload
	;; [unrolled: 1-line block ×7, first 2 shown]
	s_movk_i32 s2, 0x1220
	s_waitcnt vmcnt(3)
	v_mov_b32_e32 v111, v195
	v_mov_b32_e32 v22, v92
	;; [unrolled: 1-line block ×5, first 2 shown]
	s_waitcnt vmcnt(2)
	v_mov_b32_e32 v61, v117
	scratch_store_dwordx4 off, v[38:41], off offset:4 ; 16-byte Folded Spill
	s_nop 0
	scratch_store_dwordx4 off, v[42:45], off offset:20 ; 16-byte Folded Spill
	scratch_store_dwordx4 off, v[46:49], off offset:36 ; 16-byte Folded Spill
	;; [unrolled: 1-line block ×7, first 2 shown]
	scratch_load_dwordx4 v[156:159], off, off offset:1168 ; 16-byte Folded Reload
	scratch_load_dwordx4 v[160:163], off, off offset:1184 ; 16-byte Folded Reload
	;; [unrolled: 1-line block ×8, first 2 shown]
	scratch_load_dwordx4 v[38:41], off, s2  ; 16-byte Folded Reload
	scratch_load_dwordx4 v[42:45], off, s2 offset:16 ; 16-byte Folded Reload
	scratch_load_dwordx4 v[46:49], off, s2 offset:32 ; 16-byte Folded Reload
	;; [unrolled: 1-line block ×7, first 2 shown]
	s_movk_i32 s2, 0x11a0
	v_mov_b32_e32 v23, v117
	s_waitcnt vmcnt(15)
	v_mov_b32_e32 v0, v156
	s_waitcnt vmcnt(7)
	v_mov_b32_e32 v3, v41
	scratch_load_dwordx4 v[38:41], off, s2  ; 16-byte Folded Reload
	scratch_load_dwordx4 v[42:45], off, s2 offset:16 ; 16-byte Folded Reload
	scratch_load_dwordx4 v[46:49], off, s2 offset:32 ; 16-byte Folded Reload
	;; [unrolled: 1-line block ×7, first 2 shown]
	s_movk_i32 s2, 0x12a0
	s_waitcnt vmcnt(6)
	v_mov_b32_e32 v4, v42
	scratch_load_dwordx4 v[38:41], off, off offset:2320 ; 16-byte Folded Reload
	scratch_load_dwordx4 v[42:45], off, off offset:2336 ; 16-byte Folded Reload
	scratch_load_dwordx4 v[46:49], off, off offset:2352 ; 16-byte Folded Reload
	scratch_load_dwordx4 v[50:53], off, off offset:2368 ; 16-byte Folded Reload
	scratch_load_dwordx4 v[54:57], off, off offset:2384 ; 16-byte Folded Reload
	scratch_load_dwordx4 v[58:61], off, off offset:2400 ; 16-byte Folded Reload
	scratch_load_dwordx4 v[62:65], off, off offset:2416 ; 16-byte Folded Reload
	scratch_load_dwordx4 v[66:69], off, off offset:2432 ; 16-byte Folded Reload
	s_waitcnt vmcnt(6)
	v_mov_b32_e32 v7, v45
	scratch_load_dwordx4 v[38:41], off, off offset:1296 ; 16-byte Folded Reload
	scratch_load_dwordx4 v[42:45], off, off offset:1312 ; 16-byte Folded Reload
	scratch_load_dwordx4 v[46:49], off, off offset:1328 ; 16-byte Folded Reload
	scratch_load_dwordx4 v[50:53], off, off offset:1344 ; 16-byte Folded Reload
	scratch_load_dwordx4 v[54:57], off, off offset:1360 ; 16-byte Folded Reload
	scratch_load_dwordx4 v[58:61], off, off offset:1376 ; 16-byte Folded Reload
	scratch_load_dwordx4 v[62:65], off, off offset:1392 ; 16-byte Folded Reload
	scratch_load_dwordx4 v[66:69], off, off offset:1408 ; 16-byte Folded Reload
	;; [unrolled: 10-line block ×9, first 2 shown]
	scratch_load_dwordx4 v[210:213], off, off offset:784 ; 16-byte Folded Reload
	scratch_load_dwordx4 v[214:217], off, off offset:800 ; 16-byte Folded Reload
	;; [unrolled: 1-line block ×8, first 2 shown]
	s_waitcnt vmcnt(12)
	v_mov_b32_e32 v15, v53
	scratch_load_dwordx4 v[38:41], off, off offset:3096 ; 16-byte Folded Reload
	scratch_load_dwordx4 v[42:45], off, off offset:3112 ; 16-byte Folded Reload
	;; [unrolled: 1-line block ×8, first 2 shown]
	s_waitcnt vmcnt(11)
	v_mov_b32_e32 v16, v226
	s_waitcnt vmcnt(3)
	v_mov_b32_e32 v17, v55
	scratch_load_dwordx4 v[38:41], off, off offset:528 ; 16-byte Folded Reload
	scratch_load_dwordx4 v[42:45], off, off offset:544 ; 16-byte Folded Reload
	;; [unrolled: 1-line block ×8, first 2 shown]
	s_waitcnt vmcnt(3)
	v_mov_b32_e32 v18, v56
	scratch_load_dwordx4 v[38:41], off, off offset:136 ; 16-byte Folded Reload
	scratch_load_dwordx4 v[42:45], off, off offset:152 ; 16-byte Folded Reload
	;; [unrolled: 1-line block ×8, first 2 shown]
	s_waitcnt vmcnt(3)
	v_mov_b32_e32 v19, v57
	scratch_load_dwordx4 v[38:41], off, s2  ; 16-byte Folded Reload
	scratch_load_dwordx4 v[42:45], off, s2 offset:16 ; 16-byte Folded Reload
	scratch_load_dwordx4 v[46:49], off, s2 offset:32 ; 16-byte Folded Reload
	;; [unrolled: 1-line block ×7, first 2 shown]
	s_movk_i32 s2, 0xf98
	s_waitcnt vmcnt(2)
	v_mov_b32_e32 v20, v58
	scratch_load_dwordx4 v[38:41], off, s2  ; 16-byte Folded Reload
	scratch_load_dwordx4 v[42:45], off, s2 offset:16 ; 16-byte Folded Reload
	scratch_load_dwordx4 v[46:49], off, s2 offset:32 ; 16-byte Folded Reload
	;; [unrolled: 1-line block ×7, first 2 shown]
	s_movk_i32 s2, 0x14a0
	s_waitcnt vmcnt(2)
	v_mov_b32_e32 v21, v59
	scratch_load_dwordx4 v[38:41], off, off offset:4 ; 16-byte Folded Reload
	scratch_load_dwordx4 v[42:45], off, off offset:20 ; 16-byte Folded Reload
	;; [unrolled: 1-line block ×16, first 2 shown]
	s_nop 0
	scratch_store_dwordx4 off, v[26:29], s2 ; 16-byte Folded Spill
	s_nop 0
	scratch_store_dwordx4 off, v[30:33], s2 offset:16 ; 16-byte Folded Spill
	scratch_store_dwordx4 off, v[34:37], s2 offset:32 ; 16-byte Folded Spill
	s_waitcnt vmcnt(18)
	scratch_store_dwordx4 off, v[38:41], s2 offset:48 ; 16-byte Folded Spill
	s_waitcnt vmcnt(18)
	;; [unrolled: 2-line block ×5, first 2 shown]
	scratch_store_dwordx4 off, v[54:57], s2 offset:112 ; 16-byte Folded Spill
	s_movk_i32 s2, 0x1220
	s_waitcnt vmcnt(17)
	v_mov_b32_e32 v24, v62
	scratch_load_dwordx4 v[38:41], off, s2  ; 16-byte Folded Reload
	scratch_load_dwordx4 v[42:45], off, s2 offset:16 ; 16-byte Folded Reload
	scratch_load_dwordx4 v[46:49], off, s2 offset:32 ; 16-byte Folded Reload
	;; [unrolled: 1-line block ×7, first 2 shown]
	s_movk_i32 s2, 0x11a0
	s_waitcnt vmcnt(23)
	v_mov_b32_e32 v106, v156
	s_waitcnt vmcnt(18)
	v_mov_b64_e32 v[172:173], v[190:191]
	v_mov_b64_e32 v[174:175], v[192:193]
	;; [unrolled: 1-line block ×3, first 2 shown]
	v_mov_b32_e32 v170, v132
	s_waitcnt vmcnt(16)
	v_mov_b32_e32 v185, v25
	v_mov_b32_e32 v184, v150
	;; [unrolled: 1-line block ×10, first 2 shown]
	v_cmp_lt_i32_e32 vcc, 1, v36
	s_waitcnt vmcnt(7)
	v_mov_b32_e32 v109, v41
	scratch_load_dwordx4 v[38:41], off, s2  ; 16-byte Folded Reload
	scratch_load_dwordx4 v[42:45], off, s2 offset:16 ; 16-byte Folded Reload
	scratch_load_dwordx4 v[46:49], off, s2 offset:32 ; 16-byte Folded Reload
	;; [unrolled: 1-line block ×7, first 2 shown]
	s_movk_i32 s2, 0x12a0
	s_waitcnt vmcnt(6)
	v_mov_b32_e32 v110, v42
	scratch_load_dwordx4 v[38:41], off, off offset:2320 ; 16-byte Folded Reload
	scratch_load_dwordx4 v[42:45], off, off offset:2336 ; 16-byte Folded Reload
	scratch_load_dwordx4 v[46:49], off, off offset:2352 ; 16-byte Folded Reload
	scratch_load_dwordx4 v[50:53], off, off offset:2368 ; 16-byte Folded Reload
	scratch_load_dwordx4 v[54:57], off, off offset:2384 ; 16-byte Folded Reload
	scratch_load_dwordx4 v[58:61], off, off offset:2400 ; 16-byte Folded Reload
	scratch_load_dwordx4 v[62:65], off, off offset:2416 ; 16-byte Folded Reload
	scratch_load_dwordx4 v[66:69], off, off offset:2432 ; 16-byte Folded Reload
	s_waitcnt vmcnt(6)
	v_mov_b32_e32 v113, v45
	scratch_load_dwordx4 v[38:41], off, off offset:1296 ; 16-byte Folded Reload
	scratch_load_dwordx4 v[42:45], off, off offset:1312 ; 16-byte Folded Reload
	scratch_load_dwordx4 v[46:49], off, off offset:1328 ; 16-byte Folded Reload
	scratch_load_dwordx4 v[50:53], off, off offset:1344 ; 16-byte Folded Reload
	scratch_load_dwordx4 v[54:57], off, off offset:1360 ; 16-byte Folded Reload
	scratch_load_dwordx4 v[58:61], off, off offset:1376 ; 16-byte Folded Reload
	scratch_load_dwordx4 v[62:65], off, off offset:1392 ; 16-byte Folded Reload
	scratch_load_dwordx4 v[66:69], off, off offset:1408 ; 16-byte Folded Reload
	;; [unrolled: 10-line block ×7, first 2 shown]
	s_waitcnt vmcnt(5)
	v_mov_b64_e32 v[166:167], v[48:49]
	v_mov_b64_e32 v[164:165], v[46:47]
	;; [unrolled: 1-line block ×6, first 2 shown]
	s_waitcnt vmcnt(4)
	v_mov_b64_e32 v[168:169], v[50:51]
	scratch_load_dwordx4 v[38:41], off, off offset:400 ; 16-byte Folded Reload
	scratch_load_dwordx4 v[42:45], off, off offset:416 ; 16-byte Folded Reload
	;; [unrolled: 1-line block ×8, first 2 shown]
	v_mov_b32_e32 v119, v169
	s_waitcnt vmcnt(4)
	v_mov_b32_e32 v120, v52
	scratch_load_dwordx4 v[38:41], off, off offset:2448 ; 16-byte Folded Reload
	scratch_load_dwordx4 v[42:45], off, off offset:2464 ; 16-byte Folded Reload
	;; [unrolled: 1-line block ×16, first 2 shown]
	s_waitcnt vmcnt(12)
	v_mov_b32_e32 v121, v53
	scratch_load_dwordx4 v[38:41], off, off offset:3096 ; 16-byte Folded Reload
	scratch_load_dwordx4 v[42:45], off, off offset:3112 ; 16-byte Folded Reload
	;; [unrolled: 1-line block ×8, first 2 shown]
	s_waitcnt vmcnt(11)
	v_mov_b32_e32 v122, v240
	s_waitcnt vmcnt(3)
	v_mov_b32_e32 v123, v55
	scratch_load_dwordx4 v[38:41], off, off offset:528 ; 16-byte Folded Reload
	scratch_load_dwordx4 v[42:45], off, off offset:544 ; 16-byte Folded Reload
	;; [unrolled: 1-line block ×8, first 2 shown]
	s_waitcnt vmcnt(4)
	v_mov_b64_e32 v[224:225], v[52:53]
	s_waitcnt vmcnt(3)
	v_mov_b32_e32 v228, v56
	v_mov_b64_e32 v[222:223], v[50:51]
	v_mov_b64_e32 v[220:221], v[48:49]
	;; [unrolled: 1-line block ×7, first 2 shown]
	v_mov_b32_e32 v227, v55
	v_mov_b32_e32 v226, v54
	scratch_load_dwordx4 v[38:41], off, off offset:136 ; 16-byte Folded Reload
	scratch_load_dwordx4 v[42:45], off, off offset:152 ; 16-byte Folded Reload
	;; [unrolled: 1-line block ×8, first 2 shown]
	v_mov_b32_e32 v124, v228
	s_waitcnt vmcnt(3)
	v_mov_b32_e32 v125, v57
	scratch_load_dwordx4 v[38:41], off, s2  ; 16-byte Folded Reload
	scratch_load_dwordx4 v[42:45], off, s2 offset:16 ; 16-byte Folded Reload
	scratch_load_dwordx4 v[46:49], off, s2 offset:32 ; 16-byte Folded Reload
	;; [unrolled: 1-line block ×7, first 2 shown]
	s_movk_i32 s2, 0xf98
	s_waitcnt vmcnt(4)
	v_mov_b64_e32 v[202:203], v[52:53]
	v_mov_b64_e32 v[200:201], v[50:51]
	s_waitcnt vmcnt(2)
	v_mov_b32_e32 v208, v58
	v_mov_b64_e32 v[198:199], v[48:49]
	v_mov_b64_e32 v[196:197], v[46:47]
	;; [unrolled: 1-line block ×6, first 2 shown]
	v_mov_b32_e32 v207, v57
	v_mov_b32_e32 v206, v56
	;; [unrolled: 1-line block ×4, first 2 shown]
	scratch_load_dwordx4 v[38:41], off, s2  ; 16-byte Folded Reload
	scratch_load_dwordx4 v[42:45], off, s2 offset:16 ; 16-byte Folded Reload
	scratch_load_dwordx4 v[46:49], off, s2 offset:32 ; 16-byte Folded Reload
	;; [unrolled: 1-line block ×7, first 2 shown]
	s_movk_i32 s2, 0x13a0
	v_mov_b32_e32 v126, v208
	s_waitcnt vmcnt(2)
	v_mov_b32_e32 v127, v59
	scratch_load_dwordx4 v[38:41], off, s2  ; 16-byte Folded Reload
	scratch_load_dwordx4 v[42:45], off, s2 offset:16 ; 16-byte Folded Reload
	scratch_load_dwordx4 v[46:49], off, s2 offset:32 ; 16-byte Folded Reload
	;; [unrolled: 1-line block ×7, first 2 shown]
	v_cmp_neq_f32_e64 s[2:3], 0, v35
	s_waitcnt vmcnt(2)
	v_mov_b32_e32 v129, v61
	scratch_load_dwordx4 v[38:41], off, off offset:4 ; 16-byte Folded Reload
	scratch_load_dwordx4 v[42:45], off, off offset:20 ; 16-byte Folded Reload
	;; [unrolled: 1-line block ×8, first 2 shown]
	s_barrier
	s_waitcnt vmcnt(1)
	v_mov_b32_e32 v130, v62
	scratch_store_dwordx4 off, v[106:109], off offset:912 ; 16-byte Folded Spill
	s_nop 0
	scratch_store_dwordx4 off, v[110:113], off offset:928 ; 16-byte Folded Spill
	scratch_store_dwordx4 off, v[114:117], off offset:944 ; 16-byte Folded Spill
	scratch_store_dwordx4 off, v[118:121], off offset:960 ; 16-byte Folded Spill
	scratch_store_dwordx4 off, v[122:125], off offset:976 ; 16-byte Folded Spill
	scratch_store_dwordx4 off, v[126:129], off offset:992 ; 16-byte Folded Spill
	scratch_store_dwordx4 off, v[130:133], off offset:1008 ; 16-byte Folded Spill
	scratch_store_dwordx4 off, v[134:137], off offset:1024 ; 16-byte Folded Spill
	scratch_store_dwordx4 off, v[0:3], off offset:1424 ; 16-byte Folded Spill
	s_nop 0
	scratch_store_dwordx4 off, v[4:7], off offset:1440 ; 16-byte Folded Spill
	scratch_store_dwordx4 off, v[8:11], off offset:1456 ; 16-byte Folded Spill
	;; [unrolled: 1-line block ×7, first 2 shown]
	scratch_load_dwordx4 v[94:97], off, off offset:4 ; 16-byte Folded Reload
	scratch_load_dwordx4 v[98:101], off, off offset:20 ; 16-byte Folded Reload
	;; [unrolled: 1-line block ×8, first 2 shown]
	s_waitcnt vmcnt(7)
	scratch_store_dwordx4 off, v[94:97], off offset:272 ; 16-byte Folded Spill
	s_waitcnt vmcnt(7)
	scratch_store_dwordx4 off, v[98:101], off offset:288 ; 16-byte Folded Spill
	;; [unrolled: 2-line block ×8, first 2 shown]
	scratch_load_dwordx4 v[36:39], off, s18 ; 16-byte Folded Reload
	scratch_load_dwordx4 v[40:43], off, s18 offset:16 ; 16-byte Folded Reload
	scratch_load_dwordx4 v[44:47], off, s18 offset:32 ; 16-byte Folded Reload
	;; [unrolled: 1-line block ×7, first 2 shown]
	v_mov_b32_e32 v100, v92
	v_mov_b32_e32 v99, v91
	;; [unrolled: 1-line block ×7, first 2 shown]
	v_mov_b64_e32 v[92:93], v[84:85]
	s_movk_i32 s18, 0xf98
	v_mov_b64_e32 v[90:91], v[82:83]
	v_mov_b64_e32 v[88:89], v[80:81]
	;; [unrolled: 1-line block ×7, first 2 shown]
	v_mov_b32_e32 v186, v100
	v_mov_b32_e32 v74, v226
	;; [unrolled: 1-line block ×4, first 2 shown]
	v_mov_b64_e32 v[124:125], v[108:109]
	v_mov_b64_e32 v[118:119], v[102:103]
	;; [unrolled: 1-line block ×6, first 2 shown]
	s_waitcnt vmcnt(2)
	v_mov_b32_e32 v127, v59
	scratch_store_dwordx4 off, v[36:39], off offset:1552 ; 16-byte Folded Spill
	s_nop 0
	scratch_store_dwordx4 off, v[40:43], off offset:1568 ; 16-byte Folded Spill
	scratch_store_dwordx4 off, v[44:47], off offset:1584 ; 16-byte Folded Spill
	;; [unrolled: 1-line block ×5, first 2 shown]
	s_waitcnt vmcnt(7)
	scratch_store_dwordx4 off, v[60:63], off offset:1648 ; 16-byte Folded Spill
	s_waitcnt vmcnt(7)
	scratch_store_dwordx4 off, v[64:67], off offset:1664 ; 16-byte Folded Spill
	scratch_load_dwordx4 v[40:43], off, s18 ; 16-byte Folded Reload
	s_nop 0
	scratch_load_dwordx4 v[44:47], off, s18 offset:16 ; 16-byte Folded Reload
	scratch_load_dwordx4 v[48:51], off, s18 offset:32 ; 16-byte Folded Reload
	;; [unrolled: 1-line block ×7, first 2 shown]
	v_mov_b64_e32 v[112:113], v[96:97]
	v_mov_b64_e32 v[110:111], v[94:95]
	;; [unrolled: 1-line block ×10, first 2 shown]
	s_movk_i32 s18, 0x10a0
	s_waitcnt vmcnt(2)
	v_mov_b32_e32 v119, v61
	scratch_store_dwordx4 off, v[40:43], off offset:1808 ; 16-byte Folded Spill
	s_nop 0
	scratch_store_dwordx4 off, v[44:47], off offset:1824 ; 16-byte Folded Spill
	scratch_store_dwordx4 off, v[48:51], off offset:1840 ; 16-byte Folded Spill
	;; [unrolled: 1-line block ×5, first 2 shown]
	s_waitcnt vmcnt(7)
	scratch_store_dwordx4 off, v[64:67], off offset:1904 ; 16-byte Folded Spill
	s_waitcnt vmcnt(7)
	scratch_store_dwordx4 off, v[68:71], off offset:1920 ; 16-byte Folded Spill
	v_mov_b64_e32 v[40:41], v[188:189]
	v_mov_b32_e32 v56, v204
	v_mov_b64_e32 v[42:43], v[190:191]
	v_mov_b64_e32 v[44:45], v[192:193]
	;; [unrolled: 1-line block ×7, first 2 shown]
	v_mov_b32_e32 v57, v205
	v_mov_b32_e32 v58, v206
	;; [unrolled: 1-line block ×5, first 2 shown]
	scratch_store_dwordx4 off, v[40:43], off offset:1040 ; 16-byte Folded Spill
	s_nop 0
	scratch_store_dwordx4 off, v[44:47], off offset:1056 ; 16-byte Folded Spill
	scratch_store_dwordx4 off, v[48:51], off offset:1072 ; 16-byte Folded Spill
	;; [unrolled: 1-line block ×7, first 2 shown]
	scratch_load_dwordx4 v[36:39], off, off offset:136 ; 16-byte Folded Reload
	s_nop 0
	scratch_load_dwordx4 v[40:43], off, off offset:152 ; 16-byte Folded Reload
	scratch_load_dwordx4 v[44:47], off, off offset:168 ; 16-byte Folded Reload
	;; [unrolled: 1-line block ×7, first 2 shown]
	s_waitcnt vmcnt(7)
	scratch_store_dwordx4 off, v[36:39], off offset:1936 ; 16-byte Folded Spill
	s_waitcnt vmcnt(7)
	scratch_store_dwordx4 off, v[40:43], off offset:1952 ; 16-byte Folded Spill
	;; [unrolled: 2-line block ×8, first 2 shown]
	scratch_load_dwordx4 v[40:43], off, off offset:784 ; 16-byte Folded Reload
	s_nop 0
	scratch_load_dwordx4 v[44:47], off, off offset:800 ; 16-byte Folded Reload
	scratch_load_dwordx4 v[48:51], off, off offset:816 ; 16-byte Folded Reload
	;; [unrolled: 1-line block ×7, first 2 shown]
	s_waitcnt vmcnt(0)
	v_mov_b64_e32 v[58:59], v[210:211]
	v_mov_b64_e32 v[60:61], v[212:213]
	;; [unrolled: 1-line block ×8, first 2 shown]
	scratch_store_dwordx4 off, v[58:61], off offset:784 ; 16-byte Folded Spill
	s_nop 0
	scratch_store_dwordx4 off, v[62:65], off offset:800 ; 16-byte Folded Spill
	scratch_store_dwordx4 off, v[66:69], off offset:816 ; 16-byte Folded Spill
	;; [unrolled: 1-line block ×7, first 2 shown]
	scratch_load_dwordx4 v[58:61], off, off offset:136 ; 16-byte Folded Reload
	s_nop 0
	scratch_load_dwordx4 v[62:65], off, off offset:152 ; 16-byte Folded Reload
	scratch_load_dwordx4 v[66:69], off, off offset:168 ; 16-byte Folded Reload
	;; [unrolled: 1-line block ×15, first 2 shown]
	s_waitcnt vmcnt(8)
	v_mov_b32_e32 v87, v77
	s_waitcnt vmcnt(4)
	v_mov_b64_e32 v[58:59], v[188:189]
	v_mov_b64_e32 v[60:61], v[190:191]
	s_waitcnt vmcnt(1)
	v_mov_b64_e32 v[74:75], v[204:205]
	v_mov_b64_e32 v[62:63], v[192:193]
	;; [unrolled: 1-line block ×12, first 2 shown]
	s_waitcnt vmcnt(0)
	v_mov_b32_e32 v86, v216
	scratch_load_dwordx4 v[198:201], off, off offset:4 ; 16-byte Folded Reload
	scratch_load_dwordx4 v[202:205], off, off offset:20 ; 16-byte Folded Reload
	;; [unrolled: 1-line block ×16, first 2 shown]
	s_waitcnt vmcnt(14)
	v_mov_b64_e32 v[202:203], v[72:73]
	s_waitcnt vmcnt(11)
	v_mov_b64_e32 v[214:215], v[84:85]
	v_mov_b64_e32 v[200:201], v[70:71]
	;; [unrolled: 1-line block ×13, first 2 shown]
	v_mov_b32_e32 v74, v56
	v_mov_b32_e32 v216, v86
	s_waitcnt vmcnt(3)
	v_mov_b32_e32 v73, v241
	scratch_store_dwordx4 off, v[224:227], off offset:2192 ; 16-byte Folded Spill
	s_nop 0
	scratch_store_dwordx4 off, v[228:231], off offset:2208 ; 16-byte Folded Spill
	scratch_store_dwordx4 off, v[232:235], off offset:2224 ; 16-byte Folded Spill
	scratch_store_dwordx4 off, v[236:239], off offset:2240 ; 16-byte Folded Spill
	scratch_store_dwordx4 off, v[240:243], off offset:2256 ; 16-byte Folded Spill
	s_waitcnt vmcnt(7)
	scratch_store_dwordx4 off, v[244:247], off offset:2272 ; 16-byte Folded Spill
	s_waitcnt vmcnt(7)
	scratch_store_dwordx4 off, v[248:251], off offset:2288 ; 16-byte Folded Spill
	;; [unrolled: 2-line block ×3, first 2 shown]
	scratch_store_dwordx4 off, v[40:43], off offset:1168 ; 16-byte Folded Spill
	s_nop 0
	scratch_store_dwordx4 off, v[44:47], off offset:1184 ; 16-byte Folded Spill
	scratch_store_dwordx4 off, v[48:51], off offset:1200 ; 16-byte Folded Spill
	;; [unrolled: 1-line block ×7, first 2 shown]
	scratch_load_dwordx4 v[40:43], off, off offset:2448 ; 16-byte Folded Reload
	s_nop 0
	scratch_load_dwordx4 v[44:47], off, off offset:2464 ; 16-byte Folded Reload
	scratch_load_dwordx4 v[48:51], off, off offset:2480 ; 16-byte Folded Reload
	;; [unrolled: 1-line block ×7, first 2 shown]
	s_waitcnt vmcnt(4)
	v_mov_b32_e32 v123, v55
	scratch_store_dwordx4 off, v[40:43], off offset:2708 ; 16-byte Folded Spill
	s_nop 0
	scratch_store_dwordx4 off, v[44:47], off offset:2724 ; 16-byte Folded Spill
	scratch_store_dwordx4 off, v[48:51], off offset:2740 ; 16-byte Folded Spill
	;; [unrolled: 1-line block ×3, first 2 shown]
	s_waitcnt vmcnt(7)
	scratch_store_dwordx4 off, v[56:59], off offset:2772 ; 16-byte Folded Spill
	s_waitcnt vmcnt(7)
	scratch_store_dwordx4 off, v[60:63], off offset:2788 ; 16-byte Folded Spill
	;; [unrolled: 2-line block ×4, first 2 shown]
	scratch_load_dwordx4 v[36:39], off, off offset:400 ; 16-byte Folded Reload
	s_nop 0
	scratch_load_dwordx4 v[40:43], off, off offset:416 ; 16-byte Folded Reload
	scratch_load_dwordx4 v[44:47], off, off offset:432 ; 16-byte Folded Reload
	;; [unrolled: 1-line block ×7, first 2 shown]
	s_waitcnt vmcnt(3)
	v_mov_b32_e32 v54, v50
	v_mov_b32_e32 v53, v49
	;; [unrolled: 1-line block ×3, first 2 shown]
	v_mov_b64_e32 v[50:51], v[46:47]
	v_mov_b64_e32 v[48:49], v[44:45]
	;; [unrolled: 1-line block ×6, first 2 shown]
	scratch_store_dwordx4 off, v[40:43], off offset:2064 ; 16-byte Folded Spill
	s_nop 0
	scratch_store_dwordx4 off, v[44:47], off offset:2080 ; 16-byte Folded Spill
	scratch_store_dwordx4 off, v[48:51], off offset:2096 ; 16-byte Folded Spill
	;; [unrolled: 1-line block ×3, first 2 shown]
	s_waitcnt vmcnt(6)
	scratch_store_dwordx4 off, v[56:59], off offset:2128 ; 16-byte Folded Spill
	s_waitcnt vmcnt(6)
	scratch_store_dwordx4 off, v[60:63], off offset:2144 ; 16-byte Folded Spill
	;; [unrolled: 2-line block ×3, first 2 shown]
	scratch_store_dwordx4 off, v[68:71], off offset:2176 ; 16-byte Folded Spill
	v_mov_b64_e32 v[40:41], v[156:157]
	v_mov_b64_e32 v[42:43], v[158:159]
	;; [unrolled: 1-line block ×7, first 2 shown]
	v_mov_b32_e32 v75, v53
	scratch_store_dwordx4 off, v[40:43], off offset:2840 ; 16-byte Folded Spill
	s_nop 0
	scratch_store_dwordx4 off, v[44:47], off offset:2856 ; 16-byte Folded Spill
	scratch_store_dwordx4 off, v[48:51], off offset:2872 ; 16-byte Folded Spill
	scratch_store_dwordx4 off, v[52:55], off offset:2888 ; 16-byte Folded Spill
	scratch_store_dwordx4 off, v[56:59], off offset:2904 ; 16-byte Folded Spill
	scratch_store_dwordx4 off, v[60:63], off offset:2920 ; 16-byte Folded Spill
	scratch_store_dwordx4 off, v[64:67], off offset:2936 ; 16-byte Folded Spill
	scratch_store_dwordx4 off, v[68:71], off offset:2952 ; 16-byte Folded Spill
	scratch_load_dwordx4 v[36:39], off, off offset:3352 ; 16-byte Folded Reload
	s_nop 0
	scratch_load_dwordx4 v[40:43], off, off offset:3368 ; 16-byte Folded Reload
	scratch_load_dwordx4 v[44:47], off, off offset:3384 ; 16-byte Folded Reload
	;; [unrolled: 1-line block ×7, first 2 shown]
	s_waitcnt vmcnt(3)
	v_mov_b32_e32 v52, v48
	v_mov_b64_e32 v[50:51], v[46:47]
	v_mov_b64_e32 v[48:49], v[44:45]
	;; [unrolled: 1-line block ×6, first 2 shown]
	v_mov_b32_e32 v82, v52
	scratch_store_dwordx4 off, v[40:43], off offset:2576 ; 16-byte Folded Spill
	s_nop 0
	scratch_store_dwordx4 off, v[44:47], off offset:2592 ; 16-byte Folded Spill
	scratch_store_dwordx4 off, v[48:51], off offset:2608 ; 16-byte Folded Spill
	;; [unrolled: 1-line block ×3, first 2 shown]
	s_waitcnt vmcnt(6)
	scratch_store_dwordx4 off, v[56:59], off offset:2640 ; 16-byte Folded Spill
	s_waitcnt vmcnt(6)
	scratch_store_dwordx4 off, v[60:63], off offset:2656 ; 16-byte Folded Spill
	;; [unrolled: 2-line block ×3, first 2 shown]
	scratch_store_dwordx4 off, v[68:71], off offset:2688 ; 16-byte Folded Spill
	scratch_load_dwordx4 v[40:43], off, off offset:1680 ; 16-byte Folded Reload
	s_nop 0
	scratch_load_dwordx4 v[44:47], off, off offset:1696 ; 16-byte Folded Reload
	scratch_load_dwordx4 v[48:51], off, off offset:1712 ; 16-byte Folded Reload
	;; [unrolled: 1-line block ×7, first 2 shown]
	s_waitcnt vmcnt(7)
	scratch_store_dwordx4 off, v[40:43], off offset:3608 ; 16-byte Folded Spill
	s_waitcnt vmcnt(7)
	scratch_store_dwordx4 off, v[44:47], off offset:3624 ; 16-byte Folded Spill
	s_waitcnt vmcnt(7)
	scratch_store_dwordx4 off, v[48:51], off offset:3640 ; 16-byte Folded Spill
	s_waitcnt vmcnt(7)
	scratch_store_dwordx4 off, v[52:55], off offset:3656 ; 16-byte Folded Spill
	s_waitcnt vmcnt(7)
	scratch_store_dwordx4 off, v[56:59], off offset:3672 ; 16-byte Folded Spill
	s_waitcnt vmcnt(7)
	scratch_store_dwordx4 off, v[60:63], off offset:3688 ; 16-byte Folded Spill
	s_waitcnt vmcnt(7)
	scratch_store_dwordx4 off, v[64:67], off offset:3704 ; 16-byte Folded Spill
	s_waitcnt vmcnt(7)
	scratch_store_dwordx4 off, v[68:71], off offset:3720 ; 16-byte Folded Spill
	scratch_load_dwordx4 v[40:43], off, off offset:656 ; 16-byte Folded Reload
	s_nop 0
	scratch_load_dwordx4 v[44:47], off, off offset:672 ; 16-byte Folded Reload
	scratch_load_dwordx4 v[48:51], off, off offset:688 ; 16-byte Folded Reload
	;; [unrolled: 1-line block ×7, first 2 shown]
	s_waitcnt vmcnt(7)
	scratch_store_dwordx4 off, v[40:43], off offset:2968 ; 16-byte Folded Spill
	s_waitcnt vmcnt(7)
	scratch_store_dwordx4 off, v[44:47], off offset:2984 ; 16-byte Folded Spill
	;; [unrolled: 2-line block ×8, first 2 shown]
	scratch_load_dwordx4 v[36:39], off, off offset:3736 ; 16-byte Folded Reload
	s_nop 0
	scratch_load_dwordx4 v[40:43], off, off offset:3752 ; 16-byte Folded Reload
	scratch_load_dwordx4 v[44:47], off, off offset:3768 ; 16-byte Folded Reload
	;; [unrolled: 1-line block ×7, first 2 shown]
	s_waitcnt vmcnt(2)
	v_mov_b64_e32 v[58:59], v[44:45]
	v_mov_b64_e32 v[56:57], v[42:43]
	;; [unrolled: 1-line block ×5, first 2 shown]
	scratch_store_dwordx4 off, v[50:53], off offset:3864 ; 16-byte Folded Spill
	s_nop 0
	scratch_store_dwordx4 off, v[54:57], off offset:3880 ; 16-byte Folded Spill
	s_waitcnt vmcnt(3)
	scratch_store_dwordx4 off, v[58:61], off offset:3896 ; 16-byte Folded Spill
	s_waitcnt vmcnt(3)
	scratch_store_dwordx4 off, v[62:65], off offset:3912 ; 16-byte Folded Spill
	scratch_store_dwordx4 off, v[66:69], off offset:3928 ; 16-byte Folded Spill
	scratch_store_dwordx4 off, v[70:73], off offset:3944 ; 16-byte Folded Spill
	scratch_store_dwordx4 off, v[74:77], off offset:3960 ; 16-byte Folded Spill
	scratch_store_dwordx4 off, v[78:81], off offset:3976 ; 16-byte Folded Spill
	scratch_load_dwordx4 v[224:227], off, off offset:1296 ; 16-byte Folded Reload
	scratch_load_dwordx4 v[228:231], off, off offset:1312 ; 16-byte Folded Reload
	scratch_load_dwordx4 v[232:235], off, off offset:1328 ; 16-byte Folded Reload
	scratch_load_dwordx4 v[236:239], off, off offset:1344 ; 16-byte Folded Reload
	scratch_load_dwordx4 v[240:243], off, off offset:1360 ; 16-byte Folded Reload
	scratch_load_dwordx4 v[244:247], off, off offset:1376 ; 16-byte Folded Reload
	scratch_load_dwordx4 v[248:251], off, off offset:1392 ; 16-byte Folded Reload
	scratch_load_dwordx4 v[252:255], off, off offset:1408 ; 16-byte Folded Reload
	s_waitcnt vmcnt(5)
	v_mov_b32_e32 v26, v224
	v_mov_b32_e32 v27, v225
	;; [unrolled: 1-line block ×9, first 2 shown]
	scratch_store_dwordx4 off, v[26:29], off offset:3480 ; 16-byte Folded Spill
	s_nop 0
	scratch_store_dwordx4 off, v[30:33], off offset:3496 ; 16-byte Folded Spill
	scratch_store_dwordx4 off, v[34:37], off offset:3512 ; 16-byte Folded Spill
	;; [unrolled: 1-line block ×7, first 2 shown]
	scratch_load_dwordx4 v[224:227], off, off offset:2320 ; 16-byte Folded Reload
	scratch_load_dwordx4 v[228:231], off, off offset:2336 ; 16-byte Folded Reload
	;; [unrolled: 1-line block ×8, first 2 shown]
	v_mov_b32_e32 v52, v178
	v_mov_b32_e32 v53, v179
	;; [unrolled: 1-line block ×7, first 2 shown]
	v_mov_b64_e32 v[26:27], v[172:173]
	v_mov_b64_e32 v[28:29], v[174:175]
	;; [unrolled: 1-line block ×3, first 2 shown]
	s_waitcnt vmcnt(6)
	v_mov_b64_e32 v[62:63], v[224:225]
	v_mov_b64_e32 v[64:65], v[226:227]
	;; [unrolled: 1-line block ×4, first 2 shown]
	scratch_store_dwordx4 off, v[62:65], s18 ; 16-byte Folded Spill
	s_nop 0
	scratch_store_dwordx4 off, v[66:69], s18 offset:16 ; 16-byte Folded Spill
	scratch_store_dwordx4 off, v[70:73], s18 offset:32 ; 16-byte Folded Spill
	;; [unrolled: 1-line block ×7, first 2 shown]
	s_movk_i32 s18, 0x1120
	scratch_store_dwordx4 off, v[52:55], s18 ; 16-byte Folded Spill
	s_nop 0
	scratch_store_dwordx4 off, v[56:59], s18 offset:16 ; 16-byte Folded Spill
	scratch_store_dwordx4 off, v[60:63], s18 offset:32 ; 16-byte Folded Spill
	;; [unrolled: 1-line block ×7, first 2 shown]
	s_movk_i32 s18, 0x1320
	v_mov_b32_e32 v67, v31
	scratch_store_dwordx4 off, v[26:29], s18 ; 16-byte Folded Spill
	s_nop 0
	scratch_store_dwordx4 off, v[30:33], s18 offset:16 ; 16-byte Folded Spill
	scratch_store_dwordx4 off, v[34:37], s18 offset:32 ; 16-byte Folded Spill
	;; [unrolled: 1-line block ×7, first 2 shown]
	s_movk_i32 s18, 0x11a0
	v_mov_b32_e32 v60, v35
	scratch_load_dwordx4 v[26:29], off, s18 ; 16-byte Folded Reload
	scratch_load_dwordx4 v[30:33], off, s18 offset:16 ; 16-byte Folded Reload
	scratch_load_dwordx4 v[34:37], off, s18 offset:32 ; 16-byte Folded Reload
	;; [unrolled: 1-line block ×7, first 2 shown]
	s_movk_i32 s18, 0x1420
	s_waitcnt vmcnt(6)
	v_mov_b32_e32 v66, v30
	v_mov_b32_e32 v65, v29
	v_mov_b32_e32 v64, v28
	v_mov_b32_e32 v63, v27
	v_mov_b32_e32 v62, v26
	scratch_store_dwordx4 off, v[62:65], s18 ; 16-byte Folded Spill
	s_nop 0
	scratch_store_dwordx4 off, v[66:69], s18 offset:16 ; 16-byte Folded Spill
	scratch_store_dwordx4 off, v[70:73], s18 offset:32 ; 16-byte Folded Spill
	;; [unrolled: 1-line block ×7, first 2 shown]
	s_movk_i32 s18, 0x1220
	scratch_load_dwordx4 v[26:29], off, s18 ; 16-byte Folded Reload
	scratch_load_dwordx4 v[30:33], off, s18 offset:16 ; 16-byte Folded Reload
	scratch_load_dwordx4 v[34:37], off, s18 offset:32 ; 16-byte Folded Reload
	;; [unrolled: 1-line block ×7, first 2 shown]
	s_movk_i32 s18, 0x1520
	s_waitcnt vmcnt(0)
	v_mov_b32_e32 v55, v29
	scratch_store_dwordx4 off, v[26:29], s18 ; 16-byte Folded Spill
	s_nop 0
	scratch_store_dwordx4 off, v[30:33], s18 offset:16 ; 16-byte Folded Spill
	scratch_store_dwordx4 off, v[34:37], s18 offset:32 ; 16-byte Folded Spill
	;; [unrolled: 1-line block ×7, first 2 shown]
	s_movk_i32 s18, 0x15a0
	scratch_store_dwordx4 off, v[152:155], s18 ; 16-byte Folded Spill
	s_nop 0
	scratch_store_dwordx4 off, v[156:159], s18 offset:16 ; 16-byte Folded Spill
	scratch_store_dwordx4 off, v[160:163], s18 offset:32 ; 16-byte Folded Spill
	;; [unrolled: 1-line block ×7, first 2 shown]
	s_mov_b64 s[18:19], exec
	s_and_b64 s[20:21], s[18:19], vcc
	v_mov_b32_e32 v47, v59
	v_mov_b32_e32 v48, v58
	v_mov_b32_e32 v49, v69
	v_mov_b32_e32 v50, v66
	v_mov_b32_e32 v54, v154
	s_mov_b64 exec, s[20:21]
	s_cbranch_execz .LBB56_31
; %bb.30:
	scratch_load_dwordx4 v[0:3], off, off offset:1296 ; 16-byte Folded Reload
	scratch_load_dwordx4 v[4:7], off, off offset:1312 ; 16-byte Folded Reload
	;; [unrolled: 1-line block ×8, first 2 shown]
	v_mov_b32_e32 v42, v82
	v_mov_b32_e32 v37, v87
	;; [unrolled: 1-line block ×3, first 2 shown]
	v_mov_b64_e32 v[52:53], v[54:55]
	v_mov_b32_e32 v43, v75
	v_mov_b32_e32 v41, v123
	;; [unrolled: 1-line block ×9, first 2 shown]
	s_waitcnt vmcnt(5)
	v_mov_b32_e32 v46, v8
	scratch_load_dwordx4 v[0:3], off, off offset:656 ; 16-byte Folded Reload
	scratch_load_dwordx4 v[4:7], off, off offset:672 ; 16-byte Folded Reload
	scratch_load_dwordx4 v[8:11], off, off offset:688 ; 16-byte Folded Reload
	scratch_load_dwordx4 v[12:15], off, off offset:704 ; 16-byte Folded Reload
	scratch_load_dwordx4 v[16:19], off, off offset:720 ; 16-byte Folded Reload
	scratch_load_dwordx4 v[20:23], off, off offset:736 ; 16-byte Folded Reload
	scratch_load_dwordx4 v[24:27], off, off offset:752 ; 16-byte Folded Reload
	scratch_load_dwordx4 v[28:31], off, off offset:768 ; 16-byte Folded Reload
	s_waitcnt vmcnt(5)
	v_mov_b32_e32 v44, v10
	scratch_load_dwordx4 v[0:3], off, off offset:1680 ; 16-byte Folded Reload
	scratch_load_dwordx4 v[4:7], off, off offset:1696 ; 16-byte Folded Reload
	scratch_load_dwordx4 v[8:11], off, off offset:1712 ; 16-byte Folded Reload
	scratch_load_dwordx4 v[12:15], off, off offset:1728 ; 16-byte Folded Reload
	scratch_load_dwordx4 v[16:19], off, off offset:1744 ; 16-byte Folded Reload
	scratch_load_dwordx4 v[20:23], off, off offset:1760 ; 16-byte Folded Reload
	scratch_load_dwordx4 v[24:27], off, off offset:1776 ; 16-byte Folded Reload
	scratch_load_dwordx4 v[28:31], off, off offset:1792 ; 16-byte Folded Reload
	;; [unrolled: 10-line block ×4, first 2 shown]
	s_waitcnt vmcnt(7)
	v_div_scale_f32 v0, s[20:21], v60, v60, 1.0
	s_movk_i32 s20, 0x14a0
	s_nop 3
	scratch_load_dwordx4 v[78:81], off, s20 ; 16-byte Folded Reload
	scratch_load_dwordx4 v[82:85], off, s20 offset:16 ; 16-byte Folded Reload
	scratch_load_dwordx4 v[86:89], off, s20 offset:32 ; 16-byte Folded Reload
	;; [unrolled: 1-line block ×7, first 2 shown]
	scratch_load_dword v8, off, off offset:132 ; 4-byte Folded Reload
	v_rcp_f32_e32 v1, v0
	s_waitcnt vmcnt(12)
	v_mov_b32_e32 v36, v18
	v_fma_f32 v2, -v0, v1, 1.0
	v_fmac_f32_e32 v1, v2, v1
	v_div_scale_f32 v2, vcc, 1.0, v60, 1.0
	v_mul_f32_e32 v3, v2, v1
	v_fma_f32 v4, -v0, v3, v2
	v_fmac_f32_e32 v3, v4, v1
	v_fma_f32 v0, -v0, v3, v2
	v_div_fmas_f32 v0, v0, v1, v3
	v_div_fixup_f32 v0, v0, v60, 1.0
	v_cndmask_b32_e64 v0, v60, v0, s[2:3]
	s_waitcnt vmcnt(8)
	v_mul_f32_e32 v156, v79, v0
	s_waitcnt vmcnt(0)
	ds_read2_b32 v[0:1], v8 offset0:2 offset1:3
	ds_read2_b32 v[2:3], v8 offset0:4 offset1:5
	;; [unrolled: 1-line block ×4, first 2 shown]
	v_mov_b32_e32 v189, v156
	s_waitcnt lgkmcnt(3)
	v_pk_fma_f32 v[52:53], v[156:157], v[0:1], v[52:53] op_sel_hi:[0,1,1] neg_lo:[1,0,0] neg_hi:[1,0,0]
	s_waitcnt lgkmcnt(2)
	v_pk_fma_f32 v[50:51], v[156:157], v[2:3], v[50:51] op_sel_hi:[0,1,1] neg_lo:[1,0,0] neg_hi:[1,0,0]
	;; [unrolled: 2-line block ×4, first 2 shown]
	ds_read2_b32 v[0:1], v8 offset0:10 offset1:11
	ds_read2_b32 v[2:3], v8 offset0:12 offset1:13
	;; [unrolled: 1-line block ×4, first 2 shown]
	v_mov_b64_e32 v[54:55], v[52:53]
	s_waitcnt lgkmcnt(3)
	v_pk_fma_f32 v[44:45], v[156:157], v[0:1], v[44:45] op_sel_hi:[0,1,1] neg_lo:[1,0,0] neg_hi:[1,0,0]
	s_waitcnt lgkmcnt(2)
	v_pk_fma_f32 v[42:43], v[156:157], v[2:3], v[42:43] op_sel_hi:[0,1,1] neg_lo:[1,0,0] neg_hi:[1,0,0]
	s_waitcnt lgkmcnt(1)
	v_pk_fma_f32 v[40:41], v[156:157], v[4:5], v[40:41] op_sel_hi:[0,1,1] neg_lo:[1,0,0] neg_hi:[1,0,0]
	s_waitcnt lgkmcnt(0)
	v_pk_fma_f32 v[72:73], v[156:157], v[6:7], v[72:73] op_sel_hi:[0,1,1] neg_lo:[1,0,0] neg_hi:[1,0,0]
	ds_read2_b32 v[0:1], v8 offset0:18 offset1:19
	ds_read2_b32 v[2:3], v8 offset0:20 offset1:21
	;; [unrolled: 1-line block ×4, first 2 shown]
	scratch_load_dwordx2 v[58:59], off, off offset:264 ; 8-byte Folded Reload
	s_waitcnt lgkmcnt(3)
	v_pk_fma_f32 v[36:37], v[156:157], v[0:1], v[36:37] op_sel_hi:[0,1,1] neg_lo:[1,0,0] neg_hi:[1,0,0]
	ds_read2_b32 v[0:1], v8 offset0:26 offset1:27
	s_waitcnt lgkmcnt(3)
	v_pk_fma_f32 v[32:33], v[156:157], v[2:3], v[32:33] op_sel_hi:[0,1,1] neg_lo:[1,0,0] neg_hi:[1,0,0]
	s_waitcnt lgkmcnt(2)
	v_pk_fma_f32 v[76:77], v[156:157], v[4:5], v[76:77] op_sel_hi:[0,1,1] neg_lo:[1,0,0] neg_hi:[1,0,0]
	;; [unrolled: 2-line block ×3, first 2 shown]
	v_mov_b32_e32 v67, v51
	v_mov_b32_e32 v74, v72
	;; [unrolled: 1-line block ×5, first 2 shown]
	s_waitcnt vmcnt(0)
	v_mov_b32_e32 v35, v58
	s_waitcnt lgkmcnt(0)
	v_pk_fma_f32 v[34:35], v[156:157], v[0:1], v[34:35] op_sel_hi:[0,1,1] neg_lo:[1,0,0] neg_hi:[1,0,0]
	ds_read_b32 v0, v8 offset:112
	scratch_store_dwordx4 off, v[188:191], s20 ; 16-byte Folded Spill
	s_nop 0
	scratch_store_dwordx4 off, v[192:195], s20 offset:16 ; 16-byte Folded Spill
	scratch_store_dwordx4 off, v[196:199], s20 offset:32 ; 16-byte Folded Spill
	;; [unrolled: 1-line block ×7, first 2 shown]
	v_mov_b32_e32 v190, v52
	s_movk_i32 s20, 0x15a0
	v_mov_b32_e32 v58, v35
	s_waitcnt lgkmcnt(0)
	v_fma_f32 v59, -v156, v0, v59
	v_mov_b32_e32 v170, v34
	scratch_store_dwordx4 off, v[188:191], s20 ; 16-byte Folded Spill
	s_nop 0
	scratch_store_dwordx4 off, v[192:195], s20 offset:16 ; 16-byte Folded Spill
	scratch_store_dwordx4 off, v[196:199], s20 offset:32 ; 16-byte Folded Spill
	scratch_store_dwordx4 off, v[200:203], s20 offset:48 ; 16-byte Folded Spill
	scratch_store_dwordx4 off, v[204:207], s20 offset:64 ; 16-byte Folded Spill
	scratch_store_dwordx4 off, v[208:211], s20 offset:80 ; 16-byte Folded Spill
	scratch_store_dwordx4 off, v[212:215], s20 offset:96 ; 16-byte Folded Spill
	scratch_store_dwordx4 off, v[216:219], s20 offset:112 ; 16-byte Folded Spill
	v_mov_b32_e32 v191, v53
	s_movk_i32 s20, 0x1520
	scratch_store_dwordx4 off, v[188:191], s20 ; 16-byte Folded Spill
	s_nop 0
	scratch_store_dwordx4 off, v[192:195], s20 offset:16 ; 16-byte Folded Spill
	scratch_store_dwordx4 off, v[196:199], s20 offset:32 ; 16-byte Folded Spill
	scratch_store_dwordx4 off, v[200:203], s20 offset:48 ; 16-byte Folded Spill
	scratch_store_dwordx4 off, v[204:207], s20 offset:64 ; 16-byte Folded Spill
	scratch_store_dwordx4 off, v[208:211], s20 offset:80 ; 16-byte Folded Spill
	scratch_store_dwordx4 off, v[212:215], s20 offset:96 ; 16-byte Folded Spill
	scratch_store_dwordx4 off, v[216:219], s20 offset:112 ; 16-byte Folded Spill
	v_mov_b32_e32 v192, v50
	s_movk_i32 s20, 0x1420
	;; [unrolled: 11-line block ×5, first 2 shown]
	scratch_store_dwordx4 off, v[188:191], s20 ; 16-byte Folded Spill
	s_nop 0
	scratch_store_dwordx4 off, v[192:195], s20 offset:16 ; 16-byte Folded Spill
	scratch_store_dwordx4 off, v[196:199], s20 offset:32 ; 16-byte Folded Spill
	;; [unrolled: 1-line block ×7, first 2 shown]
	v_mov_b32_e32 v196, v46
	scratch_store_dwordx4 off, v[188:191], off offset:3480 ; 16-byte Folded Spill
	s_nop 0
	scratch_store_dwordx4 off, v[192:195], off offset:3496 ; 16-byte Folded Spill
	scratch_store_dwordx4 off, v[196:199], off offset:3512 ; 16-byte Folded Spill
	scratch_store_dwordx4 off, v[200:203], off offset:3528 ; 16-byte Folded Spill
	scratch_store_dwordx4 off, v[204:207], off offset:3544 ; 16-byte Folded Spill
	scratch_store_dwordx4 off, v[208:211], off offset:3560 ; 16-byte Folded Spill
	scratch_store_dwordx4 off, v[212:215], off offset:3576 ; 16-byte Folded Spill
	scratch_store_dwordx4 off, v[216:219], off offset:3592 ; 16-byte Folded Spill
	v_mov_b32_e32 v197, v47
	scratch_store_dwordx4 off, v[188:191], off offset:3864 ; 16-byte Folded Spill
	s_nop 0
	scratch_store_dwordx4 off, v[192:195], off offset:3880 ; 16-byte Folded Spill
	scratch_store_dwordx4 off, v[196:199], off offset:3896 ; 16-byte Folded Spill
	scratch_store_dwordx4 off, v[200:203], off offset:3912 ; 16-byte Folded Spill
	scratch_store_dwordx4 off, v[204:207], off offset:3928 ; 16-byte Folded Spill
	scratch_store_dwordx4 off, v[208:211], off offset:3944 ; 16-byte Folded Spill
	scratch_store_dwordx4 off, v[212:215], off offset:3960 ; 16-byte Folded Spill
	scratch_store_dwordx4 off, v[216:219], off offset:3976 ; 16-byte Folded Spill
	;; [unrolled: 10-line block ×14, first 2 shown]
	v_mov_b32_e32 v210, v76
	v_mov_b64_e32 v[94:95], v[188:189]
	v_mov_b64_e32 v[96:97], v[190:191]
	;; [unrolled: 1-line block ×16, first 2 shown]
	v_mov_b32_e32 v211, v77
	scratch_store_dwordx4 off, v[188:191], off offset:1552 ; 16-byte Folded Spill
	s_nop 0
	scratch_store_dwordx4 off, v[192:195], off offset:1568 ; 16-byte Folded Spill
	scratch_store_dwordx4 off, v[196:199], off offset:1584 ; 16-byte Folded Spill
	scratch_store_dwordx4 off, v[200:203], off offset:1600 ; 16-byte Folded Spill
	scratch_store_dwordx4 off, v[204:207], off offset:1616 ; 16-byte Folded Spill
	scratch_store_dwordx4 off, v[208:211], off offset:1632 ; 16-byte Folded Spill
	scratch_store_dwordx4 off, v[212:215], off offset:1648 ; 16-byte Folded Spill
	scratch_store_dwordx4 off, v[216:219], off offset:1664 ; 16-byte Folded Spill
	s_nop 0
	v_mov_b32_e32 v212, v222
	scratch_store_dwordx4 off, v[188:191], off offset:272 ; 16-byte Folded Spill
	s_nop 0
	scratch_store_dwordx4 off, v[192:195], off offset:288 ; 16-byte Folded Spill
	scratch_store_dwordx4 off, v[196:199], off offset:304 ; 16-byte Folded Spill
	scratch_store_dwordx4 off, v[200:203], off offset:320 ; 16-byte Folded Spill
	scratch_store_dwordx4 off, v[204:207], off offset:336 ; 16-byte Folded Spill
	scratch_store_dwordx4 off, v[208:211], off offset:352 ; 16-byte Folded Spill
	scratch_store_dwordx4 off, v[212:215], off offset:368 ; 16-byte Folded Spill
	scratch_store_dwordx4 off, v[216:219], off offset:384 ; 16-byte Folded Spill
	s_nop 0
	;; [unrolled: 11-line block ×3, first 2 shown]
	v_mov_b32_e32 v214, v34
	scratch_store_dwordx4 off, v[188:191], off offset:912 ; 16-byte Folded Spill
	s_nop 0
	scratch_store_dwordx4 off, v[192:195], off offset:928 ; 16-byte Folded Spill
	scratch_store_dwordx4 off, v[196:199], off offset:944 ; 16-byte Folded Spill
	;; [unrolled: 1-line block ×7, first 2 shown]
	v_mov_b32_e32 v190, v54
	v_mov_b32_e32 v191, v55
	;; [unrolled: 1-line block ×4, first 2 shown]
	scratch_store_dwordx2 off, v[58:59], off offset:264 ; 8-byte Folded Spill
	scratch_store_dwordx4 off, v[38:41], off offset:1296 ; 16-byte Folded Spill
	s_nop 0
	scratch_store_dwordx4 off, v[42:45], off offset:1312 ; 16-byte Folded Spill
	scratch_store_dwordx4 off, v[46:49], off offset:1328 ; 16-byte Folded Spill
	scratch_store_dwordx4 off, v[50:53], off offset:1344 ; 16-byte Folded Spill
	scratch_store_dwordx4 off, v[54:57], off offset:1360 ; 16-byte Folded Spill
	scratch_store_dwordx4 off, v[58:61], off offset:1376 ; 16-byte Folded Spill
	scratch_store_dwordx4 off, v[62:65], off offset:1392 ; 16-byte Folded Spill
	scratch_store_dwordx4 off, v[66:69], off offset:1408 ; 16-byte Folded Spill
	scratch_store_dwordx4 off, v[34:37], off offset:656 ; 16-byte Folded Spill
	s_nop 0
	scratch_store_dwordx4 off, v[38:41], off offset:672 ; 16-byte Folded Spill
	scratch_store_dwordx4 off, v[42:45], off offset:688 ; 16-byte Folded Spill
	scratch_store_dwordx4 off, v[46:49], off offset:704 ; 16-byte Folded Spill
	scratch_store_dwordx4 off, v[50:53], off offset:720 ; 16-byte Folded Spill
	scratch_store_dwordx4 off, v[54:57], off offset:736 ; 16-byte Folded Spill
	scratch_store_dwordx4 off, v[58:61], off offset:752 ; 16-byte Folded Spill
	scratch_store_dwordx4 off, v[62:65], off offset:768 ; 16-byte Folded Spill
	;; [unrolled: 9-line block ×3, first 2 shown]
	v_mov_b32_e32 v82, v42
	v_mov_b32_e32 v75, v43
	scratch_store_dwordx4 off, v[26:29], off offset:400 ; 16-byte Folded Spill
	s_nop 0
	scratch_store_dwordx4 off, v[30:33], off offset:416 ; 16-byte Folded Spill
	scratch_store_dwordx4 off, v[34:37], off offset:432 ; 16-byte Folded Spill
	;; [unrolled: 1-line block ×7, first 2 shown]
	v_mov_b32_e32 v123, v41
	scratch_store_dwordx4 off, v[18:21], off offset:528 ; 16-byte Folded Spill
	s_nop 0
	scratch_store_dwordx4 off, v[22:25], off offset:544 ; 16-byte Folded Spill
	scratch_store_dwordx4 off, v[26:29], off offset:560 ; 16-byte Folded Spill
	;; [unrolled: 1-line block ×7, first 2 shown]
	v_mov_b32_e32 v87, v37
	v_mov_b32_e32 v118, v32
	;; [unrolled: 1-line block ×3, first 2 shown]
.LBB56_31:
	s_or_b64 exec, exec, s[18:19]
	s_waitcnt vmcnt(63) expcnt(7) lgkmcnt(15)
	s_barrier
	scratch_load_dword v27, off, off offset:132 ; 4-byte Folded Reload
	v_mov_b32_e32 v32, v54
	scratch_store_dword off, v146, off offset:4 ; 4-byte Folded Spill
	s_cmp_lt_i32 s14, 4
	s_waitcnt vmcnt(1)
	v_lshl_add_u32 v26, v146, 2, v27
	ds_write_b32 v26, v54
	s_waitcnt lgkmcnt(0)
	s_barrier
	ds_read_b32 v28, v27 offset:8
	v_mov_b32_e32 v26, 2
	s_cbranch_scc1 .LBB56_34
; %bb.32:
	s_movk_i32 s19, 0x14a0
	scratch_load_dword v27, off, off offset:2836 ; 4-byte Folded Reload
	scratch_load_dwordx4 v[128:131], off, s19 ; 16-byte Folded Reload
	scratch_load_dwordx4 v[132:135], off, s19 offset:16 ; 16-byte Folded Reload
	scratch_load_dwordx4 v[136:139], off, s19 offset:32 ; 16-byte Folded Reload
	;; [unrolled: 1-line block ×7, first 2 shown]
	v_mov_b32_e32 v26, 2
	s_mov_b32 s18, 3
	s_waitcnt vmcnt(8)
	v_add3_u32 v27, v27, 0, 12
.LBB56_33:                              ; =>This Inner Loop Header: Depth=1
	ds_read_b32 v29, v27
	v_add_u32_e32 v27, 4, v27
	s_waitcnt lgkmcnt(0)
	v_cmp_lt_f32_e64 vcc, |v28|, |v29|
	s_nop 1
	v_cndmask_b32_e32 v28, v28, v29, vcc
	v_mov_b32_e32 v29, s18
	s_add_i32 s18, s18, 1
	v_cndmask_b32_e32 v26, v26, v29, vcc
	s_cmp_lg_u32 s14, s18
	s_cbranch_scc1 .LBB56_33
	s_branch .LBB56_35
.LBB56_34:
	s_movk_i32 s18, 0x14a0
	scratch_load_dwordx4 v[128:131], off, s18 ; 16-byte Folded Reload
	scratch_load_dwordx4 v[132:135], off, s18 offset:16 ; 16-byte Folded Reload
	scratch_load_dwordx4 v[136:139], off, s18 offset:32 ; 16-byte Folded Reload
	;; [unrolled: 1-line block ×7, first 2 shown]
.LBB56_35:
	v_cndmask_b32_e64 v27, 2, 1, s[0:1]
	v_cndmask_b32_e64 v29, 0, 1, s[0:1]
	;; [unrolled: 1-line block ×3, first 2 shown]
	s_waitcnt lgkmcnt(0)
	v_cmp_eq_f32_e32 vcc, 0, v28
	scratch_store_dword off, v27, off offset:136 ; 4-byte Folded Spill
	s_and_saveexec_b64 s[0:1], vcc
	s_xor_b64 s[0:1], exec, s[0:1]
	s_cbranch_execz .LBB56_37
; %bb.36:
	scratch_load_dword v27, off, off offset:136 ; 4-byte Folded Reload
	s_waitcnt vmcnt(0)
	v_cmp_ne_u32_e32 vcc, 0, v27
	s_nop 1
	v_cndmask_b32_e32 v27, 3, v27, vcc
	scratch_store_dword off, v27, off offset:136 ; 4-byte Folded Spill
.LBB56_37:
	s_andn2_saveexec_b64 s[0:1], s[0:1]
	s_cbranch_execz .LBB56_39
; %bb.38:
	v_div_scale_f32 v27, s[2:3], v28, v28, 1.0
	v_rcp_f32_e32 v29, v27
	v_div_scale_f32 v30, vcc, 1.0, v28, 1.0
	v_fma_f32 v31, -v27, v29, 1.0
	v_fmac_f32_e32 v29, v31, v29
	v_mul_f32_e32 v31, v30, v29
	v_fma_f32 v57, -v27, v31, v30
	v_fmac_f32_e32 v31, v57, v29
	v_fma_f32 v27, -v27, v31, v30
	v_div_fmas_f32 v27, v27, v29, v31
	v_div_fixup_f32 v28, v27, v28, 1.0
.LBB56_39:
	s_or_b64 exec, exec, s[0:1]
	scratch_load_dword v27, off, off offset:4 ; 4-byte Folded Reload
	s_waitcnt vmcnt(0)
	v_cmp_ne_u32_e32 vcc, v27, v26
	s_and_saveexec_b64 s[0:1], vcc
	s_xor_b64 s[0:1], exec, s[0:1]
	s_cbranch_execz .LBB56_45
; %bb.40:
	scratch_load_dword v27, off, off offset:4 ; 4-byte Folded Reload
	s_waitcnt vmcnt(0)
	v_cmp_eq_u32_e32 vcc, 2, v27
	s_and_saveexec_b64 s[2:3], vcc
	s_cbranch_execz .LBB56_44
; %bb.41:
	v_cmp_ne_u32_e32 vcc, 2, v26
	s_xor_b64 s[18:19], s[16:17], -1
	s_and_b64 s[20:21], s[18:19], vcc
	s_and_saveexec_b64 s[18:19], s[20:21]
	s_cbranch_execz .LBB56_43
; %bb.42:
	s_movk_i32 s20, 0x1098
	scratch_load_dwordx2 v[58:59], off, s20 ; 8-byte Folded Reload
	v_ashrrev_i32_e32 v27, 31, v26
	s_waitcnt vmcnt(0)
	v_lshl_add_u64 v[30:31], v[26:27], 2, v[58:59]
	global_load_dword v27, v[30:31], off
	global_load_dword v29, v[58:59], off offset:8
	s_waitcnt vmcnt(1)
	global_store_dword v[58:59], v27, off offset:8
	s_waitcnt vmcnt(1)
	global_store_dword v[30:31], v29, off
.LBB56_43:
	s_or_b64 exec, exec, s[18:19]
	v_mov_b32_e32 v27, v26
	scratch_store_dword off, v27, off offset:2704 ; 4-byte Folded Spill
	scratch_store_dword off, v26, off offset:4 ; 4-byte Folded Spill
.LBB56_44:
	s_or_b64 exec, exec, s[2:3]
.LBB56_45:
	s_andn2_saveexec_b64 s[0:1], s[0:1]
	s_cbranch_execz .LBB56_47
; %bb.46:
	scratch_load_dword v26, off, off offset:132 ; 4-byte Folded Reload
	s_waitcnt vmcnt(0)
	ds_write2_b32 v26, v191, v192 offset0:3 offset1:4
	ds_write2_b32 v26, v193, v194 offset0:5 offset1:6
	;; [unrolled: 1-line block ×13, first 2 shown]
	v_mov_b32_e32 v26, 2
	scratch_store_dword off, v26, off offset:4 ; 4-byte Folded Spill
.LBB56_47:
	s_or_b64 exec, exec, s[0:1]
	s_waitcnt lgkmcnt(0)
	s_barrier
	scratch_load_dword v26, off, off offset:4 ; 4-byte Folded Reload
	s_waitcnt vmcnt(0)
	v_cmp_lt_i32_e32 vcc, 2, v26
	s_and_saveexec_b64 s[0:1], vcc
	s_cbranch_execz .LBB56_49
; %bb.48:
	scratch_load_dword v10, off, off offset:132 ; 4-byte Folded Reload
	v_mul_f32_e32 v130, v32, v28
	v_mov_b32_e32 v2, v191
	v_mov_b32_e32 v3, v192
	s_movk_i32 s2, 0x1420
	s_waitcnt vmcnt(0)
	ds_read2_b32 v[0:1], v10 offset0:3 offset1:4
	ds_read2_b32 v[4:5], v10 offset0:5 offset1:6
	;; [unrolled: 1-line block ×4, first 2 shown]
	s_waitcnt lgkmcnt(3)
	v_pk_fma_f32 v[26:27], v[130:131], v[0:1], v[2:3] op_sel_hi:[0,1,1] neg_lo:[1,0,0] neg_hi:[1,0,0]
	v_mov_b32_e32 v0, v193
	v_mov_b32_e32 v1, v194
	s_waitcnt lgkmcnt(2)
	v_pk_fma_f32 v[28:29], v[130:131], v[4:5], v[0:1] op_sel_hi:[0,1,1] neg_lo:[1,0,0] neg_hi:[1,0,0]
	v_mov_b32_e32 v0, v195
	v_mov_b32_e32 v1, v196
	;; [unrolled: 4-line block ×3, first 2 shown]
	s_waitcnt lgkmcnt(0)
	v_pk_fma_f32 v[58:59], v[130:131], v[8:9], v[0:1] op_sel_hi:[0,1,1] neg_lo:[1,0,0] neg_hi:[1,0,0]
	ds_read2_b32 v[0:1], v10 offset0:11 offset1:12
	ds_read2_b32 v[4:5], v10 offset0:13 offset1:14
	;; [unrolled: 1-line block ×4, first 2 shown]
	v_mov_b32_e32 v2, v199
	v_mov_b32_e32 v3, v200
	;; [unrolled: 1-line block ×3, first 2 shown]
	s_waitcnt lgkmcnt(3)
	v_pk_fma_f32 v[60:61], v[130:131], v[0:1], v[2:3] op_sel_hi:[0,1,1] neg_lo:[1,0,0] neg_hi:[1,0,0]
	v_mov_b32_e32 v0, v201
	v_mov_b32_e32 v1, v202
	s_waitcnt lgkmcnt(2)
	v_pk_fma_f32 v[62:63], v[130:131], v[4:5], v[0:1] op_sel_hi:[0,1,1] neg_lo:[1,0,0] neg_hi:[1,0,0]
	v_mov_b32_e32 v0, v203
	v_mov_b32_e32 v1, v204
	;; [unrolled: 4-line block ×3, first 2 shown]
	s_waitcnt lgkmcnt(0)
	v_pk_fma_f32 v[90:91], v[130:131], v[8:9], v[0:1] op_sel_hi:[0,1,1] neg_lo:[1,0,0] neg_hi:[1,0,0]
	ds_read2_b32 v[0:1], v10 offset0:19 offset1:20
	ds_read2_b32 v[4:5], v10 offset0:21 offset1:22
	;; [unrolled: 1-line block ×4, first 2 shown]
	v_mov_b32_e32 v2, v207
	v_mov_b32_e32 v3, v208
	;; [unrolled: 1-line block ×3, first 2 shown]
	s_waitcnt lgkmcnt(3)
	v_pk_fma_f32 v[92:93], v[130:131], v[0:1], v[2:3] op_sel_hi:[0,1,1] neg_lo:[1,0,0] neg_hi:[1,0,0]
	v_mov_b32_e32 v0, v209
	v_mov_b32_e32 v1, v210
	ds_read2_b32 v[2:3], v10 offset0:27 offset1:28
	s_waitcnt lgkmcnt(3)
	v_pk_fma_f32 v[36:37], v[130:131], v[4:5], v[0:1] op_sel_hi:[0,1,1] neg_lo:[1,0,0] neg_hi:[1,0,0]
	v_mov_b32_e32 v0, v211
	v_mov_b32_e32 v1, v212
	s_waitcnt lgkmcnt(2)
	v_pk_fma_f32 v[32:33], v[130:131], v[6:7], v[0:1] op_sel_hi:[0,1,1] neg_lo:[1,0,0] neg_hi:[1,0,0]
	v_mov_b32_e32 v0, v213
	v_mov_b32_e32 v1, v214
	s_waitcnt lgkmcnt(1)
	v_pk_fma_f32 v[34:35], v[130:131], v[8:9], v[0:1] op_sel_hi:[0,1,1] neg_lo:[1,0,0] neg_hi:[1,0,0]
	v_mov_b64_e32 v[118:119], v[128:129]
	v_mov_b32_e32 v0, v215
	v_mov_b32_e32 v1, v216
	v_mov_b64_e32 v[120:121], v[130:131]
	v_mov_b64_e32 v[122:123], v[132:133]
	;; [unrolled: 1-line block ×15, first 2 shown]
	s_waitcnt lgkmcnt(0)
	v_pk_fma_f32 v[156:157], v[120:121], v[2:3], v[0:1] op_sel_hi:[0,1,1] neg_lo:[1,0,0] neg_hi:[1,0,0]
	v_mov_b32_e32 v0, v118
	v_mov_b32_e32 v1, v119
	;; [unrolled: 1-line block ×6, first 2 shown]
	scratch_store_dwordx4 off, v[0:3], s2   ; 16-byte Folded Spill
	s_nop 0
	scratch_store_dwordx4 off, v[4:7], s2 offset:16 ; 16-byte Folded Spill
	scratch_store_dwordx4 off, v[8:11], s2 offset:32 ; 16-byte Folded Spill
	;; [unrolled: 1-line block ×7, first 2 shown]
	s_movk_i32 s2, 0x1320
	v_mov_b32_e32 v160, v118
	v_mov_b32_e32 v161, v119
	;; [unrolled: 1-line block ×62, first 2 shown]
	scratch_store_dwordx4 off, v[0:3], s2   ; 16-byte Folded Spill
	s_nop 0
	scratch_store_dwordx4 off, v[4:7], s2 offset:16 ; 16-byte Folded Spill
	scratch_store_dwordx4 off, v[8:11], s2 offset:32 ; 16-byte Folded Spill
	scratch_store_dwordx4 off, v[12:15], s2 offset:48 ; 16-byte Folded Spill
	scratch_store_dwordx4 off, v[16:19], s2 offset:64 ; 16-byte Folded Spill
	scratch_store_dwordx4 off, v[20:23], s2 offset:80 ; 16-byte Folded Spill
	scratch_store_dwordx4 off, v[24:27], s2 offset:96 ; 16-byte Folded Spill
	scratch_store_dwordx4 off, v[28:31], s2 offset:112 ; 16-byte Folded Spill
	s_movk_i32 s2, 0x1120
	v_mov_b32_e32 v6, v29
	scratch_store_dwordx4 off, v[0:3], s2   ; 16-byte Folded Spill
	s_nop 0
	scratch_store_dwordx4 off, v[4:7], s2 offset:16 ; 16-byte Folded Spill
	scratch_store_dwordx4 off, v[8:11], s2 offset:32 ; 16-byte Folded Spill
	scratch_store_dwordx4 off, v[12:15], s2 offset:48 ; 16-byte Folded Spill
	scratch_store_dwordx4 off, v[16:19], s2 offset:64 ; 16-byte Folded Spill
	scratch_store_dwordx4 off, v[20:23], s2 offset:80 ; 16-byte Folded Spill
	scratch_store_dwordx4 off, v[24:27], s2 offset:96 ; 16-byte Folded Spill
	scratch_store_dwordx4 off, v[28:31], s2 offset:112 ; 16-byte Folded Spill
	s_movk_i32 s2, 0x10a0
	v_mov_b32_e32 v7, v30
	scratch_store_dwordx4 off, v[0:3], s2   ; 16-byte Folded Spill
	s_nop 0
	scratch_store_dwordx4 off, v[4:7], s2 offset:16 ; 16-byte Folded Spill
	scratch_store_dwordx4 off, v[8:11], s2 offset:32 ; 16-byte Folded Spill
	scratch_store_dwordx4 off, v[12:15], s2 offset:48 ; 16-byte Folded Spill
	scratch_store_dwordx4 off, v[16:19], s2 offset:64 ; 16-byte Folded Spill
	scratch_store_dwordx4 off, v[20:23], s2 offset:80 ; 16-byte Folded Spill
	scratch_store_dwordx4 off, v[24:27], s2 offset:96 ; 16-byte Folded Spill
	scratch_store_dwordx4 off, v[28:31], s2 offset:112 ; 16-byte Folded Spill
	s_movk_i32 s2, 0x1520
	v_mov_b32_e32 v8, v31
	scratch_store_dwordx4 off, v[0:3], off offset:3480 ; 16-byte Folded Spill
	s_nop 0
	scratch_store_dwordx4 off, v[4:7], off offset:3496 ; 16-byte Folded Spill
	scratch_store_dwordx4 off, v[8:11], off offset:3512 ; 16-byte Folded Spill
	scratch_store_dwordx4 off, v[12:15], off offset:3528 ; 16-byte Folded Spill
	scratch_store_dwordx4 off, v[16:19], off offset:3544 ; 16-byte Folded Spill
	scratch_store_dwordx4 off, v[20:23], off offset:3560 ; 16-byte Folded Spill
	scratch_store_dwordx4 off, v[24:27], off offset:3576 ; 16-byte Folded Spill
	scratch_store_dwordx4 off, v[28:31], off offset:3592 ; 16-byte Folded Spill
	v_mov_b32_e32 v9, v58
	scratch_store_dwordx4 off, v[0:3], off offset:3864 ; 16-byte Folded Spill
	s_nop 0
	scratch_store_dwordx4 off, v[4:7], off offset:3880 ; 16-byte Folded Spill
	scratch_store_dwordx4 off, v[8:11], off offset:3896 ; 16-byte Folded Spill
	scratch_store_dwordx4 off, v[12:15], off offset:3912 ; 16-byte Folded Spill
	scratch_store_dwordx4 off, v[16:19], off offset:3928 ; 16-byte Folded Spill
	scratch_store_dwordx4 off, v[20:23], off offset:3944 ; 16-byte Folded Spill
	scratch_store_dwordx4 off, v[24:27], off offset:3960 ; 16-byte Folded Spill
	scratch_store_dwordx4 off, v[28:31], off offset:3976 ; 16-byte Folded Spill
	v_mov_b32_e32 v10, v59
	;; [unrolled: 10-line block ×14, first 2 shown]
	v_mov_b32_e32 v23, v32
	v_mov_b32_e32 v97, v26
	;; [unrolled: 1-line block ×7, first 2 shown]
	scratch_store_dwordx4 off, v[0:3], off offset:1552 ; 16-byte Folded Spill
	s_nop 0
	scratch_store_dwordx4 off, v[4:7], off offset:1568 ; 16-byte Folded Spill
	scratch_store_dwordx4 off, v[8:11], off offset:1584 ; 16-byte Folded Spill
	;; [unrolled: 1-line block ×7, first 2 shown]
	v_mov_b32_e32 v163, v26
	v_mov_b32_e32 v164, v27
	;; [unrolled: 1-line block ×8, first 2 shown]
	scratch_store_dwordx4 off, v[160:163], off offset:272 ; 16-byte Folded Spill
	s_nop 0
	scratch_store_dwordx4 off, v[164:167], off offset:288 ; 16-byte Folded Spill
	scratch_store_dwordx4 off, v[168:171], off offset:304 ; 16-byte Folded Spill
	;; [unrolled: 1-line block ×8, first 2 shown]
	s_nop 0
	scratch_store_dwordx4 off, v[4:7], off offset:1440 ; 16-byte Folded Spill
	scratch_store_dwordx4 off, v[8:11], off offset:1456 ; 16-byte Folded Spill
	;; [unrolled: 1-line block ×7, first 2 shown]
	v_mov_b32_e32 v160, v120
	v_mov_b32_e32 v167, v58
	;; [unrolled: 1-line block ×26, first 2 shown]
	scratch_store_dwordx4 off, v[158:161], off offset:912 ; 16-byte Folded Spill
	s_nop 0
	scratch_store_dwordx4 off, v[162:165], off offset:928 ; 16-byte Folded Spill
	scratch_store_dwordx4 off, v[166:169], off offset:944 ; 16-byte Folded Spill
	;; [unrolled: 1-line block ×7, first 2 shown]
	scratch_store_dwordx2 off, v[156:157], off offset:264 ; 8-byte Folded Spill
	v_mov_b32_e32 v191, v26
	v_mov_b32_e32 v188, v118
	;; [unrolled: 1-line block ×3, first 2 shown]
	scratch_store_dwordx4 off, v[118:121], s2 ; 16-byte Folded Spill
	s_nop 0
	scratch_store_dwordx4 off, v[122:125], s2 offset:16 ; 16-byte Folded Spill
	scratch_store_dwordx4 off, v[126:129], s2 offset:32 ; 16-byte Folded Spill
	;; [unrolled: 1-line block ×7, first 2 shown]
	s_movk_i32 s2, 0x15a0
	v_mov_b32_e32 v55, v26
	v_mov_b32_e32 v48, v29
	;; [unrolled: 1-line block ×9, first 2 shown]
	scratch_store_dwordx4 off, v[118:121], s2 ; 16-byte Folded Spill
	s_nop 0
	scratch_store_dwordx4 off, v[122:125], s2 offset:16 ; 16-byte Folded Spill
	scratch_store_dwordx4 off, v[126:129], s2 offset:32 ; 16-byte Folded Spill
	;; [unrolled: 1-line block ×7, first 2 shown]
	v_mov_b32_e32 v50, v27
	v_mov_b32_e32 v67, v28
	scratch_store_dwordx4 off, v[18:21], off offset:1296 ; 16-byte Folded Spill
	s_nop 0
	scratch_store_dwordx4 off, v[22:25], off offset:1312 ; 16-byte Folded Spill
	scratch_store_dwordx4 off, v[26:29], off offset:1328 ; 16-byte Folded Spill
	;; [unrolled: 1-line block ×7, first 2 shown]
	v_mov_b32_e32 v123, v88
	v_mov_b32_e32 v118, v93
	scratch_store_dwordx4 off, v[0:3], off offset:656 ; 16-byte Folded Spill
	s_nop 0
	scratch_store_dwordx4 off, v[4:7], off offset:672 ; 16-byte Folded Spill
	scratch_store_dwordx4 off, v[8:11], off offset:688 ; 16-byte Folded Spill
	;; [unrolled: 1-line block ×8, first 2 shown]
	s_nop 0
	scratch_store_dwordx4 off, v[4:7], off offset:1696 ; 16-byte Folded Spill
	scratch_store_dwordx4 off, v[8:11], off offset:1712 ; 16-byte Folded Spill
	;; [unrolled: 1-line block ×7, first 2 shown]
	v_mov_b32_e32 v47, v58
	scratch_store_dwordx4 off, v[0:3], off offset:400 ; 16-byte Folded Spill
	s_nop 0
	scratch_store_dwordx4 off, v[4:7], off offset:416 ; 16-byte Folded Spill
	scratch_store_dwordx4 off, v[8:11], off offset:432 ; 16-byte Folded Spill
	;; [unrolled: 1-line block ×7, first 2 shown]
	s_nop 0
	v_mov_b32_e32 v26, v91
	scratch_store_dwordx4 off, v[8:11], off offset:528 ; 16-byte Folded Spill
	s_nop 0
	scratch_store_dwordx4 off, v[12:15], off offset:544 ; 16-byte Folded Spill
	scratch_store_dwordx4 off, v[16:19], off offset:560 ; 16-byte Folded Spill
	;; [unrolled: 1-line block ×7, first 2 shown]
	v_mov_b32_e32 v119, v36
	v_mov_b32_e32 v186, v37
	;; [unrolled: 1-line block ×6, first 2 shown]
.LBB56_49:
	s_or_b64 exec, exec, s[0:1]
	s_waitcnt vmcnt(63) expcnt(7) lgkmcnt(15)
	s_barrier
	scratch_load_dword v27, off, off offset:132 ; 4-byte Folded Reload
	scratch_load_dword v26, off, off offset:4 ; 4-byte Folded Reload
	s_cmp_lt_i32 s14, 5
	s_waitcnt vmcnt(0)
	v_lshl_add_u32 v26, v26, 2, v27
	ds_write_b32 v26, v55
	s_waitcnt lgkmcnt(0)
	s_barrier
	ds_read_b32 v28, v27 offset:12
	v_mov_b32_e32 v26, 3
	s_cbranch_scc1 .LBB56_52
; %bb.50:
	scratch_load_dword v26, off, off offset:2836 ; 4-byte Folded Reload
	s_mov_b32 s0, 4
	s_waitcnt vmcnt(0)
	v_add3_u32 v27, v26, 0, 16
	v_mov_b32_e32 v26, 3
.LBB56_51:                              ; =>This Inner Loop Header: Depth=1
	ds_read_b32 v29, v27
	v_add_u32_e32 v27, 4, v27
	s_waitcnt lgkmcnt(0)
	v_cmp_lt_f32_e64 vcc, |v28|, |v29|
	s_nop 1
	v_cndmask_b32_e32 v28, v28, v29, vcc
	v_mov_b32_e32 v29, s0
	s_add_i32 s0, s0, 1
	v_cndmask_b32_e32 v26, v26, v29, vcc
	s_cmp_lg_u32 s14, s0
	s_cbranch_scc1 .LBB56_51
.LBB56_52:
	s_waitcnt lgkmcnt(0)
	v_cmp_eq_f32_e32 vcc, 0, v28
	s_and_saveexec_b64 s[0:1], vcc
	s_xor_b64 s[0:1], exec, s[0:1]
	s_cbranch_execz .LBB56_54
; %bb.53:
	scratch_load_dword v27, off, off offset:136 ; 4-byte Folded Reload
	s_waitcnt vmcnt(0)
	v_cmp_ne_u32_e32 vcc, 0, v27
	s_nop 1
	v_cndmask_b32_e32 v27, 4, v27, vcc
	scratch_store_dword off, v27, off offset:136 ; 4-byte Folded Spill
.LBB56_54:
	s_andn2_saveexec_b64 s[0:1], s[0:1]
	s_cbranch_execz .LBB56_56
; %bb.55:
	v_div_scale_f32 v27, s[2:3], v28, v28, 1.0
	v_rcp_f32_e32 v29, v27
	v_div_scale_f32 v30, vcc, 1.0, v28, 1.0
	v_fma_f32 v31, -v27, v29, 1.0
	v_fmac_f32_e32 v29, v31, v29
	v_mul_f32_e32 v31, v30, v29
	v_fma_f32 v57, -v27, v31, v30
	v_fmac_f32_e32 v31, v57, v29
	v_fma_f32 v27, -v27, v31, v30
	v_div_fmas_f32 v27, v27, v29, v31
	v_div_fixup_f32 v28, v27, v28, 1.0
.LBB56_56:
	s_or_b64 exec, exec, s[0:1]
	scratch_load_dword v27, off, off offset:4 ; 4-byte Folded Reload
	s_waitcnt vmcnt(0)
	v_cmp_ne_u32_e32 vcc, v27, v26
	s_and_saveexec_b64 s[0:1], vcc
	s_xor_b64 s[0:1], exec, s[0:1]
	s_cbranch_execz .LBB56_62
; %bb.57:
	scratch_load_dword v27, off, off offset:4 ; 4-byte Folded Reload
	s_waitcnt vmcnt(0)
	v_cmp_eq_u32_e32 vcc, 3, v27
	s_and_saveexec_b64 s[2:3], vcc
	s_cbranch_execz .LBB56_61
; %bb.58:
	v_cmp_ne_u32_e32 vcc, 3, v26
	s_xor_b64 s[18:19], s[16:17], -1
	s_and_b64 s[20:21], s[18:19], vcc
	s_and_saveexec_b64 s[18:19], s[20:21]
	s_cbranch_execz .LBB56_60
; %bb.59:
	s_movk_i32 s20, 0x1098
	scratch_load_dwordx2 v[58:59], off, s20 ; 8-byte Folded Reload
	v_ashrrev_i32_e32 v27, 31, v26
	s_waitcnt vmcnt(0)
	v_lshl_add_u64 v[30:31], v[26:27], 2, v[58:59]
	global_load_dword v27, v[30:31], off
	global_load_dword v29, v[58:59], off offset:12
	s_waitcnt vmcnt(1)
	global_store_dword v[58:59], v27, off offset:12
	s_waitcnt vmcnt(1)
	global_store_dword v[30:31], v29, off
.LBB56_60:
	s_or_b64 exec, exec, s[18:19]
	v_mov_b32_e32 v27, v26
	scratch_store_dword off, v27, off offset:2704 ; 4-byte Folded Spill
	scratch_store_dword off, v26, off offset:4 ; 4-byte Folded Spill
.LBB56_61:
	s_or_b64 exec, exec, s[2:3]
.LBB56_62:
	s_or_saveexec_b64 s[0:1], s[0:1]
	v_mov_b32_e32 v68, v48
	v_mov_b32_e32 v39, v87
	s_xor_b64 exec, exec, s[0:1]
	s_cbranch_execz .LBB56_64
; %bb.63:
	scratch_load_dword v29, off, off offset:132 ; 4-byte Folded Reload
	s_waitcnt vmcnt(0)
	ds_write2_b32 v29, v192, v193 offset0:4 offset1:5
	ds_write2_b32 v29, v194, v195 offset0:6 offset1:7
	;; [unrolled: 1-line block ×12, first 2 shown]
	scratch_load_dwordx2 v[26:27], off, off offset:264 ; 8-byte Folded Reload
	s_waitcnt vmcnt(0)
	v_mov_b32_e32 v26, 3
	scratch_store_dword off, v26, off offset:4 ; 4-byte Folded Spill
	ds_write_b32 v29, v27 offset:112
.LBB56_64:
	s_or_b64 exec, exec, s[0:1]
	s_waitcnt lgkmcnt(0)
	s_barrier
	scratch_load_dword v26, off, off offset:4 ; 4-byte Folded Reload
	s_waitcnt vmcnt(0)
	v_cmp_lt_i32_e32 vcc, 3, v26
	s_and_saveexec_b64 s[0:1], vcc
	s_cbranch_execz .LBB56_66
; %bb.65:
	scratch_load_dword v1, off, off offset:132 ; 4-byte Folded Reload
	v_mul_f32_e32 v0, v55, v28
	v_mov_b64_e32 v[10:11], v[196:197]
	v_mov_b64_e32 v[12:13], v[198:199]
	;; [unrolled: 1-line block ×10, first 2 shown]
	s_movk_i32 s2, 0x15a0
	v_mov_b32_e32 v57, v0
	v_mov_b32_e32 v157, v0
	;; [unrolled: 1-line block ×6, first 2 shown]
	s_waitcnt vmcnt(0)
	ds_read2_b32 v[2:3], v1 offset0:4 offset1:5
	ds_read2_b32 v[4:5], v1 offset0:6 offset1:7
	;; [unrolled: 1-line block ×4, first 2 shown]
	s_waitcnt lgkmcnt(3)
	v_pk_fma_f32 v[58:59], v[0:1], v[2:3], v[192:193] op_sel_hi:[0,1,1] neg_lo:[1,0,0] neg_hi:[1,0,0]
	ds_read2_b32 v[2:3], v1 offset0:12 offset1:13
	s_waitcnt lgkmcnt(3)
	v_pk_fma_f32 v[104:105], v[0:1], v[4:5], v[194:195] op_sel_hi:[0,1,1] neg_lo:[1,0,0] neg_hi:[1,0,0]
	s_waitcnt lgkmcnt(2)
	v_pk_fma_f32 v[40:41], v[0:1], v[6:7], v[10:11] op_sel_hi:[0,1,1] neg_lo:[1,0,0] neg_hi:[1,0,0]
	;; [unrolled: 2-line block ×3, first 2 shown]
	ds_read2_b32 v[4:5], v1 offset0:14 offset1:15
	ds_read2_b32 v[6:7], v1 offset0:16 offset1:17
	;; [unrolled: 1-line block ×3, first 2 shown]
	s_waitcnt lgkmcnt(3)
	v_pk_fma_f32 v[34:35], v[0:1], v[2:3], v[14:15] op_sel_hi:[0,1,1] neg_lo:[1,0,0] neg_hi:[1,0,0]
	ds_read2_b32 v[2:3], v1 offset0:20 offset1:21
	ds_read2_b32 v[10:11], v1 offset0:22 offset1:23
	;; [unrolled: 1-line block ×4, first 2 shown]
	s_waitcnt lgkmcnt(6)
	v_pk_fma_f32 v[122:123], v[0:1], v[4:5], v[16:17] op_sel_hi:[0,1,1] neg_lo:[1,0,0] neg_hi:[1,0,0]
	s_waitcnt lgkmcnt(5)
	v_pk_fma_f32 v[62:63], v[0:1], v[6:7], v[18:19] op_sel_hi:[0,1,1] neg_lo:[1,0,0] neg_hi:[1,0,0]
	;; [unrolled: 2-line block ×7, first 2 shown]
	scratch_load_dwordx4 v[2:5], off, s2    ; 16-byte Folded Reload
	scratch_load_dwordx4 v[6:9], off, s2 offset:16 ; 16-byte Folded Reload
	scratch_load_dwordx4 v[10:13], off, s2 offset:32 ; 16-byte Folded Reload
	;; [unrolled: 1-line block ×7, first 2 shown]
	s_waitcnt vmcnt(7)
	v_mov_b32_e32 v5, v0
	s_waitcnt vmcnt(6)
	v_mov_b32_e32 v6, v58
	v_mov_b32_e32 v7, v59
	s_movk_i32 s2, 0x1320
	v_mov_b64_e32 v[80:81], v[34:35]
	v_mov_b64_e32 v[222:223], v[62:63]
	v_mov_b32_e32 v166, v80
	v_mov_b32_e32 v167, v81
	v_mov_b64_e32 v[82:83], v[34:35]
	v_mov_b32_e32 v102, v58
	v_mov_b32_e32 v103, v59
	;; [unrolled: 1-line block ×12, first 2 shown]
	v_mov_b64_e32 v[90:91], v[34:35]
	v_mov_b32_e32 v114, v104
	v_mov_b32_e32 v115, v105
	;; [unrolled: 1-line block ×5, first 2 shown]
	scratch_store_dwordx4 off, v[2:5], s2   ; 16-byte Folded Spill
	s_nop 0
	scratch_store_dwordx4 off, v[6:9], s2 offset:16 ; 16-byte Folded Spill
	s_waitcnt vmcnt(7)
	scratch_store_dwordx4 off, v[10:13], s2 offset:32 ; 16-byte Folded Spill
	s_waitcnt vmcnt(7)
	;; [unrolled: 2-line block ×6, first 2 shown]
	scratch_store_dwordx4 off, v[30:33], s2 offset:112 ; 16-byte Folded Spill
	v_mov_b32_e32 v8, v104
	v_mov_b32_e32 v9, v105
	s_movk_i32 s2, 0x10a0
	v_mov_b32_e32 v54, v94
	v_mov_b32_e32 v55, v95
	;; [unrolled: 1-line block ×15, first 2 shown]
	scratch_store_dwordx4 off, v[2:5], s2   ; 16-byte Folded Spill
	s_nop 0
	scratch_store_dwordx4 off, v[6:9], s2 offset:16 ; 16-byte Folded Spill
	scratch_store_dwordx4 off, v[10:13], s2 offset:32 ; 16-byte Folded Spill
	;; [unrolled: 1-line block ×7, first 2 shown]
	v_mov_b64_e32 v[10:11], v[40:41]
	s_movk_i32 s2, 0x1520
	v_mov_b64_e32 v[204:205], v[10:11]
	v_mov_b64_e32 v[202:203], v[8:9]
	;; [unrolled: 1-line block ×5, first 2 shown]
	scratch_store_dwordx4 off, v[2:5], off offset:3864 ; 16-byte Folded Spill
	s_nop 0
	scratch_store_dwordx4 off, v[6:9], off offset:3880 ; 16-byte Folded Spill
	scratch_store_dwordx4 off, v[10:13], off offset:3896 ; 16-byte Folded Spill
	;; [unrolled: 1-line block ×7, first 2 shown]
	v_mov_b64_e32 v[12:13], v[36:37]
	v_mov_b32_e32 v116, v204
	v_mov_b32_e32 v117, v205
	;; [unrolled: 1-line block ×4, first 2 shown]
	v_mov_b64_e32 v[50:51], v[12:13]
	v_mov_b64_e32 v[48:49], v[10:11]
	;; [unrolled: 1-line block ×6, first 2 shown]
	scratch_store_dwordx4 off, v[2:5], off offset:3608 ; 16-byte Folded Spill
	s_nop 0
	scratch_store_dwordx4 off, v[6:9], off offset:3624 ; 16-byte Folded Spill
	scratch_store_dwordx4 off, v[10:13], off offset:3640 ; 16-byte Folded Spill
	;; [unrolled: 1-line block ×7, first 2 shown]
	v_mov_b32_e32 v118, v50
	v_mov_b64_e32 v[28:29], v[34:35]
	v_mov_b32_e32 v14, v28
	v_mov_b32_e32 v15, v29
	;; [unrolled: 1-line block ×5, first 2 shown]
	v_mov_b64_e32 v[26:27], v[12:13]
	v_mov_b64_e32 v[24:25], v[10:11]
	;; [unrolled: 1-line block ×6, first 2 shown]
	scratch_store_dwordx4 off, v[2:5], off offset:2840 ; 16-byte Folded Spill
	s_nop 0
	scratch_store_dwordx4 off, v[6:9], off offset:2856 ; 16-byte Folded Spill
	scratch_store_dwordx4 off, v[10:13], off offset:2872 ; 16-byte Folded Spill
	;; [unrolled: 1-line block ×7, first 2 shown]
	v_mov_b32_e32 v14, v80
	v_mov_b32_e32 v15, v81
	;; [unrolled: 1-line block ×4, first 2 shown]
	v_mov_b64_e32 v[78:79], v[12:13]
	v_mov_b32_e32 v120, v28
	v_mov_b32_e32 v121, v29
	v_mov_b64_e32 v[76:77], v[10:11]
	v_mov_b64_e32 v[74:75], v[8:9]
	;; [unrolled: 1-line block ×5, first 2 shown]
	scratch_store_dwordx4 off, v[2:5], off offset:2708 ; 16-byte Folded Spill
	s_nop 0
	scratch_store_dwordx4 off, v[6:9], off offset:2724 ; 16-byte Folded Spill
	scratch_store_dwordx4 off, v[10:13], off offset:2740 ; 16-byte Folded Spill
	scratch_store_dwordx4 off, v[14:17], off offset:2756 ; 16-byte Folded Spill
	scratch_store_dwordx4 off, v[18:21], off offset:2772 ; 16-byte Folded Spill
	scratch_store_dwordx4 off, v[22:25], off offset:2788 ; 16-byte Folded Spill
	scratch_store_dwordx4 off, v[26:29], off offset:2804 ; 16-byte Folded Spill
	scratch_store_dwordx4 off, v[30:33], off offset:2820 ; 16-byte Folded Spill
	v_mov_b32_e32 v16, v122
	v_mov_b32_e32 v17, v123
	;; [unrolled: 1-line block ×5, first 2 shown]
	v_mov_b64_e32 v[220:221], v[16:17]
	v_mov_b64_e32 v[218:219], v[14:15]
	;; [unrolled: 1-line block ×8, first 2 shown]
	scratch_store_dwordx4 off, v[2:5], off offset:2192 ; 16-byte Folded Spill
	s_nop 0
	scratch_store_dwordx4 off, v[6:9], off offset:2208 ; 16-byte Folded Spill
	scratch_store_dwordx4 off, v[10:13], off offset:2224 ; 16-byte Folded Spill
	;; [unrolled: 1-line block ×7, first 2 shown]
	v_mov_b32_e32 v18, v222
	v_mov_b32_e32 v20, v172
	;; [unrolled: 1-line block ×3, first 2 shown]
	v_mov_b64_e32 v[80:81], v[12:13]
	v_mov_b64_e32 v[78:79], v[10:11]
	;; [unrolled: 1-line block ×6, first 2 shown]
	scratch_store_dwordx4 off, v[2:5], off offset:1936 ; 16-byte Folded Spill
	s_nop 0
	scratch_store_dwordx4 off, v[6:9], off offset:1952 ; 16-byte Folded Spill
	scratch_store_dwordx4 off, v[10:13], off offset:1968 ; 16-byte Folded Spill
	;; [unrolled: 1-line block ×7, first 2 shown]
	v_mov_b64_e32 v[22:23], v[38:39]
	v_mov_b32_e32 v16, v122
	v_mov_b32_e32 v17, v123
	;; [unrolled: 1-line block ×8, first 2 shown]
	v_mov_b64_e32 v[194:195], v[22:23]
	v_mov_b64_e32 v[192:193], v[20:21]
	;; [unrolled: 1-line block ×11, first 2 shown]
	scratch_store_dwordx4 off, v[2:5], off offset:1808 ; 16-byte Folded Spill
	s_nop 0
	scratch_store_dwordx4 off, v[6:9], off offset:1824 ; 16-byte Folded Spill
	scratch_store_dwordx4 off, v[10:13], off offset:1840 ; 16-byte Folded Spill
	scratch_store_dwordx4 off, v[14:17], off offset:1856 ; 16-byte Folded Spill
	scratch_store_dwordx4 off, v[18:21], off offset:1872 ; 16-byte Folded Spill
	scratch_store_dwordx4 off, v[22:25], off offset:1888 ; 16-byte Folded Spill
	scratch_store_dwordx4 off, v[26:29], off offset:1904 ; 16-byte Folded Spill
	scratch_store_dwordx4 off, v[30:33], off offset:1920 ; 16-byte Folded Spill
	v_mov_b64_e32 v[24:25], v[52:53]
	v_mov_b32_e32 v16, v122
	v_mov_b32_e32 v17, v123
	v_mov_b32_e32 v18, v222
	v_mov_b32_e32 v19, v223
	v_mov_b32_e32 v20, v172
	v_mov_b32_e32 v21, v173
	v_mov_b32_e32 v22, v194
	v_mov_b32_e32 v23, v195
	v_mov_b64_e32 v[150:151], v[24:25]
	v_mov_b64_e32 v[148:149], v[22:23]
	;; [unrolled: 1-line block ×12, first 2 shown]
	scratch_store_dwordx4 off, v[2:5], off offset:1552 ; 16-byte Folded Spill
	s_nop 0
	scratch_store_dwordx4 off, v[6:9], off offset:1568 ; 16-byte Folded Spill
	scratch_store_dwordx4 off, v[10:13], off offset:1584 ; 16-byte Folded Spill
	;; [unrolled: 1-line block ×7, first 2 shown]
	v_mov_b32_e32 v16, v122
	v_mov_b64_e32 v[26:27], v[66:67]
	v_mov_b32_e32 v17, v123
	v_mov_b32_e32 v18, v222
	;; [unrolled: 1-line block ×9, first 2 shown]
	scratch_store_dwordx4 off, v[174:177], off offset:1040 ; 16-byte Folded Spill
	s_nop 0
	scratch_store_dwordx4 off, v[178:181], off offset:1056 ; 16-byte Folded Spill
	scratch_store_dwordx4 off, v[182:185], off offset:1072 ; 16-byte Folded Spill
	;; [unrolled: 1-line block ×8, first 2 shown]
	s_nop 0
	scratch_store_dwordx4 off, v[6:9], off offset:288 ; 16-byte Folded Spill
	scratch_store_dwordx4 off, v[10:13], off offset:304 ; 16-byte Folded Spill
	scratch_store_dwordx4 off, v[14:17], off offset:320 ; 16-byte Folded Spill
	scratch_store_dwordx4 off, v[18:21], off offset:336 ; 16-byte Folded Spill
	scratch_store_dwordx4 off, v[22:25], off offset:352 ; 16-byte Folded Spill
	scratch_store_dwordx4 off, v[26:29], off offset:368 ; 16-byte Folded Spill
	scratch_store_dwordx4 off, v[30:33], off offset:384 ; 16-byte Folded Spill
	scratch_load_dwordx2 v[2:3], off, off offset:264 ; 8-byte Folded Reload
	ds_read_b32 v1, v1 offset:112
	v_mov_b32_e32 v4, v58
	v_mov_b32_e32 v5, v59
	scratch_store_dwordx4 off, v[40:43], off offset:2968 ; 16-byte Folded Spill
	s_nop 0
	scratch_store_dwordx4 off, v[44:47], off offset:2984 ; 16-byte Folded Spill
	scratch_store_dwordx4 off, v[48:51], off offset:3000 ; 16-byte Folded Spill
	;; [unrolled: 1-line block ×7, first 2 shown]
	v_mov_b32_e32 v16, v222
	v_mov_b32_e32 v17, v223
	s_waitcnt vmcnt(8)
	v_mov_b32_e32 v2, v96
	v_mov_b32_e32 v6, v104
	v_mov_b32_e32 v7, v105
	v_mov_b32_e32 v12, v82
	v_mov_b64_e32 v[232:233], v[204:205]
	v_mov_b64_e32 v[230:231], v[202:203]
	;; [unrolled: 1-line block ×5, first 2 shown]
	scratch_store_dwordx4 off, v[206:209], off offset:1168 ; 16-byte Folded Spill
	s_nop 0
	scratch_store_dwordx4 off, v[210:213], off offset:1184 ; 16-byte Folded Spill
	scratch_store_dwordx4 off, v[214:217], off offset:1200 ; 16-byte Folded Spill
	;; [unrolled: 1-line block ×7, first 2 shown]
	v_mov_b32_e32 v8, v204
	v_mov_b32_e32 v9, v205
	v_mov_b64_e32 v[208:209], v[168:169]
	v_mov_b64_e32 v[206:207], v[166:167]
	;; [unrolled: 1-line block ×10, first 2 shown]
	v_mov_b32_e32 v13, v83
	v_mov_b32_e32 v14, v122
	v_mov_b32_e32 v15, v123
	v_mov_b32_e32 v18, v212
	v_mov_b32_e32 v19, v213
	v_mov_b32_e32 v66, v94
	v_mov_b32_e32 v67, v95
	v_mov_b32_e32 v68, v96
	v_mov_b32_e32 v10, v50
	v_mov_b32_e32 v11, v51
	scratch_load_dwordx4 v[20:23], off, off offset:1040 ; 16-byte Folded Reload
	scratch_load_dwordx4 v[24:27], off, off offset:1056 ; 16-byte Folded Reload
	;; [unrolled: 1-line block ×8, first 2 shown]
	s_waitcnt lgkmcnt(0)
	v_fma_f32 v152, -v0, v1, v3
	s_waitcnt vmcnt(7)
	v_mov_b32_e32 v22, v150
	v_mov_b32_e32 v23, v151
	scratch_store_dwordx4 off, v[128:131], off offset:2320 ; 16-byte Folded Spill
	s_nop 0
	scratch_store_dwordx4 off, v[132:135], off offset:2336 ; 16-byte Folded Spill
	scratch_store_dwordx4 off, v[136:139], off offset:2352 ; 16-byte Folded Spill
	;; [unrolled: 1-line block ×7, first 2 shown]
	scratch_load_dwordx4 v[154:157], off, off offset:272 ; 16-byte Folded Reload
	s_nop 0
	scratch_load_dwordx4 v[158:161], off, off offset:288 ; 16-byte Folded Reload
	scratch_load_dwordx4 v[162:165], off, off offset:304 ; 16-byte Folded Reload
	;; [unrolled: 1-line block ×7, first 2 shown]
	v_mov_b32_e32 v3, v0
	v_mov_b32_e32 v0, v94
	;; [unrolled: 1-line block ×3, first 2 shown]
	v_mov_b64_e32 v[88:89], v[80:81]
	v_mov_b64_e32 v[86:87], v[78:79]
	;; [unrolled: 1-line block ×6, first 2 shown]
	v_mov_b32_e32 v74, v232
	v_mov_b32_e32 v75, v233
	v_mov_b64_e32 v[146:147], v[88:89]
	v_mov_b64_e32 v[144:145], v[86:87]
	;; [unrolled: 1-line block ×6, first 2 shown]
	v_mov_b32_e32 v84, v212
	v_mov_b32_e32 v85, v213
	v_mov_b64_e32 v[148:149], v[90:91]
	v_mov_b32_e32 v80, v122
	v_mov_b32_e32 v81, v123
	v_mov_b32_e32 v70, v58
	v_mov_b32_e32 v71, v59
	v_mov_b32_e32 v72, v104
	v_mov_b32_e32 v73, v105
	v_mov_b32_e32 v78, v148
	v_mov_b32_e32 v79, v149
	v_mov_b32_e32 v128, v58
	v_mov_b32_e32 v129, v59
	v_mov_b32_e32 v130, v104
	v_mov_b32_e32 v131, v105
	s_waitcnt vmcnt(18)
	v_mov_b64_e32 v[192:193], v[40:41]
	v_mov_b64_e32 v[190:191], v[38:39]
	;; [unrolled: 1-line block ×3, first 2 shown]
	s_waitcnt vmcnt(4)
	v_mov_b64_e32 v[26:27], v[154:155]
	v_mov_b32_e32 v20, v192
	v_mov_b32_e32 v21, v193
	s_waitcnt vmcnt(1)
	v_mov_b64_e32 v[42:43], v[170:171]
	v_mov_b64_e32 v[50:51], v[178:179]
	;; [unrolled: 1-line block ×8, first 2 shown]
	v_mov_b32_e32 v24, v50
	v_mov_b32_e32 v25, v51
	scratch_store_dwordx4 off, v[0:3], off offset:1424 ; 16-byte Folded Spill
	s_nop 0
	scratch_store_dwordx4 off, v[4:7], off offset:1440 ; 16-byte Folded Spill
	scratch_store_dwordx4 off, v[8:11], off offset:1456 ; 16-byte Folded Spill
	;; [unrolled: 1-line block ×7, first 2 shown]
	v_mov_b64_e32 v[40:41], v[224:225]
	v_mov_b64_e32 v[42:43], v[226:227]
	;; [unrolled: 1-line block ×5, first 2 shown]
	scratch_load_dwordx4 v[0:3], off, off offset:2968 ; 16-byte Folded Reload
	scratch_load_dwordx4 v[4:7], off, off offset:2984 ; 16-byte Folded Reload
	;; [unrolled: 1-line block ×16, first 2 shown]
	s_waitcnt vmcnt(24)
	v_mov_b64_e32 v[182:183], v[194:195]
	v_mov_b64_e32 v[184:185], v[196:197]
	;; [unrolled: 1-line block ×14, first 2 shown]
	v_mov_b32_e32 v90, v178
	v_mov_b32_e32 v91, v179
	s_waitcnt vmcnt(8)
	v_mov_b64_e32 v[38:39], v[10:11]
	v_mov_b64_e32 v[36:37], v[8:9]
	;; [unrolled: 1-line block ×3, first 2 shown]
	s_waitcnt vmcnt(1)
	v_mov_b64_e32 v[240:241], v[230:231]
	v_mov_b64_e32 v[238:239], v[228:229]
	;; [unrolled: 1-line block ×9, first 2 shown]
	scratch_load_dwordx4 v[202:205], off, off offset:1040 ; 16-byte Folded Reload
	scratch_load_dwordx4 v[206:209], off, off offset:1056 ; 16-byte Folded Reload
	;; [unrolled: 1-line block ×8, first 2 shown]
	v_mov_b32_e32 v82, v240
	v_mov_b32_e32 v83, v241
	scratch_load_dwordx4 v[224:227], off, off offset:2320 ; 16-byte Folded Reload
	scratch_load_dwordx4 v[228:231], off, off offset:2336 ; 16-byte Folded Reload
	;; [unrolled: 1-line block ×8, first 2 shown]
	v_mov_b64_e32 v[32:33], v[4:5]
	v_mov_b64_e32 v[30:31], v[2:3]
	;; [unrolled: 1-line block ×3, first 2 shown]
	v_mov_b32_e32 v76, v38
	v_mov_b32_e32 v77, v39
	v_mov_b64_e32 v[168:169], v[80:81]
	v_mov_b64_e32 v[166:167], v[78:79]
	;; [unrolled: 1-line block ×8, first 2 shown]
	scratch_store_dwordx4 off, v[40:43], off offset:3480 ; 16-byte Folded Spill
	s_nop 0
	scratch_store_dwordx4 off, v[44:47], off offset:3496 ; 16-byte Folded Spill
	scratch_store_dwordx4 off, v[48:51], off offset:3512 ; 16-byte Folded Spill
	;; [unrolled: 1-line block ×7, first 2 shown]
	v_mov_b32_e32 v134, v38
	v_mov_b32_e32 v135, v39
	s_waitcnt vmcnt(20)
	v_mov_b32_e32 v216, v152
	s_waitcnt vmcnt(18)
	;; [unrolled: 2-line block ×3, first 2 shown]
	v_mov_b64_e32 v[0:1], v[224:225]
	v_mov_b64_e32 v[2:3], v[226:227]
	;; [unrolled: 1-line block ×7, first 2 shown]
	s_waitcnt vmcnt(10)
	v_mov_b64_e32 v[16:17], v[240:241]
	v_mov_b64_e32 v[0:1], v[136:137]
	;; [unrolled: 1-line block ×12, first 2 shown]
	v_mov_b32_e32 v87, v223
	v_mov_b32_e32 v88, v22
	;; [unrolled: 1-line block ×3, first 2 shown]
	v_mov_b64_e32 v[180:181], v[92:93]
	v_mov_b32_e32 v136, v12
	v_mov_b32_e32 v137, v13
	scratch_store_dwordx4 off, v[0:3], off offset:2576 ; 16-byte Folded Spill
	s_nop 0
	scratch_store_dwordx4 off, v[4:7], off offset:2592 ; 16-byte Folded Spill
	scratch_store_dwordx4 off, v[8:11], off offset:2608 ; 16-byte Folded Spill
	;; [unrolled: 1-line block ×7, first 2 shown]
	v_mov_b64_e32 v[178:179], v[90:91]
	v_mov_b64_e32 v[176:177], v[88:89]
	;; [unrolled: 1-line block ×5, first 2 shown]
	scratch_load_dwordx4 v[60:63], off, off offset:1168 ; 16-byte Folded Reload
	scratch_load_dwordx4 v[64:67], off, off offset:1184 ; 16-byte Folded Reload
	;; [unrolled: 1-line block ×8, first 2 shown]
	v_mov_b32_e32 v142, v200
	v_mov_b32_e32 v143, v201
	scratch_store_dwordx4 off, v[182:185], off offset:784 ; 16-byte Folded Spill
	s_nop 0
	scratch_store_dwordx4 off, v[186:189], off offset:800 ; 16-byte Folded Spill
	scratch_store_dwordx4 off, v[190:193], off offset:816 ; 16-byte Folded Spill
	;; [unrolled: 1-line block ×7, first 2 shown]
	v_mov_b32_e32 v132, v48
	v_mov_b32_e32 v133, v49
	;; [unrolled: 1-line block ×15, first 2 shown]
	s_waitcnt vmcnt(11)
	v_mov_b64_e32 v[16:17], v[76:77]
	scratch_load_dwordx4 v[60:63], off, off offset:2320 ; 16-byte Folded Reload
	scratch_load_dwordx4 v[64:67], off, off offset:2336 ; 16-byte Folded Reload
	;; [unrolled: 1-line block ×8, first 2 shown]
	v_mov_b32_e32 v140, v16
	v_mov_b32_e32 v141, v17
	s_waitcnt vmcnt(0)
	v_mov_b64_e32 v[88:89], v[82:83]
	v_mov_b64_e32 v[86:87], v[80:81]
	;; [unrolled: 1-line block ×12, first 2 shown]
	v_mov_b32_e32 v146, v88
	v_mov_b32_e32 v147, v89
	scratch_load_dwordx4 v[60:63], off, off offset:272 ; 16-byte Folded Reload
	scratch_load_dwordx4 v[64:67], off, off offset:288 ; 16-byte Folded Reload
	;; [unrolled: 1-line block ×8, first 2 shown]
	s_nop 0
	scratch_store_dwordx4 off, v[94:97], s2 ; 16-byte Folded Spill
	s_nop 0
	scratch_store_dwordx4 off, v[98:101], s2 offset:16 ; 16-byte Folded Spill
	scratch_store_dwordx4 off, v[102:105], s2 offset:32 ; 16-byte Folded Spill
	;; [unrolled: 1-line block ×7, first 2 shown]
	s_movk_i32 s2, 0x1420
	scratch_store_dwordx2 off, v[26:27], off offset:264 ; 8-byte Folded Spill
	s_waitcnt vmcnt(13)
	v_mov_b64_e32 v[0:1], v[60:61]
	v_mov_b64_e32 v[2:3], v[62:63]
	;; [unrolled: 1-line block ×8, first 2 shown]
	s_waitcnt vmcnt(10)
	v_mov_b64_e32 v[16:17], v[76:77]
	v_mov_b32_e32 v66, v58
	v_mov_b64_e32 v[18:19], v[78:79]
	v_mov_b64_e32 v[20:21], v[80:81]
	;; [unrolled: 1-line block ×4, first 2 shown]
	scratch_store_dwordx4 off, v[46:49], s2 ; 16-byte Folded Spill
	s_nop 0
	scratch_store_dwordx4 off, v[50:53], s2 offset:16 ; 16-byte Folded Spill
	scratch_store_dwordx4 off, v[54:57], s2 offset:32 ; 16-byte Folded Spill
	;; [unrolled: 1-line block ×7, first 2 shown]
	v_mov_b32_e32 v46, v98
	v_mov_b32_e32 v68, v104
	;; [unrolled: 1-line block ×8, first 2 shown]
	s_movk_i32 s2, 0x1120
	v_mov_b32_e32 v148, v24
	v_mov_b32_e32 v149, v25
	;; [unrolled: 1-line block ×3, first 2 shown]
	scratch_store_dwordx4 off, v[46:49], s2 ; 16-byte Folded Spill
	s_nop 0
	scratch_store_dwordx4 off, v[50:53], s2 offset:16 ; 16-byte Folded Spill
	scratch_store_dwordx4 off, v[54:57], s2 offset:32 ; 16-byte Folded Spill
	scratch_store_dwordx4 off, v[58:61], s2 offset:48 ; 16-byte Folded Spill
	scratch_store_dwordx4 off, v[62:65], s2 offset:64 ; 16-byte Folded Spill
	scratch_store_dwordx4 off, v[66:69], s2 offset:80 ; 16-byte Folded Spill
	scratch_store_dwordx4 off, v[70:73], s2 offset:96 ; 16-byte Folded Spill
	scratch_store_dwordx4 off, v[74:77], s2 offset:112 ; 16-byte Folded Spill
	scratch_load_dwordx4 v[70:73], off, off offset:3480 ; 16-byte Folded Reload
	s_nop 0
	scratch_load_dwordx4 v[74:77], off, off offset:3496 ; 16-byte Folded Reload
	scratch_load_dwordx4 v[78:81], off, off offset:3512 ; 16-byte Folded Reload
	;; [unrolled: 1-line block ×7, first 2 shown]
	v_mov_b32_e32 v49, v105
	s_waitcnt vmcnt(5)
	v_mov_b64_e32 v[50:51], v[70:71]
	v_mov_b64_e32 v[58:59], v[78:79]
	v_mov_b32_e32 v26, v58
	scratch_store_dwordx4 off, v[18:21], off offset:1296 ; 16-byte Folded Spill
	s_nop 0
	scratch_store_dwordx4 off, v[22:25], off offset:1312 ; 16-byte Folded Spill
	scratch_store_dwordx4 off, v[26:29], off offset:1328 ; 16-byte Folded Spill
	;; [unrolled: 1-line block ×7, first 2 shown]
	v_mov_b64_e32 v[52:53], v[72:73]
	v_mov_b64_e32 v[54:55], v[74:75]
	v_mov_b32_e32 v47, v59
	v_mov_b64_e32 v[56:57], v[76:77]
	v_mov_b32_e32 v50, v66
	v_mov_b64_e32 v[26:27], v[28:29]
	v_mov_b64_e32 v[28:29], v[30:31]
	;; [unrolled: 1-line block ×6, first 2 shown]
	v_mov_b32_e32 v26, v36
	scratch_store_dwordx4 off, v[16:19], off offset:656 ; 16-byte Folded Spill
	s_nop 0
	scratch_store_dwordx4 off, v[20:23], off offset:672 ; 16-byte Folded Spill
	scratch_store_dwordx4 off, v[24:27], off offset:688 ; 16-byte Folded Spill
	;; [unrolled: 1-line block ×7, first 2 shown]
	v_mov_b32_e32 v26, v122
	s_waitcnt vmcnt(20)
	v_mov_b32_e32 v85, v37
	scratch_store_dwordx4 off, v[74:77], off offset:1680 ; 16-byte Folded Spill
	s_nop 0
	scratch_store_dwordx4 off, v[78:81], off offset:1696 ; 16-byte Folded Spill
	scratch_store_dwordx4 off, v[82:85], off offset:1712 ; 16-byte Folded Spill
	s_waitcnt vmcnt(22)
	scratch_store_dwordx4 off, v[86:89], off offset:1728 ; 16-byte Folded Spill
	s_waitcnt vmcnt(22)
	;; [unrolled: 2-line block ×4, first 2 shown]
	scratch_store_dwordx4 off, v[98:101], off offset:1776 ; 16-byte Folded Spill
	scratch_store_dwordx4 off, v[102:105], off offset:1792 ; 16-byte Folded Spill
	scratch_load_dwordx4 v[182:185], off, off offset:2576 ; 16-byte Folded Reload
	scratch_load_dwordx4 v[186:189], off, off offset:2592 ; 16-byte Folded Reload
	;; [unrolled: 1-line block ×8, first 2 shown]
	s_nop 0
	scratch_store_dwordx4 off, v[12:15], off offset:400 ; 16-byte Folded Spill
	s_nop 0
	scratch_store_dwordx4 off, v[16:19], off offset:416 ; 16-byte Folded Spill
	scratch_store_dwordx4 off, v[20:23], off offset:432 ; 16-byte Folded Spill
	;; [unrolled: 1-line block ×8, first 2 shown]
	s_nop 0
	scratch_store_dwordx4 off, v[112:115], off offset:2080 ; 16-byte Folded Spill
	scratch_store_dwordx4 off, v[116:119], off offset:2096 ; 16-byte Folded Spill
	;; [unrolled: 1-line block ×7, first 2 shown]
	scratch_load_dwordx4 v[84:87], off, off offset:1168 ; 16-byte Folded Reload
	s_nop 0
	scratch_load_dwordx4 v[88:91], off, off offset:1184 ; 16-byte Folded Reload
	scratch_load_dwordx4 v[92:95], off, off offset:1200 ; 16-byte Folded Reload
	;; [unrolled: 1-line block ×7, first 2 shown]
	s_waitcnt vmcnt(24)
	v_mov_b64_e32 v[214:215], v[150:151]
	v_mov_b64_e32 v[212:213], v[148:149]
	v_mov_b64_e32 v[210:211], v[146:147]
	v_mov_b64_e32 v[208:209], v[144:145]
	v_mov_b64_e32 v[206:207], v[142:143]
	v_mov_b64_e32 v[204:205], v[140:141]
	v_mov_b64_e32 v[198:199], v[194:195]
	v_mov_b64_e32 v[196:197], v[192:193]
	s_waitcnt vmcnt(4)
	v_mov_b64_e32 v[28:29], v[84:85]
	v_mov_b64_e32 v[30:31], v[86:87]
	;; [unrolled: 1-line block ×8, first 2 shown]
	s_waitcnt vmcnt(3)
	v_mov_b64_e32 v[44:45], v[100:101]
	scratch_load_dwordx4 v[88:91], off, off offset:784 ; 16-byte Folded Reload
	scratch_load_dwordx4 v[92:95], off, off offset:800 ; 16-byte Folded Reload
	;; [unrolled: 1-line block ×8, first 2 shown]
	v_mov_b64_e32 v[194:195], v[190:191]
	v_mov_b64_e32 v[192:193], v[188:189]
	;; [unrolled: 1-line block ×5, first 2 shown]
	v_mov_b32_e32 v82, v198
	v_mov_b32_e32 v75, v199
	v_mov_b64_e32 v[202:203], v[138:139]
	v_mov_b64_e32 v[200:201], v[136:137]
	;; [unrolled: 1-line block ×16, first 2 shown]
	v_mov_b32_e32 v144, v170
	v_mov_b32_e32 v145, v171
	v_mov_b32_e32 v146, v172
	v_mov_b32_e32 v147, v173
	v_mov_b32_e32 v148, v174
	v_mov_b32_e32 v149, v175
	v_mov_b32_e32 v150, v176
	v_mov_b32_e32 v151, v177
	v_mov_b32_e32 v152, v178
	v_mov_b32_e32 v153, v179
	v_mov_b32_e32 v154, v180
	v_mov_b32_e32 v74, v44
	v_mov_b32_e32 v73, v45
	s_waitcnt vmcnt(3)
	v_mov_b32_e32 v26, v106
	scratch_store_dwordx4 off, v[8:11], off offset:528 ; 16-byte Folded Spill
	s_nop 0
	scratch_store_dwordx4 off, v[12:15], off offset:544 ; 16-byte Folded Spill
	scratch_store_dwordx4 off, v[16:19], off offset:560 ; 16-byte Folded Spill
	;; [unrolled: 1-line block ×7, first 2 shown]
	s_nop 1
	v_mov_b32_e32 v39, v107
	scratch_load_dwordx4 v[88:91], off, off offset:1040 ; 16-byte Folded Reload
	scratch_load_dwordx4 v[92:95], off, off offset:1056 ; 16-byte Folded Reload
	;; [unrolled: 1-line block ×16, first 2 shown]
	s_waitcnt vmcnt(8)
	v_mov_b32_e32 v118, v108
	s_waitcnt vmcnt(2)
	v_mov_b64_e32 v[110:111], v[172:173]
	v_mov_b64_e32 v[112:113], v[174:175]
	;; [unrolled: 1-line block ×4, first 2 shown]
	s_waitcnt vmcnt(0)
	v_mov_b64_e32 v[184:185], v[24:25]
	v_mov_b32_e32 v119, v109
	v_mov_b64_e32 v[94:95], v[156:157]
	v_mov_b64_e32 v[182:183], v[22:23]
	;; [unrolled: 1-line block ×13, first 2 shown]
	v_mov_b32_e32 v182, v154
	v_mov_b32_e32 v186, v116
	v_mov_b64_e32 v[168:169], v[140:141]
	v_mov_b64_e32 v[166:167], v[138:139]
	;; [unrolled: 1-line block ×7, first 2 shown]
	v_mov_b32_e32 v181, v153
	v_mov_b32_e32 v180, v152
	;; [unrolled: 1-line block ×11, first 2 shown]
	scratch_store_dwordx4 off, v[156:159], off offset:912 ; 16-byte Folded Spill
	s_nop 0
	scratch_store_dwordx4 off, v[160:163], off offset:928 ; 16-byte Folded Spill
	scratch_store_dwordx4 off, v[164:167], off offset:944 ; 16-byte Folded Spill
	;; [unrolled: 1-line block ×7, first 2 shown]
	v_mov_b32_e32 v127, v117
	v_mov_b32_e32 v170, v154
.LBB56_66:
	s_or_b64 exec, exec, s[0:1]
	s_barrier
	scratch_load_dword v27, off, off offset:132 ; 4-byte Folded Reload
	scratch_load_dword v26, off, off offset:4 ; 4-byte Folded Reload
	s_cmp_lt_i32 s14, 6
	s_waitcnt vmcnt(0)
	v_lshl_add_u32 v26, v26, 2, v27
	ds_write_b32 v26, v50
	s_waitcnt lgkmcnt(0)
	s_barrier
	ds_read_b32 v28, v27 offset:16
	v_mov_b32_e32 v26, 4
	s_cbranch_scc1 .LBB56_494
; %bb.67:
	scratch_load_dword v26, off, off offset:2836 ; 4-byte Folded Reload
	s_mov_b32 s0, 5
	v_mov_b32_e32 v35, v39
	v_mov_b32_e32 v38, v74
	;; [unrolled: 1-line block ×4, first 2 shown]
	s_waitcnt vmcnt(0)
	v_add3_u32 v27, v26, 0, 20
	v_mov_b32_e32 v26, 4
.LBB56_68:                              ; =>This Inner Loop Header: Depth=1
	ds_read_b32 v29, v27
	v_add_u32_e32 v27, 4, v27
	s_waitcnt lgkmcnt(0)
	v_cmp_lt_f32_e64 vcc, |v28|, |v29|
	s_nop 1
	v_cndmask_b32_e32 v28, v28, v29, vcc
	v_mov_b32_e32 v29, s0
	s_add_i32 s0, s0, 1
	v_cndmask_b32_e32 v26, v26, v29, vcc
	s_cmp_lg_u32 s14, s0
	s_cbranch_scc1 .LBB56_68
; %bb.69:
	v_cmp_eq_f32_e32 vcc, 0, v28
	s_and_saveexec_b64 s[0:1], vcc
	s_xor_b64 s[0:1], exec, s[0:1]
	s_cbranch_execz .LBB56_71
.LBB56_70:
	scratch_load_dword v27, off, off offset:136 ; 4-byte Folded Reload
	s_waitcnt vmcnt(0)
	v_cmp_ne_u32_e32 vcc, 0, v27
	s_nop 1
	v_cndmask_b32_e32 v27, 5, v27, vcc
	scratch_store_dword off, v27, off offset:136 ; 4-byte Folded Spill
.LBB56_71:
	s_andn2_saveexec_b64 s[0:1], s[0:1]
	s_cbranch_execz .LBB56_73
; %bb.72:
	v_div_scale_f32 v27, s[2:3], v28, v28, 1.0
	v_rcp_f32_e32 v29, v27
	v_div_scale_f32 v30, vcc, 1.0, v28, 1.0
	v_fma_f32 v31, -v27, v29, 1.0
	v_fmac_f32_e32 v29, v31, v29
	v_mul_f32_e32 v31, v30, v29
	v_fma_f32 v57, -v27, v31, v30
	v_fmac_f32_e32 v31, v57, v29
	v_fma_f32 v27, -v27, v31, v30
	v_div_fmas_f32 v27, v27, v29, v31
	v_div_fixup_f32 v28, v27, v28, 1.0
.LBB56_73:
	s_or_b64 exec, exec, s[0:1]
	scratch_load_dword v27, off, off offset:4 ; 4-byte Folded Reload
	s_waitcnt vmcnt(0)
	v_cmp_ne_u32_e32 vcc, v27, v26
	s_and_saveexec_b64 s[0:1], vcc
	s_xor_b64 s[0:1], exec, s[0:1]
	s_cbranch_execz .LBB56_79
; %bb.74:
	scratch_load_dword v27, off, off offset:4 ; 4-byte Folded Reload
	s_waitcnt vmcnt(0)
	v_cmp_eq_u32_e32 vcc, 4, v27
	s_and_saveexec_b64 s[2:3], vcc
	s_cbranch_execz .LBB56_78
; %bb.75:
	v_cmp_ne_u32_e32 vcc, 4, v26
	s_xor_b64 s[18:19], s[16:17], -1
	s_and_b64 s[20:21], s[18:19], vcc
	s_and_saveexec_b64 s[18:19], s[20:21]
	s_cbranch_execz .LBB56_77
; %bb.76:
	s_movk_i32 s20, 0x1098
	scratch_load_dwordx2 v[58:59], off, s20 ; 8-byte Folded Reload
	v_ashrrev_i32_e32 v27, 31, v26
	s_waitcnt vmcnt(0)
	v_lshl_add_u64 v[30:31], v[26:27], 2, v[58:59]
	global_load_dword v27, v[30:31], off
	global_load_dword v29, v[58:59], off offset:16
	s_waitcnt vmcnt(1)
	global_store_dword v[58:59], v27, off offset:16
	s_waitcnt vmcnt(1)
	global_store_dword v[30:31], v29, off
.LBB56_77:
	s_or_b64 exec, exec, s[18:19]
	v_mov_b32_e32 v27, v26
	scratch_store_dword off, v27, off offset:2704 ; 4-byte Folded Spill
	scratch_store_dword off, v26, off offset:4 ; 4-byte Folded Spill
.LBB56_78:
	s_or_b64 exec, exec, s[2:3]
.LBB56_79:
	s_andn2_saveexec_b64 s[0:1], s[0:1]
	s_cbranch_execz .LBB56_81
; %bb.80:
	scratch_load_dword v26, off, off offset:132 ; 4-byte Folded Reload
	s_waitcnt vmcnt(0)
	ds_write2_b32 v26, v193, v194 offset0:5 offset1:6
	ds_write2_b32 v26, v195, v196 offset0:7 offset1:8
	;; [unrolled: 1-line block ×12, first 2 shown]
	v_mov_b32_e32 v26, 4
	scratch_store_dword off, v26, off offset:4 ; 4-byte Folded Spill
.LBB56_81:
	s_or_b64 exec, exec, s[0:1]
	s_waitcnt lgkmcnt(0)
	s_barrier
	scratch_load_dword v26, off, off offset:4 ; 4-byte Folded Reload
	s_waitcnt vmcnt(0)
	v_cmp_lt_i32_e32 vcc, 4, v26
	s_and_saveexec_b64 s[0:1], vcc
	s_cbranch_execz .LBB56_83
; %bb.82:
	s_movk_i32 s2, 0x1520
	scratch_load_dwordx4 v[52:55], off, s2  ; 16-byte Folded Reload
	scratch_load_dwordx4 v[56:59], off, s2 offset:16 ; 16-byte Folded Reload
	scratch_load_dwordx4 v[60:63], off, s2 offset:32 ; 16-byte Folded Reload
	;; [unrolled: 1-line block ×7, first 2 shown]
	scratch_load_dword v10, off, off offset:132 ; 4-byte Folded Reload
	v_mul_f32_e32 v42, v50, v28
	v_mov_b32_e32 v2, v193
	v_mov_b32_e32 v3, v194
	s_movk_i32 s2, 0x1120
	v_mov_b32_e32 v164, v42
	v_mov_b32_e32 v122, v42
	;; [unrolled: 1-line block ×4, first 2 shown]
	s_waitcnt vmcnt(8)
	v_mov_b64_e32 v[38:39], v[52:53]
	v_mov_b64_e32 v[40:41], v[54:55]
	v_mov_b32_e32 v160, v38
	v_mov_b32_e32 v161, v39
	;; [unrolled: 1-line block ×6, first 2 shown]
	s_waitcnt vmcnt(0)
	ds_read2_b32 v[0:1], v10 offset0:5 offset1:6
	ds_read2_b32 v[4:5], v10 offset0:7 offset1:8
	ds_read2_b32 v[6:7], v10 offset0:9 offset1:10
	ds_read2_b32 v[8:9], v10 offset0:11 offset1:12
	v_mov_b32_e32 v120, v40
	v_mov_b32_e32 v121, v41
	v_mov_b32_e32 v94, v38
	s_waitcnt lgkmcnt(3)
	v_pk_fma_f32 v[26:27], v[42:43], v[0:1], v[2:3] op_sel_hi:[0,1,1] neg_lo:[1,0,0] neg_hi:[1,0,0]
	v_mov_b32_e32 v0, v195
	v_mov_b32_e32 v1, v196
	s_waitcnt lgkmcnt(2)
	v_pk_fma_f32 v[28:29], v[42:43], v[4:5], v[0:1] op_sel_hi:[0,1,1] neg_lo:[1,0,0] neg_hi:[1,0,0]
	v_mov_b32_e32 v0, v197
	v_mov_b32_e32 v1, v198
	s_waitcnt lgkmcnt(1)
	v_pk_fma_f32 v[30:31], v[42:43], v[6:7], v[0:1] op_sel_hi:[0,1,1] neg_lo:[1,0,0] neg_hi:[1,0,0]
	v_mov_b32_e32 v0, v199
	v_mov_b32_e32 v1, v200
	s_waitcnt lgkmcnt(0)
	v_pk_fma_f32 v[58:59], v[42:43], v[8:9], v[0:1] op_sel_hi:[0,1,1] neg_lo:[1,0,0] neg_hi:[1,0,0]
	ds_read2_b32 v[0:1], v10 offset0:13 offset1:14
	ds_read2_b32 v[4:5], v10 offset0:15 offset1:16
	ds_read2_b32 v[6:7], v10 offset0:17 offset1:18
	ds_read2_b32 v[8:9], v10 offset0:19 offset1:20
	v_mov_b32_e32 v2, v201
	v_mov_b32_e32 v3, v202
	v_mov_b32_e32 v171, v58
	s_waitcnt lgkmcnt(3)
	v_pk_fma_f32 v[60:61], v[42:43], v[0:1], v[2:3] op_sel_hi:[0,1,1] neg_lo:[1,0,0] neg_hi:[1,0,0]
	v_mov_b32_e32 v0, v203
	v_mov_b32_e32 v1, v204
	s_waitcnt lgkmcnt(2)
	v_pk_fma_f32 v[62:63], v[42:43], v[4:5], v[0:1] op_sel_hi:[0,1,1] neg_lo:[1,0,0] neg_hi:[1,0,0]
	v_mov_b32_e32 v0, v205
	v_mov_b32_e32 v1, v206
	s_waitcnt lgkmcnt(1)
	v_pk_fma_f32 v[88:89], v[42:43], v[6:7], v[0:1] op_sel_hi:[0,1,1] neg_lo:[1,0,0] neg_hi:[1,0,0]
	v_mov_b32_e32 v0, v207
	v_mov_b32_e32 v1, v208
	s_waitcnt lgkmcnt(0)
	v_pk_fma_f32 v[90:91], v[42:43], v[8:9], v[0:1] op_sel_hi:[0,1,1] neg_lo:[1,0,0] neg_hi:[1,0,0]
	;; [unrolled: 21-line block ×3, first 2 shown]
	v_mov_b32_e32 v0, v38
	v_mov_b32_e32 v1, v39
	;; [unrolled: 1-line block ×8, first 2 shown]
	scratch_store_dwordx4 off, v[0:3], s2   ; 16-byte Folded Spill
	s_nop 0
	scratch_store_dwordx4 off, v[4:7], s2 offset:16 ; 16-byte Folded Spill
	scratch_store_dwordx4 off, v[8:11], s2 offset:32 ; 16-byte Folded Spill
	;; [unrolled: 1-line block ×7, first 2 shown]
	s_movk_i32 s2, 0x10a0
	v_mov_b32_e32 v173, v60
	v_mov_b32_e32 v174, v61
	;; [unrolled: 1-line block ×63, first 2 shown]
	scratch_store_dwordx4 off, v[0:3], s2   ; 16-byte Folded Spill
	s_nop 0
	scratch_store_dwordx4 off, v[4:7], s2 offset:16 ; 16-byte Folded Spill
	scratch_store_dwordx4 off, v[8:11], s2 offset:32 ; 16-byte Folded Spill
	scratch_store_dwordx4 off, v[12:15], s2 offset:48 ; 16-byte Folded Spill
	scratch_store_dwordx4 off, v[16:19], s2 offset:64 ; 16-byte Folded Spill
	scratch_store_dwordx4 off, v[20:23], s2 offset:80 ; 16-byte Folded Spill
	scratch_store_dwordx4 off, v[24:27], s2 offset:96 ; 16-byte Folded Spill
	scratch_store_dwordx4 off, v[28:31], s2 offset:112 ; 16-byte Folded Spill
	s_movk_i32 s2, 0x1320
	v_mov_b32_e32 v8, v29
	scratch_store_dwordx4 off, v[0:3], off offset:3480 ; 16-byte Folded Spill
	s_nop 0
	scratch_store_dwordx4 off, v[4:7], off offset:3496 ; 16-byte Folded Spill
	scratch_store_dwordx4 off, v[8:11], off offset:3512 ; 16-byte Folded Spill
	scratch_store_dwordx4 off, v[12:15], off offset:3528 ; 16-byte Folded Spill
	scratch_store_dwordx4 off, v[16:19], off offset:3544 ; 16-byte Folded Spill
	scratch_store_dwordx4 off, v[20:23], off offset:3560 ; 16-byte Folded Spill
	scratch_store_dwordx4 off, v[24:27], off offset:3576 ; 16-byte Folded Spill
	scratch_store_dwordx4 off, v[28:31], off offset:3592 ; 16-byte Folded Spill
	v_mov_b32_e32 v9, v30
	scratch_store_dwordx4 off, v[0:3], off offset:3864 ; 16-byte Folded Spill
	s_nop 0
	scratch_store_dwordx4 off, v[4:7], off offset:3880 ; 16-byte Folded Spill
	scratch_store_dwordx4 off, v[8:11], off offset:3896 ; 16-byte Folded Spill
	scratch_store_dwordx4 off, v[12:15], off offset:3912 ; 16-byte Folded Spill
	scratch_store_dwordx4 off, v[16:19], off offset:3928 ; 16-byte Folded Spill
	scratch_store_dwordx4 off, v[20:23], off offset:3944 ; 16-byte Folded Spill
	scratch_store_dwordx4 off, v[24:27], off offset:3960 ; 16-byte Folded Spill
	scratch_store_dwordx4 off, v[28:31], off offset:3976 ; 16-byte Folded Spill
	v_mov_b32_e32 v10, v31
	scratch_store_dwordx4 off, v[0:3], off offset:2968 ; 16-byte Folded Spill
	s_nop 0
	scratch_store_dwordx4 off, v[4:7], off offset:2984 ; 16-byte Folded Spill
	scratch_store_dwordx4 off, v[8:11], off offset:3000 ; 16-byte Folded Spill
	scratch_store_dwordx4 off, v[12:15], off offset:3016 ; 16-byte Folded Spill
	scratch_store_dwordx4 off, v[16:19], off offset:3032 ; 16-byte Folded Spill
	scratch_store_dwordx4 off, v[20:23], off offset:3048 ; 16-byte Folded Spill
	scratch_store_dwordx4 off, v[24:27], off offset:3064 ; 16-byte Folded Spill
	scratch_store_dwordx4 off, v[28:31], off offset:3080 ; 16-byte Folded Spill
	v_mov_b32_e32 v11, v58
	scratch_store_dwordx4 off, v[0:3], off offset:3608 ; 16-byte Folded Spill
	s_nop 0
	scratch_store_dwordx4 off, v[4:7], off offset:3624 ; 16-byte Folded Spill
	scratch_store_dwordx4 off, v[8:11], off offset:3640 ; 16-byte Folded Spill
	scratch_store_dwordx4 off, v[12:15], off offset:3656 ; 16-byte Folded Spill
	scratch_store_dwordx4 off, v[16:19], off offset:3672 ; 16-byte Folded Spill
	scratch_store_dwordx4 off, v[20:23], off offset:3688 ; 16-byte Folded Spill
	scratch_store_dwordx4 off, v[24:27], off offset:3704 ; 16-byte Folded Spill
	scratch_store_dwordx4 off, v[28:31], off offset:3720 ; 16-byte Folded Spill
	v_mov_b32_e32 v12, v59
	scratch_store_dwordx4 off, v[0:3], off offset:2576 ; 16-byte Folded Spill
	s_nop 0
	scratch_store_dwordx4 off, v[4:7], off offset:2592 ; 16-byte Folded Spill
	scratch_store_dwordx4 off, v[8:11], off offset:2608 ; 16-byte Folded Spill
	scratch_store_dwordx4 off, v[12:15], off offset:2624 ; 16-byte Folded Spill
	scratch_store_dwordx4 off, v[16:19], off offset:2640 ; 16-byte Folded Spill
	scratch_store_dwordx4 off, v[20:23], off offset:2656 ; 16-byte Folded Spill
	scratch_store_dwordx4 off, v[24:27], off offset:2672 ; 16-byte Folded Spill
	scratch_store_dwordx4 off, v[28:31], off offset:2688 ; 16-byte Folded Spill
	v_mov_b32_e32 v13, v60
	scratch_store_dwordx4 off, v[0:3], off offset:2840 ; 16-byte Folded Spill
	s_nop 0
	scratch_store_dwordx4 off, v[4:7], off offset:2856 ; 16-byte Folded Spill
	scratch_store_dwordx4 off, v[8:11], off offset:2872 ; 16-byte Folded Spill
	scratch_store_dwordx4 off, v[12:15], off offset:2888 ; 16-byte Folded Spill
	scratch_store_dwordx4 off, v[16:19], off offset:2904 ; 16-byte Folded Spill
	scratch_store_dwordx4 off, v[20:23], off offset:2920 ; 16-byte Folded Spill
	scratch_store_dwordx4 off, v[24:27], off offset:2936 ; 16-byte Folded Spill
	scratch_store_dwordx4 off, v[28:31], off offset:2952 ; 16-byte Folded Spill
	v_mov_b32_e32 v14, v61
	scratch_store_dwordx4 off, v[0:3], off offset:2064 ; 16-byte Folded Spill
	s_nop 0
	scratch_store_dwordx4 off, v[4:7], off offset:2080 ; 16-byte Folded Spill
	scratch_store_dwordx4 off, v[8:11], off offset:2096 ; 16-byte Folded Spill
	scratch_store_dwordx4 off, v[12:15], off offset:2112 ; 16-byte Folded Spill
	scratch_store_dwordx4 off, v[16:19], off offset:2128 ; 16-byte Folded Spill
	scratch_store_dwordx4 off, v[20:23], off offset:2144 ; 16-byte Folded Spill
	scratch_store_dwordx4 off, v[24:27], off offset:2160 ; 16-byte Folded Spill
	scratch_store_dwordx4 off, v[28:31], off offset:2176 ; 16-byte Folded Spill
	v_mov_b32_e32 v15, v62
	scratch_store_dwordx4 off, v[0:3], off offset:2708 ; 16-byte Folded Spill
	s_nop 0
	scratch_store_dwordx4 off, v[4:7], off offset:2724 ; 16-byte Folded Spill
	scratch_store_dwordx4 off, v[8:11], off offset:2740 ; 16-byte Folded Spill
	scratch_store_dwordx4 off, v[12:15], off offset:2756 ; 16-byte Folded Spill
	scratch_store_dwordx4 off, v[16:19], off offset:2772 ; 16-byte Folded Spill
	scratch_store_dwordx4 off, v[20:23], off offset:2788 ; 16-byte Folded Spill
	scratch_store_dwordx4 off, v[24:27], off offset:2804 ; 16-byte Folded Spill
	scratch_store_dwordx4 off, v[28:31], off offset:2820 ; 16-byte Folded Spill
	v_mov_b32_e32 v16, v63
	scratch_store_dwordx4 off, v[0:3], off offset:1168 ; 16-byte Folded Spill
	s_nop 0
	scratch_store_dwordx4 off, v[4:7], off offset:1184 ; 16-byte Folded Spill
	scratch_store_dwordx4 off, v[8:11], off offset:1200 ; 16-byte Folded Spill
	scratch_store_dwordx4 off, v[12:15], off offset:1216 ; 16-byte Folded Spill
	scratch_store_dwordx4 off, v[16:19], off offset:1232 ; 16-byte Folded Spill
	scratch_store_dwordx4 off, v[20:23], off offset:1248 ; 16-byte Folded Spill
	scratch_store_dwordx4 off, v[24:27], off offset:1264 ; 16-byte Folded Spill
	scratch_store_dwordx4 off, v[28:31], off offset:1280 ; 16-byte Folded Spill
	v_mov_b32_e32 v17, v88
	scratch_store_dwordx4 off, v[0:3], off offset:2192 ; 16-byte Folded Spill
	s_nop 0
	scratch_store_dwordx4 off, v[4:7], off offset:2208 ; 16-byte Folded Spill
	scratch_store_dwordx4 off, v[8:11], off offset:2224 ; 16-byte Folded Spill
	scratch_store_dwordx4 off, v[12:15], off offset:2240 ; 16-byte Folded Spill
	scratch_store_dwordx4 off, v[16:19], off offset:2256 ; 16-byte Folded Spill
	scratch_store_dwordx4 off, v[20:23], off offset:2272 ; 16-byte Folded Spill
	scratch_store_dwordx4 off, v[24:27], off offset:2288 ; 16-byte Folded Spill
	scratch_store_dwordx4 off, v[28:31], off offset:2304 ; 16-byte Folded Spill
	v_mov_b32_e32 v18, v89
	scratch_store_dwordx4 off, v[0:3], off offset:784 ; 16-byte Folded Spill
	s_nop 0
	scratch_store_dwordx4 off, v[4:7], off offset:800 ; 16-byte Folded Spill
	scratch_store_dwordx4 off, v[8:11], off offset:816 ; 16-byte Folded Spill
	scratch_store_dwordx4 off, v[12:15], off offset:832 ; 16-byte Folded Spill
	scratch_store_dwordx4 off, v[16:19], off offset:848 ; 16-byte Folded Spill
	scratch_store_dwordx4 off, v[20:23], off offset:864 ; 16-byte Folded Spill
	scratch_store_dwordx4 off, v[24:27], off offset:880 ; 16-byte Folded Spill
	scratch_store_dwordx4 off, v[28:31], off offset:896 ; 16-byte Folded Spill
	v_mov_b32_e32 v19, v90
	scratch_store_dwordx4 off, v[0:3], off offset:1936 ; 16-byte Folded Spill
	s_nop 0
	scratch_store_dwordx4 off, v[4:7], off offset:1952 ; 16-byte Folded Spill
	scratch_store_dwordx4 off, v[8:11], off offset:1968 ; 16-byte Folded Spill
	scratch_store_dwordx4 off, v[12:15], off offset:1984 ; 16-byte Folded Spill
	scratch_store_dwordx4 off, v[16:19], off offset:2000 ; 16-byte Folded Spill
	scratch_store_dwordx4 off, v[20:23], off offset:2016 ; 16-byte Folded Spill
	scratch_store_dwordx4 off, v[24:27], off offset:2032 ; 16-byte Folded Spill
	scratch_store_dwordx4 off, v[28:31], off offset:2048 ; 16-byte Folded Spill
	v_mov_b32_e32 v20, v91
	scratch_store_dwordx4 off, v[0:3], off offset:1040 ; 16-byte Folded Spill
	s_nop 0
	scratch_store_dwordx4 off, v[4:7], off offset:1056 ; 16-byte Folded Spill
	scratch_store_dwordx4 off, v[8:11], off offset:1072 ; 16-byte Folded Spill
	scratch_store_dwordx4 off, v[12:15], off offset:1088 ; 16-byte Folded Spill
	scratch_store_dwordx4 off, v[16:19], off offset:1104 ; 16-byte Folded Spill
	scratch_store_dwordx4 off, v[20:23], off offset:1120 ; 16-byte Folded Spill
	scratch_store_dwordx4 off, v[24:27], off offset:1136 ; 16-byte Folded Spill
	scratch_store_dwordx4 off, v[28:31], off offset:1152 ; 16-byte Folded Spill
	v_mov_b32_e32 v21, v92
	scratch_store_dwordx4 off, v[0:3], off offset:1808 ; 16-byte Folded Spill
	s_nop 0
	scratch_store_dwordx4 off, v[4:7], off offset:1824 ; 16-byte Folded Spill
	scratch_store_dwordx4 off, v[8:11], off offset:1840 ; 16-byte Folded Spill
	scratch_store_dwordx4 off, v[12:15], off offset:1856 ; 16-byte Folded Spill
	scratch_store_dwordx4 off, v[16:19], off offset:1872 ; 16-byte Folded Spill
	scratch_store_dwordx4 off, v[20:23], off offset:1888 ; 16-byte Folded Spill
	scratch_store_dwordx4 off, v[24:27], off offset:1904 ; 16-byte Folded Spill
	scratch_store_dwordx4 off, v[28:31], off offset:1920 ; 16-byte Folded Spill
	v_mov_b32_e32 v22, v93
	v_mov_b32_e32 v23, v36
	;; [unrolled: 1-line block ×8, first 2 shown]
	scratch_store_dwordx4 off, v[0:3], off offset:1552 ; 16-byte Folded Spill
	s_nop 0
	scratch_store_dwordx4 off, v[4:7], off offset:1568 ; 16-byte Folded Spill
	scratch_store_dwordx4 off, v[8:11], off offset:1584 ; 16-byte Folded Spill
	;; [unrolled: 1-line block ×7, first 2 shown]
	v_mov_b32_e32 v165, v26
	v_mov_b32_e32 v166, v27
	;; [unrolled: 1-line block ×8, first 2 shown]
	scratch_store_dwordx4 off, v[160:163], off offset:272 ; 16-byte Folded Spill
	s_nop 0
	scratch_store_dwordx4 off, v[164:167], off offset:288 ; 16-byte Folded Spill
	scratch_store_dwordx4 off, v[168:171], off offset:304 ; 16-byte Folded Spill
	;; [unrolled: 1-line block ×8, first 2 shown]
	s_nop 0
	scratch_store_dwordx4 off, v[4:7], off offset:1440 ; 16-byte Folded Spill
	scratch_store_dwordx4 off, v[8:11], off offset:1456 ; 16-byte Folded Spill
	;; [unrolled: 1-line block ×7, first 2 shown]
	v_mov_b32_e32 v188, v38
	v_mov_b32_e32 v189, v39
	;; [unrolled: 1-line block ×11, first 2 shown]
	scratch_store_dwordx4 off, v[118:121], off offset:912 ; 16-byte Folded Spill
	s_nop 0
	scratch_store_dwordx4 off, v[122:125], off offset:928 ; 16-byte Folded Spill
	scratch_store_dwordx4 off, v[126:129], off offset:944 ; 16-byte Folded Spill
	;; [unrolled: 1-line block ×7, first 2 shown]
	scratch_store_dwordx2 off, v[34:35], off offset:264 ; 8-byte Folded Spill
	scratch_store_dwordx4 off, v[38:41], s2 ; 16-byte Folded Spill
	s_nop 0
	scratch_store_dwordx4 off, v[42:45], s2 offset:16 ; 16-byte Folded Spill
	scratch_store_dwordx4 off, v[46:49], s2 offset:32 ; 16-byte Folded Spill
	;; [unrolled: 1-line block ×7, first 2 shown]
	s_movk_i32 s2, 0x1420
	v_mov_b32_e32 v193, v26
	v_mov_b32_e32 v194, v27
	;; [unrolled: 1-line block ×8, first 2 shown]
	scratch_store_dwordx4 off, v[38:41], s2 ; 16-byte Folded Spill
	s_nop 0
	scratch_store_dwordx4 off, v[42:45], s2 offset:16 ; 16-byte Folded Spill
	scratch_store_dwordx4 off, v[46:49], s2 offset:32 ; 16-byte Folded Spill
	;; [unrolled: 1-line block ×7, first 2 shown]
	s_nop 1
	v_mov_b32_e32 v67, v26
	v_mov_b32_e32 v41, v28
	;; [unrolled: 1-line block ×4, first 2 shown]
	scratch_store_dwordx4 off, v[18:21], off offset:1296 ; 16-byte Folded Spill
	s_nop 0
	scratch_store_dwordx4 off, v[22:25], off offset:1312 ; 16-byte Folded Spill
	scratch_store_dwordx4 off, v[26:29], off offset:1328 ; 16-byte Folded Spill
	;; [unrolled: 1-line block ×7, first 2 shown]
	v_mov_b32_e32 v38, v63
	v_mov_b32_e32 v82, v59
	;; [unrolled: 1-line block ×5, first 2 shown]
	scratch_store_dwordx4 off, v[0:3], off offset:656 ; 16-byte Folded Spill
	s_nop 0
	scratch_store_dwordx4 off, v[4:7], off offset:672 ; 16-byte Folded Spill
	scratch_store_dwordx4 off, v[8:11], off offset:688 ; 16-byte Folded Spill
	scratch_store_dwordx4 off, v[12:15], off offset:704 ; 16-byte Folded Spill
	scratch_store_dwordx4 off, v[16:19], off offset:720 ; 16-byte Folded Spill
	scratch_store_dwordx4 off, v[20:23], off offset:736 ; 16-byte Folded Spill
	scratch_store_dwordx4 off, v[24:27], off offset:752 ; 16-byte Folded Spill
	scratch_store_dwordx4 off, v[28:31], off offset:768 ; 16-byte Folded Spill
	scratch_store_dwordx4 off, v[0:3], off offset:1680 ; 16-byte Folded Spill
	s_nop 0
	scratch_store_dwordx4 off, v[4:7], off offset:1696 ; 16-byte Folded Spill
	scratch_store_dwordx4 off, v[8:11], off offset:1712 ; 16-byte Folded Spill
	scratch_store_dwordx4 off, v[12:15], off offset:1728 ; 16-byte Folded Spill
	scratch_store_dwordx4 off, v[16:19], off offset:1744 ; 16-byte Folded Spill
	scratch_store_dwordx4 off, v[20:23], off offset:1760 ; 16-byte Folded Spill
	scratch_store_dwordx4 off, v[24:27], off offset:1776 ; 16-byte Folded Spill
	scratch_store_dwordx4 off, v[28:31], off offset:1792 ; 16-byte Folded Spill
	;; [unrolled: 9-line block ×3, first 2 shown]
	s_nop 0
	v_mov_b32_e32 v26, v89
	scratch_store_dwordx4 off, v[8:11], off offset:528 ; 16-byte Folded Spill
	s_nop 0
	scratch_store_dwordx4 off, v[12:15], off offset:544 ; 16-byte Folded Spill
	scratch_store_dwordx4 off, v[16:19], off offset:560 ; 16-byte Folded Spill
	;; [unrolled: 1-line block ×7, first 2 shown]
	s_nop 0
	v_mov_b32_e32 v35, v90
	v_mov_b32_e32 v127, v36
	;; [unrolled: 1-line block ×5, first 2 shown]
.LBB56_83:
	s_or_b64 exec, exec, s[0:1]
	s_waitcnt vmcnt(63) expcnt(7) lgkmcnt(15)
	s_barrier
	scratch_load_dword v27, off, off offset:132 ; 4-byte Folded Reload
	scratch_load_dword v26, off, off offset:4 ; 4-byte Folded Reload
	s_cmp_lt_i32 s14, 7
	s_waitcnt vmcnt(0)
	v_lshl_add_u32 v26, v26, 2, v27
	ds_write_b32 v26, v67
	s_waitcnt lgkmcnt(0)
	s_barrier
	ds_read_b32 v28, v27 offset:20
	v_mov_b32_e32 v26, 5
	s_cbranch_scc1 .LBB56_86
; %bb.84:
	scratch_load_dword v26, off, off offset:2836 ; 4-byte Folded Reload
	s_mov_b32 s0, 6
	s_waitcnt vmcnt(0)
	v_add3_u32 v27, v26, 0, 24
	v_mov_b32_e32 v26, 5
.LBB56_85:                              ; =>This Inner Loop Header: Depth=1
	ds_read_b32 v29, v27
	v_add_u32_e32 v27, 4, v27
	s_waitcnt lgkmcnt(0)
	v_cmp_lt_f32_e64 vcc, |v28|, |v29|
	s_nop 1
	v_cndmask_b32_e32 v28, v28, v29, vcc
	v_mov_b32_e32 v29, s0
	s_add_i32 s0, s0, 1
	v_cndmask_b32_e32 v26, v26, v29, vcc
	s_cmp_lg_u32 s14, s0
	s_cbranch_scc1 .LBB56_85
.LBB56_86:
	s_waitcnt lgkmcnt(0)
	v_cmp_eq_f32_e32 vcc, 0, v28
	s_and_saveexec_b64 s[0:1], vcc
	s_xor_b64 s[0:1], exec, s[0:1]
	s_cbranch_execz .LBB56_88
; %bb.87:
	scratch_load_dword v27, off, off offset:136 ; 4-byte Folded Reload
	s_waitcnt vmcnt(0)
	v_cmp_ne_u32_e32 vcc, 0, v27
	s_nop 1
	v_cndmask_b32_e32 v27, 6, v27, vcc
	scratch_store_dword off, v27, off offset:136 ; 4-byte Folded Spill
.LBB56_88:
	s_andn2_saveexec_b64 s[0:1], s[0:1]
	s_cbranch_execz .LBB56_90
; %bb.89:
	v_div_scale_f32 v27, s[2:3], v28, v28, 1.0
	v_rcp_f32_e32 v29, v27
	v_div_scale_f32 v30, vcc, 1.0, v28, 1.0
	v_fma_f32 v31, -v27, v29, 1.0
	v_fmac_f32_e32 v29, v31, v29
	v_mul_f32_e32 v31, v30, v29
	v_fma_f32 v57, -v27, v31, v30
	v_fmac_f32_e32 v31, v57, v29
	v_fma_f32 v27, -v27, v31, v30
	v_div_fmas_f32 v27, v27, v29, v31
	v_div_fixup_f32 v28, v27, v28, 1.0
.LBB56_90:
	s_or_b64 exec, exec, s[0:1]
	scratch_load_dword v27, off, off offset:4 ; 4-byte Folded Reload
	s_waitcnt vmcnt(0)
	v_cmp_ne_u32_e32 vcc, v27, v26
	s_and_saveexec_b64 s[0:1], vcc
	s_xor_b64 s[0:1], exec, s[0:1]
	s_cbranch_execz .LBB56_96
; %bb.91:
	scratch_load_dword v27, off, off offset:4 ; 4-byte Folded Reload
	s_waitcnt vmcnt(0)
	v_cmp_eq_u32_e32 vcc, 5, v27
	s_and_saveexec_b64 s[2:3], vcc
	s_cbranch_execz .LBB56_95
; %bb.92:
	v_cmp_ne_u32_e32 vcc, 5, v26
	s_xor_b64 s[18:19], s[16:17], -1
	s_and_b64 s[20:21], s[18:19], vcc
	s_and_saveexec_b64 s[18:19], s[20:21]
	s_cbranch_execz .LBB56_94
; %bb.93:
	s_movk_i32 s20, 0x1098
	scratch_load_dwordx2 v[58:59], off, s20 ; 8-byte Folded Reload
	v_ashrrev_i32_e32 v27, 31, v26
	s_waitcnt vmcnt(0)
	v_lshl_add_u64 v[30:31], v[26:27], 2, v[58:59]
	global_load_dword v27, v[30:31], off
	global_load_dword v29, v[58:59], off offset:20
	s_waitcnt vmcnt(1)
	global_store_dword v[58:59], v27, off offset:20
	s_waitcnt vmcnt(1)
	global_store_dword v[30:31], v29, off
.LBB56_94:
	s_or_b64 exec, exec, s[18:19]
	v_mov_b32_e32 v27, v26
	scratch_store_dword off, v27, off offset:2704 ; 4-byte Folded Spill
	scratch_store_dword off, v26, off offset:4 ; 4-byte Folded Spill
.LBB56_95:
	s_or_b64 exec, exec, s[2:3]
.LBB56_96:
	s_or_saveexec_b64 s[0:1], s[0:1]
	v_mov_b32_e32 v49, v41
	v_mov_b32_e32 v47, v39
	;; [unrolled: 1-line block ×3, first 2 shown]
	s_xor_b64 exec, exec, s[0:1]
	s_cbranch_execz .LBB56_98
; %bb.97:
	scratch_load_dword v29, off, off offset:132 ; 4-byte Folded Reload
	s_waitcnt vmcnt(0)
	ds_write2_b32 v29, v194, v195 offset0:6 offset1:7
	ds_write2_b32 v29, v196, v197 offset0:8 offset1:9
	;; [unrolled: 1-line block ×11, first 2 shown]
	scratch_load_dwordx2 v[26:27], off, off offset:264 ; 8-byte Folded Reload
	s_waitcnt vmcnt(0)
	v_mov_b32_e32 v26, 5
	scratch_store_dword off, v26, off offset:4 ; 4-byte Folded Spill
	ds_write_b32 v29, v27 offset:112
.LBB56_98:
	s_or_b64 exec, exec, s[0:1]
	s_waitcnt lgkmcnt(0)
	s_barrier
	scratch_load_dword v26, off, off offset:4 ; 4-byte Folded Reload
	s_waitcnt vmcnt(0)
	v_cmp_lt_i32_e32 vcc, 5, v26
	s_and_saveexec_b64 s[0:1], vcc
	s_cbranch_execz .LBB56_100
; %bb.99:
	scratch_load_dword v1, off, off offset:132 ; 4-byte Folded Reload
	v_mul_f32_e32 v0, v67, v28
	v_mov_b64_e32 v[10:11], v[196:197]
	v_mov_b64_e32 v[12:13], v[198:199]
	;; [unrolled: 1-line block ×10, first 2 shown]
	s_movk_i32 s2, 0x1420
	v_mov_b32_e32 v59, v0
	v_mov_b32_e32 v117, v0
	s_waitcnt vmcnt(0)
	ds_read2_b32 v[2:3], v1 offset0:6 offset1:7
	ds_read2_b32 v[4:5], v1 offset0:8 offset1:9
	;; [unrolled: 1-line block ×4, first 2 shown]
	s_waitcnt lgkmcnt(3)
	v_pk_fma_f32 v[36:37], v[0:1], v[2:3], v[194:195] op_sel_hi:[0,1,1] neg_lo:[1,0,0] neg_hi:[1,0,0]
	ds_read2_b32 v[2:3], v1 offset0:14 offset1:15
	s_waitcnt lgkmcnt(3)
	v_pk_fma_f32 v[50:51], v[0:1], v[4:5], v[10:11] op_sel_hi:[0,1,1] neg_lo:[1,0,0] neg_hi:[1,0,0]
	s_waitcnt lgkmcnt(2)
	v_pk_fma_f32 v[34:35], v[0:1], v[6:7], v[12:13] op_sel_hi:[0,1,1] neg_lo:[1,0,0] neg_hi:[1,0,0]
	;; [unrolled: 2-line block ×3, first 2 shown]
	ds_read2_b32 v[4:5], v1 offset0:16 offset1:17
	ds_read2_b32 v[6:7], v1 offset0:18 offset1:19
	;; [unrolled: 1-line block ×3, first 2 shown]
	s_waitcnt lgkmcnt(3)
	v_pk_fma_f32 v[68:69], v[0:1], v[2:3], v[16:17] op_sel_hi:[0,1,1] neg_lo:[1,0,0] neg_hi:[1,0,0]
	ds_read2_b32 v[2:3], v1 offset0:22 offset1:23
	ds_read2_b32 v[10:11], v1 offset0:24 offset1:25
	;; [unrolled: 1-line block ×3, first 2 shown]
	ds_read_b32 v1, v1 offset:112
	v_mov_b64_e32 v[136:137], v[54:55]
	v_mov_b64_e32 v[152:153], v[68:69]
	v_mov_b32_e32 v150, v136
	v_mov_b32_e32 v151, v137
	s_waitcnt lgkmcnt(0)
	v_pk_fma_f32 v[44:45], v[0:1], v[4:5], v[18:19] op_sel_hi:[0,1,1] neg_lo:[1,0,0] neg_hi:[1,0,0]
	v_pk_fma_f32 v[66:67], v[0:1], v[6:7], v[20:21] op_sel_hi:[0,1,1] neg_lo:[1,0,0] neg_hi:[1,0,0]
	;; [unrolled: 1-line block ×6, first 2 shown]
	scratch_load_dwordx4 v[2:5], off, s2    ; 16-byte Folded Reload
	scratch_load_dwordx4 v[6:9], off, s2 offset:16 ; 16-byte Folded Reload
	scratch_load_dwordx4 v[10:13], off, s2 offset:32 ; 16-byte Folded Reload
	;; [unrolled: 1-line block ×7, first 2 shown]
	s_waitcnt vmcnt(6)
	v_mov_b64_e32 v[8:9], v[36:37]
	v_mov_b32_e32 v7, v0
	s_movk_i32 s2, 0x10a0
	v_mov_b64_e32 v[188:189], v[136:137]
	v_mov_b32_e32 v116, v6
	v_mov_b64_e32 v[42:43], v[8:9]
	v_mov_b32_e32 v115, v5
	v_mov_b32_e32 v114, v4
	;; [unrolled: 1-line block ×4, first 2 shown]
	v_mov_b64_e32 v[40:41], v[6:7]
	v_mov_b64_e32 v[38:39], v[4:5]
	;; [unrolled: 1-line block ×3, first 2 shown]
	scratch_store_dwordx4 off, v[2:5], s2   ; 16-byte Folded Spill
	s_nop 0
	scratch_store_dwordx4 off, v[6:9], s2 offset:16 ; 16-byte Folded Spill
	s_waitcnt vmcnt(7)
	scratch_store_dwordx4 off, v[10:13], s2 offset:32 ; 16-byte Folded Spill
	s_waitcnt vmcnt(7)
	;; [unrolled: 2-line block ×6, first 2 shown]
	scratch_store_dwordx4 off, v[30:33], s2 offset:112 ; 16-byte Folded Spill
	v_mov_b64_e32 v[10:11], v[50:51]
	v_mov_b32_e32 v54, v112
	v_mov_b32_e32 v55, v113
	v_mov_b32_e32 v56, v114
	v_mov_b32_e32 v57, v115
	v_mov_b32_e32 v58, v116
	v_mov_b32_e32 v60, v42
	v_mov_b32_e32 v61, v43
	v_mov_b32_e32 v51, v0
	s_movk_i32 s2, 0x1120
	v_mov_b64_e32 v[96:97], v[10:11]
	v_mov_b64_e32 v[94:95], v[8:9]
	;; [unrolled: 1-line block ×5, first 2 shown]
	scratch_store_dwordx4 off, v[2:5], off offset:3864 ; 16-byte Folded Spill
	s_nop 0
	scratch_store_dwordx4 off, v[6:9], off offset:3880 ; 16-byte Folded Spill
	scratch_store_dwordx4 off, v[10:13], off offset:3896 ; 16-byte Folded Spill
	;; [unrolled: 1-line block ×7, first 2 shown]
	v_mov_b64_e32 v[12:13], v[34:35]
	v_mov_b32_e32 v62, v96
	v_mov_b32_e32 v63, v97
	v_mov_b64_e32 v[26:27], v[12:13]
	v_mov_b64_e32 v[24:25], v[10:11]
	;; [unrolled: 1-line block ×6, first 2 shown]
	scratch_store_dwordx4 off, v[2:5], off offset:3608 ; 16-byte Folded Spill
	s_nop 0
	scratch_store_dwordx4 off, v[6:9], off offset:3624 ; 16-byte Folded Spill
	scratch_store_dwordx4 off, v[10:13], off offset:3640 ; 16-byte Folded Spill
	;; [unrolled: 1-line block ×7, first 2 shown]
	v_mov_b32_e32 v14, v136
	v_mov_b32_e32 v15, v137
	scratch_store_dwordx4 off, v[2:5], off offset:2840 ; 16-byte Folded Spill
	s_nop 0
	scratch_store_dwordx4 off, v[6:9], off offset:2856 ; 16-byte Folded Spill
	scratch_store_dwordx4 off, v[10:13], off offset:2872 ; 16-byte Folded Spill
	;; [unrolled: 1-line block ×7, first 2 shown]
	v_mov_b32_e32 v14, v136
	v_mov_b32_e32 v16, v152
	;; [unrolled: 1-line block ×5, first 2 shown]
	v_mov_b64_e32 v[148:149], v[64:65]
	v_mov_b64_e32 v[146:147], v[62:63]
	;; [unrolled: 1-line block ×16, first 2 shown]
	scratch_store_dwordx4 off, v[2:5], off offset:2708 ; 16-byte Folded Spill
	s_nop 0
	scratch_store_dwordx4 off, v[6:9], off offset:2724 ; 16-byte Folded Spill
	scratch_store_dwordx4 off, v[10:13], off offset:2740 ; 16-byte Folded Spill
	;; [unrolled: 1-line block ×7, first 2 shown]
	v_mov_b32_e32 v16, v152
	v_mov_b32_e32 v17, v153
	v_mov_b64_e32 v[18:19], v[44:45]
	v_mov_b64_e32 v[224:225], v[152:153]
	;; [unrolled: 1-line block ×23, first 2 shown]
	scratch_store_dwordx4 off, v[2:5], off offset:2192 ; 16-byte Folded Spill
	s_nop 0
	scratch_store_dwordx4 off, v[6:9], off offset:2208 ; 16-byte Folded Spill
	scratch_store_dwordx4 off, v[10:13], off offset:2224 ; 16-byte Folded Spill
	;; [unrolled: 1-line block ×7, first 2 shown]
	v_mov_b64_e32 v[20:21], v[66:67]
	v_mov_b32_e32 v16, v224
	v_mov_b32_e32 v17, v225
	;; [unrolled: 1-line block ×6, first 2 shown]
	v_mov_b64_e32 v[208:209], v[20:21]
	v_mov_b64_e32 v[206:207], v[18:19]
	;; [unrolled: 1-line block ×10, first 2 shown]
	scratch_store_dwordx4 off, v[2:5], off offset:1936 ; 16-byte Folded Spill
	s_nop 0
	scratch_store_dwordx4 off, v[6:9], off offset:1952 ; 16-byte Folded Spill
	scratch_store_dwordx4 off, v[10:13], off offset:1968 ; 16-byte Folded Spill
	;; [unrolled: 1-line block ×7, first 2 shown]
	v_mov_b64_e32 v[22:23], v[48:49]
	v_mov_b32_e32 v16, v224
	v_mov_b32_e32 v17, v225
	;; [unrolled: 1-line block ×6, first 2 shown]
	v_mov_b64_e32 v[168:169], v[22:23]
	v_mov_b64_e32 v[166:167], v[20:21]
	;; [unrolled: 1-line block ×14, first 2 shown]
	scratch_store_dwordx4 off, v[2:5], off offset:1808 ; 16-byte Folded Spill
	s_nop 0
	scratch_store_dwordx4 off, v[6:9], off offset:1824 ; 16-byte Folded Spill
	scratch_store_dwordx4 off, v[10:13], off offset:1840 ; 16-byte Folded Spill
	;; [unrolled: 1-line block ×7, first 2 shown]
	v_mov_b64_e32 v[24:25], v[52:53]
	v_mov_b32_e32 v16, v224
	v_mov_b32_e32 v17, v225
	;; [unrolled: 1-line block ×8, first 2 shown]
	v_mov_b64_e32 v[146:147], v[24:25]
	v_mov_b64_e32 v[144:145], v[22:23]
	;; [unrolled: 1-line block ×12, first 2 shown]
	scratch_store_dwordx4 off, v[2:5], off offset:1552 ; 16-byte Folded Spill
	s_nop 0
	scratch_store_dwordx4 off, v[6:9], off offset:1568 ; 16-byte Folded Spill
	scratch_store_dwordx4 off, v[10:13], off offset:1584 ; 16-byte Folded Spill
	scratch_store_dwordx4 off, v[14:17], off offset:1600 ; 16-byte Folded Spill
	scratch_store_dwordx4 off, v[18:21], off offset:1616 ; 16-byte Folded Spill
	scratch_store_dwordx4 off, v[22:25], off offset:1632 ; 16-byte Folded Spill
	scratch_store_dwordx4 off, v[26:29], off offset:1648 ; 16-byte Folded Spill
	scratch_store_dwordx4 off, v[30:33], off offset:1664 ; 16-byte Folded Spill
	v_mov_b32_e32 v22, v168
	v_mov_b32_e32 v23, v169
	v_mov_b64_e32 v[168:169], v[162:163]
	v_mov_b64_e32 v[26:27], v[46:47]
	v_mov_b32_e32 v16, v224
	v_mov_b32_e32 v17, v225
	;; [unrolled: 1-line block ×6, first 2 shown]
	v_mov_b64_e32 v[166:167], v[160:161]
	v_mov_b64_e32 v[164:165], v[158:159]
	v_mov_b64_e32 v[162:163], v[156:157]
	v_mov_b64_e32 v[160:161], v[154:155]
	v_mov_b64_e32 v[158:159], v[152:153]
	v_mov_b64_e32 v[156:157], v[150:151]
	v_mov_b64_e32 v[154:155], v[148:149]
	v_mov_b32_e32 v24, v146
	v_mov_b32_e32 v25, v147
	v_mov_b64_e32 v[66:67], v[12:13]
	v_mov_b64_e32 v[64:65], v[10:11]
	;; [unrolled: 1-line block ×6, first 2 shown]
	scratch_store_dwordx4 off, v[2:5], off offset:272 ; 16-byte Folded Spill
	s_nop 0
	scratch_store_dwordx4 off, v[6:9], off offset:288 ; 16-byte Folded Spill
	scratch_store_dwordx4 off, v[10:13], off offset:304 ; 16-byte Folded Spill
	;; [unrolled: 1-line block ×8, first 2 shown]
	s_nop 0
	scratch_store_dwordx4 off, v[128:131], off offset:2336 ; 16-byte Folded Spill
	scratch_store_dwordx4 off, v[132:135], off offset:2352 ; 16-byte Folded Spill
	;; [unrolled: 1-line block ×7, first 2 shown]
	scratch_load_dwordx2 v[2:3], off, off offset:264 ; 8-byte Folded Reload
	v_mov_b32_e32 v12, v188
	v_mov_b32_e32 v13, v189
	scratch_store_dwordx4 off, v[176:179], off offset:2576 ; 16-byte Folded Spill
	s_nop 0
	scratch_store_dwordx4 off, v[180:183], off offset:2592 ; 16-byte Folded Spill
	scratch_store_dwordx4 off, v[184:187], off offset:2608 ; 16-byte Folded Spill
	;; [unrolled: 1-line block ×8, first 2 shown]
	s_nop 0
	scratch_store_dwordx4 off, v[214:217], off offset:2080 ; 16-byte Folded Spill
	scratch_store_dwordx4 off, v[218:221], off offset:2096 ; 16-byte Folded Spill
	;; [unrolled: 1-line block ×7, first 2 shown]
	v_mov_b32_e32 v18, v208
	v_mov_b32_e32 v19, v209
	v_mov_b64_e32 v[146:147], v[86:87]
	v_mov_b64_e32 v[138:139], v[96:97]
	v_mov_b32_e32 v16, v44
	v_mov_b32_e32 v17, v45
	scratch_store_dwordx4 off, v[28:31], off offset:1168 ; 16-byte Folded Spill
	s_nop 0
	scratch_store_dwordx4 off, v[32:35], off offset:1184 ; 16-byte Folded Spill
	scratch_store_dwordx4 off, v[36:39], off offset:1200 ; 16-byte Folded Spill
	;; [unrolled: 1-line block ×7, first 2 shown]
	v_mov_b32_e32 v6, v86
	v_mov_b32_e32 v7, v87
	v_mov_b64_e32 v[144:145], v[84:85]
	v_mov_b64_e32 v[142:143], v[82:83]
	;; [unrolled: 1-line block ×3, first 2 shown]
	v_mov_b32_e32 v8, v96
	v_mov_b32_e32 v9, v97
	v_mov_b64_e32 v[136:137], v[94:95]
	v_mov_b64_e32 v[134:135], v[92:93]
	v_mov_b64_e32 v[132:133], v[90:91]
	v_mov_b64_e32 v[130:131], v[88:89]
	v_mov_b32_e32 v14, v224
	v_mov_b32_e32 v15, v225
	v_mov_b64_e32 v[226:227], v[208:209]
	v_mov_b64_e32 v[224:225], v[206:207]
	;; [unrolled: 1-line block ×12, first 2 shown]
	v_mov_b32_e32 v20, v174
	v_mov_b32_e32 v21, v175
	v_mov_b64_e32 v[198:199], v[166:167]
	v_mov_b64_e32 v[196:197], v[164:165]
	;; [unrolled: 1-line block ×9, first 2 shown]
	scratch_load_dwordx4 v[80:83], off, off offset:2320 ; 16-byte Folded Reload
	scratch_load_dwordx4 v[84:87], off, off offset:2336 ; 16-byte Folded Reload
	;; [unrolled: 1-line block ×16, first 2 shown]
	s_waitcnt vmcnt(40)
	v_fma_f32 v152, -v0, v1, v3
	v_mov_b32_e32 v129, v0
	v_mov_b32_e32 v5, v0
	;; [unrolled: 1-line block ×14, first 2 shown]
	s_waitcnt vmcnt(0)
	v_mov_b64_e32 v[180:181], v[186:187]
	v_mov_b64_e32 v[182:183], v[188:189]
	;; [unrolled: 1-line block ×11, first 2 shown]
	v_mov_b32_e32 v124, v112
	v_mov_b32_e32 v125, v113
	;; [unrolled: 1-line block ×9, first 2 shown]
	scratch_store_dwordx4 off, v[0:3], off offset:1424 ; 16-byte Folded Spill
	s_nop 0
	scratch_store_dwordx4 off, v[4:7], off offset:1440 ; 16-byte Folded Spill
	scratch_store_dwordx4 off, v[8:11], off offset:1456 ; 16-byte Folded Spill
	;; [unrolled: 1-line block ×7, first 2 shown]
	scratch_store_dwordx4 off, v[140:143], s2 ; 16-byte Folded Spill
	s_nop 0
	scratch_store_dwordx4 off, v[144:147], s2 offset:16 ; 16-byte Folded Spill
	scratch_store_dwordx4 off, v[148:151], s2 offset:32 ; 16-byte Folded Spill
	;; [unrolled: 1-line block ×7, first 2 shown]
	v_mov_b32_e32 v68, v102
	v_mov_b32_e32 v69, v103
	;; [unrolled: 1-line block ×6, first 2 shown]
	scratch_store_dwordx4 off, v[130:133], off offset:3480 ; 16-byte Folded Spill
	s_nop 0
	scratch_store_dwordx4 off, v[134:137], off offset:3496 ; 16-byte Folded Spill
	scratch_store_dwordx4 off, v[138:141], off offset:3512 ; 16-byte Folded Spill
	;; [unrolled: 1-line block ×7, first 2 shown]
	scratch_load_dwordx4 v[0:3], off, off offset:2576 ; 16-byte Folded Reload
	scratch_load_dwordx4 v[4:7], off, off offset:2592 ; 16-byte Folded Reload
	;; [unrolled: 1-line block ×8, first 2 shown]
	v_mov_b32_e32 v54, v138
	v_mov_b32_e32 v55, v139
	v_mov_b64_e32 v[144:145], v[66:67]
	v_mov_b64_e32 v[142:143], v[64:65]
	;; [unrolled: 1-line block ×6, first 2 shown]
	s_waitcnt vmcnt(4)
	v_mov_b32_e32 v58, v12
	v_mov_b32_e32 v59, v13
	scratch_load_dwordx4 v[0:3], off, off offset:2064 ; 16-byte Folded Reload
	scratch_load_dwordx4 v[4:7], off, off offset:2080 ; 16-byte Folded Reload
	;; [unrolled: 1-line block ×8, first 2 shown]
	v_mov_b32_e32 v56, v144
	v_mov_b32_e32 v57, v145
	;; [unrolled: 1-line block ×6, first 2 shown]
	v_mov_b64_e32 v[204:205], v[208:209]
	v_mov_b64_e32 v[206:207], v[210:211]
	;; [unrolled: 1-line block ×8, first 2 shown]
	s_waitcnt vmcnt(4)
	v_mov_b32_e32 v60, v14
	v_mov_b32_e32 v61, v15
	scratch_load_dwordx4 v[0:3], off, off offset:1168 ; 16-byte Folded Reload
	scratch_load_dwordx4 v[4:7], off, off offset:1184 ; 16-byte Folded Reload
	;; [unrolled: 1-line block ×8, first 2 shown]
	s_waitcnt vmcnt(1)
	v_mov_b32_e32 v27, v152
	s_waitcnt vmcnt(0)
	v_mov_b64_e32 v[42:43], v[14:15]
	v_mov_b64_e32 v[44:45], v[16:17]
	v_mov_b32_e32 v62, v44
	v_mov_b32_e32 v63, v45
	scratch_store_dwordx4 off, v[46:49], off offset:912 ; 16-byte Folded Spill
	s_nop 0
	scratch_store_dwordx4 off, v[50:53], off offset:928 ; 16-byte Folded Spill
	scratch_store_dwordx4 off, v[54:57], off offset:944 ; 16-byte Folded Spill
	scratch_store_dwordx4 off, v[58:61], off offset:960 ; 16-byte Folded Spill
	scratch_store_dwordx4 off, v[62:65], off offset:976 ; 16-byte Folded Spill
	scratch_store_dwordx4 off, v[66:69], off offset:992 ; 16-byte Folded Spill
	scratch_store_dwordx4 off, v[70:73], off offset:1008 ; 16-byte Folded Spill
	scratch_store_dwordx4 off, v[74:77], off offset:1024 ; 16-byte Folded Spill
	v_mov_b64_e32 v[40:41], v[12:13]
	v_mov_b64_e32 v[38:39], v[10:11]
	;; [unrolled: 1-line block ×8, first 2 shown]
	scratch_load_dwordx4 v[46:49], off, s2  ; 16-byte Folded Reload
	scratch_load_dwordx4 v[50:53], off, s2 offset:16 ; 16-byte Folded Reload
	scratch_load_dwordx4 v[54:57], off, s2 offset:32 ; 16-byte Folded Reload
	;; [unrolled: 1-line block ×7, first 2 shown]
	v_mov_b64_e32 v[2:3], v[82:83]
	v_mov_b64_e32 v[4:5], v[84:85]
	v_mov_b64_e32 v[6:7], v[86:87]
	v_mov_b64_e32 v[8:9], v[88:89]
	v_mov_b64_e32 v[10:11], v[90:91]
	v_mov_b64_e32 v[12:13], v[92:93]
	v_mov_b64_e32 v[14:15], v[94:95]
	v_mov_b64_e32 v[16:17], v[96:97]
	scratch_load_dwordx4 v[54:57], off, off offset:3480 ; 16-byte Folded Reload
	scratch_load_dwordx4 v[58:61], off, off offset:3496 ; 16-byte Folded Reload
	;; [unrolled: 1-line block ×8, first 2 shown]
	v_mov_b64_e32 v[18:19], v[98:99]
	v_mov_b64_e32 v[20:21], v[100:101]
	;; [unrolled: 1-line block ×3, first 2 shown]
	scratch_load_dwordx4 v[66:69], off, off offset:2576 ; 16-byte Folded Reload
	scratch_load_dwordx4 v[70:73], off, off offset:2592 ; 16-byte Folded Reload
	;; [unrolled: 1-line block ×8, first 2 shown]
	s_movk_i32 s2, 0x1320
	v_mov_b32_e32 v146, v22
	v_mov_b32_e32 v147, v23
	s_waitcnt vmcnt(22)
	v_mov_b32_e32 v130, v52
	v_mov_b32_e32 v131, v53
	;; [unrolled: 1-line block ×3, first 2 shown]
	s_waitcnt vmcnt(13)
	v_mov_b32_e32 v132, v62
	v_mov_b32_e32 v133, v63
	v_mov_b64_e32 v[54:55], v[134:135]
	v_mov_b64_e32 v[56:57], v[136:137]
	;; [unrolled: 1-line block ×3, first 2 shown]
	s_waitcnt vmcnt(4)
	v_mov_b64_e32 v[150:151], v[78:79]
	scratch_load_dwordx4 v[66:69], off, off offset:2064 ; 16-byte Folded Reload
	scratch_load_dwordx4 v[70:73], off, off offset:2080 ; 16-byte Folded Reload
	scratch_load_dwordx4 v[74:77], off, off offset:2096 ; 16-byte Folded Reload
	scratch_load_dwordx4 v[78:81], off, off offset:2112 ; 16-byte Folded Reload
	scratch_load_dwordx4 v[82:85], off, off offset:2128 ; 16-byte Folded Reload
	scratch_load_dwordx4 v[86:89], off, off offset:2144 ; 16-byte Folded Reload
	scratch_load_dwordx4 v[90:93], off, off offset:2160 ; 16-byte Folded Reload
	scratch_load_dwordx4 v[94:97], off, off offset:2176 ; 16-byte Folded Reload
	v_mov_b64_e32 v[60:61], v[140:141]
	v_mov_b64_e32 v[62:63], v[142:143]
	v_mov_b64_e32 v[64:65], v[144:145]
	v_mov_b32_e32 v144, v200
	v_mov_b32_e32 v145, v201
	scratch_store_dwordx4 off, v[180:183], off offset:1040 ; 16-byte Folded Spill
	s_nop 0
	scratch_store_dwordx4 off, v[184:187], off offset:1056 ; 16-byte Folded Spill
	scratch_store_dwordx4 off, v[188:191], off offset:1072 ; 16-byte Folded Spill
	;; [unrolled: 1-line block ×7, first 2 shown]
	v_mov_b32_e32 v134, v64
	v_mov_b32_e32 v135, v65
	;; [unrolled: 1-line block ×8, first 2 shown]
	s_waitcnt vmcnt(12)
	v_mov_b32_e32 v138, v80
	v_mov_b32_e32 v139, v81
	scratch_load_dwordx4 v[66:69], off, off offset:272 ; 16-byte Folded Reload
	scratch_load_dwordx4 v[70:73], off, off offset:288 ; 16-byte Folded Reload
	;; [unrolled: 1-line block ×16, first 2 shown]
	s_nop 0
	scratch_store_dwordx4 off, v[112:115], s2 ; 16-byte Folded Spill
	s_nop 0
	scratch_store_dwordx4 off, v[116:119], s2 offset:16 ; 16-byte Folded Spill
	scratch_store_dwordx4 off, v[120:123], s2 offset:32 ; 16-byte Folded Spill
	;; [unrolled: 1-line block ×7, first 2 shown]
	s_waitcnt vmcnt(16)
	v_mov_b64_e32 v[104:105], v[90:91]
	v_mov_b64_e32 v[102:103], v[88:89]
	;; [unrolled: 1-line block ×6, first 2 shown]
	s_waitcnt vmcnt(9)
	v_mov_b32_e32 v26, v181
	v_mov_b64_e32 v[92:93], v[78:79]
	v_mov_b64_e32 v[90:91], v[76:77]
	;; [unrolled: 1-line block ×7, first 2 shown]
	scratch_store_dwordx2 off, v[26:27], off offset:264 ; 8-byte Folded Spill
	scratch_load_dwordx4 v[70:73], off, off offset:3480 ; 16-byte Folded Reload
	scratch_load_dwordx4 v[74:77], off, off offset:3496 ; 16-byte Folded Reload
	scratch_load_dwordx4 v[78:81], off, off offset:3512 ; 16-byte Folded Reload
	scratch_load_dwordx4 v[82:85], off, off offset:3528 ; 16-byte Folded Reload
	scratch_load_dwordx4 v[86:89], off, off offset:3544 ; 16-byte Folded Reload
	scratch_load_dwordx4 v[90:93], off, off offset:3560 ; 16-byte Folded Reload
	scratch_load_dwordx4 v[94:97], off, off offset:3576 ; 16-byte Folded Reload
	scratch_load_dwordx4 v[98:101], off, off offset:3592 ; 16-byte Folded Reload
	v_mov_b32_e32 v148, v104
	v_mov_b32_e32 v149, v105
	v_mov_b64_e32 v[202:203], v[180:181]
	v_mov_b32_e32 v150, v202
	v_mov_b32_e32 v151, v203
	v_mov_b64_e32 v[198:199], v[176:177]
	v_mov_b64_e32 v[200:201], v[178:179]
	;; [unrolled: 1-line block ×5, first 2 shown]
	v_mov_b32_e32 v68, v52
	s_waitcnt vmcnt(5)
	v_mov_b32_e32 v26, v78
	scratch_store_dwordx4 off, v[18:21], off offset:1296 ; 16-byte Folded Spill
	s_nop 0
	scratch_store_dwordx4 off, v[22:25], off offset:1312 ; 16-byte Folded Spill
	scratch_store_dwordx4 off, v[26:29], off offset:1328 ; 16-byte Folded Spill
	;; [unrolled: 1-line block ×7, first 2 shown]
	s_nop 1
	v_mov_b32_e32 v47, v79
	s_waitcnt vmcnt(12)
	v_mov_b64_e32 v[84:85], v[64:65]
	v_mov_b64_e32 v[82:83], v[62:63]
	;; [unrolled: 1-line block ×6, first 2 shown]
	v_mov_b32_e32 v24, v84
	scratch_store_dwordx4 off, v[14:17], off offset:656 ; 16-byte Folded Spill
	s_nop 0
	scratch_store_dwordx4 off, v[18:21], off offset:672 ; 16-byte Folded Spill
	scratch_store_dwordx4 off, v[22:25], off offset:688 ; 16-byte Folded Spill
	;; [unrolled: 1-line block ×8, first 2 shown]
	s_nop 0
	scratch_store_dwordx4 off, v[78:81], off offset:2984 ; 16-byte Folded Spill
	scratch_store_dwordx4 off, v[82:85], off offset:3000 ; 16-byte Folded Spill
	s_waitcnt vmcnt(22)
	scratch_store_dwordx4 off, v[86:89], off offset:3016 ; 16-byte Folded Spill
	s_waitcnt vmcnt(22)
	;; [unrolled: 2-line block ×4, first 2 shown]
	scratch_store_dwordx4 off, v[98:101], off offset:3064 ; 16-byte Folded Spill
	scratch_store_dwordx4 off, v[102:105], off offset:3080 ; 16-byte Folded Spill
	;; [unrolled: 1-line block ×3, first 2 shown]
	s_nop 0
	scratch_store_dwordx4 off, v[78:81], off offset:1696 ; 16-byte Folded Spill
	scratch_store_dwordx4 off, v[82:85], off offset:1712 ; 16-byte Folded Spill
	;; [unrolled: 1-line block ×7, first 2 shown]
	scratch_load_dwordx4 v[70:73], off, off offset:2576 ; 16-byte Folded Reload
	s_nop 0
	scratch_load_dwordx4 v[74:77], off, off offset:2592 ; 16-byte Folded Reload
	scratch_load_dwordx4 v[78:81], off, off offset:2608 ; 16-byte Folded Reload
	;; [unrolled: 1-line block ×15, first 2 shown]
	s_waitcnt vmcnt(2)
	v_mov_b64_e32 v[104:105], v[224:225]
	v_mov_b64_e32 v[106:107], v[226:227]
	v_mov_b32_e32 v74, v44
	v_mov_b32_e32 v73, v45
	v_mov_b64_e32 v[198:199], v[82:83]
	s_waitcnt vmcnt(0)
	v_mov_b64_e32 v[122:123], v[98:99]
	v_mov_b32_e32 v24, v122
	scratch_store_dwordx4 off, v[10:13], off offset:400 ; 16-byte Folded Spill
	s_nop 0
	scratch_store_dwordx4 off, v[14:17], off offset:416 ; 16-byte Folded Spill
	scratch_store_dwordx4 off, v[18:21], off offset:432 ; 16-byte Folded Spill
	;; [unrolled: 1-line block ×7, first 2 shown]
	v_mov_b64_e32 v[120:121], v[96:97]
	v_mov_b64_e32 v[118:119], v[94:95]
	;; [unrolled: 1-line block ×15, first 2 shown]
	v_mov_b32_e32 v26, v106
	scratch_store_dwordx4 off, v[8:11], off offset:528 ; 16-byte Folded Spill
	s_nop 0
	scratch_store_dwordx4 off, v[12:15], off offset:544 ; 16-byte Folded Spill
	scratch_store_dwordx4 off, v[16:19], off offset:560 ; 16-byte Folded Spill
	scratch_store_dwordx4 off, v[20:23], off offset:576 ; 16-byte Folded Spill
	scratch_store_dwordx4 off, v[24:27], off offset:592 ; 16-byte Folded Spill
	scratch_store_dwordx4 off, v[28:31], off offset:608 ; 16-byte Folded Spill
	scratch_store_dwordx4 off, v[32:35], off offset:624 ; 16-byte Folded Spill
	scratch_store_dwordx4 off, v[36:39], off offset:640 ; 16-byte Folded Spill
	scratch_store_dwordx4 off, v[88:91], off offset:784 ; 16-byte Folded Spill
	s_nop 0
	scratch_store_dwordx4 off, v[92:95], off offset:800 ; 16-byte Folded Spill
	scratch_store_dwordx4 off, v[96:99], off offset:816 ; 16-byte Folded Spill
	;; [unrolled: 1-line block ×7, first 2 shown]
	v_mov_b64_e32 v[214:215], v[150:151]
	v_mov_b64_e32 v[212:213], v[148:149]
	;; [unrolled: 1-line block ×6, first 2 shown]
	v_mov_b32_e32 v216, v152
	v_mov_b32_e32 v144, v170
	;; [unrolled: 1-line block ×3, first 2 shown]
	v_mov_b64_e32 v[202:203], v[138:139]
	v_mov_b32_e32 v145, v171
	v_mov_b32_e32 v146, v172
	;; [unrolled: 1-line block ×10, first 2 shown]
	v_mov_b64_e32 v[200:201], v[136:137]
	v_mov_b64_e32 v[198:199], v[134:135]
	;; [unrolled: 1-line block ×7, first 2 shown]
	v_mov_b32_e32 v170, v154
	v_mov_b32_e32 v35, v107
	scratch_load_dwordx4 v[88:91], off, off offset:1040 ; 16-byte Folded Reload
	scratch_load_dwordx4 v[92:95], off, off offset:1056 ; 16-byte Folded Reload
	;; [unrolled: 1-line block ×8, first 2 shown]
	s_waitcnt vmcnt(0)
	v_mov_b64_e32 v[116:117], v[22:23]
	v_mov_b64_e32 v[114:115], v[20:21]
	;; [unrolled: 1-line block ×4, first 2 shown]
	v_mov_b32_e32 v186, v116
	v_mov_b32_e32 v127, v117
	;; [unrolled: 1-line block ×4, first 2 shown]
	v_mov_b64_e32 v[108:109], v[14:15]
	v_mov_b64_e32 v[106:107], v[12:13]
	;; [unrolled: 1-line block ×8, first 2 shown]
	scratch_load_dwordx4 v[0:3], off, off offset:272 ; 16-byte Folded Reload
	scratch_load_dwordx4 v[4:7], off, off offset:288 ; 16-byte Folded Reload
	;; [unrolled: 1-line block ×8, first 2 shown]
	s_waitcnt vmcnt(1)
	v_mov_b64_e32 v[184:185], v[24:25]
	v_mov_b32_e32 v222, v184
	v_mov_b64_e32 v[182:183], v[22:23]
	v_mov_b64_e32 v[180:181], v[20:21]
	;; [unrolled: 1-line block ×4, first 2 shown]
.LBB56_100:
	s_or_b64 exec, exec, s[0:1]
	s_barrier
	scratch_load_dword v27, off, off offset:132 ; 4-byte Folded Reload
	scratch_load_dword v26, off, off offset:4 ; 4-byte Folded Reload
	s_cmp_lt_i32 s14, 8
	s_waitcnt vmcnt(0)
	v_lshl_add_u32 v26, v26, 2, v27
	ds_write_b32 v26, v68
	s_waitcnt lgkmcnt(0)
	s_barrier
	ds_read_b32 v28, v27 offset:24
	v_mov_b32_e32 v26, 6
	s_cbranch_scc1 .LBB56_495
; %bb.101:
	scratch_load_dword v26, off, off offset:2836 ; 4-byte Folded Reload
	s_mov_b32 s0, 7
	v_mov_b32_e32 v33, v35
	v_mov_b32_e32 v32, v74
	;; [unrolled: 1-line block ×4, first 2 shown]
	s_waitcnt vmcnt(0)
	v_add3_u32 v27, v26, 0, 28
	v_mov_b32_e32 v26, 6
.LBB56_102:                             ; =>This Inner Loop Header: Depth=1
	ds_read_b32 v29, v27
	v_add_u32_e32 v27, 4, v27
	s_waitcnt lgkmcnt(0)
	v_cmp_lt_f32_e64 vcc, |v28|, |v29|
	s_nop 1
	v_cndmask_b32_e32 v28, v28, v29, vcc
	v_mov_b32_e32 v29, s0
	s_add_i32 s0, s0, 1
	v_cndmask_b32_e32 v26, v26, v29, vcc
	s_cmp_lg_u32 s14, s0
	s_cbranch_scc1 .LBB56_102
; %bb.103:
	v_cmp_eq_f32_e32 vcc, 0, v28
	s_and_saveexec_b64 s[0:1], vcc
	s_xor_b64 s[0:1], exec, s[0:1]
	s_cbranch_execz .LBB56_105
.LBB56_104:
	scratch_load_dword v27, off, off offset:136 ; 4-byte Folded Reload
	s_waitcnt vmcnt(0)
	v_cmp_ne_u32_e32 vcc, 0, v27
	s_nop 1
	v_cndmask_b32_e32 v27, 7, v27, vcc
	scratch_store_dword off, v27, off offset:136 ; 4-byte Folded Spill
.LBB56_105:
	s_andn2_saveexec_b64 s[0:1], s[0:1]
	s_cbranch_execz .LBB56_107
; %bb.106:
	v_div_scale_f32 v27, s[2:3], v28, v28, 1.0
	v_rcp_f32_e32 v29, v27
	v_div_scale_f32 v30, vcc, 1.0, v28, 1.0
	v_fma_f32 v31, -v27, v29, 1.0
	v_fmac_f32_e32 v29, v31, v29
	v_mul_f32_e32 v31, v30, v29
	v_fma_f32 v57, -v27, v31, v30
	v_fmac_f32_e32 v31, v57, v29
	v_fma_f32 v27, -v27, v31, v30
	v_div_fmas_f32 v27, v27, v29, v31
	v_div_fixup_f32 v28, v27, v28, 1.0
.LBB56_107:
	s_or_b64 exec, exec, s[0:1]
	scratch_load_dword v27, off, off offset:4 ; 4-byte Folded Reload
	s_waitcnt vmcnt(0)
	v_cmp_ne_u32_e32 vcc, v27, v26
	s_and_saveexec_b64 s[0:1], vcc
	s_xor_b64 s[0:1], exec, s[0:1]
	s_cbranch_execz .LBB56_113
; %bb.108:
	scratch_load_dword v27, off, off offset:4 ; 4-byte Folded Reload
	s_waitcnt vmcnt(0)
	v_cmp_eq_u32_e32 vcc, 6, v27
	s_and_saveexec_b64 s[2:3], vcc
	s_cbranch_execz .LBB56_112
; %bb.109:
	v_cmp_ne_u32_e32 vcc, 6, v26
	s_xor_b64 s[18:19], s[16:17], -1
	s_and_b64 s[20:21], s[18:19], vcc
	s_and_saveexec_b64 s[18:19], s[20:21]
	s_cbranch_execz .LBB56_111
; %bb.110:
	s_movk_i32 s20, 0x1098
	scratch_load_dwordx2 v[58:59], off, s20 ; 8-byte Folded Reload
	v_ashrrev_i32_e32 v27, 31, v26
	s_waitcnt vmcnt(0)
	v_lshl_add_u64 v[30:31], v[26:27], 2, v[58:59]
	global_load_dword v27, v[30:31], off
	global_load_dword v29, v[58:59], off offset:24
	s_waitcnt vmcnt(1)
	global_store_dword v[58:59], v27, off offset:24
	s_waitcnt vmcnt(1)
	global_store_dword v[30:31], v29, off
.LBB56_111:
	s_or_b64 exec, exec, s[18:19]
	v_mov_b32_e32 v27, v26
	scratch_store_dword off, v27, off offset:2704 ; 4-byte Folded Spill
	scratch_store_dword off, v26, off offset:4 ; 4-byte Folded Spill
.LBB56_112:
	s_or_b64 exec, exec, s[2:3]
.LBB56_113:
	s_andn2_saveexec_b64 s[0:1], s[0:1]
	s_cbranch_execz .LBB56_115
; %bb.114:
	scratch_load_dword v26, off, off offset:132 ; 4-byte Folded Reload
	s_waitcnt vmcnt(0)
	ds_write2_b32 v26, v195, v196 offset0:7 offset1:8
	ds_write2_b32 v26, v197, v198 offset0:9 offset1:10
	;; [unrolled: 1-line block ×11, first 2 shown]
	v_mov_b32_e32 v26, 6
	scratch_store_dword off, v26, off offset:4 ; 4-byte Folded Spill
.LBB56_115:
	s_or_b64 exec, exec, s[0:1]
	s_waitcnt lgkmcnt(0)
	s_barrier
	scratch_load_dword v26, off, off offset:4 ; 4-byte Folded Reload
	s_waitcnt vmcnt(0)
	v_cmp_lt_i32_e32 vcc, 6, v26
	s_and_saveexec_b64 s[0:1], vcc
	s_cbranch_execz .LBB56_117
; %bb.116:
	s_movk_i32 s2, 0x1320
	scratch_load_dwordx4 v[36:39], off, s2  ; 16-byte Folded Reload
	scratch_load_dwordx4 v[40:43], off, s2 offset:16 ; 16-byte Folded Reload
	scratch_load_dwordx4 v[44:47], off, s2 offset:32 ; 16-byte Folded Reload
	scratch_load_dwordx4 v[48:51], off, s2 offset:48 ; 16-byte Folded Reload
	scratch_load_dwordx4 v[52:55], off, s2 offset:64 ; 16-byte Folded Reload
	scratch_load_dwordx4 v[56:59], off, s2 offset:80 ; 16-byte Folded Reload
	scratch_load_dwordx4 v[60:63], off, s2 offset:96 ; 16-byte Folded Reload
	scratch_load_dwordx4 v[64:67], off, s2 offset:112 ; 16-byte Folded Reload
	scratch_load_dword v10, off, off offset:132 ; 4-byte Folded Reload
	s_waitcnt vmcnt(7)
	v_mul_f32_e32 v42, v68, v28
	v_mov_b32_e32 v2, v195
	v_mov_b32_e32 v3, v196
	;; [unrolled: 1-line block ×4, first 2 shown]
	s_movk_i32 s2, 0x10a0
	v_mov_b32_e32 v100, v42
	v_mov_b32_e32 v194, v42
	;; [unrolled: 1-line block ×10, first 2 shown]
	s_waitcnt vmcnt(0)
	ds_read2_b32 v[0:1], v10 offset0:7 offset1:8
	ds_read2_b32 v[4:5], v10 offset0:9 offset1:10
	;; [unrolled: 1-line block ×4, first 2 shown]
	v_mov_b32_e32 v120, v38
	v_mov_b32_e32 v121, v39
	;; [unrolled: 1-line block ×3, first 2 shown]
	s_waitcnt lgkmcnt(3)
	v_pk_fma_f32 v[26:27], v[42:43], v[0:1], v[2:3] op_sel_hi:[0,1,1] neg_lo:[1,0,0] neg_hi:[1,0,0]
	v_mov_b32_e32 v0, v197
	v_mov_b32_e32 v1, v198
	s_waitcnt lgkmcnt(2)
	v_pk_fma_f32 v[28:29], v[42:43], v[4:5], v[0:1] op_sel_hi:[0,1,1] neg_lo:[1,0,0] neg_hi:[1,0,0]
	v_mov_b32_e32 v0, v199
	v_mov_b32_e32 v1, v200
	;; [unrolled: 4-line block ×3, first 2 shown]
	s_waitcnt lgkmcnt(0)
	v_pk_fma_f32 v[58:59], v[42:43], v[8:9], v[0:1] op_sel_hi:[0,1,1] neg_lo:[1,0,0] neg_hi:[1,0,0]
	ds_read2_b32 v[0:1], v10 offset0:15 offset1:16
	ds_read2_b32 v[4:5], v10 offset0:17 offset1:18
	;; [unrolled: 1-line block ×4, first 2 shown]
	v_mov_b32_e32 v2, v203
	v_mov_b32_e32 v3, v204
	;; [unrolled: 1-line block ×3, first 2 shown]
	s_waitcnt lgkmcnt(3)
	v_pk_fma_f32 v[60:61], v[42:43], v[0:1], v[2:3] op_sel_hi:[0,1,1] neg_lo:[1,0,0] neg_hi:[1,0,0]
	v_mov_b32_e32 v0, v205
	v_mov_b32_e32 v1, v206
	s_waitcnt lgkmcnt(2)
	v_pk_fma_f32 v[62:63], v[42:43], v[4:5], v[0:1] op_sel_hi:[0,1,1] neg_lo:[1,0,0] neg_hi:[1,0,0]
	v_mov_b32_e32 v0, v207
	v_mov_b32_e32 v1, v208
	s_waitcnt lgkmcnt(1)
	v_pk_fma_f32 v[88:89], v[42:43], v[6:7], v[0:1] op_sel_hi:[0,1,1] neg_lo:[1,0,0] neg_hi:[1,0,0]
	v_mov_b32_e32 v0, v209
	v_mov_b32_e32 v1, v210
	s_waitcnt lgkmcnt(0)
	v_pk_fma_f32 v[90:91], v[42:43], v[8:9], v[0:1] op_sel_hi:[0,1,1] neg_lo:[1,0,0] neg_hi:[1,0,0]
	ds_read2_b32 v[0:1], v10 offset0:23 offset1:24
	ds_read2_b32 v[4:5], v10 offset0:25 offset1:26
	;; [unrolled: 1-line block ×3, first 2 shown]
	v_mov_b32_e32 v2, v211
	v_mov_b32_e32 v3, v212
	;; [unrolled: 1-line block ×3, first 2 shown]
	s_waitcnt lgkmcnt(2)
	v_pk_fma_f32 v[92:93], v[42:43], v[0:1], v[2:3] op_sel_hi:[0,1,1] neg_lo:[1,0,0] neg_hi:[1,0,0]
	v_mov_b32_e32 v0, v213
	v_mov_b32_e32 v1, v214
	s_waitcnt lgkmcnt(1)
	v_pk_fma_f32 v[34:35], v[42:43], v[4:5], v[0:1] op_sel_hi:[0,1,1] neg_lo:[1,0,0] neg_hi:[1,0,0]
	v_mov_b32_e32 v0, v215
	v_mov_b32_e32 v1, v216
	s_waitcnt lgkmcnt(0)
	v_pk_fma_f32 v[32:33], v[42:43], v[6:7], v[0:1] op_sel_hi:[0,1,1] neg_lo:[1,0,0] neg_hi:[1,0,0]
	v_mov_b32_e32 v0, v36
	v_mov_b32_e32 v1, v37
	v_mov_b32_e32 v2, v38
	v_mov_b32_e32 v3, v39
	;; [unrolled: 1-line block ×7, first 2 shown]
	scratch_store_dwordx4 off, v[0:3], off offset:3480 ; 16-byte Folded Spill
	s_nop 0
	scratch_store_dwordx4 off, v[4:7], off offset:3496 ; 16-byte Folded Spill
	scratch_store_dwordx4 off, v[8:11], off offset:3512 ; 16-byte Folded Spill
	;; [unrolled: 1-line block ×7, first 2 shown]
	v_mov_b32_e32 v174, v59
	v_mov_b32_e32 v175, v60
	;; [unrolled: 1-line block ×62, first 2 shown]
	scratch_store_dwordx4 off, v[0:3], off offset:3864 ; 16-byte Folded Spill
	s_nop 0
	scratch_store_dwordx4 off, v[4:7], off offset:3880 ; 16-byte Folded Spill
	scratch_store_dwordx4 off, v[8:11], off offset:3896 ; 16-byte Folded Spill
	scratch_store_dwordx4 off, v[12:15], off offset:3912 ; 16-byte Folded Spill
	scratch_store_dwordx4 off, v[16:19], off offset:3928 ; 16-byte Folded Spill
	scratch_store_dwordx4 off, v[20:23], off offset:3944 ; 16-byte Folded Spill
	scratch_store_dwordx4 off, v[24:27], off offset:3960 ; 16-byte Folded Spill
	scratch_store_dwordx4 off, v[28:31], off offset:3976 ; 16-byte Folded Spill
	v_mov_b32_e32 v10, v29
	scratch_store_dwordx4 off, v[0:3], off offset:2968 ; 16-byte Folded Spill
	s_nop 0
	scratch_store_dwordx4 off, v[4:7], off offset:2984 ; 16-byte Folded Spill
	scratch_store_dwordx4 off, v[8:11], off offset:3000 ; 16-byte Folded Spill
	scratch_store_dwordx4 off, v[12:15], off offset:3016 ; 16-byte Folded Spill
	scratch_store_dwordx4 off, v[16:19], off offset:3032 ; 16-byte Folded Spill
	scratch_store_dwordx4 off, v[20:23], off offset:3048 ; 16-byte Folded Spill
	scratch_store_dwordx4 off, v[24:27], off offset:3064 ; 16-byte Folded Spill
	scratch_store_dwordx4 off, v[28:31], off offset:3080 ; 16-byte Folded Spill
	v_mov_b32_e32 v11, v30
	;; [unrolled: 10-line block ×13, first 2 shown]
	v_mov_b32_e32 v23, v92
	v_mov_b32_e32 v101, v26
	;; [unrolled: 1-line block ×7, first 2 shown]
	scratch_store_dwordx4 off, v[0:3], off offset:1552 ; 16-byte Folded Spill
	s_nop 0
	scratch_store_dwordx4 off, v[4:7], off offset:1568 ; 16-byte Folded Spill
	scratch_store_dwordx4 off, v[8:11], off offset:1584 ; 16-byte Folded Spill
	;; [unrolled: 1-line block ×7, first 2 shown]
	v_mov_b32_e32 v167, v26
	v_mov_b32_e32 v168, v27
	;; [unrolled: 1-line block ×8, first 2 shown]
	scratch_store_dwordx4 off, v[160:163], off offset:272 ; 16-byte Folded Spill
	s_nop 0
	scratch_store_dwordx4 off, v[164:167], off offset:288 ; 16-byte Folded Spill
	scratch_store_dwordx4 off, v[168:171], off offset:304 ; 16-byte Folded Spill
	;; [unrolled: 1-line block ×8, first 2 shown]
	s_nop 0
	scratch_store_dwordx4 off, v[4:7], off offset:1440 ; 16-byte Folded Spill
	scratch_store_dwordx4 off, v[8:11], off offset:1456 ; 16-byte Folded Spill
	;; [unrolled: 1-line block ×7, first 2 shown]
	v_mov_b32_e32 v188, v36
	v_mov_b32_e32 v189, v37
	;; [unrolled: 1-line block ×11, first 2 shown]
	scratch_store_dwordx4 off, v[118:121], off offset:912 ; 16-byte Folded Spill
	s_nop 0
	scratch_store_dwordx4 off, v[122:125], off offset:928 ; 16-byte Folded Spill
	scratch_store_dwordx4 off, v[126:129], off offset:944 ; 16-byte Folded Spill
	;; [unrolled: 1-line block ×7, first 2 shown]
	scratch_store_dwordx2 off, v[32:33], off offset:264 ; 8-byte Folded Spill
	scratch_store_dwordx4 off, v[36:39], s2 ; 16-byte Folded Spill
	s_nop 0
	scratch_store_dwordx4 off, v[40:43], s2 offset:16 ; 16-byte Folded Spill
	scratch_store_dwordx4 off, v[44:47], s2 offset:32 ; 16-byte Folded Spill
	;; [unrolled: 1-line block ×7, first 2 shown]
	s_movk_i32 s2, 0x1120
	v_mov_b32_e32 v195, v26
	v_mov_b32_e32 v196, v27
	;; [unrolled: 1-line block ×9, first 2 shown]
	scratch_store_dwordx4 off, v[36:39], s2 ; 16-byte Folded Spill
	s_nop 0
	scratch_store_dwordx4 off, v[40:43], s2 offset:16 ; 16-byte Folded Spill
	scratch_store_dwordx4 off, v[44:47], s2 offset:32 ; 16-byte Folded Spill
	;; [unrolled: 1-line block ×7, first 2 shown]
	v_mov_b32_e32 v39, v26
	v_mov_b32_e32 v26, v27
	scratch_store_dwordx4 off, v[18:21], off offset:1296 ; 16-byte Folded Spill
	s_nop 0
	scratch_store_dwordx4 off, v[22:25], off offset:1312 ; 16-byte Folded Spill
	scratch_store_dwordx4 off, v[26:29], off offset:1328 ; 16-byte Folded Spill
	;; [unrolled: 1-line block ×7, first 2 shown]
	v_mov_b32_e32 v32, v61
	v_mov_b32_e32 v75, v58
	;; [unrolled: 1-line block ×5, first 2 shown]
	scratch_store_dwordx4 off, v[0:3], off offset:656 ; 16-byte Folded Spill
	s_nop 0
	scratch_store_dwordx4 off, v[4:7], off offset:672 ; 16-byte Folded Spill
	scratch_store_dwordx4 off, v[8:11], off offset:688 ; 16-byte Folded Spill
	;; [unrolled: 1-line block ×8, first 2 shown]
	s_nop 0
	scratch_store_dwordx4 off, v[4:7], off offset:1696 ; 16-byte Folded Spill
	scratch_store_dwordx4 off, v[8:11], off offset:1712 ; 16-byte Folded Spill
	;; [unrolled: 1-line block ×7, first 2 shown]
	v_mov_b32_e32 v82, v31
	scratch_store_dwordx4 off, v[0:3], off offset:400 ; 16-byte Folded Spill
	s_nop 0
	scratch_store_dwordx4 off, v[4:7], off offset:416 ; 16-byte Folded Spill
	scratch_store_dwordx4 off, v[8:11], off offset:432 ; 16-byte Folded Spill
	;; [unrolled: 1-line block ×7, first 2 shown]
	s_nop 0
	v_mov_b32_e32 v26, v63
	scratch_store_dwordx4 off, v[8:11], off offset:528 ; 16-byte Folded Spill
	s_nop 0
	scratch_store_dwordx4 off, v[12:15], off offset:544 ; 16-byte Folded Spill
	scratch_store_dwordx4 off, v[16:19], off offset:560 ; 16-byte Folded Spill
	;; [unrolled: 1-line block ×7, first 2 shown]
	s_nop 0
	v_mov_b32_e32 v33, v88
	v_mov_b32_e32 v185, v34
	;; [unrolled: 1-line block ×3, first 2 shown]
.LBB56_117:
	s_or_b64 exec, exec, s[0:1]
	s_waitcnt vmcnt(63) expcnt(7) lgkmcnt(15)
	s_barrier
	scratch_load_dword v27, off, off offset:132 ; 4-byte Folded Reload
	scratch_load_dword v26, off, off offset:4 ; 4-byte Folded Reload
	s_cmp_lt_i32 s14, 9
	s_waitcnt vmcnt(0)
	v_lshl_add_u32 v26, v26, 2, v27
	ds_write_b32 v26, v39
	s_waitcnt lgkmcnt(0)
	s_barrier
	ds_read_b32 v28, v27 offset:28
	v_mov_b32_e32 v26, 7
	s_cbranch_scc1 .LBB56_120
; %bb.118:
	scratch_load_dword v26, off, off offset:2836 ; 4-byte Folded Reload
	s_mov_b32 s0, 8
	s_waitcnt vmcnt(0)
	v_add3_u32 v27, v26, 0, 32
	v_mov_b32_e32 v26, 7
.LBB56_119:                             ; =>This Inner Loop Header: Depth=1
	ds_read_b32 v29, v27
	v_add_u32_e32 v27, 4, v27
	s_waitcnt lgkmcnt(0)
	v_cmp_lt_f32_e64 vcc, |v28|, |v29|
	s_nop 1
	v_cndmask_b32_e32 v28, v28, v29, vcc
	v_mov_b32_e32 v29, s0
	s_add_i32 s0, s0, 1
	v_cndmask_b32_e32 v26, v26, v29, vcc
	s_cmp_lg_u32 s14, s0
	s_cbranch_scc1 .LBB56_119
.LBB56_120:
	s_waitcnt lgkmcnt(0)
	v_cmp_eq_f32_e32 vcc, 0, v28
	s_and_saveexec_b64 s[0:1], vcc
	s_xor_b64 s[0:1], exec, s[0:1]
	s_cbranch_execz .LBB56_122
; %bb.121:
	scratch_load_dword v27, off, off offset:136 ; 4-byte Folded Reload
	s_waitcnt vmcnt(0)
	v_cmp_ne_u32_e32 vcc, 0, v27
	s_nop 1
	v_cndmask_b32_e32 v27, 8, v27, vcc
	scratch_store_dword off, v27, off offset:136 ; 4-byte Folded Spill
.LBB56_122:
	s_andn2_saveexec_b64 s[0:1], s[0:1]
	s_cbranch_execz .LBB56_124
; %bb.123:
	v_div_scale_f32 v27, s[2:3], v28, v28, 1.0
	v_rcp_f32_e32 v29, v27
	v_div_scale_f32 v30, vcc, 1.0, v28, 1.0
	v_fma_f32 v31, -v27, v29, 1.0
	v_fmac_f32_e32 v29, v31, v29
	v_mul_f32_e32 v31, v30, v29
	v_fma_f32 v57, -v27, v31, v30
	v_fmac_f32_e32 v31, v57, v29
	v_fma_f32 v27, -v27, v31, v30
	v_div_fmas_f32 v27, v27, v29, v31
	v_div_fixup_f32 v28, v27, v28, 1.0
.LBB56_124:
	s_or_b64 exec, exec, s[0:1]
	scratch_load_dword v27, off, off offset:4 ; 4-byte Folded Reload
	s_waitcnt vmcnt(0)
	v_cmp_ne_u32_e32 vcc, v27, v26
	s_and_saveexec_b64 s[0:1], vcc
	s_xor_b64 s[0:1], exec, s[0:1]
	s_cbranch_execz .LBB56_130
; %bb.125:
	scratch_load_dword v27, off, off offset:4 ; 4-byte Folded Reload
	s_waitcnt vmcnt(0)
	v_cmp_eq_u32_e32 vcc, 7, v27
	s_and_saveexec_b64 s[2:3], vcc
	s_cbranch_execz .LBB56_129
; %bb.126:
	v_cmp_ne_u32_e32 vcc, 7, v26
	s_xor_b64 s[18:19], s[16:17], -1
	s_and_b64 s[20:21], s[18:19], vcc
	s_and_saveexec_b64 s[18:19], s[20:21]
	s_cbranch_execz .LBB56_128
; %bb.127:
	s_movk_i32 s20, 0x1098
	scratch_load_dwordx2 v[58:59], off, s20 ; 8-byte Folded Reload
	v_ashrrev_i32_e32 v27, 31, v26
	s_waitcnt vmcnt(0)
	v_lshl_add_u64 v[30:31], v[26:27], 2, v[58:59]
	global_load_dword v27, v[30:31], off
	global_load_dword v29, v[58:59], off offset:28
	s_waitcnt vmcnt(1)
	global_store_dword v[58:59], v27, off offset:28
	s_waitcnt vmcnt(1)
	global_store_dword v[30:31], v29, off
.LBB56_128:
	s_or_b64 exec, exec, s[18:19]
	v_mov_b32_e32 v27, v26
	scratch_store_dword off, v27, off offset:2704 ; 4-byte Folded Spill
	scratch_store_dword off, v26, off offset:4 ; 4-byte Folded Spill
.LBB56_129:
	s_or_b64 exec, exec, s[2:3]
.LBB56_130:
	s_or_saveexec_b64 s[0:1], s[0:1]
	v_mov_b32_e32 v153, v37
	v_mov_b32_e32 v74, v32
	s_xor_b64 exec, exec, s[0:1]
	s_cbranch_execz .LBB56_132
; %bb.131:
	scratch_load_dword v29, off, off offset:132 ; 4-byte Folded Reload
	s_waitcnt vmcnt(0)
	ds_write2_b32 v29, v196, v197 offset0:8 offset1:9
	ds_write2_b32 v29, v198, v199 offset0:10 offset1:11
	;; [unrolled: 1-line block ×10, first 2 shown]
	scratch_load_dwordx2 v[26:27], off, off offset:264 ; 8-byte Folded Reload
	s_waitcnt vmcnt(0)
	v_mov_b32_e32 v26, 7
	scratch_store_dword off, v26, off offset:4 ; 4-byte Folded Spill
	ds_write_b32 v29, v27 offset:112
.LBB56_132:
	s_or_b64 exec, exec, s[0:1]
	s_waitcnt lgkmcnt(0)
	s_barrier
	scratch_load_dword v26, off, off offset:4 ; 4-byte Folded Reload
	s_waitcnt vmcnt(0)
	v_cmp_lt_i32_e32 vcc, 7, v26
	s_and_saveexec_b64 s[0:1], vcc
	s_cbranch_execz .LBB56_134
; %bb.133:
	scratch_load_dword v1, off, off offset:132 ; 4-byte Folded Reload
	v_mul_f32_e32 v0, v39, v28
	v_mov_b64_e32 v[10:11], v[196:197]
	v_mov_b64_e32 v[12:13], v[198:199]
	;; [unrolled: 1-line block ×5, first 2 shown]
	s_movk_i32 s2, 0x1120
	v_mov_b64_e32 v[20:21], v[206:207]
	v_mov_b64_e32 v[22:23], v[208:209]
	;; [unrolled: 1-line block ×5, first 2 shown]
	v_mov_b32_e32 v93, v0
	v_mov_b32_e32 v217, v0
	s_waitcnt vmcnt(0)
	ds_read2_b32 v[2:3], v1 offset0:8 offset1:9
	ds_read2_b32 v[4:5], v1 offset0:10 offset1:11
	;; [unrolled: 1-line block ×4, first 2 shown]
	s_waitcnt lgkmcnt(3)
	v_pk_fma_f32 v[30:31], v[0:1], v[2:3], v[10:11] op_sel_hi:[0,1,1] neg_lo:[1,0,0] neg_hi:[1,0,0]
	ds_read2_b32 v[2:3], v1 offset0:16 offset1:17
	s_waitcnt lgkmcnt(3)
	v_pk_fma_f32 v[12:13], v[0:1], v[4:5], v[12:13] op_sel_hi:[0,1,1] neg_lo:[1,0,0] neg_hi:[1,0,0]
	s_waitcnt lgkmcnt(2)
	v_pk_fma_f32 v[222:223], v[0:1], v[6:7], v[14:15] op_sel_hi:[0,1,1] neg_lo:[1,0,0] neg_hi:[1,0,0]
	;; [unrolled: 2-line block ×3, first 2 shown]
	ds_read2_b32 v[4:5], v1 offset0:18 offset1:19
	ds_read2_b32 v[6:7], v1 offset0:20 offset1:21
	;; [unrolled: 1-line block ×3, first 2 shown]
	s_waitcnt lgkmcnt(3)
	v_pk_fma_f32 v[18:19], v[0:1], v[2:3], v[18:19] op_sel_hi:[0,1,1] neg_lo:[1,0,0] neg_hi:[1,0,0]
	ds_read2_b32 v[2:3], v1 offset0:24 offset1:25
	ds_read2_b32 v[10:11], v1 offset0:26 offset1:27
	ds_read_b32 v1, v1 offset:112
	scratch_load_dwordx4 v[174:177], off, s2 ; 16-byte Folded Reload
	scratch_load_dwordx4 v[178:181], off, s2 offset:16 ; 16-byte Folded Reload
	scratch_load_dwordx4 v[182:185], off, s2 offset:32 ; 16-byte Folded Reload
	;; [unrolled: 1-line block ×7, first 2 shown]
	v_mov_b32_e32 v98, v222
	v_mov_b32_e32 v99, v223
	s_waitcnt vmcnt(6)
	v_mov_b32_e32 v181, v0
	s_waitcnt lgkmcnt(0)
	v_pk_fma_f32 v[138:139], v[0:1], v[10:11], v[28:29] op_sel_hi:[0,1,1] neg_lo:[1,0,0] neg_hi:[1,0,0]
	v_mov_b64_e32 v[10:11], v[30:31]
	v_pk_fma_f32 v[20:21], v[0:1], v[4:5], v[20:21] op_sel_hi:[0,1,1] neg_lo:[1,0,0] neg_hi:[1,0,0]
	v_pk_fma_f32 v[22:23], v[0:1], v[6:7], v[22:23] op_sel_hi:[0,1,1] neg_lo:[1,0,0] neg_hi:[1,0,0]
	v_pk_fma_f32 v[108:109], v[0:1], v[8:9], v[24:25] op_sel_hi:[0,1,1] neg_lo:[1,0,0] neg_hi:[1,0,0]
	v_pk_fma_f32 v[26:27], v[0:1], v[2:3], v[26:27] op_sel_hi:[0,1,1] neg_lo:[1,0,0] neg_hi:[1,0,0]
	v_mov_b32_e32 v9, v0
	s_movk_i32 s2, 0x10a0
	v_mov_b32_e32 v2, v174
	v_mov_b32_e32 v3, v175
	;; [unrolled: 1-line block ×7, first 2 shown]
	v_mov_b64_e32 v[48:49], v[10:11]
	v_mov_b64_e32 v[46:47], v[8:9]
	;; [unrolled: 1-line block ×5, first 2 shown]
	scratch_store_dwordx4 off, v[2:5], off offset:3864 ; 16-byte Folded Spill
	s_nop 0
	scratch_store_dwordx4 off, v[6:9], off offset:3880 ; 16-byte Folded Spill
	scratch_store_dwordx4 off, v[10:13], off offset:3896 ; 16-byte Folded Spill
	;; [unrolled: 1-line block ×7, first 2 shown]
	v_mov_b32_e32 v218, v48
	v_mov_b32_e32 v219, v49
	;; [unrolled: 1-line block ×16, first 2 shown]
	v_mov_b64_e32 v[38:39], v[12:13]
	v_mov_b64_e32 v[32:33], v[6:7]
	;; [unrolled: 1-line block ×6, first 2 shown]
	scratch_store_dwordx4 off, v[2:5], off offset:3608 ; 16-byte Folded Spill
	s_nop 0
	scratch_store_dwordx4 off, v[6:9], off offset:3624 ; 16-byte Folded Spill
	scratch_store_dwordx4 off, v[10:13], off offset:3640 ; 16-byte Folded Spill
	;; [unrolled: 1-line block ×7, first 2 shown]
	v_mov_b32_e32 v14, v222
	v_mov_b32_e32 v15, v223
	;; [unrolled: 1-line block ×4, first 2 shown]
	v_mov_b64_e32 v[78:79], v[12:13]
	v_mov_b64_e32 v[148:149], v[10:11]
	v_mov_b64_e32 v[76:77], v[10:11]
	v_mov_b64_e32 v[74:75], v[8:9]
	v_mov_b64_e32 v[72:73], v[6:7]
	v_mov_b64_e32 v[70:71], v[4:5]
	v_mov_b64_e32 v[68:69], v[2:3]
	v_mov_b64_e32 v[146:147], v[8:9]
	v_mov_b64_e32 v[144:145], v[6:7]
	v_mov_b64_e32 v[142:143], v[4:5]
	v_mov_b64_e32 v[140:141], v[2:3]
	scratch_store_dwordx4 off, v[2:5], off offset:2840 ; 16-byte Folded Spill
	s_nop 0
	scratch_store_dwordx4 off, v[6:9], off offset:2856 ; 16-byte Folded Spill
	scratch_store_dwordx4 off, v[10:13], off offset:2872 ; 16-byte Folded Spill
	;; [unrolled: 1-line block ×7, first 2 shown]
	v_mov_b32_e32 v14, v222
	v_mov_b32_e32 v94, v148
	;; [unrolled: 1-line block ×5, first 2 shown]
	v_mov_b64_e32 v[42:43], v[16:17]
	v_mov_b64_e32 v[32:33], v[6:7]
	;; [unrolled: 1-line block ×8, first 2 shown]
	scratch_store_dwordx4 off, v[2:5], off offset:2708 ; 16-byte Folded Spill
	s_nop 0
	scratch_store_dwordx4 off, v[6:9], off offset:2724 ; 16-byte Folded Spill
	scratch_store_dwordx4 off, v[10:13], off offset:2740 ; 16-byte Folded Spill
	;; [unrolled: 1-line block ×7, first 2 shown]
	v_mov_b32_e32 v100, v42
	v_mov_b32_e32 v101, v43
	v_mov_b64_e32 v[168:169], v[16:17]
	v_mov_b64_e32 v[166:167], v[14:15]
	;; [unrolled: 1-line block ×9, first 2 shown]
	scratch_store_dwordx4 off, v[2:5], off offset:2192 ; 16-byte Folded Spill
	s_nop 0
	scratch_store_dwordx4 off, v[6:9], off offset:2208 ; 16-byte Folded Spill
	scratch_store_dwordx4 off, v[10:13], off offset:2224 ; 16-byte Folded Spill
	;; [unrolled: 1-line block ×7, first 2 shown]
	v_mov_b32_e32 v102, v170
	v_mov_b32_e32 v103, v171
	v_mov_b64_e32 v[58:59], v[16:17]
	v_mov_b64_e32 v[56:57], v[14:15]
	;; [unrolled: 1-line block ×9, first 2 shown]
	v_mov_b32_e32 v16, v42
	v_mov_b32_e32 v17, v43
	v_mov_b64_e32 v[60:61], v[18:19]
	scratch_store_dwordx4 off, v[2:5], off offset:1936 ; 16-byte Folded Spill
	s_nop 0
	scratch_store_dwordx4 off, v[6:9], off offset:1952 ; 16-byte Folded Spill
	scratch_store_dwordx4 off, v[10:13], off offset:1968 ; 16-byte Folded Spill
	;; [unrolled: 1-line block ×7, first 2 shown]
	v_mov_b32_e32 v104, v62
	v_mov_b32_e32 v105, v63
	v_mov_b64_e32 v[124:125], v[16:17]
	v_mov_b64_e32 v[130:131], v[22:23]
	;; [unrolled: 1-line block ×11, first 2 shown]
	scratch_store_dwordx4 off, v[2:5], off offset:1808 ; 16-byte Folded Spill
	s_nop 0
	scratch_store_dwordx4 off, v[6:9], off offset:1824 ; 16-byte Folded Spill
	scratch_store_dwordx4 off, v[10:13], off offset:1840 ; 16-byte Folded Spill
	;; [unrolled: 1-line block ×7, first 2 shown]
	v_mov_b32_e32 v24, v108
	v_mov_b32_e32 v25, v109
	;; [unrolled: 1-line block ×4, first 2 shown]
	scratch_store_dwordx4 off, v[2:5], off offset:1552 ; 16-byte Folded Spill
	s_nop 0
	scratch_store_dwordx4 off, v[6:9], off offset:1568 ; 16-byte Folded Spill
	scratch_store_dwordx4 off, v[10:13], off offset:1584 ; 16-byte Folded Spill
	;; [unrolled: 1-line block ×8, first 2 shown]
	s_nop 0
	scratch_store_dwordx4 off, v[114:117], off offset:1056 ; 16-byte Folded Spill
	scratch_store_dwordx4 off, v[118:121], off offset:1072 ; 16-byte Folded Spill
	;; [unrolled: 1-line block ×7, first 2 shown]
	v_mov_b32_e32 v14, v222
	v_mov_b32_e32 v15, v223
	;; [unrolled: 1-line block ×10, first 2 shown]
	scratch_store_dwordx4 off, v[2:5], off offset:272 ; 16-byte Folded Spill
	s_nop 0
	scratch_store_dwordx4 off, v[6:9], off offset:288 ; 16-byte Folded Spill
	scratch_store_dwordx4 off, v[10:13], off offset:304 ; 16-byte Folded Spill
	;; [unrolled: 1-line block ×7, first 2 shown]
	v_mov_b64_e32 v[120:121], v[140:141]
	v_mov_b32_e32 v8, v148
	v_mov_b32_e32 v9, v149
	v_mov_b64_e32 v[122:123], v[142:143]
	v_mov_b64_e32 v[124:125], v[144:145]
	;; [unrolled: 1-line block ×5, first 2 shown]
	v_mov_b32_e32 v10, v78
	v_mov_b32_e32 v11, v79
	v_mov_b64_e32 v[148:149], v[76:77]
	v_mov_b64_e32 v[146:147], v[74:75]
	;; [unrolled: 1-line block ×5, first 2 shown]
	scratch_load_dwordx2 v[2:3], off, off offset:264 ; 8-byte Folded Reload
	v_mov_b32_e32 v18, v62
	v_mov_b32_e32 v19, v63
	;; [unrolled: 1-line block ×7, first 2 shown]
	s_waitcnt vmcnt(0)
	v_mov_b32_e32 v2, v176
	v_mov_b32_e32 v4, v178
	;; [unrolled: 1-line block ×8, first 2 shown]
	v_mov_b64_e32 v[78:79], v[42:43]
	v_mov_b64_e32 v[74:75], v[38:39]
	;; [unrolled: 1-line block ×7, first 2 shown]
	scratch_store_dwordx4 off, v[44:47], off offset:784 ; 16-byte Folded Spill
	s_nop 0
	scratch_store_dwordx4 off, v[48:51], off offset:800 ; 16-byte Folded Spill
	scratch_store_dwordx4 off, v[52:55], off offset:816 ; 16-byte Folded Spill
	;; [unrolled: 1-line block ×7, first 2 shown]
	v_mov_b64_e32 v[76:77], v[40:41]
	v_mov_b64_e32 v[26:27], v[86:87]
	;; [unrolled: 1-line block ×3, first 2 shown]
	scratch_load_dwordx4 v[224:227], off, off offset:1040 ; 16-byte Folded Reload
	scratch_load_dwordx4 v[228:231], off, off offset:1056 ; 16-byte Folded Reload
	;; [unrolled: 1-line block ×8, first 2 shown]
	v_mov_b64_e32 v[28:29], v[88:89]
	v_mov_b64_e32 v[30:31], v[90:91]
	;; [unrolled: 1-line block ×10, first 2 shown]
	scratch_load_dwordx4 v[86:89], off, off offset:272 ; 16-byte Folded Reload
	scratch_load_dwordx4 v[90:93], off, off offset:288 ; 16-byte Folded Reload
	;; [unrolled: 1-line block ×8, first 2 shown]
	v_fma_f32 v152, -v0, v1, v3
	v_mov_b32_e32 v0, v174
	v_mov_b32_e32 v1, v175
	;; [unrolled: 1-line block ×3, first 2 shown]
	s_waitcnt vmcnt(0)
	v_mov_b64_e32 v[114:115], v[138:139]
	v_mov_b32_e32 v20, v244
	v_mov_b32_e32 v21, v245
	v_mov_b64_e32 v[196:197], v[100:101]
	v_mov_b64_e32 v[194:195], v[98:99]
	;; [unrolled: 1-line block ×4, first 2 shown]
	v_mov_b32_e32 v24, v206
	v_mov_b32_e32 v25, v207
	scratch_store_dwordx4 off, v[0:3], off offset:1424 ; 16-byte Folded Spill
	s_nop 0
	scratch_store_dwordx4 off, v[4:7], off offset:1440 ; 16-byte Folded Spill
	scratch_store_dwordx4 off, v[8:11], off offset:1456 ; 16-byte Folded Spill
	scratch_store_dwordx4 off, v[12:15], off offset:1472 ; 16-byte Folded Spill
	scratch_store_dwordx4 off, v[16:19], off offset:1488 ; 16-byte Folded Spill
	scratch_store_dwordx4 off, v[20:23], off offset:1504 ; 16-byte Folded Spill
	scratch_store_dwordx4 off, v[24:27], off offset:1520 ; 16-byte Folded Spill
	scratch_store_dwordx4 off, v[28:31], off offset:1536 ; 16-byte Folded Spill
	v_mov_b64_e32 v[0:1], v[120:121]
	v_mov_b64_e32 v[190:191], v[94:95]
	;; [unrolled: 1-line block ×6, first 2 shown]
	v_mov_b32_e32 v95, v119
	v_mov_b32_e32 v88, v174
	;; [unrolled: 1-line block ×8, first 2 shown]
	v_mov_b64_e32 v[2:3], v[122:123]
	v_mov_b64_e32 v[4:5], v[124:125]
	;; [unrolled: 1-line block ×4, first 2 shown]
	scratch_store_dwordx4 off, v[0:3], off offset:3480 ; 16-byte Folded Spill
	s_nop 0
	scratch_store_dwordx4 off, v[4:7], off offset:3496 ; 16-byte Folded Spill
	scratch_store_dwordx4 off, v[8:11], off offset:3512 ; 16-byte Folded Spill
	;; [unrolled: 1-line block ×8, first 2 shown]
	s_nop 0
	scratch_store_dwordx4 off, v[68:71], off offset:2080 ; 16-byte Folded Spill
	scratch_store_dwordx4 off, v[72:75], off offset:2096 ; 16-byte Folded Spill
	;; [unrolled: 1-line block ×7, first 2 shown]
	v_mov_b64_e32 v[66:67], v[170:171]
	v_mov_b64_e32 v[204:205], v[108:109]
	;; [unrolled: 1-line block ×5, first 2 shown]
	v_mov_b32_e32 v104, v66
	v_mov_b32_e32 v105, v67
	v_mov_b32_e32 v110, v48
	v_mov_b32_e32 v111, v49
	v_mov_b32_e32 v98, v150
	v_mov_b32_e32 v99, v151
	v_mov_b32_e32 v100, v222
	v_mov_b32_e32 v101, v223
	v_mov_b32_e32 v108, v244
	v_mov_b32_e32 v109, v245
	v_mov_b32_e32 v112, v206
	v_mov_b32_e32 v113, v207
	v_mov_b32_e32 v124, v174
	v_mov_b32_e32 v125, v175
	v_mov_b32_e32 v126, v176
	v_mov_b32_e32 v127, v177
	v_mov_b32_e32 v128, v178
	v_mov_b32_e32 v129, v179
	v_mov_b32_e32 v96, v8
	v_mov_b32_e32 v102, v78
	v_mov_b32_e32 v103, v79
	scratch_load_dwordx4 v[50:53], off, off offset:784 ; 16-byte Folded Reload
	scratch_load_dwordx4 v[54:57], off, off offset:800 ; 16-byte Folded Reload
	;; [unrolled: 1-line block ×8, first 2 shown]
	s_waitcnt vmcnt(4)
	v_mov_b64_e32 v[62:63], v[48:49]
	v_mov_b64_e32 v[60:61], v[46:47]
	;; [unrolled: 1-line block ×5, first 2 shown]
	v_mov_b32_e32 v97, v9
	v_mov_b64_e32 v[52:53], v[38:39]
	v_mov_b64_e32 v[50:51], v[36:37]
	;; [unrolled: 1-line block ×7, first 2 shown]
	s_waitcnt vmcnt(3)
	v_mov_b64_e32 v[16:17], v[66:67]
	v_mov_b64_e32 v[18:19], v[68:69]
	v_mov_b32_e32 v106, v18
	v_mov_b32_e32 v107, v19
	scratch_load_dwordx4 v[0:3], off, off offset:3480 ; 16-byte Folded Reload
	scratch_load_dwordx4 v[4:7], off, off offset:3496 ; 16-byte Folded Reload
	;; [unrolled: 1-line block ×8, first 2 shown]
	s_waitcnt vmcnt(8)
	v_mov_b64_e32 v[68:69], v[88:89]
	v_mov_b64_e32 v[70:71], v[90:91]
	;; [unrolled: 1-line block ×14, first 2 shown]
	scratch_store_dwordx4 off, v[140:143], off offset:2968 ; 16-byte Folded Spill
	s_nop 0
	scratch_store_dwordx4 off, v[144:147], off offset:2984 ; 16-byte Folded Spill
	scratch_store_dwordx4 off, v[148:151], off offset:3000 ; 16-byte Folded Spill
	;; [unrolled: 1-line block ×7, first 2 shown]
	v_mov_b32_e32 v146, v62
	v_mov_b32_e32 v147, v63
	;; [unrolled: 1-line block ×6, first 2 shown]
	s_waitcnt vmcnt(13)
	v_mov_b64_e32 v[104:105], v[8:9]
	v_mov_b64_e32 v[102:103], v[6:7]
	;; [unrolled: 1-line block ×5, first 2 shown]
	scratch_load_dwordx4 v[0:3], off, off offset:2064 ; 16-byte Folded Reload
	scratch_load_dwordx4 v[4:7], off, off offset:2080 ; 16-byte Folded Reload
	;; [unrolled: 1-line block ×8, first 2 shown]
	v_mov_b32_e32 v132, v104
	v_mov_b32_e32 v133, v105
	;; [unrolled: 1-line block ×4, first 2 shown]
	scratch_store_dwordx4 off, v[154:157], off offset:1168 ; 16-byte Folded Spill
	s_nop 0
	scratch_store_dwordx4 off, v[158:161], off offset:1184 ; 16-byte Folded Spill
	scratch_store_dwordx4 off, v[162:165], off offset:1200 ; 16-byte Folded Spill
	;; [unrolled: 1-line block ×7, first 2 shown]
	v_mov_b32_e32 v134, v150
	v_mov_b32_e32 v135, v151
	;; [unrolled: 1-line block ×4, first 2 shown]
	s_waitcnt vmcnt(12)
	v_mov_b64_e32 v[122:123], v[14:15]
	v_mov_b64_e32 v[120:121], v[12:13]
	;; [unrolled: 1-line block ×8, first 2 shown]
	scratch_load_dwordx4 v[0:3], off, off offset:784 ; 16-byte Folded Reload
	scratch_load_dwordx4 v[4:7], off, off offset:800 ; 16-byte Folded Reload
	;; [unrolled: 1-line block ×8, first 2 shown]
	s_nop 0
	scratch_store_dwordx4 off, v[40:43], off offset:2320 ; 16-byte Folded Spill
	s_nop 0
	scratch_store_dwordx4 off, v[44:47], off offset:2336 ; 16-byte Folded Spill
	scratch_store_dwordx4 off, v[48:51], off offset:2352 ; 16-byte Folded Spill
	;; [unrolled: 1-line block ×7, first 2 shown]
	s_waitcnt vmcnt(12)
	v_mov_b64_e32 v[0:1], v[182:183]
	s_waitcnt vmcnt(9)
	v_mov_b32_e32 v26, v95
	v_mov_b32_e32 v27, v152
	v_mov_b64_e32 v[2:3], v[184:185]
	v_mov_b64_e32 v[4:5], v[186:187]
	v_mov_b64_e32 v[6:7], v[188:189]
	v_mov_b64_e32 v[8:9], v[190:191]
	v_mov_b64_e32 v[10:11], v[192:193]
	v_mov_b64_e32 v[12:13], v[194:195]
	v_mov_b64_e32 v[14:15], v[196:197]
	v_mov_b32_e32 v138, v122
	v_mov_b32_e32 v139, v123
	v_mov_b64_e32 v[168:169], v[82:83]
	v_mov_b64_e32 v[166:167], v[80:81]
	;; [unrolled: 1-line block ×3, first 2 shown]
	v_mov_b32_e32 v142, v18
	v_mov_b32_e32 v143, v19
	v_mov_b64_e32 v[16:17], v[198:199]
	v_mov_b64_e32 v[18:19], v[200:201]
	;; [unrolled: 1-line block ×5, first 2 shown]
	scratch_store_dwordx4 off, v[174:177], s2 ; 16-byte Folded Spill
	s_nop 0
	scratch_store_dwordx4 off, v[178:181], s2 offset:16 ; 16-byte Folded Spill
	scratch_store_dwordx4 off, v[182:185], s2 offset:32 ; 16-byte Folded Spill
	;; [unrolled: 1-line block ×7, first 2 shown]
	scratch_store_dwordx2 off, v[26:27], off offset:264 ; 8-byte Folded Spill
	s_waitcnt vmcnt(17)
	v_mov_b64_e32 v[26:27], v[96:97]
	v_mov_b64_e32 v[34:35], v[104:105]
	;; [unrolled: 1-line block ×5, first 2 shown]
	v_mov_b32_e32 v26, v34
	scratch_store_dwordx4 off, v[18:21], off offset:1296 ; 16-byte Folded Spill
	s_nop 0
	scratch_store_dwordx4 off, v[22:25], off offset:1312 ; 16-byte Folded Spill
	scratch_store_dwordx4 off, v[26:29], off offset:1328 ; 16-byte Folded Spill
	;; [unrolled: 1-line block ×7, first 2 shown]
	v_mov_b32_e32 v180, v94
	v_mov_b32_e32 v179, v93
	;; [unrolled: 1-line block ×11, first 2 shown]
	v_mov_b64_e32 v[162:163], v[76:77]
	v_mov_b64_e32 v[160:161], v[74:75]
	;; [unrolled: 1-line block ×13, first 2 shown]
	v_mov_b32_e32 v153, v35
	scratch_load_dwordx4 v[26:29], off, off offset:2968 ; 16-byte Folded Reload
	scratch_load_dwordx4 v[30:33], off, off offset:2984 ; 16-byte Folded Reload
	;; [unrolled: 1-line block ×8, first 2 shown]
	s_waitcnt vmcnt(5)
	v_mov_b32_e32 v26, v36
	scratch_store_dwordx4 off, v[16:19], off offset:656 ; 16-byte Folded Spill
	s_nop 0
	scratch_store_dwordx4 off, v[20:23], off offset:672 ; 16-byte Folded Spill
	scratch_store_dwordx4 off, v[24:27], off offset:688 ; 16-byte Folded Spill
	;; [unrolled: 1-line block ×4, first 2 shown]
	s_waitcnt vmcnt(9)
	scratch_store_dwordx4 off, v[36:39], off offset:736 ; 16-byte Folded Spill
	s_waitcnt vmcnt(9)
	scratch_store_dwordx4 off, v[40:43], off offset:752 ; 16-byte Folded Spill
	;; [unrolled: 2-line block ×3, first 2 shown]
	v_mov_b32_e32 v26, v122
	v_mov_b32_e32 v85, v37
	scratch_store_dwordx4 off, v[74:77], off offset:1680 ; 16-byte Folded Spill
	s_nop 0
	scratch_store_dwordx4 off, v[78:81], off offset:1696 ; 16-byte Folded Spill
	scratch_store_dwordx4 off, v[82:85], off offset:1712 ; 16-byte Folded Spill
	;; [unrolled: 1-line block ×7, first 2 shown]
	v_mov_b32_e32 v82, v222
	scratch_store_dwordx4 off, v[210:213], off offset:2576 ; 16-byte Folded Spill
	s_nop 0
	scratch_store_dwordx4 off, v[214:217], off offset:2592 ; 16-byte Folded Spill
	scratch_store_dwordx4 off, v[218:221], off offset:2608 ; 16-byte Folded Spill
	;; [unrolled: 1-line block ×8, first 2 shown]
	s_nop 0
	scratch_store_dwordx4 off, v[16:19], off offset:416 ; 16-byte Folded Spill
	scratch_store_dwordx4 off, v[20:23], off offset:432 ; 16-byte Folded Spill
	;; [unrolled: 1-line block ×7, first 2 shown]
	scratch_load_dwordx4 v[26:29], off, off offset:1168 ; 16-byte Folded Reload
	s_nop 0
	scratch_load_dwordx4 v[30:33], off, off offset:1184 ; 16-byte Folded Reload
	scratch_load_dwordx4 v[34:37], off, off offset:1200 ; 16-byte Folded Reload
	scratch_load_dwordx4 v[38:41], off, off offset:1216 ; 16-byte Folded Reload
	scratch_load_dwordx4 v[42:45], off, off offset:1232 ; 16-byte Folded Reload
	scratch_load_dwordx4 v[46:49], off, off offset:1248 ; 16-byte Folded Reload
	scratch_load_dwordx4 v[50:53], off, off offset:1264 ; 16-byte Folded Reload
	scratch_load_dwordx4 v[54:57], off, off offset:1280 ; 16-byte Folded Reload
	scratch_load_dwordx4 v[88:91], off, off offset:784 ; 16-byte Folded Reload
	scratch_load_dwordx4 v[92:95], off, off offset:800 ; 16-byte Folded Reload
	scratch_load_dwordx4 v[96:99], off, off offset:816 ; 16-byte Folded Reload
	scratch_load_dwordx4 v[100:103], off, off offset:832 ; 16-byte Folded Reload
	scratch_load_dwordx4 v[104:107], off, off offset:848 ; 16-byte Folded Reload
	scratch_load_dwordx4 v[108:111], off, off offset:864 ; 16-byte Folded Reload
	scratch_load_dwordx4 v[112:115], off, off offset:880 ; 16-byte Folded Reload
	scratch_load_dwordx4 v[116:119], off, off offset:896 ; 16-byte Folded Reload
	v_mov_b64_e32 v[214:215], v[150:151]
	v_mov_b64_e32 v[212:213], v[148:149]
	;; [unrolled: 1-line block ×6, first 2 shown]
	v_mov_b32_e32 v216, v152
	v_mov_b32_e32 v75, v223
	s_waitcnt vmcnt(11)
	v_mov_b64_e32 v[44:45], v[42:43]
	v_mov_b64_e32 v[42:43], v[40:41]
	;; [unrolled: 1-line block ×9, first 2 shown]
	s_waitcnt vmcnt(3)
	v_mov_b32_e32 v26, v106
	scratch_store_dwordx4 off, v[8:11], off offset:528 ; 16-byte Folded Spill
	s_nop 0
	scratch_store_dwordx4 off, v[12:15], off offset:544 ; 16-byte Folded Spill
	scratch_store_dwordx4 off, v[16:19], off offset:560 ; 16-byte Folded Spill
	;; [unrolled: 1-line block ×7, first 2 shown]
	v_mov_b32_e32 v74, v44
	v_mov_b32_e32 v73, v45
	scratch_load_dwordx4 v[34:37], off, off offset:1040 ; 16-byte Folded Reload
	scratch_load_dwordx4 v[38:41], off, off offset:1056 ; 16-byte Folded Reload
	;; [unrolled: 1-line block ×8, first 2 shown]
	v_mov_b32_e32 v33, v107
	scratch_load_dwordx4 v[84:87], off, off offset:2320 ; 16-byte Folded Reload
	scratch_load_dwordx4 v[88:91], off, off offset:2336 ; 16-byte Folded Reload
	;; [unrolled: 1-line block ×8, first 2 shown]
	s_waitcnt vmcnt(8)
	v_mov_b32_e32 v62, v170
	v_mov_b32_e32 v63, v171
	;; [unrolled: 1-line block ×12, first 2 shown]
	v_mov_b64_e32 v[184:185], v[24:25]
	v_mov_b32_e32 v222, v184
	v_mov_b64_e32 v[182:183], v[22:23]
	v_mov_b64_e32 v[180:181], v[20:21]
	;; [unrolled: 1-line block ×4, first 2 shown]
	v_mov_b32_e32 v118, v54
	v_mov_b32_e32 v119, v55
	v_mov_b64_e32 v[46:47], v[154:155]
	v_mov_b64_e32 v[48:49], v[156:157]
	;; [unrolled: 1-line block ×8, first 2 shown]
	s_waitcnt vmcnt(0)
	v_mov_b64_e32 v[116:117], v[106:107]
	v_mov_b64_e32 v[114:115], v[104:105]
	;; [unrolled: 1-line block ×6, first 2 shown]
	v_mov_b32_e32 v50, v62
	v_mov_b64_e32 v[106:107], v[96:97]
	v_mov_b64_e32 v[104:105], v[94:95]
	v_mov_b64_e32 v[102:103], v[92:93]
	v_mov_b64_e32 v[100:101], v[90:91]
	v_mov_b64_e32 v[98:99], v[88:89]
	v_mov_b64_e32 v[96:97], v[86:87]
	v_mov_b64_e32 v[94:95], v[84:85]
	v_mov_b32_e32 v186, v116
	v_mov_b32_e32 v127, v117
	v_mov_b64_e32 v[36:37], v[156:157]
	v_mov_b64_e32 v[38:39], v[158:159]
	;; [unrolled: 1-line block ×7, first 2 shown]
	v_mov_b32_e32 v51, v63
	v_mov_b32_e32 v52, v64
	v_mov_b32_e32 v53, v65
	v_mov_b32_e32 v54, v66
	v_mov_b32_e32 v55, v67
	v_mov_b32_e32 v56, v68
	v_mov_b32_e32 v57, v69
	v_mov_b32_e32 v58, v70
	v_mov_b32_e32 v59, v71
	v_mov_b32_e32 v60, v72
	scratch_store_dwordx4 off, v[34:37], off offset:912 ; 16-byte Folded Spill
	s_nop 0
	scratch_store_dwordx4 off, v[38:41], off offset:928 ; 16-byte Folded Spill
	scratch_store_dwordx4 off, v[42:45], off offset:944 ; 16-byte Folded Spill
	scratch_store_dwordx4 off, v[46:49], off offset:960 ; 16-byte Folded Spill
	scratch_store_dwordx4 off, v[50:53], off offset:976 ; 16-byte Folded Spill
	scratch_store_dwordx4 off, v[54:57], off offset:992 ; 16-byte Folded Spill
	scratch_store_dwordx4 off, v[58:61], off offset:1008 ; 16-byte Folded Spill
	scratch_store_dwordx4 off, v[62:65], off offset:1024 ; 16-byte Folded Spill
.LBB56_134:
	s_or_b64 exec, exec, s[0:1]
	s_barrier
	scratch_load_dword v27, off, off offset:132 ; 4-byte Folded Reload
	scratch_load_dword v26, off, off offset:4 ; 4-byte Folded Reload
	scratch_load_dwordx4 v[36:39], off, off offset:1296 ; 16-byte Folded Reload
	scratch_load_dwordx4 v[40:43], off, off offset:1312 ; 16-byte Folded Reload
	;; [unrolled: 1-line block ×8, first 2 shown]
	s_cmp_lt_i32 s14, 10
	s_waitcnt vmcnt(8)
	v_lshl_add_u32 v26, v26, 2, v27
	s_waitcnt vmcnt(5)
	ds_write_b32 v26, v44
	s_waitcnt lgkmcnt(0)
	s_barrier
	ds_read_b32 v28, v27 offset:32
	v_mov_b32_e32 v26, 8
	s_cbranch_scc1 .LBB56_496
; %bb.135:
	scratch_load_dword v26, off, off offset:2836 ; 4-byte Folded Reload
	s_mov_b32 s0, 9
	v_mov_b32_e32 v32, v74
	v_mov_b32_e32 v35, v153
	s_waitcnt vmcnt(0)
	v_add3_u32 v27, v26, 0, 36
	v_mov_b32_e32 v26, 8
.LBB56_136:                             ; =>This Inner Loop Header: Depth=1
	ds_read_b32 v29, v27
	v_add_u32_e32 v27, 4, v27
	s_waitcnt lgkmcnt(0)
	v_cmp_lt_f32_e64 vcc, |v28|, |v29|
	s_nop 1
	v_cndmask_b32_e32 v28, v28, v29, vcc
	v_mov_b32_e32 v29, s0
	s_add_i32 s0, s0, 1
	v_cndmask_b32_e32 v26, v26, v29, vcc
	s_cmp_lg_u32 s14, s0
	s_cbranch_scc1 .LBB56_136
; %bb.137:
	v_cmp_eq_f32_e32 vcc, 0, v28
	s_and_saveexec_b64 s[0:1], vcc
	s_xor_b64 s[0:1], exec, s[0:1]
	s_cbranch_execz .LBB56_139
.LBB56_138:
	scratch_load_dword v27, off, off offset:136 ; 4-byte Folded Reload
	s_waitcnt vmcnt(0)
	v_cmp_ne_u32_e32 vcc, 0, v27
	s_nop 1
	v_cndmask_b32_e32 v27, 9, v27, vcc
	scratch_store_dword off, v27, off offset:136 ; 4-byte Folded Spill
.LBB56_139:
	s_andn2_saveexec_b64 s[0:1], s[0:1]
	s_cbranch_execz .LBB56_141
; %bb.140:
	v_div_scale_f32 v27, s[2:3], v28, v28, 1.0
	v_rcp_f32_e32 v29, v27
	v_div_scale_f32 v30, vcc, 1.0, v28, 1.0
	v_fma_f32 v31, -v27, v29, 1.0
	v_fmac_f32_e32 v29, v31, v29
	v_mul_f32_e32 v31, v30, v29
	s_waitcnt vmcnt(2)
	v_fma_f32 v57, -v27, v31, v30
	v_fmac_f32_e32 v31, v57, v29
	v_fma_f32 v27, -v27, v31, v30
	v_div_fmas_f32 v27, v27, v29, v31
	v_div_fixup_f32 v28, v27, v28, 1.0
.LBB56_141:
	s_or_b64 exec, exec, s[0:1]
	scratch_load_dword v27, off, off offset:4 ; 4-byte Folded Reload
	s_waitcnt vmcnt(0)
	v_cmp_ne_u32_e32 vcc, v27, v26
	s_and_saveexec_b64 s[0:1], vcc
	s_xor_b64 s[0:1], exec, s[0:1]
	s_cbranch_execz .LBB56_147
; %bb.142:
	scratch_load_dword v27, off, off offset:4 ; 4-byte Folded Reload
	s_waitcnt vmcnt(0)
	v_cmp_eq_u32_e32 vcc, 8, v27
	s_and_saveexec_b64 s[2:3], vcc
	s_cbranch_execz .LBB56_146
; %bb.143:
	v_cmp_ne_u32_e32 vcc, 8, v26
	s_xor_b64 s[18:19], s[16:17], -1
	s_and_b64 s[20:21], s[18:19], vcc
	s_and_saveexec_b64 s[18:19], s[20:21]
	s_cbranch_execz .LBB56_145
; %bb.144:
	s_movk_i32 s20, 0x1098
	scratch_load_dwordx2 v[58:59], off, s20 ; 8-byte Folded Reload
	v_ashrrev_i32_e32 v27, 31, v26
	s_waitcnt vmcnt(0)
	v_lshl_add_u64 v[30:31], v[26:27], 2, v[58:59]
	global_load_dword v27, v[30:31], off
	global_load_dword v29, v[58:59], off offset:32
	s_waitcnt vmcnt(1)
	global_store_dword v[58:59], v27, off offset:32
	s_waitcnt vmcnt(1)
	global_store_dword v[30:31], v29, off
.LBB56_145:
	s_or_b64 exec, exec, s[18:19]
	v_mov_b32_e32 v27, v26
	scratch_store_dword off, v27, off offset:2704 ; 4-byte Folded Spill
	scratch_store_dword off, v26, off offset:4 ; 4-byte Folded Spill
.LBB56_146:
	s_or_b64 exec, exec, s[2:3]
.LBB56_147:
	s_andn2_saveexec_b64 s[0:1], s[0:1]
	s_cbranch_execz .LBB56_149
; %bb.148:
	scratch_load_dword v26, off, off offset:132 ; 4-byte Folded Reload
	s_waitcnt vmcnt(0)
	ds_write2_b32 v26, v197, v198 offset0:9 offset1:10
	ds_write2_b32 v26, v199, v200 offset0:11 offset1:12
	;; [unrolled: 1-line block ×10, first 2 shown]
	v_mov_b32_e32 v26, 8
	scratch_store_dword off, v26, off offset:4 ; 4-byte Folded Spill
.LBB56_149:
	s_or_b64 exec, exec, s[0:1]
	s_waitcnt lgkmcnt(0)
	s_barrier
	scratch_load_dword v26, off, off offset:4 ; 4-byte Folded Reload
	s_waitcnt vmcnt(0)
	v_cmp_lt_i32_e32 vcc, 8, v26
	s_and_saveexec_b64 s[0:1], vcc
	s_cbranch_execz .LBB56_151
; %bb.150:
	s_movk_i32 s2, 0x10a0
	scratch_load_dwordx4 v[34:37], off, s2  ; 16-byte Folded Reload
	scratch_load_dwordx4 v[38:41], off, s2 offset:16 ; 16-byte Folded Reload
	scratch_load_dwordx4 v[42:45], off, s2 offset:32 ; 16-byte Folded Reload
	scratch_load_dwordx4 v[46:49], off, s2 offset:48 ; 16-byte Folded Reload
	scratch_load_dwordx4 v[50:53], off, s2 offset:64 ; 16-byte Folded Reload
	scratch_load_dwordx4 v[54:57], off, s2 offset:80 ; 16-byte Folded Reload
	scratch_load_dwordx4 v[58:61], off, s2 offset:96 ; 16-byte Folded Reload
	scratch_load_dwordx4 v[62:65], off, s2 offset:112 ; 16-byte Folded Reload
	scratch_load_dwordx4 v[42:45], off, off offset:1296 ; 16-byte Folded Reload
	scratch_load_dwordx4 v[46:49], off, off offset:1312 ; 16-byte Folded Reload
	;; [unrolled: 1-line block ×8, first 2 shown]
	scratch_load_dword v10, off, off offset:132 ; 4-byte Folded Reload
	v_mov_b32_e32 v2, v197
	v_mov_b32_e32 v3, v198
	s_waitcnt vmcnt(16)
	v_mov_b32_e32 v160, v34
	v_mov_b32_e32 v161, v35
	;; [unrolled: 1-line block ×3, first 2 shown]
	s_waitcnt vmcnt(6)
	v_mul_f32_e32 v42, v50, v28
	v_mov_b32_e32 v163, v37
	v_mov_b32_e32 v164, v38
	;; [unrolled: 1-line block ×5, first 2 shown]
	s_waitcnt vmcnt(0)
	ds_read2_b32 v[0:1], v10 offset0:9 offset1:10
	ds_read2_b32 v[4:5], v10 offset0:11 offset1:12
	;; [unrolled: 1-line block ×4, first 2 shown]
	v_mov_b32_e32 v168, v42
	v_mov_b32_e32 v118, v34
	;; [unrolled: 1-line block ×3, first 2 shown]
	s_waitcnt lgkmcnt(3)
	v_pk_fma_f32 v[26:27], v[42:43], v[0:1], v[2:3] op_sel_hi:[0,1,1] neg_lo:[1,0,0] neg_hi:[1,0,0]
	v_mov_b32_e32 v0, v199
	v_mov_b32_e32 v1, v200
	s_waitcnt lgkmcnt(2)
	v_pk_fma_f32 v[28:29], v[42:43], v[4:5], v[0:1] op_sel_hi:[0,1,1] neg_lo:[1,0,0] neg_hi:[1,0,0]
	v_mov_b32_e32 v0, v201
	v_mov_b32_e32 v1, v202
	;; [unrolled: 4-line block ×3, first 2 shown]
	s_waitcnt lgkmcnt(0)
	v_pk_fma_f32 v[58:59], v[42:43], v[8:9], v[0:1] op_sel_hi:[0,1,1] neg_lo:[1,0,0] neg_hi:[1,0,0]
	ds_read2_b32 v[0:1], v10 offset0:17 offset1:18
	ds_read2_b32 v[4:5], v10 offset0:19 offset1:20
	;; [unrolled: 1-line block ×4, first 2 shown]
	v_mov_b32_e32 v2, v205
	v_mov_b32_e32 v3, v206
	v_mov_b32_e32 v175, v58
	s_waitcnt lgkmcnt(3)
	v_pk_fma_f32 v[60:61], v[42:43], v[0:1], v[2:3] op_sel_hi:[0,1,1] neg_lo:[1,0,0] neg_hi:[1,0,0]
	v_mov_b32_e32 v0, v207
	v_mov_b32_e32 v1, v208
	ds_read2_b32 v[2:3], v10 offset0:25 offset1:26
	s_waitcnt lgkmcnt(3)
	v_pk_fma_f32 v[62:63], v[42:43], v[4:5], v[0:1] op_sel_hi:[0,1,1] neg_lo:[1,0,0] neg_hi:[1,0,0]
	ds_read2_b32 v[4:5], v10 offset0:27 offset1:28
	v_mov_b32_e32 v0, v209
	v_mov_b32_e32 v1, v210
	s_waitcnt lgkmcnt(3)
	v_pk_fma_f32 v[88:89], v[42:43], v[6:7], v[0:1] op_sel_hi:[0,1,1] neg_lo:[1,0,0] neg_hi:[1,0,0]
	v_mov_b32_e32 v0, v211
	v_mov_b32_e32 v1, v212
	s_waitcnt lgkmcnt(2)
	v_pk_fma_f32 v[90:91], v[42:43], v[8:9], v[0:1] op_sel_hi:[0,1,1] neg_lo:[1,0,0] neg_hi:[1,0,0]
	v_mov_b32_e32 v0, v213
	v_mov_b32_e32 v1, v214
	s_waitcnt lgkmcnt(1)
	v_pk_fma_f32 v[92:93], v[42:43], v[2:3], v[0:1] op_sel_hi:[0,1,1] neg_lo:[1,0,0] neg_hi:[1,0,0]
	v_mov_b32_e32 v0, v215
	v_mov_b32_e32 v1, v216
	s_waitcnt lgkmcnt(0)
	v_pk_fma_f32 v[32:33], v[42:43], v[4:5], v[0:1] op_sel_hi:[0,1,1] neg_lo:[1,0,0] neg_hi:[1,0,0]
	v_mov_b32_e32 v0, v34
	v_mov_b32_e32 v1, v35
	;; [unrolled: 1-line block ×12, first 2 shown]
	scratch_store_dwordx4 off, v[0:3], off offset:2968 ; 16-byte Folded Spill
	s_nop 0
	scratch_store_dwordx4 off, v[4:7], off offset:2984 ; 16-byte Folded Spill
	scratch_store_dwordx4 off, v[8:11], off offset:3000 ; 16-byte Folded Spill
	;; [unrolled: 1-line block ×7, first 2 shown]
	v_mov_b32_e32 v176, v59
	v_mov_b32_e32 v177, v60
	;; [unrolled: 1-line block ×66, first 2 shown]
	scratch_store_dwordx4 off, v[0:3], off offset:3608 ; 16-byte Folded Spill
	s_nop 0
	scratch_store_dwordx4 off, v[4:7], off offset:3624 ; 16-byte Folded Spill
	scratch_store_dwordx4 off, v[8:11], off offset:3640 ; 16-byte Folded Spill
	scratch_store_dwordx4 off, v[12:15], off offset:3656 ; 16-byte Folded Spill
	scratch_store_dwordx4 off, v[16:19], off offset:3672 ; 16-byte Folded Spill
	scratch_store_dwordx4 off, v[20:23], off offset:3688 ; 16-byte Folded Spill
	scratch_store_dwordx4 off, v[24:27], off offset:3704 ; 16-byte Folded Spill
	scratch_store_dwordx4 off, v[28:31], off offset:3720 ; 16-byte Folded Spill
	v_mov_b32_e32 v12, v29
	scratch_store_dwordx4 off, v[0:3], off offset:2576 ; 16-byte Folded Spill
	s_nop 0
	scratch_store_dwordx4 off, v[4:7], off offset:2592 ; 16-byte Folded Spill
	scratch_store_dwordx4 off, v[8:11], off offset:2608 ; 16-byte Folded Spill
	scratch_store_dwordx4 off, v[12:15], off offset:2624 ; 16-byte Folded Spill
	scratch_store_dwordx4 off, v[16:19], off offset:2640 ; 16-byte Folded Spill
	scratch_store_dwordx4 off, v[20:23], off offset:2656 ; 16-byte Folded Spill
	scratch_store_dwordx4 off, v[24:27], off offset:2672 ; 16-byte Folded Spill
	scratch_store_dwordx4 off, v[28:31], off offset:2688 ; 16-byte Folded Spill
	v_mov_b32_e32 v13, v30
	;; [unrolled: 10-line block ×11, first 2 shown]
	v_mov_b32_e32 v23, v90
	v_mov_b32_e32 v103, v26
	;; [unrolled: 1-line block ×7, first 2 shown]
	scratch_store_dwordx4 off, v[0:3], off offset:1552 ; 16-byte Folded Spill
	s_nop 0
	scratch_store_dwordx4 off, v[4:7], off offset:1568 ; 16-byte Folded Spill
	scratch_store_dwordx4 off, v[8:11], off offset:1584 ; 16-byte Folded Spill
	;; [unrolled: 1-line block ×7, first 2 shown]
	v_mov_b32_e32 v169, v26
	v_mov_b32_e32 v170, v27
	;; [unrolled: 1-line block ×8, first 2 shown]
	scratch_store_dwordx4 off, v[160:163], off offset:272 ; 16-byte Folded Spill
	s_nop 0
	scratch_store_dwordx4 off, v[164:167], off offset:288 ; 16-byte Folded Spill
	scratch_store_dwordx4 off, v[168:171], off offset:304 ; 16-byte Folded Spill
	;; [unrolled: 1-line block ×8, first 2 shown]
	s_nop 0
	scratch_store_dwordx4 off, v[4:7], off offset:1440 ; 16-byte Folded Spill
	scratch_store_dwordx4 off, v[8:11], off offset:1456 ; 16-byte Folded Spill
	;; [unrolled: 1-line block ×7, first 2 shown]
	v_mov_b32_e32 v188, v34
	v_mov_b32_e32 v189, v35
	;; [unrolled: 1-line block ×13, first 2 shown]
	scratch_store_dwordx4 off, v[118:121], off offset:912 ; 16-byte Folded Spill
	s_nop 0
	scratch_store_dwordx4 off, v[122:125], off offset:928 ; 16-byte Folded Spill
	scratch_store_dwordx4 off, v[126:129], off offset:944 ; 16-byte Folded Spill
	;; [unrolled: 1-line block ×7, first 2 shown]
	scratch_store_dwordx2 off, v[32:33], off offset:264 ; 8-byte Folded Spill
	scratch_store_dwordx4 off, v[34:37], off offset:3864 ; 16-byte Folded Spill
	s_nop 0
	scratch_store_dwordx4 off, v[38:41], off offset:3880 ; 16-byte Folded Spill
	scratch_store_dwordx4 off, v[42:45], off offset:3896 ; 16-byte Folded Spill
	;; [unrolled: 1-line block ×8, first 2 shown]
	s_nop 0
	scratch_store_dwordx4 off, v[38:41], off offset:3496 ; 16-byte Folded Spill
	scratch_store_dwordx4 off, v[42:45], off offset:3512 ; 16-byte Folded Spill
	;; [unrolled: 1-line block ×7, first 2 shown]
	v_mov_b32_e32 v197, v26
	v_mov_b32_e32 v198, v27
	;; [unrolled: 1-line block ×7, first 2 shown]
	scratch_store_dwordx4 off, v[0:3], off offset:656 ; 16-byte Folded Spill
	s_nop 0
	scratch_store_dwordx4 off, v[4:7], off offset:672 ; 16-byte Folded Spill
	scratch_store_dwordx4 off, v[8:11], off offset:688 ; 16-byte Folded Spill
	;; [unrolled: 1-line block ×8, first 2 shown]
	s_nop 0
	scratch_store_dwordx4 off, v[4:7], off offset:1696 ; 16-byte Folded Spill
	scratch_store_dwordx4 off, v[8:11], off offset:1712 ; 16-byte Folded Spill
	scratch_store_dwordx4 off, v[12:15], off offset:1728 ; 16-byte Folded Spill
	scratch_store_dwordx4 off, v[16:19], off offset:1744 ; 16-byte Folded Spill
	scratch_store_dwordx4 off, v[20:23], off offset:1760 ; 16-byte Folded Spill
	scratch_store_dwordx4 off, v[24:27], off offset:1776 ; 16-byte Folded Spill
	scratch_store_dwordx4 off, v[28:31], off offset:1792 ; 16-byte Folded Spill
	v_mov_b32_e32 v119, v88
	v_mov_b32_e32 v127, v90
	;; [unrolled: 1-line block ×8, first 2 shown]
	scratch_store_dwordx4 off, v[0:3], off offset:400 ; 16-byte Folded Spill
	s_nop 0
	scratch_store_dwordx4 off, v[4:7], off offset:416 ; 16-byte Folded Spill
	scratch_store_dwordx4 off, v[8:11], off offset:432 ; 16-byte Folded Spill
	;; [unrolled: 1-line block ×7, first 2 shown]
	s_nop 0
	v_mov_b32_e32 v26, v61
	scratch_store_dwordx4 off, v[8:11], off offset:528 ; 16-byte Folded Spill
	s_nop 0
	scratch_store_dwordx4 off, v[12:15], off offset:544 ; 16-byte Folded Spill
	scratch_store_dwordx4 off, v[16:19], off offset:560 ; 16-byte Folded Spill
	;; [unrolled: 1-line block ×7, first 2 shown]
	s_nop 0
	v_mov_b32_e32 v33, v62
.LBB56_151:
	s_or_b64 exec, exec, s[0:1]
	s_waitcnt vmcnt(63) expcnt(7) lgkmcnt(15)
	s_barrier
	scratch_load_dword v27, off, off offset:132 ; 4-byte Folded Reload
	scratch_load_dword v26, off, off offset:4 ; 4-byte Folded Reload
	s_cmp_lt_i32 s14, 11
	s_waitcnt vmcnt(0)
	v_lshl_add_u32 v26, v26, 2, v27
	ds_write_b32 v26, v35
	s_waitcnt lgkmcnt(0)
	s_barrier
	ds_read_b32 v28, v27 offset:36
	v_mov_b32_e32 v26, 9
	s_cbranch_scc1 .LBB56_154
; %bb.152:
	scratch_load_dword v26, off, off offset:2836 ; 4-byte Folded Reload
	s_mov_b32 s0, 10
	s_waitcnt vmcnt(0)
	v_add3_u32 v27, v26, 0, 40
	v_mov_b32_e32 v26, 9
.LBB56_153:                             ; =>This Inner Loop Header: Depth=1
	ds_read_b32 v29, v27
	v_add_u32_e32 v27, 4, v27
	s_waitcnt lgkmcnt(0)
	v_cmp_lt_f32_e64 vcc, |v28|, |v29|
	s_nop 1
	v_cndmask_b32_e32 v28, v28, v29, vcc
	v_mov_b32_e32 v29, s0
	s_add_i32 s0, s0, 1
	v_cndmask_b32_e32 v26, v26, v29, vcc
	s_cmp_lg_u32 s14, s0
	s_cbranch_scc1 .LBB56_153
.LBB56_154:
	s_waitcnt lgkmcnt(0)
	v_cmp_eq_f32_e32 vcc, 0, v28
	s_and_saveexec_b64 s[0:1], vcc
	s_xor_b64 s[0:1], exec, s[0:1]
	s_cbranch_execz .LBB56_156
; %bb.155:
	scratch_load_dword v27, off, off offset:136 ; 4-byte Folded Reload
	s_waitcnt vmcnt(0)
	v_cmp_ne_u32_e32 vcc, 0, v27
	s_nop 1
	v_cndmask_b32_e32 v27, 10, v27, vcc
	scratch_store_dword off, v27, off offset:136 ; 4-byte Folded Spill
.LBB56_156:
	s_andn2_saveexec_b64 s[0:1], s[0:1]
	s_cbranch_execz .LBB56_158
; %bb.157:
	v_div_scale_f32 v27, s[2:3], v28, v28, 1.0
	v_rcp_f32_e32 v29, v27
	v_div_scale_f32 v30, vcc, 1.0, v28, 1.0
	v_fma_f32 v31, -v27, v29, 1.0
	v_fmac_f32_e32 v29, v31, v29
	v_mul_f32_e32 v31, v30, v29
	v_fma_f32 v57, -v27, v31, v30
	v_fmac_f32_e32 v31, v57, v29
	v_fma_f32 v27, -v27, v31, v30
	v_div_fmas_f32 v27, v27, v29, v31
	v_div_fixup_f32 v28, v27, v28, 1.0
.LBB56_158:
	s_or_b64 exec, exec, s[0:1]
	scratch_load_dword v27, off, off offset:4 ; 4-byte Folded Reload
	s_waitcnt vmcnt(0)
	v_cmp_ne_u32_e32 vcc, v27, v26
	s_and_saveexec_b64 s[0:1], vcc
	s_xor_b64 s[0:1], exec, s[0:1]
	s_cbranch_execz .LBB56_164
; %bb.159:
	scratch_load_dword v27, off, off offset:4 ; 4-byte Folded Reload
	s_waitcnt vmcnt(0)
	v_cmp_eq_u32_e32 vcc, 9, v27
	s_and_saveexec_b64 s[2:3], vcc
	s_cbranch_execz .LBB56_163
; %bb.160:
	v_cmp_ne_u32_e32 vcc, 9, v26
	s_xor_b64 s[18:19], s[16:17], -1
	s_and_b64 s[20:21], s[18:19], vcc
	s_and_saveexec_b64 s[18:19], s[20:21]
	s_cbranch_execz .LBB56_162
; %bb.161:
	s_movk_i32 s20, 0x1098
	scratch_load_dwordx2 v[58:59], off, s20 ; 8-byte Folded Reload
	v_ashrrev_i32_e32 v27, 31, v26
	s_waitcnt vmcnt(0)
	v_lshl_add_u64 v[30:31], v[26:27], 2, v[58:59]
	global_load_dword v27, v[30:31], off
	global_load_dword v29, v[58:59], off offset:36
	s_waitcnt vmcnt(1)
	global_store_dword v[58:59], v27, off offset:36
	s_waitcnt vmcnt(1)
	global_store_dword v[30:31], v29, off
.LBB56_162:
	s_or_b64 exec, exec, s[18:19]
	v_mov_b32_e32 v27, v26
	scratch_store_dword off, v27, off offset:2704 ; 4-byte Folded Spill
	scratch_store_dword off, v26, off offset:4 ; 4-byte Folded Spill
.LBB56_163:
	s_or_b64 exec, exec, s[2:3]
.LBB56_164:
	s_or_saveexec_b64 s[0:1], s[0:1]
	v_mov_b32_e32 v74, v32
	s_xor_b64 exec, exec, s[0:1]
	s_cbranch_execz .LBB56_166
; %bb.165:
	scratch_load_dword v29, off, off offset:132 ; 4-byte Folded Reload
	s_waitcnt vmcnt(0)
	ds_write2_b32 v29, v198, v199 offset0:10 offset1:11
	ds_write2_b32 v29, v200, v201 offset0:12 offset1:13
	;; [unrolled: 1-line block ×9, first 2 shown]
	scratch_load_dwordx2 v[26:27], off, off offset:264 ; 8-byte Folded Reload
	s_waitcnt vmcnt(0)
	v_mov_b32_e32 v26, 9
	scratch_store_dword off, v26, off offset:4 ; 4-byte Folded Spill
	ds_write_b32 v29, v27 offset:112
.LBB56_166:
	s_or_b64 exec, exec, s[0:1]
	s_waitcnt lgkmcnt(0)
	s_barrier
	scratch_load_dword v26, off, off offset:4 ; 4-byte Folded Reload
	s_waitcnt vmcnt(0)
	v_cmp_lt_i32_e32 vcc, 9, v26
	s_and_saveexec_b64 s[0:1], vcc
	s_cbranch_execz .LBB56_168
; %bb.167:
	scratch_load_dword v1, off, off offset:132 ; 4-byte Folded Reload
	v_mul_f32_e32 v0, v35, v28
	v_mov_b32_e32 v11, v0
	v_mov_b32_e32 v195, v0
	;; [unrolled: 1-line block ×5, first 2 shown]
	s_waitcnt vmcnt(0)
	ds_read2_b32 v[2:3], v1 offset0:10 offset1:11
	ds_read2_b32 v[4:5], v1 offset0:12 offset1:13
	;; [unrolled: 1-line block ×4, first 2 shown]
	s_waitcnt lgkmcnt(3)
	v_pk_fma_f32 v[12:13], v[0:1], v[2:3], v[198:199] op_sel_hi:[0,1,1] neg_lo:[1,0,0] neg_hi:[1,0,0]
	ds_read2_b32 v[2:3], v1 offset0:18 offset1:19
	s_waitcnt lgkmcnt(3)
	v_pk_fma_f32 v[198:199], v[0:1], v[4:5], v[200:201] op_sel_hi:[0,1,1] neg_lo:[1,0,0] neg_hi:[1,0,0]
	s_waitcnt lgkmcnt(2)
	v_pk_fma_f32 v[122:123], v[0:1], v[6:7], v[202:203] op_sel_hi:[0,1,1] neg_lo:[1,0,0] neg_hi:[1,0,0]
	;; [unrolled: 2-line block ×3, first 2 shown]
	ds_read2_b32 v[4:5], v1 offset0:20 offset1:21
	ds_read2_b32 v[6:7], v1 offset0:22 offset1:23
	;; [unrolled: 1-line block ×3, first 2 shown]
	s_waitcnt lgkmcnt(3)
	v_pk_fma_f32 v[20:21], v[0:1], v[2:3], v[206:207] op_sel_hi:[0,1,1] neg_lo:[1,0,0] neg_hi:[1,0,0]
	ds_read2_b32 v[2:3], v1 offset0:26 offset1:27
	ds_read_b32 v1, v1 offset:112
	v_mov_b32_e32 v120, v198
	v_mov_b32_e32 v121, v199
	;; [unrolled: 1-line block ×4, first 2 shown]
	s_waitcnt lgkmcnt(0)
	v_pk_fma_f32 v[234:235], v[0:1], v[4:5], v[208:209] op_sel_hi:[0,1,1] neg_lo:[1,0,0] neg_hi:[1,0,0]
	v_pk_fma_f32 v[24:25], v[0:1], v[6:7], v[210:211] op_sel_hi:[0,1,1] neg_lo:[1,0,0] neg_hi:[1,0,0]
	;; [unrolled: 1-line block ×4, first 2 shown]
	scratch_load_dwordx4 v[200:203], off, off offset:3480 ; 16-byte Folded Reload
	scratch_load_dwordx4 v[204:207], off, off offset:3496 ; 16-byte Folded Reload
	;; [unrolled: 1-line block ×8, first 2 shown]
	s_waitcnt vmcnt(5)
	v_mov_b32_e32 v209, v0
	s_waitcnt vmcnt(2)
	v_mov_b32_e32 v223, v0
	;; [unrolled: 2-line block ×3, first 2 shown]
	v_mov_b32_e32 v227, v199
	s_waitcnt vmcnt(0)
	v_mov_b32_e32 v228, v122
	v_mov_b32_e32 v229, v123
	;; [unrolled: 1-line block ×15, first 2 shown]
	v_mov_b64_e32 v[84:85], v[12:13]
	v_mov_b64_e32 v[82:83], v[10:11]
	v_mov_b64_e32 v[80:81], v[8:9]
	v_mov_b64_e32 v[78:79], v[6:7]
	v_mov_b64_e32 v[76:77], v[4:5]
	v_mov_b64_e32 v[74:75], v[2:3]
	scratch_store_dwordx4 off, v[2:5], off offset:3608 ; 16-byte Folded Spill
	s_nop 0
	scratch_store_dwordx4 off, v[6:9], off offset:3624 ; 16-byte Folded Spill
	scratch_store_dwordx4 off, v[10:13], off offset:3640 ; 16-byte Folded Spill
	;; [unrolled: 1-line block ×7, first 2 shown]
	v_mov_b32_e32 v14, v198
	v_mov_b32_e32 v15, v199
	;; [unrolled: 1-line block ×54, first 2 shown]
	scratch_store_dwordx4 off, v[2:5], off offset:2840 ; 16-byte Folded Spill
	s_nop 0
	scratch_store_dwordx4 off, v[6:9], off offset:2856 ; 16-byte Folded Spill
	scratch_store_dwordx4 off, v[10:13], off offset:2872 ; 16-byte Folded Spill
	;; [unrolled: 1-line block ×7, first 2 shown]
	v_mov_b32_e32 v16, v122
	v_mov_b32_e32 v17, v123
	;; [unrolled: 1-line block ×3, first 2 shown]
	scratch_store_dwordx4 off, v[2:5], off offset:2708 ; 16-byte Folded Spill
	s_nop 0
	scratch_store_dwordx4 off, v[6:9], off offset:2724 ; 16-byte Folded Spill
	scratch_store_dwordx4 off, v[10:13], off offset:2740 ; 16-byte Folded Spill
	;; [unrolled: 1-line block ×7, first 2 shown]
	v_mov_b64_e32 v[40:41], v[16:17]
	s_nop 0
	v_mov_b64_e32 v[32:33], v[8:9]
	v_mov_b64_e32 v[30:31], v[6:7]
	;; [unrolled: 1-line block ×8, first 2 shown]
	scratch_store_dwordx4 off, v[2:5], off offset:2192 ; 16-byte Folded Spill
	s_nop 0
	scratch_store_dwordx4 off, v[6:9], off offset:2208 ; 16-byte Folded Spill
	scratch_store_dwordx4 off, v[10:13], off offset:2224 ; 16-byte Folded Spill
	;; [unrolled: 1-line block ×7, first 2 shown]
	v_mov_b32_e32 v230, v42
	v_mov_b32_e32 v231, v43
	v_mov_b32_e32 v176, v42
	v_mov_b32_e32 v177, v43
	v_mov_b64_e32 v[100:101], v[16:17]
	v_mov_b64_e32 v[104:105], v[20:21]
	;; [unrolled: 1-line block ×10, first 2 shown]
	scratch_store_dwordx4 off, v[2:5], off offset:1936 ; 16-byte Folded Spill
	s_nop 0
	scratch_store_dwordx4 off, v[6:9], off offset:1952 ; 16-byte Folded Spill
	scratch_store_dwordx4 off, v[10:13], off offset:1968 ; 16-byte Folded Spill
	scratch_store_dwordx4 off, v[14:17], off offset:1984 ; 16-byte Folded Spill
	scratch_store_dwordx4 off, v[18:21], off offset:2000 ; 16-byte Folded Spill
	scratch_store_dwordx4 off, v[22:25], off offset:2016 ; 16-byte Folded Spill
	scratch_store_dwordx4 off, v[26:29], off offset:2032 ; 16-byte Folded Spill
	scratch_store_dwordx4 off, v[30:33], off offset:2048 ; 16-byte Folded Spill
	v_mov_b32_e32 v22, v234
	v_mov_b32_e32 v23, v235
	;; [unrolled: 1-line block ×6, first 2 shown]
	scratch_store_dwordx4 off, v[2:5], off offset:1808 ; 16-byte Folded Spill
	s_nop 0
	scratch_store_dwordx4 off, v[6:9], off offset:1824 ; 16-byte Folded Spill
	scratch_store_dwordx4 off, v[10:13], off offset:1840 ; 16-byte Folded Spill
	;; [unrolled: 1-line block ×7, first 2 shown]
	v_mov_b64_e32 v[60:61], v[16:17]
	v_mov_b64_e32 v[68:69], v[24:25]
	;; [unrolled: 1-line block ×12, first 2 shown]
	scratch_store_dwordx4 off, v[2:5], off offset:1552 ; 16-byte Folded Spill
	s_nop 0
	scratch_store_dwordx4 off, v[6:9], off offset:1568 ; 16-byte Folded Spill
	scratch_store_dwordx4 off, v[10:13], off offset:1584 ; 16-byte Folded Spill
	;; [unrolled: 1-line block ×7, first 2 shown]
	v_mov_b32_e32 v182, v68
	v_mov_b32_e32 v183, v69
	scratch_store_dwordx4 off, v[46:49], off offset:2320 ; 16-byte Folded Spill
	s_nop 0
	scratch_store_dwordx4 off, v[50:53], off offset:2336 ; 16-byte Folded Spill
	scratch_store_dwordx4 off, v[54:57], off offset:2352 ; 16-byte Folded Spill
	;; [unrolled: 1-line block ×7, first 2 shown]
	scratch_load_dwordx2 v[2:3], off, off offset:264 ; 8-byte Folded Reload
	v_mov_b32_e32 v16, v42
	v_mov_b32_e32 v17, v43
	;; [unrolled: 1-line block ×4, first 2 shown]
	s_waitcnt vmcnt(0)
	v_mov_b32_e32 v2, v202
	v_mov_b32_e32 v4, v204
	;; [unrolled: 1-line block ×27, first 2 shown]
	v_mov_b64_e32 v[148:149], v[40:41]
	v_mov_b64_e32 v[146:147], v[38:39]
	;; [unrolled: 1-line block ×8, first 2 shown]
	scratch_load_dwordx4 v[22:25], off, off offset:2320 ; 16-byte Folded Reload
	scratch_load_dwordx4 v[26:29], off, off offset:2336 ; 16-byte Folded Reload
	;; [unrolled: 1-line block ×8, first 2 shown]
	v_mov_b64_e32 v[150:151], v[18:19]
	v_mov_b32_e32 v18, v104
	v_fma_f32 v152, -v0, v1, v3
	v_mov_b32_e32 v0, v200
	v_mov_b32_e32 v1, v201
	v_mov_b32_e32 v3, v203
	v_mov_b32_e32 v19, v105
	v_mov_b32_e32 v62, v150
	v_mov_b32_e32 v63, v151
	s_waitcnt vmcnt(1)
	v_mov_b32_e32 v48, v202
	v_mov_b32_e32 v49, v203
	s_waitcnt vmcnt(0)
	v_mov_b32_e32 v50, v204
	v_mov_b32_e32 v51, v205
	;; [unrolled: 1-line block ×4, first 2 shown]
	v_mov_b64_e32 v[46:47], v[44:45]
	v_mov_b64_e32 v[44:45], v[42:43]
	;; [unrolled: 1-line block ×12, first 2 shown]
	v_mov_b32_e32 v22, v46
	v_mov_b32_e32 v23, v47
	v_mov_b32_e32 v24, v184
	v_mov_b32_e32 v25, v185
	scratch_store_dwordx4 off, v[0:3], off offset:1424 ; 16-byte Folded Spill
	s_nop 0
	scratch_store_dwordx4 off, v[4:7], off offset:1440 ; 16-byte Folded Spill
	scratch_store_dwordx4 off, v[8:11], off offset:1456 ; 16-byte Folded Spill
	scratch_store_dwordx4 off, v[12:15], off offset:1472 ; 16-byte Folded Spill
	scratch_store_dwordx4 off, v[16:19], off offset:1488 ; 16-byte Folded Spill
	scratch_store_dwordx4 off, v[20:23], off offset:1504 ; 16-byte Folded Spill
	scratch_store_dwordx4 off, v[24:27], off offset:1520 ; 16-byte Folded Spill
	scratch_store_dwordx4 off, v[28:31], off offset:1536 ; 16-byte Folded Spill
	scratch_store_dwordx4 off, v[134:137], off offset:1168 ; 16-byte Folded Spill
	s_nop 0
	scratch_store_dwordx4 off, v[138:141], off offset:1184 ; 16-byte Folded Spill
	scratch_store_dwordx4 off, v[142:145], off offset:1200 ; 16-byte Folded Spill
	scratch_store_dwordx4 off, v[146:149], off offset:1216 ; 16-byte Folded Spill
	scratch_store_dwordx4 off, v[150:153], off offset:1232 ; 16-byte Folded Spill
	scratch_store_dwordx4 off, v[154:157], off offset:1248 ; 16-byte Folded Spill
	scratch_store_dwordx4 off, v[158:161], off offset:1264 ; 16-byte Folded Spill
	scratch_store_dwordx4 off, v[162:165], off offset:1280 ; 16-byte Folded Spill
	;; [unrolled: 9-line block ×3, first 2 shown]
	scratch_load_dwordx4 v[0:3], off, off offset:2320 ; 16-byte Folded Reload
	scratch_load_dwordx4 v[4:7], off, off offset:2336 ; 16-byte Folded Reload
	;; [unrolled: 1-line block ×8, first 2 shown]
	s_waitcnt vmcnt(1)
	v_mov_b32_e32 v26, v73
	v_mov_b32_e32 v46, v200
	;; [unrolled: 1-line block ×5, first 2 shown]
	scratch_store_dwordx4 off, v[74:77], off offset:2968 ; 16-byte Folded Spill
	s_nop 0
	scratch_store_dwordx4 off, v[78:81], off offset:2984 ; 16-byte Folded Spill
	scratch_store_dwordx4 off, v[82:85], off offset:3000 ; 16-byte Folded Spill
	;; [unrolled: 1-line block ×7, first 2 shown]
	v_mov_b32_e32 v27, v152
	v_mov_b32_e32 v138, v122
	;; [unrolled: 1-line block ×15, first 2 shown]
	scratch_load_dwordx4 v[74:77], off, off offset:1168 ; 16-byte Folded Reload
	scratch_load_dwordx4 v[78:81], off, off offset:1184 ; 16-byte Folded Reload
	;; [unrolled: 1-line block ×8, first 2 shown]
	s_waitcnt vmcnt(4)
	v_mov_b64_e32 v[28:29], v[74:75]
	s_waitcnt vmcnt(3)
	v_mov_b32_e32 v140, v90
	v_mov_b32_e32 v141, v91
	v_mov_b64_e32 v[30:31], v[76:77]
	v_mov_b64_e32 v[32:33], v[78:79]
	v_mov_b64_e32 v[34:35], v[80:81]
	v_mov_b64_e32 v[36:37], v[82:83]
	v_mov_b64_e32 v[38:39], v[84:85]
	v_mov_b64_e32 v[40:41], v[86:87]
	v_mov_b64_e32 v[42:43], v[88:89]
	v_mov_b64_e32 v[44:45], v[90:91]
	scratch_load_dwordx4 v[74:77], off, off offset:784 ; 16-byte Folded Reload
	scratch_load_dwordx4 v[78:81], off, off offset:800 ; 16-byte Folded Reload
	;; [unrolled: 1-line block ×8, first 2 shown]
	s_nop 0
	scratch_store_dwordx4 off, v[200:203], off offset:3864 ; 16-byte Folded Spill
	s_nop 0
	scratch_store_dwordx4 off, v[204:207], off offset:3880 ; 16-byte Folded Spill
	scratch_store_dwordx4 off, v[208:211], off offset:3896 ; 16-byte Folded Spill
	;; [unrolled: 1-line block ×7, first 2 shown]
	scratch_store_dwordx2 off, v[26:27], off offset:264 ; 8-byte Folded Spill
	s_waitcnt vmcnt(9)
	v_mov_b64_e32 v[106:107], v[92:93]
	v_mov_b64_e32 v[104:105], v[90:91]
	;; [unrolled: 1-line block ×10, first 2 shown]
	scratch_load_dwordx4 v[74:77], off, off offset:2968 ; 16-byte Folded Reload
	scratch_load_dwordx4 v[78:81], off, off offset:2984 ; 16-byte Folded Reload
	scratch_load_dwordx4 v[82:85], off, off offset:3000 ; 16-byte Folded Reload
	scratch_load_dwordx4 v[86:89], off, off offset:3016 ; 16-byte Folded Reload
	scratch_load_dwordx4 v[90:93], off, off offset:3032 ; 16-byte Folded Reload
	scratch_load_dwordx4 v[94:97], off, off offset:3048 ; 16-byte Folded Reload
	scratch_load_dwordx4 v[98:101], off, off offset:3064 ; 16-byte Folded Reload
	scratch_load_dwordx4 v[102:105], off, off offset:3080 ; 16-byte Folded Reload
	v_mov_b32_e32 v142, v106
	v_mov_b32_e32 v143, v107
	s_waitcnt vmcnt(5)
	v_mov_b32_e32 v24, v84
	scratch_store_dwordx4 off, v[14:17], off offset:656 ; 16-byte Folded Spill
	s_nop 0
	scratch_store_dwordx4 off, v[18:21], off offset:672 ; 16-byte Folded Spill
	scratch_store_dwordx4 off, v[22:25], off offset:688 ; 16-byte Folded Spill
	;; [unrolled: 1-line block ×8, first 2 shown]
	s_nop 0
	scratch_store_dwordx4 off, v[78:81], off offset:1696 ; 16-byte Folded Spill
	scratch_store_dwordx4 off, v[82:85], off offset:1712 ; 16-byte Folded Spill
	s_waitcnt vmcnt(15)
	scratch_store_dwordx4 off, v[86:89], off offset:1728 ; 16-byte Folded Spill
	s_waitcnt vmcnt(15)
	;; [unrolled: 2-line block ×5, first 2 shown]
	scratch_store_dwordx4 off, v[102:105], off offset:1792 ; 16-byte Folded Spill
	v_mov_b32_e32 v24, v122
	v_mov_b32_e32 v82, v198
	scratch_store_dwordx4 off, v[186:189], off offset:2576 ; 16-byte Folded Spill
	s_nop 0
	scratch_store_dwordx4 off, v[190:193], off offset:2592 ; 16-byte Folded Spill
	scratch_store_dwordx4 off, v[194:197], off offset:2608 ; 16-byte Folded Spill
	scratch_store_dwordx4 off, v[198:201], off offset:2624 ; 16-byte Folded Spill
	scratch_store_dwordx4 off, v[202:205], off offset:2640 ; 16-byte Folded Spill
	scratch_store_dwordx4 off, v[206:209], off offset:2656 ; 16-byte Folded Spill
	scratch_store_dwordx4 off, v[210:213], off offset:2672 ; 16-byte Folded Spill
	scratch_store_dwordx4 off, v[214:217], off offset:2688 ; 16-byte Folded Spill
	scratch_store_dwordx4 off, v[10:13], off offset:400 ; 16-byte Folded Spill
	s_nop 0
	scratch_store_dwordx4 off, v[14:17], off offset:416 ; 16-byte Folded Spill
	scratch_store_dwordx4 off, v[18:21], off offset:432 ; 16-byte Folded Spill
	scratch_store_dwordx4 off, v[22:25], off offset:448 ; 16-byte Folded Spill
	scratch_store_dwordx4 off, v[26:29], off offset:464 ; 16-byte Folded Spill
	scratch_store_dwordx4 off, v[30:33], off offset:480 ; 16-byte Folded Spill
	scratch_store_dwordx4 off, v[34:37], off offset:496 ; 16-byte Folded Spill
	scratch_store_dwordx4 off, v[38:41], off offset:512 ; 16-byte Folded Spill
	scratch_store_dwordx4 off, v[108:111], off offset:2064 ; 16-byte Folded Spill
	s_nop 0
	scratch_store_dwordx4 off, v[112:115], off offset:2080 ; 16-byte Folded Spill
	scratch_store_dwordx4 off, v[116:119], off offset:2096 ; 16-byte Folded Spill
	scratch_store_dwordx4 off, v[120:123], off offset:2112 ; 16-byte Folded Spill
	scratch_store_dwordx4 off, v[124:127], off offset:2128 ; 16-byte Folded Spill
	scratch_store_dwordx4 off, v[128:131], off offset:2144 ; 16-byte Folded Spill
	scratch_store_dwordx4 off, v[132:135], off offset:2160 ; 16-byte Folded Spill
	scratch_store_dwordx4 off, v[136:139], off offset:2176 ; 16-byte Folded Spill
	scratch_load_dwordx4 v[88:91], off, off offset:784 ; 16-byte Folded Reload
	s_nop 0
	scratch_load_dwordx4 v[92:95], off, off offset:800 ; 16-byte Folded Reload
	scratch_load_dwordx4 v[96:99], off, off offset:816 ; 16-byte Folded Reload
	;; [unrolled: 1-line block ×7, first 2 shown]
	s_waitcnt vmcnt(0)
	v_mov_b32_e32 v118, v234
	v_mov_b32_e32 v74, v44
	;; [unrolled: 1-line block ×4, first 2 shown]
	v_mov_b64_e32 v[202:203], v[138:139]
	v_mov_b64_e32 v[190:191], v[126:127]
	;; [unrolled: 1-line block ×5, first 2 shown]
	v_mov_b32_e32 v26, v106
	scratch_store_dwordx4 off, v[8:11], off offset:528 ; 16-byte Folded Spill
	s_nop 0
	scratch_store_dwordx4 off, v[12:15], off offset:544 ; 16-byte Folded Spill
	scratch_store_dwordx4 off, v[16:19], off offset:560 ; 16-byte Folded Spill
	;; [unrolled: 1-line block ×8, first 2 shown]
	s_nop 0
	scratch_store_dwordx4 off, v[218:221], off offset:1056 ; 16-byte Folded Spill
	scratch_store_dwordx4 off, v[222:225], off offset:1072 ; 16-byte Folded Spill
	;; [unrolled: 1-line block ×7, first 2 shown]
	v_mov_b64_e32 v[34:35], v[46:47]
	v_mov_b32_e32 v33, v107
	v_mov_b64_e32 v[214:215], v[150:151]
	v_mov_b32_e32 v222, v184
	v_mov_b64_e32 v[36:37], v[48:49]
	v_mov_b64_e32 v[38:39], v[50:51]
	v_mov_b64_e32 v[40:41], v[52:53]
	v_mov_b64_e32 v[42:43], v[54:55]
	v_mov_b64_e32 v[44:45], v[56:57]
	v_mov_b64_e32 v[46:47], v[58:59]
	v_mov_b64_e32 v[48:49], v[60:61]
	v_mov_b32_e32 v50, v62
	v_mov_b64_e32 v[196:197], v[132:133]
	v_mov_b64_e32 v[194:195], v[130:131]
	;; [unrolled: 1-line block ×8, first 2 shown]
	v_mov_b32_e32 v216, v152
	v_mov_b32_e32 v51, v63
	;; [unrolled: 1-line block ×11, first 2 shown]
	v_mov_b64_e32 v[116:117], v[22:23]
	v_mov_b32_e32 v186, v116
	v_mov_b64_e32 v[108:109], v[14:15]
	scratch_store_dwordx4 off, v[160:163], off offset:272 ; 16-byte Folded Spill
	s_nop 0
	scratch_store_dwordx4 off, v[164:167], off offset:288 ; 16-byte Folded Spill
	scratch_store_dwordx4 off, v[168:171], off offset:304 ; 16-byte Folded Spill
	;; [unrolled: 1-line block ×7, first 2 shown]
	v_mov_b32_e32 v119, v235
	v_mov_b64_e32 v[106:107], v[12:13]
	v_mov_b64_e32 v[104:105], v[10:11]
	;; [unrolled: 1-line block ×10, first 2 shown]
	v_mov_b32_e32 v127, v117
	v_mov_b32_e32 v170, v72
	scratch_store_dwordx4 off, v[34:37], off offset:912 ; 16-byte Folded Spill
	s_nop 0
	scratch_store_dwordx4 off, v[38:41], off offset:928 ; 16-byte Folded Spill
	scratch_store_dwordx4 off, v[42:45], off offset:944 ; 16-byte Folded Spill
	;; [unrolled: 1-line block ×7, first 2 shown]
.LBB56_168:
	s_or_b64 exec, exec, s[0:1]
	s_barrier
	scratch_load_dword v27, off, off offset:132 ; 4-byte Folded Reload
	scratch_load_dword v26, off, off offset:4 ; 4-byte Folded Reload
	scratch_load_dwordx4 v[34:37], off, off offset:656 ; 16-byte Folded Reload
	scratch_load_dwordx4 v[38:41], off, off offset:672 ; 16-byte Folded Reload
	;; [unrolled: 1-line block ×8, first 2 shown]
	s_cmp_lt_i32 s14, 12
	s_waitcnt vmcnt(8)
	v_lshl_add_u32 v26, v26, 2, v27
	s_waitcnt vmcnt(5)
	ds_write_b32 v26, v44
	s_waitcnt lgkmcnt(0)
	s_barrier
	ds_read_b32 v28, v27 offset:40
	v_mov_b32_e32 v26, 10
	s_cbranch_scc1 .LBB56_497
; %bb.169:
	scratch_load_dword v26, off, off offset:2836 ; 4-byte Folded Reload
	s_mov_b32 s0, 11
	v_mov_b32_e32 v32, v74
	s_waitcnt vmcnt(0)
	v_add3_u32 v27, v26, 0, 44
	v_mov_b32_e32 v26, 10
.LBB56_170:                             ; =>This Inner Loop Header: Depth=1
	ds_read_b32 v29, v27
	v_add_u32_e32 v27, 4, v27
	s_waitcnt lgkmcnt(0)
	v_cmp_lt_f32_e64 vcc, |v28|, |v29|
	s_nop 1
	v_cndmask_b32_e32 v28, v28, v29, vcc
	v_mov_b32_e32 v29, s0
	s_add_i32 s0, s0, 1
	v_cndmask_b32_e32 v26, v26, v29, vcc
	s_cmp_lg_u32 s14, s0
	s_cbranch_scc1 .LBB56_170
; %bb.171:
	v_cmp_eq_f32_e32 vcc, 0, v28
	s_and_saveexec_b64 s[0:1], vcc
	s_xor_b64 s[0:1], exec, s[0:1]
	s_cbranch_execz .LBB56_173
.LBB56_172:
	scratch_load_dword v27, off, off offset:136 ; 4-byte Folded Reload
	s_waitcnt vmcnt(0)
	v_cmp_ne_u32_e32 vcc, 0, v27
	s_nop 1
	v_cndmask_b32_e32 v27, 11, v27, vcc
	scratch_store_dword off, v27, off offset:136 ; 4-byte Folded Spill
.LBB56_173:
	s_andn2_saveexec_b64 s[0:1], s[0:1]
	s_cbranch_execz .LBB56_175
; %bb.174:
	v_div_scale_f32 v27, s[2:3], v28, v28, 1.0
	v_rcp_f32_e32 v29, v27
	v_div_scale_f32 v30, vcc, 1.0, v28, 1.0
	v_fma_f32 v31, -v27, v29, 1.0
	v_fmac_f32_e32 v29, v31, v29
	v_mul_f32_e32 v31, v30, v29
	s_waitcnt vmcnt(2)
	v_fma_f32 v57, -v27, v31, v30
	v_fmac_f32_e32 v31, v57, v29
	v_fma_f32 v27, -v27, v31, v30
	v_div_fmas_f32 v27, v27, v29, v31
	v_div_fixup_f32 v28, v27, v28, 1.0
.LBB56_175:
	s_or_b64 exec, exec, s[0:1]
	scratch_load_dword v27, off, off offset:4 ; 4-byte Folded Reload
	s_waitcnt vmcnt(0)
	v_cmp_ne_u32_e32 vcc, v27, v26
	s_and_saveexec_b64 s[0:1], vcc
	s_xor_b64 s[0:1], exec, s[0:1]
	s_cbranch_execz .LBB56_181
; %bb.176:
	scratch_load_dword v27, off, off offset:4 ; 4-byte Folded Reload
	s_waitcnt vmcnt(0)
	v_cmp_eq_u32_e32 vcc, 10, v27
	s_and_saveexec_b64 s[2:3], vcc
	s_cbranch_execz .LBB56_180
; %bb.177:
	v_cmp_ne_u32_e32 vcc, 10, v26
	s_xor_b64 s[18:19], s[16:17], -1
	s_and_b64 s[20:21], s[18:19], vcc
	s_and_saveexec_b64 s[18:19], s[20:21]
	s_cbranch_execz .LBB56_179
; %bb.178:
	s_movk_i32 s20, 0x1098
	scratch_load_dwordx2 v[58:59], off, s20 ; 8-byte Folded Reload
	v_ashrrev_i32_e32 v27, 31, v26
	s_waitcnt vmcnt(0)
	v_lshl_add_u64 v[30:31], v[26:27], 2, v[58:59]
	global_load_dword v27, v[30:31], off
	global_load_dword v29, v[58:59], off offset:40
	s_waitcnt vmcnt(1)
	global_store_dword v[58:59], v27, off offset:40
	s_waitcnt vmcnt(1)
	global_store_dword v[30:31], v29, off
.LBB56_179:
	s_or_b64 exec, exec, s[18:19]
	v_mov_b32_e32 v27, v26
	scratch_store_dword off, v27, off offset:2704 ; 4-byte Folded Spill
	scratch_store_dword off, v26, off offset:4 ; 4-byte Folded Spill
.LBB56_180:
	s_or_b64 exec, exec, s[2:3]
.LBB56_181:
	s_andn2_saveexec_b64 s[0:1], s[0:1]
	s_cbranch_execz .LBB56_183
; %bb.182:
	scratch_load_dword v26, off, off offset:132 ; 4-byte Folded Reload
	s_waitcnt vmcnt(0)
	ds_write2_b32 v26, v199, v200 offset0:11 offset1:12
	ds_write2_b32 v26, v201, v202 offset0:13 offset1:14
	;; [unrolled: 1-line block ×9, first 2 shown]
	v_mov_b32_e32 v26, 10
	scratch_store_dword off, v26, off offset:4 ; 4-byte Folded Spill
.LBB56_183:
	s_or_b64 exec, exec, s[0:1]
	s_waitcnt lgkmcnt(0)
	s_barrier
	scratch_load_dword v26, off, off offset:4 ; 4-byte Folded Reload
	s_waitcnt vmcnt(0)
	v_cmp_lt_i32_e32 vcc, 10, v26
	s_and_saveexec_b64 s[0:1], vcc
	s_cbranch_execz .LBB56_185
; %bb.184:
	scratch_load_dwordx4 v[32:35], off, off offset:3864 ; 16-byte Folded Reload
	scratch_load_dwordx4 v[36:39], off, off offset:3880 ; 16-byte Folded Reload
	;; [unrolled: 1-line block ×16, first 2 shown]
	scratch_load_dword v10, off, off offset:132 ; 4-byte Folded Reload
	v_mov_b32_e32 v2, v199
	v_mov_b32_e32 v3, v200
	s_waitcnt vmcnt(16)
	v_mov_b32_e32 v160, v32
	v_mov_b32_e32 v161, v33
	;; [unrolled: 1-line block ×3, first 2 shown]
	s_waitcnt vmcnt(6)
	v_mul_f32_e32 v42, v52, v28
	v_mov_b32_e32 v163, v35
	v_mov_b32_e32 v164, v36
	;; [unrolled: 1-line block ×5, first 2 shown]
	s_waitcnt vmcnt(0)
	ds_read2_b32 v[0:1], v10 offset0:11 offset1:12
	ds_read2_b32 v[4:5], v10 offset0:13 offset1:14
	;; [unrolled: 1-line block ×4, first 2 shown]
	v_mov_b32_e32 v168, v40
	v_mov_b32_e32 v169, v41
	;; [unrolled: 1-line block ×3, first 2 shown]
	s_waitcnt lgkmcnt(3)
	v_pk_fma_f32 v[26:27], v[42:43], v[0:1], v[2:3] op_sel_hi:[0,1,1] neg_lo:[1,0,0] neg_hi:[1,0,0]
	v_mov_b32_e32 v0, v201
	v_mov_b32_e32 v1, v202
	s_waitcnt lgkmcnt(2)
	v_pk_fma_f32 v[28:29], v[42:43], v[4:5], v[0:1] op_sel_hi:[0,1,1] neg_lo:[1,0,0] neg_hi:[1,0,0]
	v_mov_b32_e32 v0, v203
	v_mov_b32_e32 v1, v204
	;; [unrolled: 4-line block ×3, first 2 shown]
	s_waitcnt lgkmcnt(0)
	v_pk_fma_f32 v[58:59], v[42:43], v[8:9], v[0:1] op_sel_hi:[0,1,1] neg_lo:[1,0,0] neg_hi:[1,0,0]
	ds_read2_b32 v[0:1], v10 offset0:19 offset1:20
	v_mov_b32_e32 v2, v207
	v_mov_b32_e32 v3, v208
	ds_read2_b32 v[4:5], v10 offset0:21 offset1:22
	ds_read2_b32 v[6:7], v10 offset0:23 offset1:24
	;; [unrolled: 1-line block ×3, first 2 shown]
	v_mov_b32_e32 v11, v26
	s_waitcnt lgkmcnt(3)
	v_pk_fma_f32 v[60:61], v[42:43], v[0:1], v[2:3] op_sel_hi:[0,1,1] neg_lo:[1,0,0] neg_hi:[1,0,0]
	ds_read2_b32 v[2:3], v10 offset0:27 offset1:28
	v_mov_b32_e32 v0, v209
	v_mov_b32_e32 v1, v210
	s_waitcnt lgkmcnt(3)
	v_pk_fma_f32 v[62:63], v[42:43], v[4:5], v[0:1] op_sel_hi:[0,1,1] neg_lo:[1,0,0] neg_hi:[1,0,0]
	v_mov_b32_e32 v0, v211
	v_mov_b32_e32 v1, v212
	s_waitcnt lgkmcnt(2)
	v_pk_fma_f32 v[88:89], v[42:43], v[6:7], v[0:1] op_sel_hi:[0,1,1] neg_lo:[1,0,0] neg_hi:[1,0,0]
	;; [unrolled: 4-line block ×4, first 2 shown]
	v_mov_b32_e32 v0, v32
	v_mov_b32_e32 v1, v33
	;; [unrolled: 1-line block ×13, first 2 shown]
	scratch_store_dwordx4 off, v[0:3], off offset:2576 ; 16-byte Folded Spill
	s_nop 0
	scratch_store_dwordx4 off, v[4:7], off offset:2592 ; 16-byte Folded Spill
	scratch_store_dwordx4 off, v[8:11], off offset:2608 ; 16-byte Folded Spill
	;; [unrolled: 1-line block ×7, first 2 shown]
	v_mov_b32_e32 v177, v58
	v_mov_b32_e32 v178, v59
	;; [unrolled: 1-line block ×67, first 2 shown]
	scratch_store_dwordx4 off, v[0:3], off offset:2840 ; 16-byte Folded Spill
	s_nop 0
	scratch_store_dwordx4 off, v[4:7], off offset:2856 ; 16-byte Folded Spill
	scratch_store_dwordx4 off, v[8:11], off offset:2872 ; 16-byte Folded Spill
	scratch_store_dwordx4 off, v[12:15], off offset:2888 ; 16-byte Folded Spill
	scratch_store_dwordx4 off, v[16:19], off offset:2904 ; 16-byte Folded Spill
	scratch_store_dwordx4 off, v[20:23], off offset:2920 ; 16-byte Folded Spill
	scratch_store_dwordx4 off, v[24:27], off offset:2936 ; 16-byte Folded Spill
	scratch_store_dwordx4 off, v[28:31], off offset:2952 ; 16-byte Folded Spill
	v_mov_b32_e32 v14, v29
	scratch_store_dwordx4 off, v[0:3], off offset:2064 ; 16-byte Folded Spill
	s_nop 0
	scratch_store_dwordx4 off, v[4:7], off offset:2080 ; 16-byte Folded Spill
	scratch_store_dwordx4 off, v[8:11], off offset:2096 ; 16-byte Folded Spill
	scratch_store_dwordx4 off, v[12:15], off offset:2112 ; 16-byte Folded Spill
	scratch_store_dwordx4 off, v[16:19], off offset:2128 ; 16-byte Folded Spill
	scratch_store_dwordx4 off, v[20:23], off offset:2144 ; 16-byte Folded Spill
	scratch_store_dwordx4 off, v[24:27], off offset:2160 ; 16-byte Folded Spill
	scratch_store_dwordx4 off, v[28:31], off offset:2176 ; 16-byte Folded Spill
	v_mov_b32_e32 v15, v30
	;; [unrolled: 10-line block ×9, first 2 shown]
	v_mov_b32_e32 v23, v88
	v_mov_b32_e32 v105, v26
	;; [unrolled: 1-line block ×7, first 2 shown]
	scratch_store_dwordx4 off, v[0:3], off offset:1552 ; 16-byte Folded Spill
	s_nop 0
	scratch_store_dwordx4 off, v[4:7], off offset:1568 ; 16-byte Folded Spill
	scratch_store_dwordx4 off, v[8:11], off offset:1584 ; 16-byte Folded Spill
	;; [unrolled: 1-line block ×7, first 2 shown]
	v_mov_b32_e32 v171, v26
	v_mov_b32_e32 v172, v27
	;; [unrolled: 1-line block ×8, first 2 shown]
	scratch_store_dwordx4 off, v[160:163], off offset:272 ; 16-byte Folded Spill
	s_nop 0
	scratch_store_dwordx4 off, v[164:167], off offset:288 ; 16-byte Folded Spill
	scratch_store_dwordx4 off, v[168:171], off offset:304 ; 16-byte Folded Spill
	;; [unrolled: 1-line block ×8, first 2 shown]
	s_nop 0
	scratch_store_dwordx4 off, v[4:7], off offset:1440 ; 16-byte Folded Spill
	scratch_store_dwordx4 off, v[8:11], off offset:1456 ; 16-byte Folded Spill
	;; [unrolled: 1-line block ×7, first 2 shown]
	v_mov_b32_e32 v188, v32
	v_mov_b32_e32 v189, v33
	;; [unrolled: 1-line block ×12, first 2 shown]
	scratch_store_dwordx4 off, v[118:121], off offset:912 ; 16-byte Folded Spill
	s_nop 0
	scratch_store_dwordx4 off, v[122:125], off offset:928 ; 16-byte Folded Spill
	scratch_store_dwordx4 off, v[126:129], off offset:944 ; 16-byte Folded Spill
	;; [unrolled: 1-line block ×7, first 2 shown]
	v_mov_b32_e32 v199, v26
	v_mov_b32_e32 v200, v27
	;; [unrolled: 1-line block ×6, first 2 shown]
	scratch_store_dwordx2 off, v[92:93], off offset:264 ; 8-byte Folded Spill
	scratch_store_dwordx4 off, v[32:35], off offset:3608 ; 16-byte Folded Spill
	s_nop 0
	scratch_store_dwordx4 off, v[36:39], off offset:3624 ; 16-byte Folded Spill
	scratch_store_dwordx4 off, v[40:43], off offset:3640 ; 16-byte Folded Spill
	scratch_store_dwordx4 off, v[44:47], off offset:3656 ; 16-byte Folded Spill
	scratch_store_dwordx4 off, v[48:51], off offset:3672 ; 16-byte Folded Spill
	scratch_store_dwordx4 off, v[52:55], off offset:3688 ; 16-byte Folded Spill
	scratch_store_dwordx4 off, v[56:59], off offset:3704 ; 16-byte Folded Spill
	scratch_store_dwordx4 off, v[60:63], off offset:3720 ; 16-byte Folded Spill
	scratch_store_dwordx4 off, v[32:35], off offset:2968 ; 16-byte Folded Spill
	s_nop 0
	scratch_store_dwordx4 off, v[36:39], off offset:2984 ; 16-byte Folded Spill
	scratch_store_dwordx4 off, v[40:43], off offset:3000 ; 16-byte Folded Spill
	scratch_store_dwordx4 off, v[44:47], off offset:3016 ; 16-byte Folded Spill
	scratch_store_dwordx4 off, v[48:51], off offset:3032 ; 16-byte Folded Spill
	scratch_store_dwordx4 off, v[52:55], off offset:3048 ; 16-byte Folded Spill
	scratch_store_dwordx4 off, v[56:59], off offset:3064 ; 16-byte Folded Spill
	scratch_store_dwordx4 off, v[60:63], off offset:3080 ; 16-byte Folded Spill
	;; [unrolled: 9-line block ×3, first 2 shown]
	v_mov_b32_e32 v127, v88
	v_mov_b32_e32 v73, v58
	;; [unrolled: 1-line block ×7, first 2 shown]
	scratch_store_dwordx4 off, v[0:3], off offset:400 ; 16-byte Folded Spill
	s_nop 0
	scratch_store_dwordx4 off, v[4:7], off offset:416 ; 16-byte Folded Spill
	scratch_store_dwordx4 off, v[8:11], off offset:432 ; 16-byte Folded Spill
	;; [unrolled: 1-line block ×7, first 2 shown]
	v_mov_b32_e32 v32, v31
	v_mov_b32_e32 v26, v59
	;; [unrolled: 1-line block ×3, first 2 shown]
	scratch_store_dwordx4 off, v[8:11], off offset:528 ; 16-byte Folded Spill
	s_nop 0
	scratch_store_dwordx4 off, v[12:15], off offset:544 ; 16-byte Folded Spill
	scratch_store_dwordx4 off, v[16:19], off offset:560 ; 16-byte Folded Spill
	;; [unrolled: 1-line block ×7, first 2 shown]
	s_nop 0
	v_mov_b32_e32 v33, v60
.LBB56_185:
	s_or_b64 exec, exec, s[0:1]
	s_waitcnt vmcnt(63) expcnt(7) lgkmcnt(15)
	s_barrier
	scratch_load_dword v27, off, off offset:132 ; 4-byte Folded Reload
	scratch_load_dword v26, off, off offset:4 ; 4-byte Folded Reload
	scratch_load_dwordx4 v[34:37], off, off offset:1680 ; 16-byte Folded Reload
	scratch_load_dwordx4 v[38:41], off, off offset:1696 ; 16-byte Folded Reload
	;; [unrolled: 1-line block ×8, first 2 shown]
	s_cmp_lt_i32 s14, 13
	s_waitcnt vmcnt(8)
	v_lshl_add_u32 v26, v26, 2, v27
	s_waitcnt vmcnt(5)
	ds_write_b32 v26, v45
	s_waitcnt lgkmcnt(0)
	s_barrier
	ds_read_b32 v28, v27 offset:44
	v_mov_b32_e32 v26, 11
	s_cbranch_scc1 .LBB56_188
; %bb.186:
	scratch_load_dword v26, off, off offset:2836 ; 4-byte Folded Reload
	s_mov_b32 s0, 12
	s_waitcnt vmcnt(0)
	v_add3_u32 v27, v26, 0, 48
	v_mov_b32_e32 v26, 11
.LBB56_187:                             ; =>This Inner Loop Header: Depth=1
	ds_read_b32 v29, v27
	v_add_u32_e32 v27, 4, v27
	s_waitcnt lgkmcnt(0)
	v_cmp_lt_f32_e64 vcc, |v28|, |v29|
	s_nop 1
	v_cndmask_b32_e32 v28, v28, v29, vcc
	v_mov_b32_e32 v29, s0
	s_add_i32 s0, s0, 1
	v_cndmask_b32_e32 v26, v26, v29, vcc
	s_cmp_lg_u32 s14, s0
	s_cbranch_scc1 .LBB56_187
.LBB56_188:
	s_waitcnt lgkmcnt(0)
	v_cmp_eq_f32_e32 vcc, 0, v28
	s_and_saveexec_b64 s[0:1], vcc
	s_xor_b64 s[0:1], exec, s[0:1]
	s_cbranch_execz .LBB56_190
; %bb.189:
	scratch_load_dword v27, off, off offset:136 ; 4-byte Folded Reload
	s_waitcnt vmcnt(0)
	v_cmp_ne_u32_e32 vcc, 0, v27
	s_nop 1
	v_cndmask_b32_e32 v27, 12, v27, vcc
	scratch_store_dword off, v27, off offset:136 ; 4-byte Folded Spill
.LBB56_190:
	s_andn2_saveexec_b64 s[0:1], s[0:1]
	s_cbranch_execz .LBB56_192
; %bb.191:
	v_div_scale_f32 v27, s[2:3], v28, v28, 1.0
	v_rcp_f32_e32 v29, v27
	v_div_scale_f32 v30, vcc, 1.0, v28, 1.0
	v_fma_f32 v31, -v27, v29, 1.0
	v_fmac_f32_e32 v29, v31, v29
	v_mul_f32_e32 v31, v30, v29
	s_waitcnt vmcnt(2)
	v_fma_f32 v57, -v27, v31, v30
	v_fmac_f32_e32 v31, v57, v29
	v_fma_f32 v27, -v27, v31, v30
	v_div_fmas_f32 v27, v27, v29, v31
	v_div_fixup_f32 v28, v27, v28, 1.0
.LBB56_192:
	s_or_b64 exec, exec, s[0:1]
	scratch_load_dword v27, off, off offset:4 ; 4-byte Folded Reload
	s_waitcnt vmcnt(0)
	v_cmp_ne_u32_e32 vcc, v27, v26
	s_and_saveexec_b64 s[0:1], vcc
	s_xor_b64 s[0:1], exec, s[0:1]
	s_cbranch_execz .LBB56_198
; %bb.193:
	scratch_load_dword v27, off, off offset:4 ; 4-byte Folded Reload
	s_waitcnt vmcnt(0)
	v_cmp_eq_u32_e32 vcc, 11, v27
	s_and_saveexec_b64 s[2:3], vcc
	s_cbranch_execz .LBB56_197
; %bb.194:
	v_cmp_ne_u32_e32 vcc, 11, v26
	s_xor_b64 s[18:19], s[16:17], -1
	s_and_b64 s[20:21], s[18:19], vcc
	s_and_saveexec_b64 s[18:19], s[20:21]
	s_cbranch_execz .LBB56_196
; %bb.195:
	s_movk_i32 s20, 0x1098
	scratch_load_dwordx2 v[58:59], off, s20 ; 8-byte Folded Reload
	v_ashrrev_i32_e32 v27, 31, v26
	s_waitcnt vmcnt(0)
	v_lshl_add_u64 v[30:31], v[26:27], 2, v[58:59]
	global_load_dword v27, v[30:31], off
	global_load_dword v29, v[58:59], off offset:44
	s_waitcnt vmcnt(1)
	global_store_dword v[58:59], v27, off offset:44
	s_waitcnt vmcnt(1)
	global_store_dword v[30:31], v29, off
.LBB56_196:
	s_or_b64 exec, exec, s[18:19]
	v_mov_b32_e32 v27, v26
	scratch_store_dword off, v27, off offset:2704 ; 4-byte Folded Spill
	scratch_store_dword off, v26, off offset:4 ; 4-byte Folded Spill
.LBB56_197:
	s_or_b64 exec, exec, s[2:3]
.LBB56_198:
	s_or_saveexec_b64 s[0:1], s[0:1]
	v_mov_b32_e32 v74, v32
	s_xor_b64 exec, exec, s[0:1]
	s_cbranch_execz .LBB56_200
; %bb.199:
	scratch_load_dword v29, off, off offset:132 ; 4-byte Folded Reload
	s_waitcnt vmcnt(0)
	ds_write2_b32 v29, v200, v201 offset0:12 offset1:13
	ds_write2_b32 v29, v202, v203 offset0:14 offset1:15
	;; [unrolled: 1-line block ×8, first 2 shown]
	scratch_load_dwordx2 v[26:27], off, off offset:264 ; 8-byte Folded Reload
	s_waitcnt vmcnt(0)
	v_mov_b32_e32 v26, 11
	scratch_store_dword off, v26, off offset:4 ; 4-byte Folded Spill
	ds_write_b32 v29, v27 offset:112
.LBB56_200:
	s_or_b64 exec, exec, s[0:1]
	s_waitcnt lgkmcnt(0)
	s_barrier
	scratch_load_dword v26, off, off offset:4 ; 4-byte Folded Reload
	s_waitcnt vmcnt(0)
	v_cmp_lt_i32_e32 vcc, 11, v26
	s_and_saveexec_b64 s[0:1], vcc
	s_cbranch_execz .LBB56_202
; %bb.201:
	scratch_load_dword v1, off, off offset:132 ; 4-byte Folded Reload
	s_waitcnt vmcnt(0)
	ds_read2_b32 v[2:3], v1 offset0:12 offset1:13
	ds_read2_b32 v[4:5], v1 offset0:14 offset1:15
	;; [unrolled: 1-line block ×3, first 2 shown]
	scratch_load_dwordx4 v[30:33], off, off offset:1680 ; 16-byte Folded Reload
	scratch_load_dwordx4 v[34:37], off, off offset:1696 ; 16-byte Folded Reload
	;; [unrolled: 1-line block ×8, first 2 shown]
	ds_read2_b32 v[8:9], v1 offset0:18 offset1:19
	s_waitcnt vmcnt(5)
	v_mul_f32_e32 v0, v41, v28
	s_waitcnt lgkmcnt(3)
	v_pk_fma_f32 v[198:199], v[0:1], v[2:3], v[200:201] op_sel_hi:[0,1,1] neg_lo:[1,0,0] neg_hi:[1,0,0]
	s_waitcnt lgkmcnt(2)
	v_pk_fma_f32 v[122:123], v[0:1], v[4:5], v[202:203] op_sel_hi:[0,1,1] neg_lo:[1,0,0] neg_hi:[1,0,0]
	;; [unrolled: 2-line block ×3, first 2 shown]
	ds_read2_b32 v[2:3], v1 offset0:20 offset1:21
	ds_read2_b32 v[4:5], v1 offset0:22 offset1:23
	;; [unrolled: 1-line block ×4, first 2 shown]
	s_waitcnt lgkmcnt(4)
	v_pk_fma_f32 v[106:107], v[0:1], v[8:9], v[206:207] op_sel_hi:[0,1,1] neg_lo:[1,0,0] neg_hi:[1,0,0]
	s_waitcnt lgkmcnt(3)
	v_pk_fma_f32 v[234:235], v[0:1], v[2:3], v[208:209] op_sel_hi:[0,1,1] neg_lo:[1,0,0] neg_hi:[1,0,0]
	s_waitcnt vmcnt(3) lgkmcnt(2)
	v_pk_fma_f32 v[46:47], v[0:1], v[4:5], v[210:211] op_sel_hi:[0,1,1] neg_lo:[1,0,0] neg_hi:[1,0,0]
	s_waitcnt lgkmcnt(1)
	v_pk_fma_f32 v[148:149], v[0:1], v[6:7], v[212:213] op_sel_hi:[0,1,1] neg_lo:[1,0,0] neg_hi:[1,0,0]
	s_waitcnt lgkmcnt(0)
	v_pk_fma_f32 v[72:73], v[0:1], v[10:11], v[214:215] op_sel_hi:[0,1,1] neg_lo:[1,0,0] neg_hi:[1,0,0]
	scratch_load_dwordx4 v[2:5], off, off offset:2968 ; 16-byte Folded Reload
	scratch_load_dwordx4 v[6:9], off, off offset:2984 ; 16-byte Folded Reload
	;; [unrolled: 1-line block ×8, first 2 shown]
	s_waitcnt vmcnt(5)
	v_mov_b32_e32 v13, v0
	s_waitcnt vmcnt(4)
	v_mov_b32_e32 v14, v198
	v_mov_b32_e32 v15, v199
	;; [unrolled: 1-line block ×39, first 2 shown]
	scratch_store_dwordx4 off, v[2:5], off offset:2840 ; 16-byte Folded Spill
	s_nop 0
	scratch_store_dwordx4 off, v[6:9], off offset:2856 ; 16-byte Folded Spill
	scratch_store_dwordx4 off, v[10:13], off offset:2872 ; 16-byte Folded Spill
	;; [unrolled: 1-line block ×3, first 2 shown]
	s_waitcnt vmcnt(7)
	scratch_store_dwordx4 off, v[18:21], off offset:2904 ; 16-byte Folded Spill
	s_waitcnt vmcnt(7)
	scratch_store_dwordx4 off, v[22:25], off offset:2920 ; 16-byte Folded Spill
	;; [unrolled: 2-line block ×4, first 2 shown]
	v_mov_b32_e32 v16, v122
	v_mov_b32_e32 v17, v123
	;; [unrolled: 1-line block ×29, first 2 shown]
	v_mov_b64_e32 v[168:169], v[138:139]
	v_mov_b64_e32 v[166:167], v[136:137]
	;; [unrolled: 1-line block ×8, first 2 shown]
	v_mov_b32_e32 v92, v78
	v_mov_b32_e32 v93, v79
	;; [unrolled: 1-line block ×24, first 2 shown]
	scratch_store_dwordx4 off, v[2:5], off offset:2708 ; 16-byte Folded Spill
	s_nop 0
	scratch_store_dwordx4 off, v[6:9], off offset:2724 ; 16-byte Folded Spill
	scratch_store_dwordx4 off, v[10:13], off offset:2740 ; 16-byte Folded Spill
	;; [unrolled: 1-line block ×7, first 2 shown]
	v_mov_b64_e32 v[18:19], v[34:35]
	v_mov_b64_e32 v[42:43], v[18:19]
	v_mov_b32_e32 v104, v42
	v_mov_b32_e32 v105, v43
	;; [unrolled: 1-line block ×10, first 2 shown]
	v_mov_b64_e32 v[40:41], v[16:17]
	v_mov_b64_e32 v[32:33], v[8:9]
	;; [unrolled: 1-line block ×8, first 2 shown]
	scratch_store_dwordx4 off, v[2:5], off offset:2192 ; 16-byte Folded Spill
	s_nop 0
	scratch_store_dwordx4 off, v[6:9], off offset:2208 ; 16-byte Folded Spill
	scratch_store_dwordx4 off, v[10:13], off offset:2224 ; 16-byte Folded Spill
	;; [unrolled: 1-line block ×7, first 2 shown]
	v_mov_b32_e32 v20, v106
	v_mov_b32_e32 v21, v107
	scratch_store_dwordx4 off, v[2:5], off offset:1936 ; 16-byte Folded Spill
	s_nop 0
	scratch_store_dwordx4 off, v[6:9], off offset:1952 ; 16-byte Folded Spill
	scratch_store_dwordx4 off, v[10:13], off offset:1968 ; 16-byte Folded Spill
	;; [unrolled: 1-line block ×7, first 2 shown]
	v_mov_b32_e32 v22, v234
	v_mov_b32_e32 v23, v235
	scratch_store_dwordx4 off, v[2:5], off offset:1808 ; 16-byte Folded Spill
	s_nop 0
	scratch_store_dwordx4 off, v[6:9], off offset:1824 ; 16-byte Folded Spill
	scratch_store_dwordx4 off, v[10:13], off offset:1840 ; 16-byte Folded Spill
	;; [unrolled: 1-line block ×7, first 2 shown]
	v_mov_b64_e32 v[24:25], v[46:47]
	v_mov_b64_e32 v[60:61], v[16:17]
	;; [unrolled: 1-line block ×13, first 2 shown]
	scratch_store_dwordx4 off, v[2:5], off offset:1552 ; 16-byte Folded Spill
	s_nop 0
	scratch_store_dwordx4 off, v[6:9], off offset:1568 ; 16-byte Folded Spill
	scratch_store_dwordx4 off, v[10:13], off offset:1584 ; 16-byte Folded Spill
	scratch_store_dwordx4 off, v[14:17], off offset:1600 ; 16-byte Folded Spill
	scratch_store_dwordx4 off, v[18:21], off offset:1616 ; 16-byte Folded Spill
	scratch_store_dwordx4 off, v[22:25], off offset:1632 ; 16-byte Folded Spill
	scratch_store_dwordx4 off, v[26:29], off offset:1648 ; 16-byte Folded Spill
	scratch_store_dwordx4 off, v[30:33], off offset:1664 ; 16-byte Folded Spill
	v_mov_b32_e32 v146, v68
	v_mov_b32_e32 v147, v69
	scratch_store_dwordx4 off, v[46:49], off offset:2320 ; 16-byte Folded Spill
	s_nop 0
	scratch_store_dwordx4 off, v[50:53], off offset:2336 ; 16-byte Folded Spill
	scratch_store_dwordx4 off, v[54:57], off offset:2352 ; 16-byte Folded Spill
	;; [unrolled: 1-line block ×7, first 2 shown]
	v_mov_b32_e32 v57, v0
	ds_read_b32 v1, v1 offset:112
	scratch_load_dwordx2 v[2:3], off, off offset:264 ; 8-byte Folded Reload
	v_mov_b32_e32 v16, v42
	v_mov_b32_e32 v17, v43
	v_mov_b64_e32 v[178:179], v[148:149]
	v_mov_b64_e32 v[176:177], v[146:147]
	;; [unrolled: 1-line block ×5, first 2 shown]
	v_mov_b32_e32 v11, v0
	v_mov_b32_e32 v4, v78
	;; [unrolled: 1-line block ×24, first 2 shown]
	scratch_store_dwordx4 off, v[26:29], off offset:1168 ; 16-byte Folded Spill
	s_nop 0
	scratch_store_dwordx4 off, v[30:33], off offset:1184 ; 16-byte Folded Spill
	scratch_store_dwordx4 off, v[34:37], off offset:1200 ; 16-byte Folded Spill
	;; [unrolled: 1-line block ×7, first 2 shown]
	scratch_load_dwordx4 v[22:25], off, off offset:2320 ; 16-byte Folded Reload
	s_nop 0
	scratch_load_dwordx4 v[26:29], off, off offset:2336 ; 16-byte Folded Reload
	scratch_load_dwordx4 v[30:33], off, off offset:2352 ; 16-byte Folded Reload
	scratch_load_dwordx4 v[34:37], off, off offset:2368 ; 16-byte Folded Reload
	scratch_load_dwordx4 v[38:41], off, off offset:2384 ; 16-byte Folded Reload
	scratch_load_dwordx4 v[42:45], off, off offset:2400 ; 16-byte Folded Reload
	scratch_load_dwordx4 v[46:49], off, off offset:2416 ; 16-byte Folded Reload
	scratch_load_dwordx4 v[50:53], off, off offset:2432 ; 16-byte Folded Reload
	s_waitcnt vmcnt(16)
	v_mov_b32_e32 v2, v76
	s_waitcnt vmcnt(1)
	v_mov_b32_e32 v48, v76
	v_mov_b32_e32 v49, v77
	s_waitcnt vmcnt(0)
	v_mov_b32_e32 v50, v78
	v_mov_b32_e32 v51, v79
	;; [unrolled: 1-line block ×5, first 2 shown]
	s_waitcnt lgkmcnt(0)
	v_fma_f32 v152, -v0, v1, v3
	v_mov_b32_e32 v0, v74
	v_mov_b32_e32 v1, v75
	v_mov_b32_e32 v3, v77
	v_mov_b32_e32 v55, v83
	v_mov_b32_e32 v56, v84
	v_mov_b32_e32 v150, v72
	v_mov_b32_e32 v151, v73
	v_mov_b64_e32 v[46:47], v[44:45]
	v_mov_b64_e32 v[44:45], v[42:43]
	;; [unrolled: 1-line block ×12, first 2 shown]
	v_mov_b32_e32 v22, v46
	v_mov_b32_e32 v23, v47
	;; [unrolled: 1-line block ×4, first 2 shown]
	scratch_store_dwordx4 off, v[154:157], off offset:272 ; 16-byte Folded Spill
	s_nop 0
	scratch_store_dwordx4 off, v[158:161], off offset:288 ; 16-byte Folded Spill
	scratch_store_dwordx4 off, v[162:165], off offset:304 ; 16-byte Folded Spill
	;; [unrolled: 1-line block ×8, first 2 shown]
	s_nop 0
	scratch_store_dwordx4 off, v[4:7], off offset:1440 ; 16-byte Folded Spill
	scratch_store_dwordx4 off, v[8:11], off offset:1456 ; 16-byte Folded Spill
	;; [unrolled: 1-line block ×7, first 2 shown]
	scratch_load_dwordx4 v[0:3], off, off offset:1168 ; 16-byte Folded Reload
	s_nop 0
	scratch_load_dwordx4 v[4:7], off, off offset:1184 ; 16-byte Folded Reload
	scratch_load_dwordx4 v[8:11], off, off offset:1200 ; 16-byte Folded Reload
	;; [unrolled: 1-line block ×15, first 2 shown]
	v_mov_b32_e32 v46, v74
	v_mov_b32_e32 v47, v75
	s_waitcnt vmcnt(9)
	v_mov_b32_e32 v26, v73
	v_mov_b32_e32 v27, v152
	s_waitcnt vmcnt(8)
	v_mov_b64_e32 v[42:43], v[14:15]
	v_mov_b64_e32 v[40:41], v[12:13]
	;; [unrolled: 1-line block ×8, first 2 shown]
	s_waitcnt vmcnt(4)
	v_mov_b64_e32 v[0:1], v[154:155]
	v_mov_b64_e32 v[44:45], v[16:17]
	;; [unrolled: 1-line block ×3, first 2 shown]
	s_waitcnt vmcnt(2)
	v_mov_b64_e32 v[16:17], v[170:171]
	v_mov_b32_e32 v68, v176
	v_mov_b32_e32 v69, v177
	v_mov_b64_e32 v[2:3], v[156:157]
	v_mov_b64_e32 v[4:5], v[158:159]
	v_mov_b64_e32 v[6:7], v[160:161]
	v_mov_b64_e32 v[8:9], v[162:163]
	v_mov_b64_e32 v[10:11], v[164:165]
	v_mov_b64_e32 v[12:13], v[166:167]
	v_mov_b64_e32 v[18:19], v[172:173]
	v_mov_b64_e32 v[20:21], v[174:175]
	v_mov_b64_e32 v[22:23], v[176:177]
	scratch_load_dwordx4 v[154:157], off, off offset:272 ; 16-byte Folded Reload
	scratch_load_dwordx4 v[158:161], off, off offset:288 ; 16-byte Folded Reload
	;; [unrolled: 1-line block ×8, first 2 shown]
	s_nop 0
	scratch_store_dwordx4 off, v[74:77], off offset:3608 ; 16-byte Folded Spill
	s_nop 0
	scratch_store_dwordx4 off, v[78:81], off offset:3624 ; 16-byte Folded Spill
	scratch_store_dwordx4 off, v[82:85], off offset:3640 ; 16-byte Folded Spill
	;; [unrolled: 1-line block ×7, first 2 shown]
	v_mov_b32_e32 v14, v122
	v_mov_b32_e32 v146, v22
	;; [unrolled: 1-line block ×3, first 2 shown]
	scratch_store_dwordx2 off, v[26:27], off offset:264 ; 8-byte Folded Spill
	v_mov_b32_e32 v82, v198
	scratch_store_dwordx4 off, v[186:189], off offset:2576 ; 16-byte Folded Spill
	s_nop 0
	scratch_store_dwordx4 off, v[190:193], off offset:2592 ; 16-byte Folded Spill
	scratch_store_dwordx4 off, v[194:197], off offset:2608 ; 16-byte Folded Spill
	scratch_store_dwordx4 off, v[198:201], off offset:2624 ; 16-byte Folded Spill
	scratch_store_dwordx4 off, v[202:205], off offset:2640 ; 16-byte Folded Spill
	scratch_store_dwordx4 off, v[206:209], off offset:2656 ; 16-byte Folded Spill
	scratch_store_dwordx4 off, v[210:213], off offset:2672 ; 16-byte Folded Spill
	scratch_store_dwordx4 off, v[214:217], off offset:2688 ; 16-byte Folded Spill
	scratch_store_dwordx4 off, v[0:3], off offset:400 ; 16-byte Folded Spill
	s_nop 0
	scratch_store_dwordx4 off, v[4:7], off offset:416 ; 16-byte Folded Spill
	scratch_store_dwordx4 off, v[8:11], off offset:432 ; 16-byte Folded Spill
	scratch_store_dwordx4 off, v[12:15], off offset:448 ; 16-byte Folded Spill
	scratch_store_dwordx4 off, v[16:19], off offset:464 ; 16-byte Folded Spill
	scratch_store_dwordx4 off, v[20:23], off offset:480 ; 16-byte Folded Spill
	scratch_store_dwordx4 off, v[24:27], off offset:496 ; 16-byte Folded Spill
	scratch_store_dwordx4 off, v[28:31], off offset:512 ; 16-byte Folded Spill
	;; [unrolled: 9-line block ×3, first 2 shown]
	v_mov_b32_e32 v26, v106
	v_mov_b32_e32 v62, v44
	;; [unrolled: 1-line block ×3, first 2 shown]
	scratch_store_dwordx4 off, v[8:11], off offset:528 ; 16-byte Folded Spill
	s_nop 0
	scratch_store_dwordx4 off, v[12:15], off offset:544 ; 16-byte Folded Spill
	scratch_store_dwordx4 off, v[16:19], off offset:560 ; 16-byte Folded Spill
	;; [unrolled: 1-line block ×8, first 2 shown]
	s_nop 0
	scratch_store_dwordx4 off, v[92:95], off offset:800 ; 16-byte Folded Spill
	scratch_store_dwordx4 off, v[96:99], off offset:816 ; 16-byte Folded Spill
	;; [unrolled: 1-line block ×7, first 2 shown]
	s_nop 1
	v_mov_b32_e32 v118, v234
	scratch_store_dwordx4 off, v[214:217], off offset:1040 ; 16-byte Folded Spill
	s_nop 0
	scratch_store_dwordx4 off, v[218:221], off offset:1056 ; 16-byte Folded Spill
	scratch_store_dwordx4 off, v[222:225], off offset:1072 ; 16-byte Folded Spill
	;; [unrolled: 1-line block ×7, first 2 shown]
	scratch_load_dwordx4 v[0:3], off, off offset:2320 ; 16-byte Folded Reload
	scratch_load_dwordx4 v[4:7], off, off offset:2336 ; 16-byte Folded Reload
	scratch_load_dwordx4 v[8:11], off, off offset:2352 ; 16-byte Folded Reload
	scratch_load_dwordx4 v[12:15], off, off offset:2368 ; 16-byte Folded Reload
	scratch_load_dwordx4 v[16:19], off, off offset:2384 ; 16-byte Folded Reload
	scratch_load_dwordx4 v[20:23], off, off offset:2400 ; 16-byte Folded Reload
	scratch_load_dwordx4 v[24:27], off, off offset:2416 ; 16-byte Folded Reload
	scratch_load_dwordx4 v[28:31], off, off offset:2432 ; 16-byte Folded Reload
	s_waitcnt vmcnt(62)
	v_mov_b64_e32 v[184:185], v[178:179]
	v_mov_b64_e32 v[182:183], v[176:177]
	v_mov_b64_e32 v[180:181], v[174:175]
	v_mov_b64_e32 v[178:179], v[172:173]
	v_mov_b64_e32 v[176:177], v[170:171]
	v_mov_b64_e32 v[174:175], v[168:169]
	v_mov_b32_e32 v140, v44
	v_mov_b32_e32 v141, v45
	;; [unrolled: 1-line block ×4, first 2 shown]
	v_mov_b64_e32 v[34:35], v[46:47]
	v_mov_b64_e32 v[170:171], v[164:165]
	v_mov_b32_e32 v70, v184
	v_mov_b32_e32 v71, v185
	v_mov_b32_e32 v148, v184
	v_mov_b32_e32 v149, v185
	v_mov_b32_e32 v75, v199
	v_mov_b64_e32 v[202:203], v[138:139]
	v_mov_b64_e32 v[214:215], v[150:151]
	;; [unrolled: 1-line block ×9, first 2 shown]
	v_mov_b32_e32 v50, v62
	v_mov_b64_e32 v[200:201], v[136:137]
	v_mov_b64_e32 v[198:199], v[134:135]
	;; [unrolled: 1-line block ×12, first 2 shown]
	v_mov_b32_e32 v216, v152
	v_mov_b32_e32 v222, v184
	;; [unrolled: 1-line block ×13, first 2 shown]
	v_mov_b64_e32 v[172:173], v[166:167]
	v_mov_b64_e32 v[168:169], v[162:163]
	;; [unrolled: 1-line block ×6, first 2 shown]
	scratch_store_dwordx4 off, v[34:37], off offset:912 ; 16-byte Folded Spill
	s_nop 0
	scratch_store_dwordx4 off, v[38:41], off offset:928 ; 16-byte Folded Spill
	scratch_store_dwordx4 off, v[42:45], off offset:944 ; 16-byte Folded Spill
	;; [unrolled: 1-line block ×7, first 2 shown]
	v_mov_b32_e32 v33, v107
	v_mov_b32_e32 v119, v235
	s_waitcnt vmcnt(12)
	v_mov_b64_e32 v[108:109], v[14:15]
	v_mov_b64_e32 v[106:107], v[12:13]
	s_waitcnt vmcnt(10)
	v_mov_b64_e32 v[116:117], v[22:23]
	v_mov_b64_e32 v[104:105], v[10:11]
	;; [unrolled: 1-line block ×10, first 2 shown]
	v_mov_b32_e32 v186, v116
	v_mov_b32_e32 v127, v117
.LBB56_202:
	s_or_b64 exec, exec, s[0:1]
	s_barrier
	scratch_load_dword v27, off, off offset:132 ; 4-byte Folded Reload
	scratch_load_dword v26, off, off offset:4 ; 4-byte Folded Reload
	s_cmp_lt_i32 s14, 14
	s_waitcnt vmcnt(0)
	v_lshl_add_u32 v26, v26, 2, v27
	ds_write_b32 v26, v82
	s_waitcnt lgkmcnt(0)
	s_barrier
	ds_read_b32 v28, v27 offset:48
	v_mov_b32_e32 v26, 12
	s_cbranch_scc1 .LBB56_498
; %bb.203:
	scratch_load_dword v26, off, off offset:2836 ; 4-byte Folded Reload
	s_mov_b32 s0, 13
	v_mov_b32_e32 v32, v74
	s_waitcnt vmcnt(0)
	v_add3_u32 v27, v26, 0, 52
	v_mov_b32_e32 v26, 12
.LBB56_204:                             ; =>This Inner Loop Header: Depth=1
	ds_read_b32 v29, v27
	v_add_u32_e32 v27, 4, v27
	s_waitcnt lgkmcnt(0)
	v_cmp_lt_f32_e64 vcc, |v28|, |v29|
	s_nop 1
	v_cndmask_b32_e32 v28, v28, v29, vcc
	v_mov_b32_e32 v29, s0
	s_add_i32 s0, s0, 1
	v_cndmask_b32_e32 v26, v26, v29, vcc
	s_cmp_lg_u32 s14, s0
	s_cbranch_scc1 .LBB56_204
; %bb.205:
	v_cmp_eq_f32_e32 vcc, 0, v28
	s_and_saveexec_b64 s[0:1], vcc
	s_xor_b64 s[0:1], exec, s[0:1]
	s_cbranch_execz .LBB56_207
.LBB56_206:
	scratch_load_dword v27, off, off offset:136 ; 4-byte Folded Reload
	s_waitcnt vmcnt(0)
	v_cmp_ne_u32_e32 vcc, 0, v27
	s_nop 1
	v_cndmask_b32_e32 v27, 13, v27, vcc
	scratch_store_dword off, v27, off offset:136 ; 4-byte Folded Spill
.LBB56_207:
	s_andn2_saveexec_b64 s[0:1], s[0:1]
	s_cbranch_execz .LBB56_209
; %bb.208:
	v_div_scale_f32 v27, s[2:3], v28, v28, 1.0
	v_rcp_f32_e32 v29, v27
	v_div_scale_f32 v30, vcc, 1.0, v28, 1.0
	v_fma_f32 v31, -v27, v29, 1.0
	v_fmac_f32_e32 v29, v31, v29
	v_mul_f32_e32 v31, v30, v29
	v_fma_f32 v57, -v27, v31, v30
	v_fmac_f32_e32 v31, v57, v29
	v_fma_f32 v27, -v27, v31, v30
	v_div_fmas_f32 v27, v27, v29, v31
	v_div_fixup_f32 v28, v27, v28, 1.0
.LBB56_209:
	s_or_b64 exec, exec, s[0:1]
	scratch_load_dword v27, off, off offset:4 ; 4-byte Folded Reload
	s_waitcnt vmcnt(0)
	v_cmp_ne_u32_e32 vcc, v27, v26
	s_and_saveexec_b64 s[0:1], vcc
	s_xor_b64 s[0:1], exec, s[0:1]
	s_cbranch_execz .LBB56_215
; %bb.210:
	scratch_load_dword v27, off, off offset:4 ; 4-byte Folded Reload
	s_waitcnt vmcnt(0)
	v_cmp_eq_u32_e32 vcc, 12, v27
	s_and_saveexec_b64 s[2:3], vcc
	s_cbranch_execz .LBB56_214
; %bb.211:
	v_cmp_ne_u32_e32 vcc, 12, v26
	s_xor_b64 s[18:19], s[16:17], -1
	s_and_b64 s[20:21], s[18:19], vcc
	s_and_saveexec_b64 s[18:19], s[20:21]
	s_cbranch_execz .LBB56_213
; %bb.212:
	s_movk_i32 s20, 0x1098
	scratch_load_dwordx2 v[58:59], off, s20 ; 8-byte Folded Reload
	v_ashrrev_i32_e32 v27, 31, v26
	s_waitcnt vmcnt(0)
	v_lshl_add_u64 v[30:31], v[26:27], 2, v[58:59]
	global_load_dword v27, v[30:31], off
	global_load_dword v29, v[58:59], off offset:48
	s_waitcnt vmcnt(1)
	global_store_dword v[58:59], v27, off offset:48
	s_waitcnt vmcnt(1)
	global_store_dword v[30:31], v29, off
.LBB56_213:
	s_or_b64 exec, exec, s[18:19]
	v_mov_b32_e32 v27, v26
	scratch_store_dword off, v27, off offset:2704 ; 4-byte Folded Spill
	scratch_store_dword off, v26, off offset:4 ; 4-byte Folded Spill
.LBB56_214:
	s_or_b64 exec, exec, s[2:3]
.LBB56_215:
	s_andn2_saveexec_b64 s[0:1], s[0:1]
	s_cbranch_execz .LBB56_217
; %bb.216:
	scratch_load_dword v26, off, off offset:132 ; 4-byte Folded Reload
	s_waitcnt vmcnt(0)
	ds_write2_b32 v26, v201, v202 offset0:13 offset1:14
	ds_write2_b32 v26, v203, v204 offset0:15 offset1:16
	;; [unrolled: 1-line block ×8, first 2 shown]
	v_mov_b32_e32 v26, 12
	scratch_store_dword off, v26, off offset:4 ; 4-byte Folded Spill
.LBB56_217:
	s_or_b64 exec, exec, s[0:1]
	s_waitcnt lgkmcnt(0)
	s_barrier
	scratch_load_dword v26, off, off offset:4 ; 4-byte Folded Reload
	s_waitcnt vmcnt(0)
	v_cmp_lt_i32_e32 vcc, 12, v26
	s_and_saveexec_b64 s[0:1], vcc
	s_cbranch_execz .LBB56_219
; %bb.218:
	scratch_load_dwordx4 v[32:35], off, off offset:3608 ; 16-byte Folded Reload
	scratch_load_dwordx4 v[36:39], off, off offset:3624 ; 16-byte Folded Reload
	;; [unrolled: 1-line block ×8, first 2 shown]
	scratch_load_dword v10, off, off offset:132 ; 4-byte Folded Reload
	s_waitcnt vmcnt(5)
	v_mul_f32_e32 v44, v82, v28
	v_mov_b32_e32 v2, v201
	v_mov_b32_e32 v3, v202
	;; [unrolled: 1-line block ×15, first 2 shown]
	s_waitcnt vmcnt(0)
	ds_read2_b32 v[0:1], v10 offset0:13 offset1:14
	ds_read2_b32 v[4:5], v10 offset0:15 offset1:16
	;; [unrolled: 1-line block ×4, first 2 shown]
	v_mov_b32_e32 v167, v39
	v_mov_b32_e32 v168, v40
	;; [unrolled: 1-line block ×3, first 2 shown]
	s_waitcnt lgkmcnt(3)
	v_pk_fma_f32 v[26:27], v[44:45], v[0:1], v[2:3] op_sel_hi:[0,1,1] neg_lo:[1,0,0] neg_hi:[1,0,0]
	v_mov_b32_e32 v0, v203
	v_mov_b32_e32 v1, v204
	s_waitcnt lgkmcnt(2)
	v_pk_fma_f32 v[28:29], v[44:45], v[4:5], v[0:1] op_sel_hi:[0,1,1] neg_lo:[1,0,0] neg_hi:[1,0,0]
	v_mov_b32_e32 v0, v205
	v_mov_b32_e32 v1, v206
	;; [unrolled: 4-line block ×3, first 2 shown]
	s_waitcnt lgkmcnt(0)
	v_pk_fma_f32 v[58:59], v[44:45], v[8:9], v[0:1] op_sel_hi:[0,1,1] neg_lo:[1,0,0] neg_hi:[1,0,0]
	ds_read2_b32 v[0:1], v10 offset0:21 offset1:22
	ds_read2_b32 v[4:5], v10 offset0:23 offset1:24
	;; [unrolled: 1-line block ×4, first 2 shown]
	v_mov_b32_e32 v2, v209
	v_mov_b32_e32 v3, v210
	;; [unrolled: 1-line block ×3, first 2 shown]
	s_waitcnt lgkmcnt(3)
	v_pk_fma_f32 v[60:61], v[44:45], v[0:1], v[2:3] op_sel_hi:[0,1,1] neg_lo:[1,0,0] neg_hi:[1,0,0]
	v_mov_b32_e32 v0, v211
	v_mov_b32_e32 v1, v212
	s_waitcnt lgkmcnt(2)
	v_pk_fma_f32 v[62:63], v[44:45], v[4:5], v[0:1] op_sel_hi:[0,1,1] neg_lo:[1,0,0] neg_hi:[1,0,0]
	v_mov_b32_e32 v0, v213
	v_mov_b32_e32 v1, v214
	;; [unrolled: 4-line block ×4, first 2 shown]
	v_mov_b32_e32 v2, v34
	v_mov_b32_e32 v3, v35
	;; [unrolled: 1-line block ×11, first 2 shown]
	scratch_store_dwordx4 off, v[0:3], off offset:2064 ; 16-byte Folded Spill
	s_nop 0
	scratch_store_dwordx4 off, v[4:7], off offset:2080 ; 16-byte Folded Spill
	scratch_store_dwordx4 off, v[8:11], off offset:2096 ; 16-byte Folded Spill
	;; [unrolled: 1-line block ×7, first 2 shown]
	v_mov_b32_e32 v170, v42
	v_mov_b32_e32 v171, v43
	;; [unrolled: 1-line block ×63, first 2 shown]
	scratch_store_dwordx4 off, v[0:3], off offset:2708 ; 16-byte Folded Spill
	s_nop 0
	scratch_store_dwordx4 off, v[4:7], off offset:2724 ; 16-byte Folded Spill
	scratch_store_dwordx4 off, v[8:11], off offset:2740 ; 16-byte Folded Spill
	scratch_store_dwordx4 off, v[12:15], off offset:2756 ; 16-byte Folded Spill
	scratch_store_dwordx4 off, v[16:19], off offset:2772 ; 16-byte Folded Spill
	scratch_store_dwordx4 off, v[20:23], off offset:2788 ; 16-byte Folded Spill
	scratch_store_dwordx4 off, v[24:27], off offset:2804 ; 16-byte Folded Spill
	scratch_store_dwordx4 off, v[28:31], off offset:2820 ; 16-byte Folded Spill
	v_mov_b32_e32 v16, v29
	scratch_store_dwordx4 off, v[0:3], off offset:1168 ; 16-byte Folded Spill
	s_nop 0
	scratch_store_dwordx4 off, v[4:7], off offset:1184 ; 16-byte Folded Spill
	scratch_store_dwordx4 off, v[8:11], off offset:1200 ; 16-byte Folded Spill
	scratch_store_dwordx4 off, v[12:15], off offset:1216 ; 16-byte Folded Spill
	scratch_store_dwordx4 off, v[16:19], off offset:1232 ; 16-byte Folded Spill
	scratch_store_dwordx4 off, v[20:23], off offset:1248 ; 16-byte Folded Spill
	scratch_store_dwordx4 off, v[24:27], off offset:1264 ; 16-byte Folded Spill
	scratch_store_dwordx4 off, v[28:31], off offset:1280 ; 16-byte Folded Spill
	v_mov_b32_e32 v17, v30
	;; [unrolled: 10-line block ×7, first 2 shown]
	v_mov_b32_e32 v23, v62
	v_mov_b32_e32 v107, v26
	;; [unrolled: 1-line block ×7, first 2 shown]
	scratch_store_dwordx4 off, v[0:3], off offset:1552 ; 16-byte Folded Spill
	s_nop 0
	scratch_store_dwordx4 off, v[4:7], off offset:1568 ; 16-byte Folded Spill
	scratch_store_dwordx4 off, v[8:11], off offset:1584 ; 16-byte Folded Spill
	;; [unrolled: 1-line block ×7, first 2 shown]
	v_mov_b32_e32 v173, v26
	v_mov_b32_e32 v174, v27
	;; [unrolled: 1-line block ×8, first 2 shown]
	scratch_store_dwordx4 off, v[160:163], off offset:272 ; 16-byte Folded Spill
	s_nop 0
	scratch_store_dwordx4 off, v[164:167], off offset:288 ; 16-byte Folded Spill
	scratch_store_dwordx4 off, v[168:171], off offset:304 ; 16-byte Folded Spill
	;; [unrolled: 1-line block ×8, first 2 shown]
	s_nop 0
	scratch_store_dwordx4 off, v[4:7], off offset:1440 ; 16-byte Folded Spill
	scratch_store_dwordx4 off, v[8:11], off offset:1456 ; 16-byte Folded Spill
	;; [unrolled: 1-line block ×7, first 2 shown]
	v_mov_b32_e32 v188, v32
	v_mov_b32_e32 v189, v33
	;; [unrolled: 1-line block ×12, first 2 shown]
	scratch_store_dwordx4 off, v[118:121], off offset:912 ; 16-byte Folded Spill
	s_nop 0
	scratch_store_dwordx4 off, v[122:125], off offset:928 ; 16-byte Folded Spill
	scratch_store_dwordx4 off, v[126:129], off offset:944 ; 16-byte Folded Spill
	;; [unrolled: 1-line block ×7, first 2 shown]
	v_mov_b32_e32 v201, v26
	v_mov_b32_e32 v202, v27
	;; [unrolled: 1-line block ×6, first 2 shown]
	scratch_store_dwordx2 off, v[90:91], off offset:264 ; 8-byte Folded Spill
	scratch_store_dwordx4 off, v[32:35], off offset:2840 ; 16-byte Folded Spill
	s_nop 0
	scratch_store_dwordx4 off, v[36:39], off offset:2856 ; 16-byte Folded Spill
	scratch_store_dwordx4 off, v[40:43], off offset:2872 ; 16-byte Folded Spill
	;; [unrolled: 1-line block ×8, first 2 shown]
	s_nop 0
	scratch_store_dwordx4 off, v[36:39], off offset:2592 ; 16-byte Folded Spill
	scratch_store_dwordx4 off, v[40:43], off offset:2608 ; 16-byte Folded Spill
	;; [unrolled: 1-line block ×7, first 2 shown]
	v_mov_b32_e32 v75, v26
	scratch_store_dwordx4 off, v[0:3], off offset:400 ; 16-byte Folded Spill
	s_nop 0
	scratch_store_dwordx4 off, v[4:7], off offset:416 ; 16-byte Folded Spill
	scratch_store_dwordx4 off, v[8:11], off offset:432 ; 16-byte Folded Spill
	;; [unrolled: 1-line block ×7, first 2 shown]
	v_mov_b32_e32 v118, v59
	v_mov_b32_e32 v119, v60
	;; [unrolled: 1-line block ×6, first 2 shown]
	scratch_store_dwordx4 off, v[8:11], off offset:528 ; 16-byte Folded Spill
	s_nop 0
	scratch_store_dwordx4 off, v[12:15], off offset:544 ; 16-byte Folded Spill
	scratch_store_dwordx4 off, v[16:19], off offset:560 ; 16-byte Folded Spill
	;; [unrolled: 1-line block ×7, first 2 shown]
	v_mov_b32_e32 v186, v61
	v_mov_b32_e32 v33, v58
	;; [unrolled: 1-line block ×4, first 2 shown]
.LBB56_219:
	s_or_b64 exec, exec, s[0:1]
	s_waitcnt vmcnt(63) expcnt(7) lgkmcnt(15)
	s_barrier
	scratch_load_dword v27, off, off offset:132 ; 4-byte Folded Reload
	scratch_load_dword v26, off, off offset:4 ; 4-byte Folded Reload
	s_cmp_lt_i32 s14, 15
	s_waitcnt vmcnt(0)
	v_lshl_add_u32 v26, v26, 2, v27
	ds_write_b32 v26, v75
	s_waitcnt lgkmcnt(0)
	s_barrier
	ds_read_b32 v28, v27 offset:52
	v_mov_b32_e32 v26, 13
	s_cbranch_scc1 .LBB56_222
; %bb.220:
	scratch_load_dword v26, off, off offset:2836 ; 4-byte Folded Reload
	s_mov_b32 s0, 14
	s_waitcnt vmcnt(0)
	v_add3_u32 v27, v26, 0, 56
	v_mov_b32_e32 v26, 13
.LBB56_221:                             ; =>This Inner Loop Header: Depth=1
	ds_read_b32 v29, v27
	v_add_u32_e32 v27, 4, v27
	s_waitcnt lgkmcnt(0)
	v_cmp_lt_f32_e64 vcc, |v28|, |v29|
	s_nop 1
	v_cndmask_b32_e32 v28, v28, v29, vcc
	v_mov_b32_e32 v29, s0
	s_add_i32 s0, s0, 1
	v_cndmask_b32_e32 v26, v26, v29, vcc
	s_cmp_lg_u32 s14, s0
	s_cbranch_scc1 .LBB56_221
.LBB56_222:
	s_waitcnt lgkmcnt(0)
	v_cmp_eq_f32_e32 vcc, 0, v28
	s_and_saveexec_b64 s[0:1], vcc
	s_xor_b64 s[0:1], exec, s[0:1]
	s_cbranch_execz .LBB56_224
; %bb.223:
	scratch_load_dword v27, off, off offset:136 ; 4-byte Folded Reload
	s_waitcnt vmcnt(0)
	v_cmp_ne_u32_e32 vcc, 0, v27
	s_nop 1
	v_cndmask_b32_e32 v27, 14, v27, vcc
	scratch_store_dword off, v27, off offset:136 ; 4-byte Folded Spill
.LBB56_224:
	s_andn2_saveexec_b64 s[0:1], s[0:1]
	s_cbranch_execz .LBB56_226
; %bb.225:
	v_div_scale_f32 v27, s[2:3], v28, v28, 1.0
	v_rcp_f32_e32 v29, v27
	v_div_scale_f32 v30, vcc, 1.0, v28, 1.0
	v_fma_f32 v31, -v27, v29, 1.0
	v_fmac_f32_e32 v29, v31, v29
	v_mul_f32_e32 v31, v30, v29
	v_fma_f32 v57, -v27, v31, v30
	v_fmac_f32_e32 v31, v57, v29
	v_fma_f32 v27, -v27, v31, v30
	v_div_fmas_f32 v27, v27, v29, v31
	v_div_fixup_f32 v28, v27, v28, 1.0
.LBB56_226:
	s_or_b64 exec, exec, s[0:1]
	scratch_load_dword v27, off, off offset:4 ; 4-byte Folded Reload
	s_waitcnt vmcnt(0)
	v_cmp_ne_u32_e32 vcc, v27, v26
	s_and_saveexec_b64 s[0:1], vcc
	s_xor_b64 s[0:1], exec, s[0:1]
	s_cbranch_execz .LBB56_232
; %bb.227:
	scratch_load_dword v27, off, off offset:4 ; 4-byte Folded Reload
	s_waitcnt vmcnt(0)
	v_cmp_eq_u32_e32 vcc, 13, v27
	s_and_saveexec_b64 s[2:3], vcc
	s_cbranch_execz .LBB56_231
; %bb.228:
	v_cmp_ne_u32_e32 vcc, 13, v26
	s_xor_b64 s[18:19], s[16:17], -1
	s_and_b64 s[20:21], s[18:19], vcc
	s_and_saveexec_b64 s[18:19], s[20:21]
	s_cbranch_execz .LBB56_230
; %bb.229:
	s_movk_i32 s20, 0x1098
	scratch_load_dwordx2 v[58:59], off, s20 ; 8-byte Folded Reload
	v_ashrrev_i32_e32 v27, 31, v26
	s_waitcnt vmcnt(0)
	v_lshl_add_u64 v[30:31], v[26:27], 2, v[58:59]
	global_load_dword v27, v[30:31], off
	global_load_dword v29, v[58:59], off offset:52
	s_waitcnt vmcnt(1)
	global_store_dword v[58:59], v27, off offset:52
	s_waitcnt vmcnt(1)
	global_store_dword v[30:31], v29, off
.LBB56_230:
	s_or_b64 exec, exec, s[18:19]
	v_mov_b32_e32 v27, v26
	scratch_store_dword off, v27, off offset:2704 ; 4-byte Folded Spill
	scratch_store_dword off, v26, off offset:4 ; 4-byte Folded Spill
.LBB56_231:
	s_or_b64 exec, exec, s[2:3]
.LBB56_232:
	s_or_saveexec_b64 s[0:1], s[0:1]
	v_mov_b32_e32 v24, v32
	s_xor_b64 exec, exec, s[0:1]
	s_cbranch_execz .LBB56_234
; %bb.233:
	scratch_load_dword v29, off, off offset:132 ; 4-byte Folded Reload
	s_waitcnt vmcnt(0)
	ds_write2_b32 v29, v202, v203 offset0:14 offset1:15
	ds_write2_b32 v29, v204, v205 offset0:16 offset1:17
	;; [unrolled: 1-line block ×7, first 2 shown]
	scratch_load_dwordx2 v[26:27], off, off offset:264 ; 8-byte Folded Reload
	s_waitcnt vmcnt(0)
	v_mov_b32_e32 v26, 13
	scratch_store_dword off, v26, off offset:4 ; 4-byte Folded Spill
	ds_write_b32 v29, v27 offset:112
.LBB56_234:
	s_or_b64 exec, exec, s[0:1]
	s_waitcnt lgkmcnt(0)
	s_barrier
	scratch_load_dword v26, off, off offset:4 ; 4-byte Folded Reload
	s_waitcnt vmcnt(0)
	v_cmp_lt_i32_e32 vcc, 13, v26
	s_and_saveexec_b64 s[0:1], vcc
	s_cbranch_execz .LBB56_236
; %bb.235:
	scratch_load_dword v1, off, off offset:132 ; 4-byte Folded Reload
	v_mul_f32_e32 v0, v75, v28
	v_mov_b32_e32 v15, v0
	v_mov_b32_e32 v121, v0
	v_mov_b32_e32 v227, v0
	v_mov_b32_e32 v173, v0
	v_mov_b32_e32 v137, v0
	s_waitcnt vmcnt(0)
	ds_read2_b32 v[2:3], v1 offset0:14 offset1:15
	ds_read2_b32 v[4:5], v1 offset0:16 offset1:17
	;; [unrolled: 1-line block ×4, first 2 shown]
	s_waitcnt lgkmcnt(3)
	v_pk_fma_f32 v[122:123], v[0:1], v[2:3], v[202:203] op_sel_hi:[0,1,1] neg_lo:[1,0,0] neg_hi:[1,0,0]
	s_waitcnt lgkmcnt(2)
	v_pk_fma_f32 v[18:19], v[0:1], v[4:5], v[204:205] op_sel_hi:[0,1,1] neg_lo:[1,0,0] neg_hi:[1,0,0]
	;; [unrolled: 2-line block ×3, first 2 shown]
	ds_read2_b32 v[2:3], v1 offset0:22 offset1:23
	ds_read2_b32 v[4:5], v1 offset0:24 offset1:25
	;; [unrolled: 1-line block ×3, first 2 shown]
	s_waitcnt lgkmcnt(3)
	v_pk_fma_f32 v[234:235], v[0:1], v[8:9], v[208:209] op_sel_hi:[0,1,1] neg_lo:[1,0,0] neg_hi:[1,0,0]
	ds_read_b32 v1, v1 offset:112
	v_mov_b32_e32 v16, v122
	v_mov_b32_e32 v17, v123
	;; [unrolled: 1-line block ×4, first 2 shown]
	s_waitcnt lgkmcnt(0)
	v_pk_fma_f32 v[24:25], v[0:1], v[2:3], v[210:211] op_sel_hi:[0,1,1] neg_lo:[1,0,0] neg_hi:[1,0,0]
	v_pk_fma_f32 v[184:185], v[0:1], v[4:5], v[212:213] op_sel_hi:[0,1,1] neg_lo:[1,0,0] neg_hi:[1,0,0]
	v_pk_fma_f32 v[72:73], v[0:1], v[6:7], v[214:215] op_sel_hi:[0,1,1] neg_lo:[1,0,0] neg_hi:[1,0,0]
	scratch_load_dwordx4 v[192:195], off, off offset:2576 ; 16-byte Folded Reload
	scratch_load_dwordx4 v[196:199], off, off offset:2592 ; 16-byte Folded Reload
	;; [unrolled: 1-line block ×8, first 2 shown]
	s_waitcnt vmcnt(4)
	v_mov_b32_e32 v205, v0
	v_mov_b32_e32 v228, v122
	;; [unrolled: 1-line block ×24, first 2 shown]
	scratch_store_dwordx4 off, v[2:5], off offset:2708 ; 16-byte Folded Spill
	s_nop 0
	scratch_store_dwordx4 off, v[6:9], off offset:2724 ; 16-byte Folded Spill
	scratch_store_dwordx4 off, v[10:13], off offset:2740 ; 16-byte Folded Spill
	;; [unrolled: 1-line block ×7, first 2 shown]
	v_mov_b32_e32 v108, v192
	v_mov_b32_e32 v109, v193
	;; [unrolled: 1-line block ×13, first 2 shown]
	s_waitcnt vmcnt(10)
	v_mov_b32_e32 v214, v192
	v_mov_b32_e32 v215, v193
	s_waitcnt vmcnt(9)
	v_mov_b32_e32 v216, v194
	v_mov_b32_e32 v217, v195
	;; [unrolled: 1-line block ×4, first 2 shown]
	s_waitcnt vmcnt(8)
	v_mov_b32_e32 v220, v198
	v_mov_b32_e32 v221, v199
	;; [unrolled: 1-line block ×33, first 2 shown]
	v_mov_b64_e32 v[88:89], v[16:17]
	v_mov_b64_e32 v[86:87], v[14:15]
	;; [unrolled: 1-line block ×9, first 2 shown]
	scratch_store_dwordx4 off, v[2:5], off offset:2192 ; 16-byte Folded Spill
	s_nop 0
	scratch_store_dwordx4 off, v[6:9], off offset:2208 ; 16-byte Folded Spill
	scratch_store_dwordx4 off, v[10:13], off offset:2224 ; 16-byte Folded Spill
	;; [unrolled: 1-line block ×7, first 2 shown]
	v_mov_b32_e32 v230, v90
	v_mov_b32_e32 v231, v91
	;; [unrolled: 1-line block ×6, first 2 shown]
	v_mov_b64_e32 v[40:41], v[16:17]
	v_mov_b64_e32 v[32:33], v[8:9]
	;; [unrolled: 1-line block ×10, first 2 shown]
	scratch_store_dwordx4 off, v[2:5], off offset:1936 ; 16-byte Folded Spill
	s_nop 0
	scratch_store_dwordx4 off, v[6:9], off offset:1952 ; 16-byte Folded Spill
	scratch_store_dwordx4 off, v[10:13], off offset:1968 ; 16-byte Folded Spill
	;; [unrolled: 1-line block ×7, first 2 shown]
	v_mov_b32_e32 v22, v234
	v_mov_b32_e32 v23, v235
	;; [unrolled: 1-line block ×6, first 2 shown]
	scratch_store_dwordx4 off, v[2:5], off offset:1808 ; 16-byte Folded Spill
	s_nop 0
	scratch_store_dwordx4 off, v[6:9], off offset:1824 ; 16-byte Folded Spill
	scratch_store_dwordx4 off, v[10:13], off offset:1840 ; 16-byte Folded Spill
	;; [unrolled: 1-line block ×7, first 2 shown]
	v_mov_b64_e32 v[60:61], v[16:17]
	v_mov_b64_e32 v[68:69], v[24:25]
	;; [unrolled: 1-line block ×12, first 2 shown]
	scratch_store_dwordx4 off, v[2:5], off offset:1552 ; 16-byte Folded Spill
	s_nop 0
	scratch_store_dwordx4 off, v[6:9], off offset:1568 ; 16-byte Folded Spill
	scratch_store_dwordx4 off, v[10:13], off offset:1584 ; 16-byte Folded Spill
	;; [unrolled: 1-line block ×7, first 2 shown]
	v_mov_b32_e32 v182, v68
	v_mov_b32_e32 v183, v69
	scratch_store_dwordx4 off, v[46:49], off offset:2320 ; 16-byte Folded Spill
	s_nop 0
	scratch_store_dwordx4 off, v[50:53], off offset:2336 ; 16-byte Folded Spill
	scratch_store_dwordx4 off, v[54:57], off offset:2352 ; 16-byte Folded Spill
	;; [unrolled: 1-line block ×7, first 2 shown]
	scratch_load_dwordx2 v[2:3], off, off offset:264 ; 8-byte Folded Reload
	v_mov_b32_e32 v18, v44
	v_mov_b32_e32 v19, v45
	;; [unrolled: 1-line block ×4, first 2 shown]
	s_waitcnt vmcnt(0)
	v_mov_b32_e32 v2, v194
	v_mov_b32_e32 v4, v196
	;; [unrolled: 1-line block ×23, first 2 shown]
	scratch_store_dwordx4 off, v[26:29], off offset:784 ; 16-byte Folded Spill
	s_nop 0
	scratch_store_dwordx4 off, v[30:33], off offset:800 ; 16-byte Folded Spill
	scratch_store_dwordx4 off, v[34:37], off offset:816 ; 16-byte Folded Spill
	;; [unrolled: 1-line block ×7, first 2 shown]
	scratch_load_dwordx4 v[22:25], off, off offset:2320 ; 16-byte Folded Reload
	s_nop 0
	scratch_load_dwordx4 v[26:29], off, off offset:2336 ; 16-byte Folded Reload
	scratch_load_dwordx4 v[30:33], off, off offset:2352 ; 16-byte Folded Reload
	;; [unrolled: 1-line block ×7, first 2 shown]
	s_waitcnt vmcnt(1)
	v_mov_b32_e32 v48, v194
	v_mov_b32_e32 v49, v195
	s_waitcnt vmcnt(0)
	v_mov_b32_e32 v50, v196
	v_mov_b32_e32 v51, v197
	;; [unrolled: 1-line block ×4, first 2 shown]
	v_fma_f32 v152, -v0, v1, v3
	v_mov_b32_e32 v0, v192
	v_mov_b32_e32 v1, v193
	;; [unrolled: 1-line block ×11, first 2 shown]
	v_mov_b64_e32 v[46:47], v[44:45]
	v_mov_b64_e32 v[44:45], v[42:43]
	;; [unrolled: 1-line block ×12, first 2 shown]
	v_mov_b32_e32 v22, v46
	v_mov_b32_e32 v23, v47
	;; [unrolled: 1-line block ×4, first 2 shown]
	scratch_store_dwordx4 off, v[0:3], off offset:1424 ; 16-byte Folded Spill
	s_nop 0
	scratch_store_dwordx4 off, v[4:7], off offset:1440 ; 16-byte Folded Spill
	scratch_store_dwordx4 off, v[8:11], off offset:1456 ; 16-byte Folded Spill
	scratch_store_dwordx4 off, v[12:15], off offset:1472 ; 16-byte Folded Spill
	scratch_store_dwordx4 off, v[16:19], off offset:1488 ; 16-byte Folded Spill
	scratch_store_dwordx4 off, v[20:23], off offset:1504 ; 16-byte Folded Spill
	scratch_store_dwordx4 off, v[24:27], off offset:1520 ; 16-byte Folded Spill
	scratch_store_dwordx4 off, v[28:31], off offset:1536 ; 16-byte Folded Spill
	scratch_load_dwordx4 v[0:3], off, off offset:784 ; 16-byte Folded Reload
	s_nop 0
	scratch_load_dwordx4 v[4:7], off, off offset:800 ; 16-byte Folded Reload
	scratch_load_dwordx4 v[8:11], off, off offset:816 ; 16-byte Folded Reload
	;; [unrolled: 1-line block ×7, first 2 shown]
	v_mov_b32_e32 v46, v192
	v_mov_b32_e32 v47, v193
	s_waitcnt vmcnt(3)
	v_mov_b32_e32 v64, v18
	v_mov_b32_e32 v65, v19
	scratch_load_dwordx4 v[0:3], off, off offset:2320 ; 16-byte Folded Reload
	scratch_load_dwordx4 v[4:7], off, off offset:2336 ; 16-byte Folded Reload
	;; [unrolled: 1-line block ×8, first 2 shown]
	s_nop 0
	scratch_store_dwordx4 off, v[74:77], off offset:1168 ; 16-byte Folded Spill
	s_nop 0
	scratch_store_dwordx4 off, v[78:81], off offset:1184 ; 16-byte Folded Spill
	scratch_store_dwordx4 off, v[82:85], off offset:1200 ; 16-byte Folded Spill
	;; [unrolled: 1-line block ×7, first 2 shown]
	scratch_load_dwordx4 v[74:77], off, off offset:784 ; 16-byte Folded Reload
	s_nop 0
	scratch_load_dwordx4 v[78:81], off, off offset:800 ; 16-byte Folded Reload
	scratch_load_dwordx4 v[82:85], off, off offset:816 ; 16-byte Folded Reload
	;; [unrolled: 1-line block ×7, first 2 shown]
	s_waitcnt vmcnt(17)
	v_mov_b32_e32 v26, v73
	v_mov_b32_e32 v27, v152
	;; [unrolled: 1-line block ×3, first 2 shown]
	scratch_store_dwordx4 off, v[192:195], off offset:2840 ; 16-byte Folded Spill
	s_nop 0
	scratch_store_dwordx4 off, v[196:199], off offset:2856 ; 16-byte Folded Spill
	scratch_store_dwordx4 off, v[200:203], off offset:2872 ; 16-byte Folded Spill
	;; [unrolled: 1-line block ×7, first 2 shown]
	scratch_store_dwordx2 off, v[26:27], off offset:264 ; 8-byte Folded Spill
	v_mov_b32_e32 v68, v22
	v_mov_b32_e32 v69, v23
	;; [unrolled: 1-line block ×4, first 2 shown]
	scratch_store_dwordx4 off, v[10:13], off offset:400 ; 16-byte Folded Spill
	s_nop 0
	scratch_store_dwordx4 off, v[14:17], off offset:416 ; 16-byte Folded Spill
	scratch_store_dwordx4 off, v[18:21], off offset:432 ; 16-byte Folded Spill
	;; [unrolled: 1-line block ×3, first 2 shown]
	s_waitcnt vmcnt(29)
	scratch_store_dwordx4 off, v[26:29], off offset:464 ; 16-byte Folded Spill
	scratch_store_dwordx4 off, v[30:33], off offset:480 ; 16-byte Folded Spill
	;; [unrolled: 1-line block ×5, first 2 shown]
	s_nop 0
	scratch_store_dwordx4 off, v[112:115], off offset:2080 ; 16-byte Folded Spill
	scratch_store_dwordx4 off, v[116:119], off offset:2096 ; 16-byte Folded Spill
	;; [unrolled: 1-line block ×7, first 2 shown]
	s_waitcnt vmcnt(28)
	v_mov_b32_e32 v142, v92
	v_mov_b32_e32 v143, v93
	scratch_load_dwordx4 v[74:77], off, off offset:1168 ; 16-byte Folded Reload
	scratch_load_dwordx4 v[78:81], off, off offset:1184 ; 16-byte Folded Reload
	;; [unrolled: 1-line block ×8, first 2 shown]
	v_mov_b32_e32 v118, v234
	v_mov_b64_e32 v[202:203], v[138:139]
	v_mov_b64_e32 v[190:191], v[126:127]
	;; [unrolled: 1-line block ×6, first 2 shown]
	s_waitcnt vmcnt(4)
	v_mov_b64_e32 v[28:29], v[74:75]
	v_mov_b64_e32 v[30:31], v[76:77]
	;; [unrolled: 1-line block ×8, first 2 shown]
	s_waitcnt vmcnt(3)
	v_mov_b64_e32 v[44:45], v[90:91]
	scratch_load_dwordx4 v[74:77], off, off offset:784 ; 16-byte Folded Reload
	scratch_load_dwordx4 v[78:81], off, off offset:800 ; 16-byte Folded Reload
	;; [unrolled: 1-line block ×8, first 2 shown]
	v_mov_b32_e32 v24, v44
	v_mov_b32_e32 v73, v45
	v_mov_b64_e32 v[194:195], v[130:131]
	v_mov_b64_e32 v[192:193], v[128:129]
	s_waitcnt vmcnt(0)
	v_mov_b64_e32 v[106:107], v[92:93]
	v_mov_b32_e32 v26, v106
	scratch_store_dwordx4 off, v[8:11], off offset:528 ; 16-byte Folded Spill
	s_nop 0
	scratch_store_dwordx4 off, v[12:15], off offset:544 ; 16-byte Folded Spill
	scratch_store_dwordx4 off, v[16:19], off offset:560 ; 16-byte Folded Spill
	;; [unrolled: 1-line block ×8, first 2 shown]
	s_nop 0
	scratch_store_dwordx4 off, v[218:221], off offset:1056 ; 16-byte Folded Spill
	scratch_store_dwordx4 off, v[222:225], off offset:1072 ; 16-byte Folded Spill
	;; [unrolled: 1-line block ×7, first 2 shown]
	v_mov_b64_e32 v[104:105], v[90:91]
	v_mov_b64_e32 v[102:103], v[88:89]
	;; [unrolled: 1-line block ×7, first 2 shown]
	v_mov_b32_e32 v33, v107
	v_mov_b64_e32 v[214:215], v[150:151]
	v_mov_b32_e32 v222, v184
	v_mov_b64_e32 v[36:37], v[48:49]
	v_mov_b64_e32 v[38:39], v[50:51]
	;; [unrolled: 1-line block ×7, first 2 shown]
	v_mov_b32_e32 v50, v62
	v_mov_b64_e32 v[212:213], v[148:149]
	v_mov_b64_e32 v[210:211], v[146:147]
	;; [unrolled: 1-line block ×5, first 2 shown]
	v_mov_b32_e32 v216, v152
	v_mov_b32_e32 v51, v63
	;; [unrolled: 1-line block ×11, first 2 shown]
	v_mov_b64_e32 v[92:93], v[78:79]
	v_mov_b64_e32 v[90:91], v[76:77]
	;; [unrolled: 1-line block ×4, first 2 shown]
	v_mov_b32_e32 v186, v116
	v_mov_b64_e32 v[108:109], v[14:15]
	scratch_store_dwordx4 off, v[160:163], off offset:272 ; 16-byte Folded Spill
	s_nop 0
	scratch_store_dwordx4 off, v[164:167], off offset:288 ; 16-byte Folded Spill
	scratch_store_dwordx4 off, v[168:171], off offset:304 ; 16-byte Folded Spill
	;; [unrolled: 1-line block ×7, first 2 shown]
	v_mov_b32_e32 v119, v235
	v_mov_b64_e32 v[106:107], v[12:13]
	v_mov_b64_e32 v[104:105], v[10:11]
	;; [unrolled: 1-line block ×10, first 2 shown]
	v_mov_b32_e32 v127, v117
	v_mov_b32_e32 v170, v72
	scratch_store_dwordx4 off, v[34:37], off offset:912 ; 16-byte Folded Spill
	s_nop 0
	scratch_store_dwordx4 off, v[38:41], off offset:928 ; 16-byte Folded Spill
	scratch_store_dwordx4 off, v[42:45], off offset:944 ; 16-byte Folded Spill
	;; [unrolled: 1-line block ×7, first 2 shown]
.LBB56_236:
	s_or_b64 exec, exec, s[0:1]
	s_barrier
	scratch_load_dword v27, off, off offset:132 ; 4-byte Folded Reload
	scratch_load_dword v26, off, off offset:4 ; 4-byte Folded Reload
	scratch_load_dwordx4 v[34:37], off, off offset:400 ; 16-byte Folded Reload
	scratch_load_dwordx4 v[38:41], off, off offset:416 ; 16-byte Folded Reload
	;; [unrolled: 1-line block ×8, first 2 shown]
	s_cmp_lt_i32 s14, 16
	s_waitcnt vmcnt(8)
	v_lshl_add_u32 v26, v26, 2, v27
	s_waitcnt vmcnt(4)
	ds_write_b32 v26, v48
	s_waitcnt lgkmcnt(0)
	s_barrier
	ds_read_b32 v28, v27 offset:56
	v_mov_b32_e32 v26, 14
	s_cbranch_scc1 .LBB56_499
; %bb.237:
	scratch_load_dword v26, off, off offset:2836 ; 4-byte Folded Reload
	s_mov_b32 s0, 15
	s_waitcnt vmcnt(1)
	v_mov_b32_e32 v64, v24
	s_waitcnt vmcnt(0)
	v_add3_u32 v27, v26, 0, 60
	v_mov_b32_e32 v26, 14
.LBB56_238:                             ; =>This Inner Loop Header: Depth=1
	ds_read_b32 v29, v27
	v_add_u32_e32 v27, 4, v27
	s_waitcnt lgkmcnt(0)
	v_cmp_lt_f32_e64 vcc, |v28|, |v29|
	s_nop 1
	v_cndmask_b32_e32 v28, v28, v29, vcc
	v_mov_b32_e32 v29, s0
	s_add_i32 s0, s0, 1
	v_cndmask_b32_e32 v26, v26, v29, vcc
	s_cmp_lg_u32 s14, s0
	s_cbranch_scc1 .LBB56_238
; %bb.239:
	v_cmp_eq_f32_e32 vcc, 0, v28
	s_and_saveexec_b64 s[0:1], vcc
	s_xor_b64 s[0:1], exec, s[0:1]
	s_cbranch_execz .LBB56_241
.LBB56_240:
	scratch_load_dword v27, off, off offset:136 ; 4-byte Folded Reload
	s_waitcnt vmcnt(0)
	v_cmp_ne_u32_e32 vcc, 0, v27
	s_nop 1
	v_cndmask_b32_e32 v27, 15, v27, vcc
	scratch_store_dword off, v27, off offset:136 ; 4-byte Folded Spill
.LBB56_241:
	s_andn2_saveexec_b64 s[0:1], s[0:1]
	s_cbranch_execz .LBB56_243
; %bb.242:
	v_div_scale_f32 v27, s[2:3], v28, v28, 1.0
	v_rcp_f32_e32 v29, v27
	v_div_scale_f32 v30, vcc, 1.0, v28, 1.0
	v_fma_f32 v31, -v27, v29, 1.0
	v_fmac_f32_e32 v29, v31, v29
	v_mul_f32_e32 v31, v30, v29
	v_fma_f32 v57, -v27, v31, v30
	v_fmac_f32_e32 v31, v57, v29
	v_fma_f32 v27, -v27, v31, v30
	v_div_fmas_f32 v27, v27, v29, v31
	v_div_fixup_f32 v28, v27, v28, 1.0
.LBB56_243:
	s_or_b64 exec, exec, s[0:1]
	scratch_load_dword v27, off, off offset:4 ; 4-byte Folded Reload
	s_waitcnt vmcnt(0)
	v_cmp_ne_u32_e32 vcc, v27, v26
	s_and_saveexec_b64 s[0:1], vcc
	s_xor_b64 s[0:1], exec, s[0:1]
	s_cbranch_execz .LBB56_249
; %bb.244:
	scratch_load_dword v27, off, off offset:4 ; 4-byte Folded Reload
	s_waitcnt vmcnt(0)
	v_cmp_eq_u32_e32 vcc, 14, v27
	s_and_saveexec_b64 s[2:3], vcc
	s_cbranch_execz .LBB56_248
; %bb.245:
	v_cmp_ne_u32_e32 vcc, 14, v26
	s_xor_b64 s[18:19], s[16:17], -1
	s_and_b64 s[20:21], s[18:19], vcc
	s_and_saveexec_b64 s[18:19], s[20:21]
	s_cbranch_execz .LBB56_247
; %bb.246:
	s_movk_i32 s20, 0x1098
	scratch_load_dwordx2 v[58:59], off, s20 ; 8-byte Folded Reload
	v_ashrrev_i32_e32 v27, 31, v26
	s_waitcnt vmcnt(0)
	v_lshl_add_u64 v[30:31], v[26:27], 2, v[58:59]
	global_load_dword v27, v[30:31], off
	global_load_dword v29, v[58:59], off offset:56
	s_waitcnt vmcnt(1)
	global_store_dword v[58:59], v27, off offset:56
	s_waitcnt vmcnt(1)
	global_store_dword v[30:31], v29, off
.LBB56_247:
	s_or_b64 exec, exec, s[18:19]
	v_mov_b32_e32 v27, v26
	scratch_store_dword off, v27, off offset:2704 ; 4-byte Folded Spill
	scratch_store_dword off, v26, off offset:4 ; 4-byte Folded Spill
.LBB56_248:
	s_or_b64 exec, exec, s[2:3]
.LBB56_249:
	s_andn2_saveexec_b64 s[0:1], s[0:1]
	s_cbranch_execz .LBB56_251
; %bb.250:
	scratch_load_dword v26, off, off offset:132 ; 4-byte Folded Reload
	s_waitcnt vmcnt(0)
	ds_write2_b32 v26, v203, v204 offset0:15 offset1:16
	ds_write2_b32 v26, v205, v206 offset0:17 offset1:18
	;; [unrolled: 1-line block ×7, first 2 shown]
	v_mov_b32_e32 v26, 14
	scratch_store_dword off, v26, off offset:4 ; 4-byte Folded Spill
.LBB56_251:
	s_or_b64 exec, exec, s[0:1]
	s_waitcnt lgkmcnt(0)
	s_barrier
	scratch_load_dword v26, off, off offset:4 ; 4-byte Folded Reload
	s_waitcnt vmcnt(0)
	v_cmp_lt_i32_e32 vcc, 14, v26
	s_and_saveexec_b64 s[0:1], vcc
	s_cbranch_execz .LBB56_253
; %bb.252:
	scratch_load_dwordx4 v[32:35], off, off offset:2840 ; 16-byte Folded Reload
	scratch_load_dwordx4 v[36:39], off, off offset:2856 ; 16-byte Folded Reload
	;; [unrolled: 1-line block ×16, first 2 shown]
	scratch_load_dword v10, off, off offset:132 ; 4-byte Folded Reload
	v_mov_b32_e32 v2, v203
	v_mov_b32_e32 v3, v204
	s_waitcnt vmcnt(16)
	v_mov_b32_e32 v160, v32
	v_mov_b32_e32 v161, v33
	s_waitcnt vmcnt(14)
	v_mov_b32_e32 v11, v43
	s_waitcnt vmcnt(13)
	;; [unrolled: 2-line block ×3, first 2 shown]
	v_mul_f32_e32 v46, v60, v28
	v_mov_b32_e32 v13, v45
	v_mov_b32_e32 v14, v46
	;; [unrolled: 1-line block ×4, first 2 shown]
	s_waitcnt vmcnt(0)
	ds_read2_b32 v[0:1], v10 offset0:15 offset1:16
	ds_read2_b32 v[4:5], v10 offset0:17 offset1:18
	;; [unrolled: 1-line block ×4, first 2 shown]
	v_mov_b32_e32 v164, v36
	v_mov_b32_e32 v165, v37
	;; [unrolled: 1-line block ×3, first 2 shown]
	s_waitcnt lgkmcnt(3)
	v_pk_fma_f32 v[26:27], v[46:47], v[0:1], v[2:3] op_sel_hi:[0,1,1] neg_lo:[1,0,0] neg_hi:[1,0,0]
	v_mov_b32_e32 v0, v205
	v_mov_b32_e32 v1, v206
	s_waitcnt lgkmcnt(2)
	v_pk_fma_f32 v[28:29], v[46:47], v[4:5], v[0:1] op_sel_hi:[0,1,1] neg_lo:[1,0,0] neg_hi:[1,0,0]
	v_mov_b32_e32 v0, v207
	v_mov_b32_e32 v1, v208
	;; [unrolled: 4-line block ×3, first 2 shown]
	s_waitcnt lgkmcnt(0)
	v_pk_fma_f32 v[58:59], v[46:47], v[8:9], v[0:1] op_sel_hi:[0,1,1] neg_lo:[1,0,0] neg_hi:[1,0,0]
	ds_read2_b32 v[0:1], v10 offset0:23 offset1:24
	ds_read2_b32 v[4:5], v10 offset0:25 offset1:26
	ds_read2_b32 v[6:7], v10 offset0:27 offset1:28
	v_mov_b32_e32 v2, v211
	v_mov_b32_e32 v3, v212
	;; [unrolled: 1-line block ×3, first 2 shown]
	s_waitcnt lgkmcnt(2)
	v_pk_fma_f32 v[60:61], v[46:47], v[0:1], v[2:3] op_sel_hi:[0,1,1] neg_lo:[1,0,0] neg_hi:[1,0,0]
	v_mov_b32_e32 v0, v213
	v_mov_b32_e32 v1, v214
	s_waitcnt lgkmcnt(1)
	v_pk_fma_f32 v[62:63], v[46:47], v[4:5], v[0:1] op_sel_hi:[0,1,1] neg_lo:[1,0,0] neg_hi:[1,0,0]
	v_mov_b32_e32 v0, v215
	v_mov_b32_e32 v1, v216
	;; [unrolled: 4-line block ×3, first 2 shown]
	v_mov_b32_e32 v2, v34
	v_mov_b32_e32 v3, v35
	;; [unrolled: 1-line block ×11, first 2 shown]
	scratch_store_dwordx4 off, v[0:3], off offset:1168 ; 16-byte Folded Spill
	s_nop 0
	scratch_store_dwordx4 off, v[4:7], off offset:1184 ; 16-byte Folded Spill
	scratch_store_dwordx4 off, v[8:11], off offset:1200 ; 16-byte Folded Spill
	scratch_store_dwordx4 off, v[12:15], off offset:1216 ; 16-byte Folded Spill
	scratch_store_dwordx4 off, v[16:19], off offset:1232 ; 16-byte Folded Spill
	scratch_store_dwordx4 off, v[20:23], off offset:1248 ; 16-byte Folded Spill
	scratch_store_dwordx4 off, v[24:27], off offset:1264 ; 16-byte Folded Spill
	scratch_store_dwordx4 off, v[28:31], off offset:1280 ; 16-byte Folded Spill
	v_mov_b32_e32 v167, v39
	v_mov_b32_e32 v168, v40
	;; [unrolled: 1-line block ×70, first 2 shown]
	scratch_store_dwordx4 off, v[0:3], off offset:2192 ; 16-byte Folded Spill
	s_nop 0
	scratch_store_dwordx4 off, v[4:7], off offset:2208 ; 16-byte Folded Spill
	scratch_store_dwordx4 off, v[8:11], off offset:2224 ; 16-byte Folded Spill
	scratch_store_dwordx4 off, v[12:15], off offset:2240 ; 16-byte Folded Spill
	scratch_store_dwordx4 off, v[16:19], off offset:2256 ; 16-byte Folded Spill
	scratch_store_dwordx4 off, v[20:23], off offset:2272 ; 16-byte Folded Spill
	scratch_store_dwordx4 off, v[24:27], off offset:2288 ; 16-byte Folded Spill
	scratch_store_dwordx4 off, v[28:31], off offset:2304 ; 16-byte Folded Spill
	v_mov_b32_e32 v18, v29
	scratch_store_dwordx4 off, v[0:3], off offset:784 ; 16-byte Folded Spill
	s_nop 0
	scratch_store_dwordx4 off, v[4:7], off offset:800 ; 16-byte Folded Spill
	scratch_store_dwordx4 off, v[8:11], off offset:816 ; 16-byte Folded Spill
	scratch_store_dwordx4 off, v[12:15], off offset:832 ; 16-byte Folded Spill
	scratch_store_dwordx4 off, v[16:19], off offset:848 ; 16-byte Folded Spill
	scratch_store_dwordx4 off, v[20:23], off offset:864 ; 16-byte Folded Spill
	scratch_store_dwordx4 off, v[24:27], off offset:880 ; 16-byte Folded Spill
	scratch_store_dwordx4 off, v[28:31], off offset:896 ; 16-byte Folded Spill
	v_mov_b32_e32 v19, v30
	;; [unrolled: 10-line block ×5, first 2 shown]
	v_mov_b32_e32 v23, v60
	v_mov_b32_e32 v109, v26
	;; [unrolled: 1-line block ×7, first 2 shown]
	scratch_store_dwordx4 off, v[0:3], off offset:1552 ; 16-byte Folded Spill
	s_nop 0
	scratch_store_dwordx4 off, v[4:7], off offset:1568 ; 16-byte Folded Spill
	scratch_store_dwordx4 off, v[8:11], off offset:1584 ; 16-byte Folded Spill
	;; [unrolled: 1-line block ×7, first 2 shown]
	v_mov_b32_e32 v175, v26
	v_mov_b32_e32 v176, v27
	;; [unrolled: 1-line block ×8, first 2 shown]
	scratch_store_dwordx4 off, v[160:163], off offset:272 ; 16-byte Folded Spill
	s_nop 0
	scratch_store_dwordx4 off, v[164:167], off offset:288 ; 16-byte Folded Spill
	scratch_store_dwordx4 off, v[168:171], off offset:304 ; 16-byte Folded Spill
	scratch_store_dwordx4 off, v[172:175], off offset:320 ; 16-byte Folded Spill
	scratch_store_dwordx4 off, v[176:179], off offset:336 ; 16-byte Folded Spill
	scratch_store_dwordx4 off, v[180:183], off offset:352 ; 16-byte Folded Spill
	scratch_store_dwordx4 off, v[184:187], off offset:368 ; 16-byte Folded Spill
	scratch_store_dwordx4 off, v[188:191], off offset:384 ; 16-byte Folded Spill
	scratch_store_dwordx4 off, v[0:3], off offset:1424 ; 16-byte Folded Spill
	s_nop 0
	scratch_store_dwordx4 off, v[4:7], off offset:1440 ; 16-byte Folded Spill
	scratch_store_dwordx4 off, v[8:11], off offset:1456 ; 16-byte Folded Spill
	;; [unrolled: 1-line block ×7, first 2 shown]
	v_mov_b32_e32 v188, v32
	v_mov_b32_e32 v189, v33
	;; [unrolled: 1-line block ×10, first 2 shown]
	scratch_store_dwordx4 off, v[118:121], off offset:912 ; 16-byte Folded Spill
	s_nop 0
	scratch_store_dwordx4 off, v[122:125], off offset:928 ; 16-byte Folded Spill
	scratch_store_dwordx4 off, v[126:129], off offset:944 ; 16-byte Folded Spill
	;; [unrolled: 1-line block ×7, first 2 shown]
	scratch_store_dwordx2 off, v[88:89], off offset:264 ; 8-byte Folded Spill
	scratch_store_dwordx4 off, v[32:35], off offset:2708 ; 16-byte Folded Spill
	s_nop 0
	scratch_store_dwordx4 off, v[36:39], off offset:2724 ; 16-byte Folded Spill
	scratch_store_dwordx4 off, v[40:43], off offset:2740 ; 16-byte Folded Spill
	;; [unrolled: 1-line block ×8, first 2 shown]
	s_nop 0
	scratch_store_dwordx4 off, v[36:39], off offset:2080 ; 16-byte Folded Spill
	scratch_store_dwordx4 off, v[40:43], off offset:2096 ; 16-byte Folded Spill
	;; [unrolled: 1-line block ×7, first 2 shown]
	v_mov_b32_e32 v203, v26
	v_mov_b32_e32 v123, v26
	;; [unrolled: 1-line block ×10, first 2 shown]
	scratch_store_dwordx4 off, v[8:11], off offset:528 ; 16-byte Folded Spill
	s_nop 0
	scratch_store_dwordx4 off, v[12:15], off offset:544 ; 16-byte Folded Spill
	scratch_store_dwordx4 off, v[16:19], off offset:560 ; 16-byte Folded Spill
	;; [unrolled: 1-line block ×7, first 2 shown]
	v_mov_b32_e32 v119, v58
	v_mov_b32_e32 v186, v59
	;; [unrolled: 1-line block ×8, first 2 shown]
.LBB56_253:
	s_or_b64 exec, exec, s[0:1]
	s_waitcnt vmcnt(63) expcnt(7) lgkmcnt(15)
	s_barrier
	scratch_load_dword v27, off, off offset:132 ; 4-byte Folded Reload
	scratch_load_dword v26, off, off offset:4 ; 4-byte Folded Reload
	s_cmp_lt_i32 s14, 17
	s_waitcnt vmcnt(0)
	v_lshl_add_u32 v26, v26, 2, v27
	ds_write_b32 v26, v123
	s_waitcnt lgkmcnt(0)
	s_barrier
	ds_read_b32 v28, v27 offset:60
	v_mov_b32_e32 v26, 15
	s_cbranch_scc1 .LBB56_256
; %bb.254:
	scratch_load_dword v26, off, off offset:2836 ; 4-byte Folded Reload
	s_mov_b32 s0, 16
	s_waitcnt vmcnt(0)
	v_add3_u32 v27, v26, 0, 64
	v_mov_b32_e32 v26, 15
.LBB56_255:                             ; =>This Inner Loop Header: Depth=1
	ds_read_b32 v29, v27
	v_add_u32_e32 v27, 4, v27
	s_waitcnt lgkmcnt(0)
	v_cmp_lt_f32_e64 vcc, |v28|, |v29|
	s_nop 1
	v_cndmask_b32_e32 v28, v28, v29, vcc
	v_mov_b32_e32 v29, s0
	s_add_i32 s0, s0, 1
	v_cndmask_b32_e32 v26, v26, v29, vcc
	s_cmp_lg_u32 s14, s0
	s_cbranch_scc1 .LBB56_255
.LBB56_256:
	s_waitcnt lgkmcnt(0)
	v_cmp_eq_f32_e32 vcc, 0, v28
	s_and_saveexec_b64 s[0:1], vcc
	s_xor_b64 s[0:1], exec, s[0:1]
	s_cbranch_execz .LBB56_258
; %bb.257:
	scratch_load_dword v27, off, off offset:136 ; 4-byte Folded Reload
	s_waitcnt vmcnt(0)
	v_cmp_ne_u32_e32 vcc, 0, v27
	s_nop 1
	v_cndmask_b32_e32 v27, 16, v27, vcc
	scratch_store_dword off, v27, off offset:136 ; 4-byte Folded Spill
.LBB56_258:
	s_andn2_saveexec_b64 s[0:1], s[0:1]
	s_cbranch_execz .LBB56_260
; %bb.259:
	v_div_scale_f32 v27, s[2:3], v28, v28, 1.0
	v_rcp_f32_e32 v29, v27
	v_div_scale_f32 v30, vcc, 1.0, v28, 1.0
	v_fma_f32 v31, -v27, v29, 1.0
	v_fmac_f32_e32 v29, v31, v29
	v_mul_f32_e32 v31, v30, v29
	v_fma_f32 v57, -v27, v31, v30
	v_fmac_f32_e32 v31, v57, v29
	v_fma_f32 v27, -v27, v31, v30
	v_div_fmas_f32 v27, v27, v29, v31
	v_div_fixup_f32 v28, v27, v28, 1.0
.LBB56_260:
	s_or_b64 exec, exec, s[0:1]
	scratch_load_dword v27, off, off offset:4 ; 4-byte Folded Reload
	s_waitcnt vmcnt(0)
	v_cmp_ne_u32_e32 vcc, v27, v26
	s_and_saveexec_b64 s[0:1], vcc
	s_xor_b64 s[0:1], exec, s[0:1]
	s_cbranch_execz .LBB56_266
; %bb.261:
	scratch_load_dword v27, off, off offset:4 ; 4-byte Folded Reload
	s_waitcnt vmcnt(0)
	v_cmp_eq_u32_e32 vcc, 15, v27
	s_and_saveexec_b64 s[2:3], vcc
	s_cbranch_execz .LBB56_265
; %bb.262:
	v_cmp_ne_u32_e32 vcc, 15, v26
	s_xor_b64 s[18:19], s[16:17], -1
	s_and_b64 s[20:21], s[18:19], vcc
	s_and_saveexec_b64 s[18:19], s[20:21]
	s_cbranch_execz .LBB56_264
; %bb.263:
	s_movk_i32 s20, 0x1098
	scratch_load_dwordx2 v[58:59], off, s20 ; 8-byte Folded Reload
	v_ashrrev_i32_e32 v27, 31, v26
	s_waitcnt vmcnt(0)
	v_lshl_add_u64 v[30:31], v[26:27], 2, v[58:59]
	global_load_dword v27, v[30:31], off
	global_load_dword v29, v[58:59], off offset:60
	s_waitcnt vmcnt(1)
	global_store_dword v[58:59], v27, off offset:60
	s_waitcnt vmcnt(1)
	global_store_dword v[30:31], v29, off
.LBB56_264:
	s_or_b64 exec, exec, s[18:19]
	v_mov_b32_e32 v27, v26
	scratch_store_dword off, v27, off offset:2704 ; 4-byte Folded Spill
	scratch_store_dword off, v26, off offset:4 ; 4-byte Folded Spill
.LBB56_265:
	s_or_b64 exec, exec, s[2:3]
.LBB56_266:
	s_andn2_saveexec_b64 s[0:1], s[0:1]
	s_cbranch_execz .LBB56_268
; %bb.267:
	scratch_load_dword v29, off, off offset:132 ; 4-byte Folded Reload
	s_waitcnt vmcnt(0)
	ds_write2_b32 v29, v204, v205 offset0:16 offset1:17
	ds_write2_b32 v29, v206, v207 offset0:18 offset1:19
	;; [unrolled: 1-line block ×6, first 2 shown]
	scratch_load_dwordx2 v[26:27], off, off offset:264 ; 8-byte Folded Reload
	s_waitcnt vmcnt(0)
	v_mov_b32_e32 v26, 15
	scratch_store_dword off, v26, off offset:4 ; 4-byte Folded Spill
	ds_write_b32 v29, v27 offset:112
.LBB56_268:
	s_or_b64 exec, exec, s[0:1]
	s_waitcnt lgkmcnt(0)
	s_barrier
	scratch_load_dword v26, off, off offset:4 ; 4-byte Folded Reload
	s_waitcnt vmcnt(0)
	v_cmp_lt_i32_e32 vcc, 15, v26
	s_and_saveexec_b64 s[0:1], vcc
	s_cbranch_execz .LBB56_270
; %bb.269:
	scratch_load_dword v1, off, off offset:132 ; 4-byte Folded Reload
	v_mul_f32_e32 v0, v123, v28
	v_mov_b32_e32 v17, v0
	v_mov_b32_e32 v43, v0
	;; [unrolled: 1-line block ×6, first 2 shown]
	s_waitcnt vmcnt(0)
	ds_read2_b32 v[2:3], v1 offset0:16 offset1:17
	ds_read2_b32 v[4:5], v1 offset0:18 offset1:19
	;; [unrolled: 1-line block ×4, first 2 shown]
	s_waitcnt lgkmcnt(3)
	v_pk_fma_f32 v[44:45], v[0:1], v[2:3], v[204:205] op_sel_hi:[0,1,1] neg_lo:[1,0,0] neg_hi:[1,0,0]
	s_waitcnt lgkmcnt(2)
	v_pk_fma_f32 v[106:107], v[0:1], v[4:5], v[206:207] op_sel_hi:[0,1,1] neg_lo:[1,0,0] neg_hi:[1,0,0]
	ds_read2_b32 v[2:3], v1 offset0:24 offset1:25
	ds_read2_b32 v[4:5], v1 offset0:26 offset1:27
	s_waitcnt lgkmcnt(3)
	v_pk_fma_f32 v[234:235], v[0:1], v[6:7], v[208:209] op_sel_hi:[0,1,1] neg_lo:[1,0,0] neg_hi:[1,0,0]
	s_waitcnt lgkmcnt(2)
	v_pk_fma_f32 v[24:25], v[0:1], v[8:9], v[210:211] op_sel_hi:[0,1,1] neg_lo:[1,0,0] neg_hi:[1,0,0]
	ds_read_b32 v1, v1 offset:112
	scratch_load_dwordx4 v[108:111], off, off offset:2064 ; 16-byte Folded Reload
	scratch_load_dwordx4 v[112:115], off, off offset:2080 ; 16-byte Folded Reload
	;; [unrolled: 1-line block ×8, first 2 shown]
	v_mov_b32_e32 v18, v44
	v_mov_b32_e32 v19, v45
	s_waitcnt vmcnt(4)
	v_mov_b32_e32 v123, v0
	s_waitcnt lgkmcnt(0)
	v_pk_fma_f32 v[184:185], v[0:1], v[2:3], v[212:213] op_sel_hi:[0,1,1] neg_lo:[1,0,0] neg_hi:[1,0,0]
	v_pk_fma_f32 v[72:73], v[0:1], v[4:5], v[214:215] op_sel_hi:[0,1,1] neg_lo:[1,0,0] neg_hi:[1,0,0]
	s_waitcnt vmcnt(0)
	v_mov_b32_e32 v139, v0
	v_mov_b32_e32 v104, v44
	;; [unrolled: 1-line block ×46, first 2 shown]
	scratch_store_dwordx4 off, v[2:5], off offset:2192 ; 16-byte Folded Spill
	s_nop 0
	scratch_store_dwordx4 off, v[6:9], off offset:2208 ; 16-byte Folded Spill
	scratch_store_dwordx4 off, v[10:13], off offset:2224 ; 16-byte Folded Spill
	;; [unrolled: 1-line block ×7, first 2 shown]
	v_mov_b32_e32 v20, v106
	v_mov_b32_e32 v21, v107
	v_mov_b32_e32 v34, v114
	v_mov_b32_e32 v35, v115
	v_mov_b32_e32 v36, v116
	v_mov_b32_e32 v37, v117
	v_mov_b32_e32 v38, v118
	v_mov_b32_e32 v39, v119
	v_mov_b32_e32 v40, v120
	v_mov_b32_e32 v41, v121
	v_mov_b32_e32 v42, v122
	v_mov_b32_e32 v46, v108
	v_mov_b32_e32 v47, v109
	v_mov_b32_e32 v48, v110
	v_mov_b32_e32 v49, v111
	v_mov_b32_e32 v50, v112
	v_mov_b32_e32 v51, v113
	v_mov_b32_e32 v52, v114
	v_mov_b32_e32 v53, v115
	v_mov_b32_e32 v54, v116
	v_mov_b32_e32 v55, v117
	v_mov_b32_e32 v56, v118
	v_mov_b32_e32 v57, v119
	v_mov_b32_e32 v58, v120
	v_mov_b32_e32 v59, v121
	v_mov_b32_e32 v124, v108
	v_mov_b32_e32 v125, v109
	v_mov_b32_e32 v126, v110
	v_mov_b32_e32 v127, v111
	v_mov_b32_e32 v128, v112
	v_mov_b32_e32 v129, v113
	v_mov_b32_e32 v130, v114
	v_mov_b32_e32 v131, v115
	v_mov_b32_e32 v132, v116
	v_mov_b32_e32 v133, v117
	v_mov_b32_e32 v134, v118
	v_mov_b32_e32 v135, v119
	v_mov_b32_e32 v136, v120
	v_mov_b32_e32 v137, v121
	v_mov_b32_e32 v138, v122
	v_mov_b32_e32 v88, v108
	v_mov_b32_e32 v89, v109
	v_mov_b32_e32 v90, v110
	v_mov_b32_e32 v91, v111
	v_mov_b32_e32 v92, v112
	v_mov_b32_e32 v93, v113
	v_mov_b32_e32 v94, v114
	v_mov_b32_e32 v95, v115
	v_mov_b32_e32 v96, v116
	v_mov_b32_e32 v97, v117
	scratch_store_dwordx4 off, v[2:5], off offset:1936 ; 16-byte Folded Spill
	s_nop 0
	scratch_store_dwordx4 off, v[6:9], off offset:1952 ; 16-byte Folded Spill
	scratch_store_dwordx4 off, v[10:13], off offset:1968 ; 16-byte Folded Spill
	;; [unrolled: 1-line block ×7, first 2 shown]
	v_mov_b32_e32 v22, v234
	v_mov_b32_e32 v23, v235
	;; [unrolled: 1-line block ×38, first 2 shown]
	scratch_store_dwordx4 off, v[2:5], off offset:1808 ; 16-byte Folded Spill
	s_nop 0
	scratch_store_dwordx4 off, v[6:9], off offset:1824 ; 16-byte Folded Spill
	scratch_store_dwordx4 off, v[10:13], off offset:1840 ; 16-byte Folded Spill
	;; [unrolled: 1-line block ×7, first 2 shown]
	v_mov_b64_e32 v[68:69], v[24:25]
	v_mov_b64_e32 v[66:67], v[22:23]
	;; [unrolled: 1-line block ×4, first 2 shown]
	scratch_store_dwordx4 off, v[2:5], off offset:1552 ; 16-byte Folded Spill
	s_nop 0
	scratch_store_dwordx4 off, v[6:9], off offset:1568 ; 16-byte Folded Spill
	scratch_store_dwordx4 off, v[10:13], off offset:1584 ; 16-byte Folded Spill
	;; [unrolled: 1-line block ×7, first 2 shown]
	v_mov_b32_e32 v62, v44
	v_mov_b32_e32 v63, v45
	;; [unrolled: 1-line block ×8, first 2 shown]
	v_mov_b64_e32 v[200:201], v[16:17]
	v_mov_b64_e32 v[198:199], v[14:15]
	;; [unrolled: 1-line block ×8, first 2 shown]
	scratch_load_dwordx2 v[2:3], off, off offset:264 ; 8-byte Folded Reload
	v_mov_b64_e32 v[208:209], v[24:25]
	v_mov_b64_e32 v[206:207], v[22:23]
	v_mov_b64_e32 v[204:205], v[20:21]
	v_mov_b64_e32 v[202:203], v[18:19]
	v_mov_b32_e32 v15, v0
	s_waitcnt vmcnt(0)
	v_mov_b32_e32 v2, v110
	v_mov_b32_e32 v4, v112
	;; [unrolled: 1-line block ×26, first 2 shown]
	v_fma_f32 v152, -v0, v1, v3
	v_mov_b32_e32 v0, v108
	v_mov_b32_e32 v1, v109
	;; [unrolled: 1-line block ×3, first 2 shown]
	scratch_store_dwordx4 off, v[0:3], off offset:1424 ; 16-byte Folded Spill
	s_nop 0
	scratch_store_dwordx4 off, v[4:7], off offset:1440 ; 16-byte Folded Spill
	scratch_store_dwordx4 off, v[8:11], off offset:1456 ; 16-byte Folded Spill
	;; [unrolled: 1-line block ×8, first 2 shown]
	s_nop 0
	scratch_store_dwordx4 off, v[112:115], off offset:2724 ; 16-byte Folded Spill
	scratch_store_dwordx4 off, v[116:119], off offset:2740 ; 16-byte Folded Spill
	;; [unrolled: 1-line block ×7, first 2 shown]
	v_mov_b32_e32 v26, v73
	v_mov_b32_e32 v27, v152
	scratch_store_dwordx2 off, v[26:27], off offset:264 ; 8-byte Folded Spill
	v_mov_b32_e32 v26, v44
	v_mov_b64_e32 v[0:1], v[186:187]
	v_mov_b64_e32 v[16:17], v[202:203]
	v_mov_b64_e32 v[10:11], v[196:197]
	v_mov_b64_e32 v[12:13], v[198:199]
	v_mov_b64_e32 v[14:15], v[200:201]
	v_mov_b64_e32 v[18:19], v[204:205]
	v_mov_b64_e32 v[20:21], v[206:207]
	v_mov_b64_e32 v[22:23], v[208:209]
	v_mov_b64_e32 v[2:3], v[188:189]
	v_mov_b64_e32 v[4:5], v[190:191]
	v_mov_b64_e32 v[6:7], v[192:193]
	v_mov_b64_e32 v[8:9], v[194:195]
	scratch_store_dwordx4 off, v[28:31], off offset:1168 ; 16-byte Folded Spill
	s_nop 0
	scratch_store_dwordx4 off, v[32:35], off offset:1184 ; 16-byte Folded Spill
	scratch_store_dwordx4 off, v[36:39], off offset:1200 ; 16-byte Folded Spill
	;; [unrolled: 1-line block ×7, first 2 shown]
	v_mov_b32_e32 v28, v106
	v_mov_b64_e32 v[202:203], v[138:139]
	v_mov_b64_e32 v[190:191], v[126:127]
	;; [unrolled: 1-line block ×8, first 2 shown]
	scratch_store_dwordx4 off, v[10:13], off offset:528 ; 16-byte Folded Spill
	s_nop 0
	scratch_store_dwordx4 off, v[14:17], off offset:544 ; 16-byte Folded Spill
	scratch_store_dwordx4 off, v[18:21], off offset:560 ; 16-byte Folded Spill
	;; [unrolled: 1-line block ×8, first 2 shown]
	s_nop 0
	scratch_store_dwordx4 off, v[92:95], off offset:800 ; 16-byte Folded Spill
	scratch_store_dwordx4 off, v[96:99], off offset:816 ; 16-byte Folded Spill
	scratch_store_dwordx4 off, v[100:103], off offset:832 ; 16-byte Folded Spill
	scratch_store_dwordx4 off, v[104:107], off offset:848 ; 16-byte Folded Spill
	scratch_store_dwordx4 off, v[108:111], off offset:864 ; 16-byte Folded Spill
	scratch_store_dwordx4 off, v[112:115], off offset:880 ; 16-byte Folded Spill
	scratch_store_dwordx4 off, v[116:119], off offset:896 ; 16-byte Folded Spill
	s_nop 1
	v_mov_b32_e32 v118, v234
	scratch_store_dwordx4 off, v[214:217], off offset:1040 ; 16-byte Folded Spill
	s_nop 0
	scratch_store_dwordx4 off, v[218:221], off offset:1056 ; 16-byte Folded Spill
	scratch_store_dwordx4 off, v[222:225], off offset:1072 ; 16-byte Folded Spill
	;; [unrolled: 1-line block ×7, first 2 shown]
	v_mov_b32_e32 v73, v45
	v_mov_b64_e32 v[34:35], v[46:47]
	v_mov_b64_e32 v[36:37], v[48:49]
	;; [unrolled: 1-line block ×8, first 2 shown]
	v_mov_b32_e32 v50, v62
	v_mov_b64_e32 v[214:215], v[150:151]
	v_mov_b32_e32 v60, v72
	v_mov_b64_e32 v[212:213], v[148:149]
	v_mov_b64_e32 v[210:211], v[146:147]
	;; [unrolled: 1-line block ×5, first 2 shown]
	v_mov_b32_e32 v216, v152
	v_mov_b32_e32 v51, v63
	;; [unrolled: 1-line block ×11, first 2 shown]
	v_mov_b64_e32 v[142:143], v[48:49]
	v_mov_b32_e32 v154, v60
	v_mov_b64_e32 v[140:141], v[46:47]
	v_mov_b64_e32 v[138:139], v[44:45]
	;; [unrolled: 1-line block ×7, first 2 shown]
	v_mov_b32_e32 v153, v59
	v_mov_b32_e32 v152, v58
	;; [unrolled: 1-line block ×10, first 2 shown]
	v_mov_b64_e32 v[116:117], v[22:23]
	v_mov_b32_e32 v186, v116
	scratch_store_dwordx4 off, v[160:163], off offset:272 ; 16-byte Folded Spill
	s_nop 0
	scratch_store_dwordx4 off, v[164:167], off offset:288 ; 16-byte Folded Spill
	scratch_store_dwordx4 off, v[168:171], off offset:304 ; 16-byte Folded Spill
	;; [unrolled: 1-line block ×7, first 2 shown]
	v_mov_b64_e32 v[114:115], v[20:21]
	v_mov_b64_e32 v[112:113], v[18:19]
	;; [unrolled: 1-line block ×3, first 2 shown]
	v_mov_b32_e32 v127, v117
	v_mov_b32_e32 v64, v26
	;; [unrolled: 1-line block ×3, first 2 shown]
	v_mov_b64_e32 v[108:109], v[14:15]
	v_mov_b32_e32 v119, v235
	v_mov_b64_e32 v[106:107], v[12:13]
	v_mov_b64_e32 v[104:105], v[10:11]
	;; [unrolled: 1-line block ×7, first 2 shown]
	v_mov_b32_e32 v170, v60
	scratch_store_dwordx4 off, v[128:131], off offset:912 ; 16-byte Folded Spill
	s_nop 0
	scratch_store_dwordx4 off, v[132:135], off offset:928 ; 16-byte Folded Spill
	scratch_store_dwordx4 off, v[136:139], off offset:944 ; 16-byte Folded Spill
	;; [unrolled: 1-line block ×7, first 2 shown]
.LBB56_270:
	s_or_b64 exec, exec, s[0:1]
	s_waitcnt vmcnt(63) expcnt(7) lgkmcnt(15)
	s_barrier
	scratch_load_dword v27, off, off offset:132 ; 4-byte Folded Reload
	scratch_load_dword v26, off, off offset:4 ; 4-byte Folded Reload
	s_cmp_lt_i32 s14, 18
	s_waitcnt vmcnt(0)
	v_lshl_add_u32 v26, v26, 2, v27
	ds_write_b32 v26, v64
	s_waitcnt lgkmcnt(0)
	s_barrier
	ds_read_b32 v28, v27 offset:64
	v_mov_b32_e32 v26, 16
	s_cbranch_scc1 .LBB56_273
; %bb.271:
	scratch_load_dword v26, off, off offset:132 ; 4-byte Folded Reload
	s_mov_b32 s0, 17
	s_waitcnt vmcnt(0)
	v_add_u32_e32 v27, 0x44, v26
	v_mov_b32_e32 v26, 16
.LBB56_272:                             ; =>This Inner Loop Header: Depth=1
	ds_read_b32 v29, v27
	v_add_u32_e32 v27, 4, v27
	s_waitcnt lgkmcnt(0)
	v_cmp_lt_f32_e64 vcc, |v28|, |v29|
	s_nop 1
	v_cndmask_b32_e32 v28, v28, v29, vcc
	v_mov_b32_e32 v29, s0
	s_add_i32 s0, s0, 1
	v_cndmask_b32_e32 v26, v26, v29, vcc
	s_cmp_lg_u32 s14, s0
	s_cbranch_scc1 .LBB56_272
.LBB56_273:
	s_waitcnt lgkmcnt(0)
	v_cmp_eq_f32_e32 vcc, 0, v28
	s_and_saveexec_b64 s[0:1], vcc
	s_xor_b64 s[0:1], exec, s[0:1]
	s_cbranch_execz .LBB56_275
; %bb.274:
	scratch_load_dword v27, off, off offset:136 ; 4-byte Folded Reload
	s_waitcnt vmcnt(0)
	v_cmp_ne_u32_e32 vcc, 0, v27
	s_nop 1
	v_cndmask_b32_e32 v27, 17, v27, vcc
	scratch_store_dword off, v27, off offset:136 ; 4-byte Folded Spill
.LBB56_275:
	s_andn2_saveexec_b64 s[0:1], s[0:1]
	s_cbranch_execz .LBB56_277
; %bb.276:
	v_div_scale_f32 v27, s[2:3], v28, v28, 1.0
	v_rcp_f32_e32 v29, v27
	v_div_scale_f32 v30, vcc, 1.0, v28, 1.0
	v_fma_f32 v31, -v27, v29, 1.0
	v_fmac_f32_e32 v29, v31, v29
	v_mul_f32_e32 v31, v30, v29
	v_fma_f32 v57, -v27, v31, v30
	v_fmac_f32_e32 v31, v57, v29
	v_fma_f32 v27, -v27, v31, v30
	v_div_fmas_f32 v27, v27, v29, v31
	v_div_fixup_f32 v28, v27, v28, 1.0
.LBB56_277:
	s_or_b64 exec, exec, s[0:1]
	scratch_load_dword v27, off, off offset:4 ; 4-byte Folded Reload
	s_waitcnt vmcnt(0)
	v_cmp_ne_u32_e32 vcc, v27, v26
	s_and_saveexec_b64 s[0:1], vcc
	s_xor_b64 s[0:1], exec, s[0:1]
	s_cbranch_execz .LBB56_283
; %bb.278:
	scratch_load_dword v27, off, off offset:4 ; 4-byte Folded Reload
	s_waitcnt vmcnt(0)
	v_cmp_eq_u32_e32 vcc, 16, v27
	s_and_saveexec_b64 s[2:3], vcc
	s_cbranch_execz .LBB56_282
; %bb.279:
	v_cmp_ne_u32_e32 vcc, 16, v26
	s_xor_b64 s[18:19], s[16:17], -1
	s_and_b64 s[20:21], s[18:19], vcc
	s_and_saveexec_b64 s[18:19], s[20:21]
	s_cbranch_execz .LBB56_281
; %bb.280:
	s_movk_i32 s20, 0x1098
	scratch_load_dwordx2 v[58:59], off, s20 ; 8-byte Folded Reload
	v_ashrrev_i32_e32 v27, 31, v26
	s_waitcnt vmcnt(0)
	v_lshl_add_u64 v[30:31], v[26:27], 2, v[58:59]
	global_load_dword v27, v[30:31], off
	global_load_dword v29, v[58:59], off offset:64
	s_waitcnt vmcnt(1)
	global_store_dword v[58:59], v27, off offset:64
	s_waitcnt vmcnt(1)
	global_store_dword v[30:31], v29, off
.LBB56_281:
	s_or_b64 exec, exec, s[18:19]
	v_mov_b32_e32 v27, v26
	scratch_store_dword off, v27, off offset:2704 ; 4-byte Folded Spill
	scratch_store_dword off, v26, off offset:4 ; 4-byte Folded Spill
.LBB56_282:
	s_or_b64 exec, exec, s[2:3]
.LBB56_283:
	s_andn2_saveexec_b64 s[0:1], s[0:1]
	s_cbranch_execz .LBB56_285
; %bb.284:
	scratch_load_dword v26, off, off offset:132 ; 4-byte Folded Reload
	s_waitcnt vmcnt(0)
	ds_write2_b32 v26, v205, v206 offset0:17 offset1:18
	ds_write2_b32 v26, v207, v208 offset0:19 offset1:20
	;; [unrolled: 1-line block ×6, first 2 shown]
	v_mov_b32_e32 v26, 16
	scratch_store_dword off, v26, off offset:4 ; 4-byte Folded Spill
.LBB56_285:
	s_or_b64 exec, exec, s[0:1]
	s_waitcnt lgkmcnt(0)
	s_barrier
	scratch_load_dword v26, off, off offset:4 ; 4-byte Folded Reload
	s_waitcnt vmcnt(0)
	v_cmp_lt_i32_e32 vcc, 16, v26
	s_and_saveexec_b64 s[0:1], vcc
	s_cbranch_execz .LBB56_287
; %bb.286:
	scratch_load_dwordx4 v[32:35], off, off offset:2708 ; 16-byte Folded Reload
	scratch_load_dwordx4 v[36:39], off, off offset:2724 ; 16-byte Folded Reload
	;; [unrolled: 1-line block ×8, first 2 shown]
	scratch_load_dword v10, off, off offset:132 ; 4-byte Folded Reload
	s_waitcnt vmcnt(4)
	v_mul_f32_e32 v48, v64, v28
	v_mov_b32_e32 v2, v205
	v_mov_b32_e32 v3, v206
	;; [unrolled: 1-line block ×15, first 2 shown]
	s_waitcnt vmcnt(0)
	ds_read2_b32 v[0:1], v10 offset0:17 offset1:18
	ds_read2_b32 v[4:5], v10 offset0:19 offset1:20
	;; [unrolled: 1-line block ×4, first 2 shown]
	v_mov_b32_e32 v163, v35
	v_mov_b32_e32 v164, v36
	;; [unrolled: 1-line block ×3, first 2 shown]
	s_waitcnt lgkmcnt(3)
	v_pk_fma_f32 v[26:27], v[48:49], v[0:1], v[2:3] op_sel_hi:[0,1,1] neg_lo:[1,0,0] neg_hi:[1,0,0]
	v_mov_b32_e32 v0, v207
	v_mov_b32_e32 v1, v208
	ds_read2_b32 v[2:3], v10 offset0:25 offset1:26
	s_waitcnt lgkmcnt(3)
	v_pk_fma_f32 v[28:29], v[48:49], v[4:5], v[0:1] op_sel_hi:[0,1,1] neg_lo:[1,0,0] neg_hi:[1,0,0]
	ds_read2_b32 v[4:5], v10 offset0:27 offset1:28
	v_mov_b32_e32 v0, v209
	v_mov_b32_e32 v1, v210
	s_waitcnt lgkmcnt(3)
	v_pk_fma_f32 v[30:31], v[48:49], v[6:7], v[0:1] op_sel_hi:[0,1,1] neg_lo:[1,0,0] neg_hi:[1,0,0]
	v_mov_b32_e32 v0, v211
	v_mov_b32_e32 v1, v212
	s_waitcnt lgkmcnt(2)
	v_pk_fma_f32 v[58:59], v[48:49], v[8:9], v[0:1] op_sel_hi:[0,1,1] neg_lo:[1,0,0] neg_hi:[1,0,0]
	;; [unrolled: 4-line block ×4, first 2 shown]
	v_mov_b32_e32 v0, v32
	v_mov_b32_e32 v1, v33
	;; [unrolled: 1-line block ×14, first 2 shown]
	scratch_store_dwordx4 off, v[0:3], off offset:784 ; 16-byte Folded Spill
	s_nop 0
	scratch_store_dwordx4 off, v[4:7], off offset:800 ; 16-byte Folded Spill
	scratch_store_dwordx4 off, v[8:11], off offset:816 ; 16-byte Folded Spill
	scratch_store_dwordx4 off, v[12:15], off offset:832 ; 16-byte Folded Spill
	scratch_store_dwordx4 off, v[16:19], off offset:848 ; 16-byte Folded Spill
	scratch_store_dwordx4 off, v[20:23], off offset:864 ; 16-byte Folded Spill
	scratch_store_dwordx4 off, v[24:27], off offset:880 ; 16-byte Folded Spill
	scratch_store_dwordx4 off, v[28:31], off offset:896 ; 16-byte Folded Spill
	v_mov_b32_e32 v166, v38
	v_mov_b32_e32 v167, v39
	;; [unrolled: 1-line block ×71, first 2 shown]
	scratch_store_dwordx4 off, v[0:3], off offset:1936 ; 16-byte Folded Spill
	s_nop 0
	scratch_store_dwordx4 off, v[4:7], off offset:1952 ; 16-byte Folded Spill
	scratch_store_dwordx4 off, v[8:11], off offset:1968 ; 16-byte Folded Spill
	scratch_store_dwordx4 off, v[12:15], off offset:1984 ; 16-byte Folded Spill
	scratch_store_dwordx4 off, v[16:19], off offset:2000 ; 16-byte Folded Spill
	scratch_store_dwordx4 off, v[20:23], off offset:2016 ; 16-byte Folded Spill
	scratch_store_dwordx4 off, v[24:27], off offset:2032 ; 16-byte Folded Spill
	scratch_store_dwordx4 off, v[28:31], off offset:2048 ; 16-byte Folded Spill
	v_mov_b32_e32 v20, v29
	scratch_store_dwordx4 off, v[0:3], off offset:1040 ; 16-byte Folded Spill
	s_nop 0
	scratch_store_dwordx4 off, v[4:7], off offset:1056 ; 16-byte Folded Spill
	scratch_store_dwordx4 off, v[8:11], off offset:1072 ; 16-byte Folded Spill
	scratch_store_dwordx4 off, v[12:15], off offset:1088 ; 16-byte Folded Spill
	scratch_store_dwordx4 off, v[16:19], off offset:1104 ; 16-byte Folded Spill
	scratch_store_dwordx4 off, v[20:23], off offset:1120 ; 16-byte Folded Spill
	scratch_store_dwordx4 off, v[24:27], off offset:1136 ; 16-byte Folded Spill
	scratch_store_dwordx4 off, v[28:31], off offset:1152 ; 16-byte Folded Spill
	v_mov_b32_e32 v21, v30
	;; [unrolled: 10-line block ×3, first 2 shown]
	v_mov_b32_e32 v22, v31
	v_mov_b32_e32 v111, v26
	;; [unrolled: 1-line block ×7, first 2 shown]
	scratch_store_dwordx4 off, v[0:3], off offset:1552 ; 16-byte Folded Spill
	s_nop 0
	scratch_store_dwordx4 off, v[4:7], off offset:1568 ; 16-byte Folded Spill
	scratch_store_dwordx4 off, v[8:11], off offset:1584 ; 16-byte Folded Spill
	;; [unrolled: 1-line block ×7, first 2 shown]
	v_mov_b32_e32 v177, v26
	v_mov_b32_e32 v178, v27
	;; [unrolled: 1-line block ×8, first 2 shown]
	scratch_store_dwordx4 off, v[160:163], off offset:272 ; 16-byte Folded Spill
	s_nop 0
	scratch_store_dwordx4 off, v[164:167], off offset:288 ; 16-byte Folded Spill
	scratch_store_dwordx4 off, v[168:171], off offset:304 ; 16-byte Folded Spill
	;; [unrolled: 1-line block ×8, first 2 shown]
	s_nop 0
	scratch_store_dwordx4 off, v[4:7], off offset:1440 ; 16-byte Folded Spill
	scratch_store_dwordx4 off, v[8:11], off offset:1456 ; 16-byte Folded Spill
	;; [unrolled: 1-line block ×7, first 2 shown]
	v_mov_b32_e32 v81, v26
	v_mov_b32_e32 v82, v27
	;; [unrolled: 1-line block ×6, first 2 shown]
	scratch_store_dwordx4 off, v[64:67], off offset:912 ; 16-byte Folded Spill
	s_nop 0
	scratch_store_dwordx4 off, v[68:71], off offset:928 ; 16-byte Folded Spill
	scratch_store_dwordx4 off, v[72:75], off offset:944 ; 16-byte Folded Spill
	;; [unrolled: 1-line block ×7, first 2 shown]
	scratch_store_dwordx2 off, v[62:63], off offset:264 ; 8-byte Folded Spill
	scratch_store_dwordx4 off, v[32:35], off offset:2192 ; 16-byte Folded Spill
	s_nop 0
	scratch_store_dwordx4 off, v[36:39], off offset:2208 ; 16-byte Folded Spill
	scratch_store_dwordx4 off, v[40:43], off offset:2224 ; 16-byte Folded Spill
	;; [unrolled: 1-line block ×8, first 2 shown]
	s_nop 0
	scratch_store_dwordx4 off, v[36:39], off offset:1184 ; 16-byte Folded Spill
	scratch_store_dwordx4 off, v[40:43], off offset:1200 ; 16-byte Folded Spill
	;; [unrolled: 1-line block ×7, first 2 shown]
	v_mov_b32_e32 v145, v26
	v_mov_b32_e32 v73, v26
	;; [unrolled: 1-line block ×8, first 2 shown]
	v_mov_b64_e32 v[218:219], v[158:159]
	v_mov_b64_e32 v[216:217], v[156:157]
	;; [unrolled: 1-line block ×16, first 2 shown]
	scratch_store_dwordx4 off, v[8:11], off offset:528 ; 16-byte Folded Spill
	s_nop 0
	scratch_store_dwordx4 off, v[12:15], off offset:544 ; 16-byte Folded Spill
	scratch_store_dwordx4 off, v[16:19], off offset:560 ; 16-byte Folded Spill
	;; [unrolled: 1-line block ×7, first 2 shown]
	v_mov_b32_e32 v127, v58
	v_mov_b32_e32 v222, v59
	;; [unrolled: 1-line block ×8, first 2 shown]
.LBB56_287:
	s_or_b64 exec, exec, s[0:1]
	s_waitcnt vmcnt(63) expcnt(7) lgkmcnt(15)
	s_barrier
	scratch_load_dword v27, off, off offset:132 ; 4-byte Folded Reload
	scratch_load_dword v26, off, off offset:4 ; 4-byte Folded Reload
	s_cmp_lt_i32 s14, 19
	s_waitcnt vmcnt(0)
	v_lshl_add_u32 v26, v26, 2, v27
	ds_write_b32 v26, v73
	s_waitcnt lgkmcnt(0)
	s_barrier
	ds_read_b32 v28, v27 offset:68
	v_mov_b32_e32 v26, 17
	s_cbranch_scc1 .LBB56_290
; %bb.288:
	scratch_load_dword v26, off, off offset:132 ; 4-byte Folded Reload
	s_mov_b32 s0, 18
	s_waitcnt vmcnt(0)
	v_add_u32_e32 v27, 0x48, v26
	v_mov_b32_e32 v26, 17
.LBB56_289:                             ; =>This Inner Loop Header: Depth=1
	ds_read_b32 v29, v27
	v_add_u32_e32 v27, 4, v27
	s_waitcnt lgkmcnt(0)
	v_cmp_lt_f32_e64 vcc, |v28|, |v29|
	s_nop 1
	v_cndmask_b32_e32 v28, v28, v29, vcc
	v_mov_b32_e32 v29, s0
	s_add_i32 s0, s0, 1
	v_cndmask_b32_e32 v26, v26, v29, vcc
	s_cmp_lg_u32 s14, s0
	s_cbranch_scc1 .LBB56_289
.LBB56_290:
	s_waitcnt lgkmcnt(0)
	v_cmp_eq_f32_e32 vcc, 0, v28
	s_and_saveexec_b64 s[0:1], vcc
	s_xor_b64 s[0:1], exec, s[0:1]
	s_cbranch_execz .LBB56_292
; %bb.291:
	scratch_load_dword v27, off, off offset:136 ; 4-byte Folded Reload
	s_waitcnt vmcnt(0)
	v_cmp_ne_u32_e32 vcc, 0, v27
	s_nop 1
	v_cndmask_b32_e32 v27, 18, v27, vcc
	scratch_store_dword off, v27, off offset:136 ; 4-byte Folded Spill
.LBB56_292:
	s_andn2_saveexec_b64 s[0:1], s[0:1]
	s_cbranch_execz .LBB56_294
; %bb.293:
	v_div_scale_f32 v27, s[2:3], v28, v28, 1.0
	v_rcp_f32_e32 v29, v27
	v_div_scale_f32 v30, vcc, 1.0, v28, 1.0
	v_fma_f32 v31, -v27, v29, 1.0
	v_fmac_f32_e32 v29, v31, v29
	v_mul_f32_e32 v31, v30, v29
	v_fma_f32 v57, -v27, v31, v30
	v_fmac_f32_e32 v31, v57, v29
	v_fma_f32 v27, -v27, v31, v30
	v_div_fmas_f32 v27, v27, v29, v31
	v_div_fixup_f32 v28, v27, v28, 1.0
.LBB56_294:
	s_or_b64 exec, exec, s[0:1]
	scratch_load_dword v27, off, off offset:4 ; 4-byte Folded Reload
	s_waitcnt vmcnt(0)
	v_cmp_ne_u32_e32 vcc, v27, v26
	s_and_saveexec_b64 s[0:1], vcc
	s_xor_b64 s[0:1], exec, s[0:1]
	s_cbranch_execz .LBB56_300
; %bb.295:
	scratch_load_dword v27, off, off offset:4 ; 4-byte Folded Reload
	s_waitcnt vmcnt(0)
	v_cmp_eq_u32_e32 vcc, 17, v27
	s_and_saveexec_b64 s[2:3], vcc
	s_cbranch_execz .LBB56_299
; %bb.296:
	v_cmp_ne_u32_e32 vcc, 17, v26
	s_xor_b64 s[18:19], s[16:17], -1
	s_and_b64 s[20:21], s[18:19], vcc
	s_and_saveexec_b64 s[18:19], s[20:21]
	s_cbranch_execz .LBB56_298
; %bb.297:
	s_movk_i32 s20, 0x1098
	scratch_load_dwordx2 v[58:59], off, s20 ; 8-byte Folded Reload
	v_ashrrev_i32_e32 v27, 31, v26
	s_waitcnt vmcnt(0)
	v_lshl_add_u64 v[30:31], v[26:27], 2, v[58:59]
	global_load_dword v27, v[30:31], off
	global_load_dword v29, v[58:59], off offset:68
	s_waitcnt vmcnt(1)
	global_store_dword v[58:59], v27, off offset:68
	s_waitcnt vmcnt(1)
	global_store_dword v[30:31], v29, off
.LBB56_298:
	s_or_b64 exec, exec, s[18:19]
	v_mov_b32_e32 v27, v26
	scratch_store_dword off, v27, off offset:2704 ; 4-byte Folded Spill
	scratch_store_dword off, v26, off offset:4 ; 4-byte Folded Spill
.LBB56_299:
	s_or_b64 exec, exec, s[2:3]
.LBB56_300:
	s_andn2_saveexec_b64 s[0:1], s[0:1]
	s_cbranch_execz .LBB56_302
; %bb.301:
	scratch_load_dword v29, off, off offset:132 ; 4-byte Folded Reload
	s_waitcnt vmcnt(0)
	ds_write2_b32 v29, v206, v207 offset0:18 offset1:19
	ds_write2_b32 v29, v208, v209 offset0:20 offset1:21
	;; [unrolled: 1-line block ×5, first 2 shown]
	scratch_load_dwordx2 v[26:27], off, off offset:264 ; 8-byte Folded Reload
	s_waitcnt vmcnt(0)
	v_mov_b32_e32 v26, 17
	scratch_store_dword off, v26, off offset:4 ; 4-byte Folded Spill
	ds_write_b32 v29, v27 offset:112
.LBB56_302:
	s_or_b64 exec, exec, s[0:1]
	s_waitcnt lgkmcnt(0)
	s_barrier
	scratch_load_dword v26, off, off offset:4 ; 4-byte Folded Reload
	s_waitcnt vmcnt(0)
	v_cmp_lt_i32_e32 vcc, 17, v26
	s_and_saveexec_b64 s[0:1], vcc
	s_cbranch_execz .LBB56_304
; %bb.303:
	scratch_load_dword v1, off, off offset:132 ; 4-byte Folded Reload
	v_mul_f32_e32 v0, v73, v28
	v_mov_b32_e32 v4, v206
	v_mov_b32_e32 v5, v207
	;; [unrolled: 1-line block ×8, first 2 shown]
	s_waitcnt vmcnt(0)
	ds_read2_b32 v[2:3], v1 offset0:18 offset1:19
	ds_read2_b32 v[6:7], v1 offset0:20 offset1:21
	;; [unrolled: 1-line block ×4, first 2 shown]
	scratch_load_dwordx4 v[32:35], off, off offset:1168 ; 16-byte Folded Reload
	scratch_load_dwordx4 v[36:39], off, off offset:1184 ; 16-byte Folded Reload
	;; [unrolled: 1-line block ×8, first 2 shown]
	s_waitcnt vmcnt(3)
	v_mov_b32_e32 v49, v0
	s_waitcnt lgkmcnt(3)
	v_pk_fma_f32 v[106:107], v[0:1], v[2:3], v[4:5] op_sel_hi:[0,1,1] neg_lo:[1,0,0] neg_hi:[1,0,0]
	v_mov_b32_e32 v30, v106
	v_mov_b32_e32 v31, v107
	;; [unrolled: 1-line block ×4, first 2 shown]
	s_waitcnt lgkmcnt(2)
	v_pk_fma_f32 v[234:235], v[0:1], v[6:7], v[2:3] op_sel_hi:[0,1,1] neg_lo:[1,0,0] neg_hi:[1,0,0]
	v_mov_b32_e32 v2, v210
	v_mov_b32_e32 v3, v211
	s_waitcnt lgkmcnt(1)
	v_pk_fma_f32 v[72:73], v[0:1], v[8:9], v[2:3] op_sel_hi:[0,1,1] neg_lo:[1,0,0] neg_hi:[1,0,0]
	v_mov_b32_e32 v68, v106
	v_mov_b32_e32 v69, v107
	;; [unrolled: 1-line block ×47, first 2 shown]
	scratch_store_dwordx4 off, v[12:15], off offset:1936 ; 16-byte Folded Spill
	s_nop 0
	scratch_store_dwordx4 off, v[16:19], off offset:1952 ; 16-byte Folded Spill
	scratch_store_dwordx4 off, v[20:23], off offset:1968 ; 16-byte Folded Spill
	;; [unrolled: 1-line block ×7, first 2 shown]
	s_waitcnt vmcnt(8)
	v_mov_b32_e32 v62, v44
	v_mov_b32_e32 v63, v45
	;; [unrolled: 1-line block ×47, first 2 shown]
	scratch_store_dwordx4 off, v[50:53], off offset:1808 ; 16-byte Folded Spill
	s_nop 0
	scratch_store_dwordx4 off, v[54:57], off offset:1824 ; 16-byte Folded Spill
	scratch_store_dwordx4 off, v[58:61], off offset:1840 ; 16-byte Folded Spill
	;; [unrolled: 1-line block ×7, first 2 shown]
	v_mov_b32_e32 v6, v38
	v_mov_b32_e32 v7, v39
	;; [unrolled: 1-line block ×36, first 2 shown]
	v_mov_b64_e32 v[122:123], v[64:65]
	v_mov_b64_e32 v[130:131], v[72:73]
	;; [unrolled: 1-line block ×12, first 2 shown]
	scratch_store_dwordx4 off, v[50:53], off offset:1552 ; 16-byte Folded Spill
	s_nop 0
	scratch_store_dwordx4 off, v[54:57], off offset:1568 ; 16-byte Folded Spill
	scratch_store_dwordx4 off, v[58:61], off offset:1584 ; 16-byte Folded Spill
	;; [unrolled: 1-line block ×7, first 2 shown]
	v_mov_b32_e32 v22, v130
	s_waitcnt lgkmcnt(0)
	v_pk_fma_f32 v[74:75], v[0:1], v[10:11], v[2:3] op_sel_hi:[0,1,1] neg_lo:[1,0,0] neg_hi:[1,0,0]
	ds_read2_b32 v[2:3], v1 offset0:26 offset1:27
	v_mov_b32_e32 v10, v42
	v_mov_b32_e32 v11, v43
	;; [unrolled: 1-line block ×4, first 2 shown]
	s_waitcnt lgkmcnt(0)
	v_pk_fma_f32 v[186:187], v[0:1], v[2:3], v[4:5] op_sel_hi:[0,1,1] neg_lo:[1,0,0] neg_hi:[1,0,0]
	scratch_load_dwordx2 v[2:3], off, off offset:264 ; 8-byte Folded Reload
	ds_read_b32 v1, v1 offset:112
	s_waitcnt vmcnt(0)
	v_mov_b32_e32 v2, v34
	v_mov_b32_e32 v4, v36
	;; [unrolled: 1-line block ×16, first 2 shown]
	s_waitcnt lgkmcnt(0)
	v_fma_f32 v156, -v0, v1, v3
	v_mov_b32_e32 v0, v32
	v_mov_b32_e32 v1, v33
	;; [unrolled: 1-line block ×3, first 2 shown]
	scratch_store_dwordx4 off, v[0:3], off offset:1424 ; 16-byte Folded Spill
	s_nop 0
	scratch_store_dwordx4 off, v[4:7], off offset:1440 ; 16-byte Folded Spill
	scratch_store_dwordx4 off, v[8:11], off offset:1456 ; 16-byte Folded Spill
	;; [unrolled: 1-line block ×7, first 2 shown]
	v_mov_b64_e32 v[0:1], v[50:51]
	v_mov_b64_e32 v[2:3], v[52:53]
	;; [unrolled: 1-line block ×8, first 2 shown]
	scratch_store_dwordx4 off, v[32:35], off offset:2192 ; 16-byte Folded Spill
	s_nop 0
	scratch_store_dwordx4 off, v[36:39], off offset:2208 ; 16-byte Folded Spill
	scratch_store_dwordx4 off, v[40:43], off offset:2224 ; 16-byte Folded Spill
	;; [unrolled: 1-line block ×7, first 2 shown]
	v_mov_b64_e32 v[16:17], v[66:67]
	v_mov_b32_e32 v27, v156
	v_mov_b32_e32 v26, v187
	v_mov_b64_e32 v[18:19], v[68:69]
	v_mov_b64_e32 v[20:21], v[70:71]
	;; [unrolled: 1-line block ×3, first 2 shown]
	scratch_store_dwordx2 off, v[26:27], off offset:264 ; 8-byte Folded Spill
	v_mov_b32_e32 v26, v106
	v_mov_b32_e32 v150, v22
	;; [unrolled: 1-line block ×3, first 2 shown]
	v_mov_b64_e32 v[120:121], v[128:129]
	scratch_store_dwordx4 off, v[8:11], off offset:528 ; 16-byte Folded Spill
	s_nop 0
	scratch_store_dwordx4 off, v[12:15], off offset:544 ; 16-byte Folded Spill
	scratch_store_dwordx4 off, v[16:19], off offset:560 ; 16-byte Folded Spill
	;; [unrolled: 1-line block ×8, first 2 shown]
	s_nop 0
	scratch_store_dwordx4 off, v[92:95], off offset:800 ; 16-byte Folded Spill
	scratch_store_dwordx4 off, v[96:99], off offset:816 ; 16-byte Folded Spill
	;; [unrolled: 1-line block ×7, first 2 shown]
	s_nop 1
	v_mov_b32_e32 v118, v234
	scratch_store_dwordx4 off, v[214:217], off offset:1040 ; 16-byte Folded Spill
	s_nop 0
	scratch_store_dwordx4 off, v[218:221], off offset:1056 ; 16-byte Folded Spill
	scratch_store_dwordx4 off, v[222:225], off offset:1072 ; 16-byte Folded Spill
	;; [unrolled: 1-line block ×7, first 2 shown]
	v_mov_b64_e32 v[116:117], v[72:73]
	v_mov_b64_e32 v[114:115], v[70:71]
	;; [unrolled: 1-line block ×4, first 2 shown]
	v_mov_b32_e32 v222, v74
	v_mov_b64_e32 v[122:123], v[130:131]
	v_mov_b64_e32 v[124:125], v[132:133]
	;; [unrolled: 1-line block ×21, first 2 shown]
	v_mov_b32_e32 v216, v148
	v_mov_b32_e32 v144, v176
	v_mov_b64_e32 v[202:203], v[134:135]
	v_mov_b32_e32 v145, v177
	v_mov_b32_e32 v146, v178
	;; [unrolled: 1-line block ×10, first 2 shown]
	v_mov_b64_e32 v[34:35], v[160:161]
	v_mov_b64_e32 v[200:201], v[132:133]
	;; [unrolled: 1-line block ×8, first 2 shown]
	v_mov_b32_e32 v186, v116
	v_mov_b32_e32 v127, v117
	v_mov_b64_e32 v[36:37], v[162:163]
	v_mov_b64_e32 v[38:39], v[164:165]
	;; [unrolled: 1-line block ×7, first 2 shown]
	v_mov_b32_e32 v170, v154
	v_mov_b32_e32 v33, v107
	v_mov_b64_e32 v[108:109], v[64:65]
	v_mov_b64_e32 v[106:107], v[62:63]
	;; [unrolled: 1-line block ×8, first 2 shown]
	scratch_store_dwordx4 off, v[50:53], off offset:272 ; 16-byte Folded Spill
	s_nop 0
	scratch_store_dwordx4 off, v[54:57], off offset:288 ; 16-byte Folded Spill
	scratch_store_dwordx4 off, v[58:61], off offset:304 ; 16-byte Folded Spill
	;; [unrolled: 1-line block ×7, first 2 shown]
	v_mov_b32_e32 v50, v144
	v_mov_b32_e32 v119, v235
	;; [unrolled: 1-line block ×12, first 2 shown]
	scratch_store_dwordx4 off, v[34:37], off offset:912 ; 16-byte Folded Spill
	s_nop 0
	scratch_store_dwordx4 off, v[38:41], off offset:928 ; 16-byte Folded Spill
	scratch_store_dwordx4 off, v[42:45], off offset:944 ; 16-byte Folded Spill
	;; [unrolled: 1-line block ×7, first 2 shown]
.LBB56_304:
	s_or_b64 exec, exec, s[0:1]
	s_barrier
	scratch_load_dword v27, off, off offset:132 ; 4-byte Folded Reload
	scratch_load_dword v26, off, off offset:4 ; 4-byte Folded Reload
	scratch_load_dwordx4 v[34:37], off, off offset:528 ; 16-byte Folded Reload
	scratch_load_dwordx4 v[38:41], off, off offset:544 ; 16-byte Folded Reload
	;; [unrolled: 1-line block ×8, first 2 shown]
	s_cmp_lt_i32 s14, 20
	s_waitcnt vmcnt(8)
	v_lshl_add_u32 v26, v26, 2, v27
	s_waitcnt vmcnt(3)
	ds_write_b32 v26, v52
	s_waitcnt lgkmcnt(0)
	s_barrier
	ds_read_b32 v28, v27 offset:72
	v_mov_b32_e32 v26, 18
	s_cbranch_scc1 .LBB56_307
; %bb.305:
	scratch_load_dword v26, off, off offset:132 ; 4-byte Folded Reload
	s_mov_b32 s0, 19
	s_waitcnt vmcnt(0)
	v_add_u32_e32 v27, 0x4c, v26
	v_mov_b32_e32 v26, 18
.LBB56_306:                             ; =>This Inner Loop Header: Depth=1
	ds_read_b32 v29, v27
	v_add_u32_e32 v27, 4, v27
	s_waitcnt lgkmcnt(0)
	v_cmp_lt_f32_e64 vcc, |v28|, |v29|
	s_nop 1
	v_cndmask_b32_e32 v28, v28, v29, vcc
	v_mov_b32_e32 v29, s0
	s_add_i32 s0, s0, 1
	v_cndmask_b32_e32 v26, v26, v29, vcc
	s_cmp_lg_u32 s14, s0
	s_cbranch_scc1 .LBB56_306
.LBB56_307:
	s_waitcnt lgkmcnt(0)
	v_cmp_eq_f32_e32 vcc, 0, v28
	s_and_saveexec_b64 s[0:1], vcc
	s_xor_b64 s[0:1], exec, s[0:1]
	s_cbranch_execz .LBB56_309
; %bb.308:
	scratch_load_dword v27, off, off offset:136 ; 4-byte Folded Reload
	s_waitcnt vmcnt(0)
	v_cmp_ne_u32_e32 vcc, 0, v27
	s_nop 1
	v_cndmask_b32_e32 v27, 19, v27, vcc
	scratch_store_dword off, v27, off offset:136 ; 4-byte Folded Spill
.LBB56_309:
	s_andn2_saveexec_b64 s[0:1], s[0:1]
	s_cbranch_execz .LBB56_311
; %bb.310:
	v_div_scale_f32 v27, s[2:3], v28, v28, 1.0
	v_rcp_f32_e32 v29, v27
	v_div_scale_f32 v30, vcc, 1.0, v28, 1.0
	v_fma_f32 v31, -v27, v29, 1.0
	v_fmac_f32_e32 v29, v31, v29
	v_mul_f32_e32 v31, v30, v29
	s_waitcnt vmcnt(2)
	v_fma_f32 v57, -v27, v31, v30
	v_fmac_f32_e32 v31, v57, v29
	v_fma_f32 v27, -v27, v31, v30
	v_div_fmas_f32 v27, v27, v29, v31
	v_div_fixup_f32 v28, v27, v28, 1.0
.LBB56_311:
	s_or_b64 exec, exec, s[0:1]
	scratch_load_dword v27, off, off offset:4 ; 4-byte Folded Reload
	s_waitcnt vmcnt(0)
	v_cmp_ne_u32_e32 vcc, v27, v26
	s_and_saveexec_b64 s[0:1], vcc
	s_xor_b64 s[0:1], exec, s[0:1]
	s_cbranch_execz .LBB56_317
; %bb.312:
	scratch_load_dword v27, off, off offset:4 ; 4-byte Folded Reload
	s_waitcnt vmcnt(0)
	v_cmp_eq_u32_e32 vcc, 18, v27
	s_and_saveexec_b64 s[2:3], vcc
	s_cbranch_execz .LBB56_316
; %bb.313:
	v_cmp_ne_u32_e32 vcc, 18, v26
	s_xor_b64 s[18:19], s[16:17], -1
	s_and_b64 s[20:21], s[18:19], vcc
	s_and_saveexec_b64 s[18:19], s[20:21]
	s_cbranch_execz .LBB56_315
; %bb.314:
	s_movk_i32 s20, 0x1098
	scratch_load_dwordx2 v[58:59], off, s20 ; 8-byte Folded Reload
	v_ashrrev_i32_e32 v27, 31, v26
	s_waitcnt vmcnt(0)
	v_lshl_add_u64 v[30:31], v[26:27], 2, v[58:59]
	global_load_dword v27, v[30:31], off
	global_load_dword v29, v[58:59], off offset:72
	s_waitcnt vmcnt(1)
	global_store_dword v[58:59], v27, off offset:72
	s_waitcnt vmcnt(1)
	global_store_dword v[30:31], v29, off
.LBB56_315:
	s_or_b64 exec, exec, s[18:19]
	v_mov_b32_e32 v27, v26
	scratch_store_dword off, v27, off offset:2704 ; 4-byte Folded Spill
	scratch_store_dword off, v26, off offset:4 ; 4-byte Folded Spill
.LBB56_316:
	s_or_b64 exec, exec, s[2:3]
.LBB56_317:
	s_andn2_saveexec_b64 s[0:1], s[0:1]
	s_cbranch_execz .LBB56_319
; %bb.318:
	scratch_load_dword v26, off, off offset:132 ; 4-byte Folded Reload
	s_waitcnt vmcnt(0)
	ds_write2_b32 v26, v207, v208 offset0:19 offset1:20
	ds_write2_b32 v26, v209, v210 offset0:21 offset1:22
	;; [unrolled: 1-line block ×5, first 2 shown]
	v_mov_b32_e32 v26, 18
	scratch_store_dword off, v26, off offset:4 ; 4-byte Folded Spill
.LBB56_319:
	s_or_b64 exec, exec, s[0:1]
	s_waitcnt lgkmcnt(0)
	s_barrier
	scratch_load_dword v26, off, off offset:4 ; 4-byte Folded Reload
	s_waitcnt vmcnt(0)
	v_cmp_lt_i32_e32 vcc, 18, v26
	s_and_saveexec_b64 s[0:1], vcc
	s_cbranch_execz .LBB56_321
; %bb.320:
	scratch_load_dwordx4 v[32:35], off, off offset:2192 ; 16-byte Folded Reload
	scratch_load_dwordx4 v[36:39], off, off offset:2208 ; 16-byte Folded Reload
	;; [unrolled: 1-line block ×16, first 2 shown]
	scratch_load_dword v10, off, off offset:132 ; 4-byte Folded Reload
	v_mov_b32_e32 v3, v208
	v_mov_b32_e32 v2, v207
	s_waitcnt vmcnt(16)
	v_mov_b32_e32 v160, v32
	v_mov_b32_e32 v161, v33
	s_waitcnt vmcnt(14)
	v_mov_b32_e32 v11, v43
	s_waitcnt vmcnt(13)
	v_mov_b32_e32 v12, v44
	v_mov_b32_e32 v13, v45
	s_waitcnt vmcnt(4)
	v_mul_f32_e32 v50, v68, v28
	v_mov_b32_e32 v14, v46
	v_mov_b32_e32 v15, v47
	;; [unrolled: 1-line block ×3, first 2 shown]
	s_waitcnt vmcnt(0)
	ds_read2_b32 v[0:1], v10 offset0:19 offset1:20
	ds_read2_b32 v[4:5], v10 offset0:21 offset1:22
	;; [unrolled: 1-line block ×4, first 2 shown]
	v_mov_b32_e32 v17, v49
	v_mov_b32_e32 v18, v50
	;; [unrolled: 1-line block ×3, first 2 shown]
	s_waitcnt lgkmcnt(3)
	v_pk_fma_f32 v[26:27], v[50:51], v[0:1], v[2:3] op_sel_hi:[0,1,1] neg_lo:[1,0,0] neg_hi:[1,0,0]
	ds_read2_b32 v[2:3], v10 offset0:27 offset1:28
	v_mov_b32_e32 v1, v210
	v_mov_b32_e32 v0, v209
	s_waitcnt lgkmcnt(3)
	v_pk_fma_f32 v[28:29], v[50:51], v[4:5], v[0:1] op_sel_hi:[0,1,1] neg_lo:[1,0,0] neg_hi:[1,0,0]
	v_mov_b32_e32 v1, v212
	v_mov_b32_e32 v0, v211
	s_waitcnt lgkmcnt(2)
	v_pk_fma_f32 v[30:31], v[50:51], v[6:7], v[0:1] op_sel_hi:[0,1,1] neg_lo:[1,0,0] neg_hi:[1,0,0]
	;; [unrolled: 4-line block ×4, first 2 shown]
	v_mov_b32_e32 v0, v32
	v_mov_b32_e32 v1, v33
	;; [unrolled: 1-line block ×14, first 2 shown]
	scratch_store_dwordx4 off, v[0:3], off offset:1040 ; 16-byte Folded Spill
	s_nop 0
	scratch_store_dwordx4 off, v[4:7], off offset:1056 ; 16-byte Folded Spill
	scratch_store_dwordx4 off, v[8:11], off offset:1072 ; 16-byte Folded Spill
	;; [unrolled: 1-line block ×7, first 2 shown]
	v_mov_b32_e32 v163, v35
	v_mov_b32_e32 v164, v36
	;; [unrolled: 1-line block ×73, first 2 shown]
	scratch_store_dwordx4 off, v[0:3], off offset:1808 ; 16-byte Folded Spill
	s_nop 0
	scratch_store_dwordx4 off, v[4:7], off offset:1824 ; 16-byte Folded Spill
	scratch_store_dwordx4 off, v[8:11], off offset:1840 ; 16-byte Folded Spill
	;; [unrolled: 1-line block ×7, first 2 shown]
	v_mov_b32_e32 v144, v48
	v_mov_b32_e32 v145, v49
	;; [unrolled: 1-line block ×13, first 2 shown]
	scratch_store_dwordx4 off, v[0:3], off offset:1552 ; 16-byte Folded Spill
	s_nop 0
	scratch_store_dwordx4 off, v[4:7], off offset:1568 ; 16-byte Folded Spill
	scratch_store_dwordx4 off, v[8:11], off offset:1584 ; 16-byte Folded Spill
	scratch_store_dwordx4 off, v[12:15], off offset:1600 ; 16-byte Folded Spill
	scratch_store_dwordx4 off, v[16:19], off offset:1616 ; 16-byte Folded Spill
	scratch_store_dwordx4 off, v[20:23], off offset:1632 ; 16-byte Folded Spill
	scratch_store_dwordx4 off, v[24:27], off offset:1648 ; 16-byte Folded Spill
	scratch_store_dwordx4 off, v[28:31], off offset:1664 ; 16-byte Folded Spill
	v_mov_b32_e32 v179, v26
	v_mov_b32_e32 v180, v27
	;; [unrolled: 1-line block ×8, first 2 shown]
	scratch_store_dwordx4 off, v[160:163], off offset:272 ; 16-byte Folded Spill
	s_nop 0
	scratch_store_dwordx4 off, v[164:167], off offset:288 ; 16-byte Folded Spill
	scratch_store_dwordx4 off, v[168:171], off offset:304 ; 16-byte Folded Spill
	;; [unrolled: 1-line block ×8, first 2 shown]
	s_nop 0
	scratch_store_dwordx4 off, v[4:7], off offset:1440 ; 16-byte Folded Spill
	scratch_store_dwordx4 off, v[8:11], off offset:1456 ; 16-byte Folded Spill
	;; [unrolled: 1-line block ×7, first 2 shown]
	v_mov_b32_e32 v81, v26
	v_mov_b32_e32 v82, v27
	;; [unrolled: 1-line block ×6, first 2 shown]
	scratch_store_dwordx4 off, v[62:65], off offset:912 ; 16-byte Folded Spill
	s_nop 0
	scratch_store_dwordx4 off, v[66:69], off offset:928 ; 16-byte Folded Spill
	scratch_store_dwordx4 off, v[70:73], off offset:944 ; 16-byte Folded Spill
	;; [unrolled: 1-line block ×7, first 2 shown]
	scratch_store_dwordx2 off, v[60:61], off offset:264 ; 8-byte Folded Spill
	v_mov_b32_e32 v147, v26
	v_mov_b32_e32 v148, v27
	;; [unrolled: 1-line block ×6, first 2 shown]
	v_mov_b64_e32 v[218:219], v[158:159]
	v_mov_b64_e32 v[216:217], v[156:157]
	;; [unrolled: 1-line block ×16, first 2 shown]
	v_mov_b32_e32 v118, v27
	v_mov_b32_e32 v119, v28
	;; [unrolled: 1-line block ×5, first 2 shown]
	scratch_store_dwordx4 off, v[32:35], off offset:1936 ; 16-byte Folded Spill
	s_nop 0
	scratch_store_dwordx4 off, v[36:39], off offset:1952 ; 16-byte Folded Spill
	scratch_store_dwordx4 off, v[40:43], off offset:1968 ; 16-byte Folded Spill
	;; [unrolled: 1-line block ×8, first 2 shown]
	s_nop 0
	scratch_store_dwordx4 off, v[36:39], off offset:800 ; 16-byte Folded Spill
	scratch_store_dwordx4 off, v[40:43], off offset:816 ; 16-byte Folded Spill
	;; [unrolled: 1-line block ×7, first 2 shown]
	v_mov_b32_e32 v33, v26
	v_mov_b32_e32 v185, v58
	;; [unrolled: 1-line block ×3, first 2 shown]
.LBB56_321:
	s_or_b64 exec, exec, s[0:1]
	s_waitcnt vmcnt(63) expcnt(7) lgkmcnt(15)
	s_barrier
	scratch_load_dword v27, off, off offset:132 ; 4-byte Folded Reload
	scratch_load_dword v26, off, off offset:4 ; 4-byte Folded Reload
	s_cmp_lt_i32 s14, 21
	s_waitcnt vmcnt(0)
	v_lshl_add_u32 v26, v26, 2, v27
	ds_write_b32 v26, v33
	s_waitcnt lgkmcnt(0)
	s_barrier
	ds_read_b32 v28, v27 offset:76
	v_mov_b32_e32 v26, 19
	s_cbranch_scc1 .LBB56_324
; %bb.322:
	scratch_load_dword v26, off, off offset:132 ; 4-byte Folded Reload
	s_mov_b32 s0, 20
	s_waitcnt vmcnt(0)
	v_add_u32_e32 v27, 0x50, v26
	v_mov_b32_e32 v26, 19
.LBB56_323:                             ; =>This Inner Loop Header: Depth=1
	ds_read_b32 v29, v27
	v_add_u32_e32 v27, 4, v27
	s_waitcnt lgkmcnt(0)
	v_cmp_lt_f32_e64 vcc, |v28|, |v29|
	s_nop 1
	v_cndmask_b32_e32 v28, v28, v29, vcc
	v_mov_b32_e32 v29, s0
	s_add_i32 s0, s0, 1
	v_cndmask_b32_e32 v26, v26, v29, vcc
	s_cmp_lg_u32 s14, s0
	s_cbranch_scc1 .LBB56_323
.LBB56_324:
	s_waitcnt lgkmcnt(0)
	v_cmp_eq_f32_e32 vcc, 0, v28
	s_and_saveexec_b64 s[0:1], vcc
	s_xor_b64 s[0:1], exec, s[0:1]
	s_cbranch_execz .LBB56_326
; %bb.325:
	scratch_load_dword v27, off, off offset:136 ; 4-byte Folded Reload
	s_waitcnt vmcnt(0)
	v_cmp_ne_u32_e32 vcc, 0, v27
	s_nop 1
	v_cndmask_b32_e32 v27, 20, v27, vcc
	scratch_store_dword off, v27, off offset:136 ; 4-byte Folded Spill
.LBB56_326:
	s_andn2_saveexec_b64 s[0:1], s[0:1]
	s_cbranch_execz .LBB56_328
; %bb.327:
	v_div_scale_f32 v27, s[2:3], v28, v28, 1.0
	v_rcp_f32_e32 v29, v27
	v_div_scale_f32 v30, vcc, 1.0, v28, 1.0
	v_fma_f32 v31, -v27, v29, 1.0
	v_fmac_f32_e32 v29, v31, v29
	v_mul_f32_e32 v31, v30, v29
	v_fma_f32 v57, -v27, v31, v30
	v_fmac_f32_e32 v31, v57, v29
	v_fma_f32 v27, -v27, v31, v30
	v_div_fmas_f32 v27, v27, v29, v31
	v_div_fixup_f32 v28, v27, v28, 1.0
.LBB56_328:
	s_or_b64 exec, exec, s[0:1]
	scratch_load_dword v27, off, off offset:4 ; 4-byte Folded Reload
	s_waitcnt vmcnt(0)
	v_cmp_ne_u32_e32 vcc, v27, v26
	s_and_saveexec_b64 s[0:1], vcc
	s_xor_b64 s[0:1], exec, s[0:1]
	s_cbranch_execz .LBB56_334
; %bb.329:
	scratch_load_dword v27, off, off offset:4 ; 4-byte Folded Reload
	s_waitcnt vmcnt(0)
	v_cmp_eq_u32_e32 vcc, 19, v27
	s_and_saveexec_b64 s[2:3], vcc
	s_cbranch_execz .LBB56_333
; %bb.330:
	v_cmp_ne_u32_e32 vcc, 19, v26
	s_xor_b64 s[18:19], s[16:17], -1
	s_and_b64 s[20:21], s[18:19], vcc
	s_and_saveexec_b64 s[18:19], s[20:21]
	s_cbranch_execz .LBB56_332
; %bb.331:
	s_movk_i32 s20, 0x1098
	scratch_load_dwordx2 v[58:59], off, s20 ; 8-byte Folded Reload
	v_ashrrev_i32_e32 v27, 31, v26
	s_waitcnt vmcnt(0)
	v_lshl_add_u64 v[30:31], v[26:27], 2, v[58:59]
	global_load_dword v27, v[30:31], off
	global_load_dword v29, v[58:59], off offset:76
	s_waitcnt vmcnt(1)
	global_store_dword v[58:59], v27, off offset:76
	s_waitcnt vmcnt(1)
	global_store_dword v[30:31], v29, off
.LBB56_332:
	s_or_b64 exec, exec, s[18:19]
	v_mov_b32_e32 v27, v26
	scratch_store_dword off, v27, off offset:2704 ; 4-byte Folded Spill
	scratch_store_dword off, v26, off offset:4 ; 4-byte Folded Spill
.LBB56_333:
	s_or_b64 exec, exec, s[2:3]
.LBB56_334:
	s_andn2_saveexec_b64 s[0:1], s[0:1]
	s_cbranch_execz .LBB56_336
; %bb.335:
	scratch_load_dword v29, off, off offset:132 ; 4-byte Folded Reload
	s_waitcnt vmcnt(0)
	ds_write2_b32 v29, v208, v209 offset0:20 offset1:21
	ds_write2_b32 v29, v210, v211 offset0:22 offset1:23
	ds_write2_b32 v29, v212, v213 offset0:24 offset1:25
	ds_write2_b32 v29, v214, v215 offset0:26 offset1:27
	scratch_load_dwordx2 v[26:27], off, off offset:264 ; 8-byte Folded Reload
	s_waitcnt vmcnt(0)
	v_mov_b32_e32 v26, 19
	scratch_store_dword off, v26, off offset:4 ; 4-byte Folded Spill
	ds_write_b32 v29, v27 offset:112
.LBB56_336:
	s_or_b64 exec, exec, s[0:1]
	s_waitcnt lgkmcnt(0)
	s_barrier
	scratch_load_dword v26, off, off offset:4 ; 4-byte Folded Reload
	s_waitcnt vmcnt(0)
	v_cmp_lt_i32_e32 vcc, 19, v26
	s_and_saveexec_b64 s[0:1], vcc
	s_cbranch_execz .LBB56_338
; %bb.337:
	scratch_load_dword v1, off, off offset:132 ; 4-byte Folded Reload
	v_mul_f32_e32 v0, v33, v28
	v_mov_b32_e32 v4, v208
	v_mov_b32_e32 v5, v209
	v_mov_b32_e32 v21, v0
	v_mov_b32_e32 v243, v0
	v_mov_b32_e32 v83, v0
	v_mov_b32_e32 v47, v0
	v_mov_b32_e32 v179, v0
	v_mov_b32_e32 v147, v0
	s_waitcnt vmcnt(0)
	ds_read2_b32 v[2:3], v1 offset0:20 offset1:21
	ds_read2_b32 v[6:7], v1 offset0:22 offset1:23
	ds_read2_b32 v[8:9], v1 offset0:24 offset1:25
	ds_read2_b32 v[10:11], v1 offset0:26 offset1:27
	s_waitcnt lgkmcnt(3)
	v_pk_fma_f32 v[244:245], v[0:1], v[2:3], v[4:5] op_sel_hi:[0,1,1] neg_lo:[1,0,0] neg_hi:[1,0,0]
	v_mov_b32_e32 v2, v210
	v_mov_b32_e32 v3, v211
	s_waitcnt lgkmcnt(2)
	v_pk_fma_f32 v[86:87], v[0:1], v[6:7], v[2:3] op_sel_hi:[0,1,1] neg_lo:[1,0,0] neg_hi:[1,0,0]
	v_mov_b32_e32 v2, v212
	v_mov_b32_e32 v3, v213
	s_waitcnt lgkmcnt(1)
	v_pk_fma_f32 v[52:53], v[0:1], v[8:9], v[2:3] op_sel_hi:[0,1,1] neg_lo:[1,0,0] neg_hi:[1,0,0]
	v_mov_b32_e32 v2, v214
	v_mov_b32_e32 v3, v215
	s_waitcnt lgkmcnt(0)
	v_pk_fma_f32 v[186:187], v[0:1], v[10:11], v[2:3] op_sel_hi:[0,1,1] neg_lo:[1,0,0] neg_hi:[1,0,0]
	ds_read_b32 v1, v1 offset:112
	scratch_load_dwordx4 v[96:99], off, off offset:784 ; 16-byte Folded Reload
	scratch_load_dwordx4 v[100:103], off, off offset:800 ; 16-byte Folded Reload
	;; [unrolled: 1-line block ×8, first 2 shown]
	v_mov_b32_e32 v22, v244
	v_mov_b32_e32 v23, v245
	s_waitcnt vmcnt(3)
	v_mov_b32_e32 v115, v0
	v_mov_b32_e32 v84, v244
	;; [unrolled: 1-line block ×41, first 2 shown]
	scratch_store_dwordx4 off, v[2:5], off offset:1808 ; 16-byte Folded Spill
	s_nop 0
	scratch_store_dwordx4 off, v[6:9], off offset:1824 ; 16-byte Folded Spill
	scratch_store_dwordx4 off, v[10:13], off offset:1840 ; 16-byte Folded Spill
	;; [unrolled: 1-line block ×7, first 2 shown]
	v_mov_b32_e32 v24, v86
	v_mov_b32_e32 v25, v87
	;; [unrolled: 1-line block ×50, first 2 shown]
	scratch_store_dwordx4 off, v[2:5], off offset:1552 ; 16-byte Folded Spill
	s_nop 0
	scratch_store_dwordx4 off, v[6:9], off offset:1568 ; 16-byte Folded Spill
	scratch_store_dwordx4 off, v[10:13], off offset:1584 ; 16-byte Folded Spill
	;; [unrolled: 1-line block ×7, first 2 shown]
	scratch_load_dwordx2 v[2:3], off, off offset:264 ; 8-byte Folded Reload
	v_mov_b32_e32 v28, v96
	v_mov_b32_e32 v29, v97
	;; [unrolled: 1-line block ×5, first 2 shown]
	s_waitcnt vmcnt(0)
	v_mov_b32_e32 v2, v98
	v_mov_b32_e32 v4, v100
	;; [unrolled: 1-line block ×65, first 2 shown]
	s_waitcnt lgkmcnt(0)
	v_fma_f32 v156, -v0, v1, v3
	v_mov_b32_e32 v0, v96
	v_mov_b32_e32 v1, v97
	;; [unrolled: 1-line block ×3, first 2 shown]
	scratch_store_dwordx4 off, v[0:3], off offset:1424 ; 16-byte Folded Spill
	s_nop 0
	scratch_store_dwordx4 off, v[4:7], off offset:1440 ; 16-byte Folded Spill
	scratch_store_dwordx4 off, v[8:11], off offset:1456 ; 16-byte Folded Spill
	;; [unrolled: 1-line block ×8, first 2 shown]
	s_nop 0
	scratch_store_dwordx4 off, v[100:103], off offset:1952 ; 16-byte Folded Spill
	scratch_store_dwordx4 off, v[104:107], off offset:1968 ; 16-byte Folded Spill
	;; [unrolled: 1-line block ×7, first 2 shown]
	v_mov_b32_e32 v27, v156
	v_mov_b32_e32 v26, v187
	scratch_store_dwordx2 off, v[26:27], off offset:264 ; 8-byte Folded Spill
	v_mov_b32_e32 v118, v244
	scratch_store_dwordx4 off, v[224:227], off offset:1040 ; 16-byte Folded Spill
	s_nop 0
	scratch_store_dwordx4 off, v[228:231], off offset:1056 ; 16-byte Folded Spill
	scratch_store_dwordx4 off, v[232:235], off offset:1072 ; 16-byte Folded Spill
	;; [unrolled: 1-line block ×7, first 2 shown]
	v_mov_b64_e32 v[218:219], v[158:159]
	v_mov_b64_e32 v[216:217], v[156:157]
	;; [unrolled: 1-line block ×16, first 2 shown]
	v_mov_b32_e32 v144, v176
	v_mov_b32_e32 v145, v177
	;; [unrolled: 1-line block ×11, first 2 shown]
	v_mov_b64_e32 v[108:109], v[78:79]
	v_mov_b64_e32 v[116:117], v[86:87]
	;; [unrolled: 1-line block ×12, first 2 shown]
	v_mov_b32_e32 v186, v116
	v_mov_b32_e32 v127, v117
	scratch_store_dwordx4 off, v[28:31], off offset:272 ; 16-byte Folded Spill
	s_nop 0
	scratch_store_dwordx4 off, v[32:35], off offset:288 ; 16-byte Folded Spill
	scratch_store_dwordx4 off, v[36:39], off offset:304 ; 16-byte Folded Spill
	;; [unrolled: 1-line block ×7, first 2 shown]
	v_mov_b64_e32 v[26:27], v[160:161]
	v_mov_b32_e32 v42, v144
	v_mov_b64_e32 v[28:29], v[162:163]
	v_mov_b64_e32 v[30:31], v[164:165]
	;; [unrolled: 1-line block ×3, first 2 shown]
	v_mov_b32_e32 v119, v245
	v_mov_b64_e32 v[34:35], v[168:169]
	v_mov_b64_e32 v[36:37], v[170:171]
	;; [unrolled: 1-line block ×4, first 2 shown]
	v_mov_b32_e32 v43, v145
	v_mov_b32_e32 v44, v146
	v_mov_b32_e32 v45, v147
	v_mov_b32_e32 v46, v148
	v_mov_b32_e32 v47, v149
	v_mov_b32_e32 v48, v150
	v_mov_b32_e32 v49, v151
	v_mov_b32_e32 v50, v152
	v_mov_b32_e32 v51, v153
	v_mov_b32_e32 v52, v154
	v_mov_b32_e32 v170, v154
	scratch_store_dwordx4 off, v[26:29], off offset:912 ; 16-byte Folded Spill
	s_nop 0
	scratch_store_dwordx4 off, v[30:33], off offset:928 ; 16-byte Folded Spill
	scratch_store_dwordx4 off, v[34:37], off offset:944 ; 16-byte Folded Spill
	;; [unrolled: 1-line block ×7, first 2 shown]
.LBB56_338:
	s_or_b64 exec, exec, s[0:1]
	s_barrier
	scratch_load_dword v27, off, off offset:132 ; 4-byte Folded Reload
	scratch_load_dword v26, off, off offset:4 ; 4-byte Folded Reload
	s_cmp_lt_i32 s14, 22
	s_waitcnt vmcnt(0)
	v_lshl_add_u32 v26, v26, 2, v27
	ds_write_b32 v26, v118
	s_waitcnt lgkmcnt(0)
	s_barrier
	ds_read_b32 v28, v27 offset:80
	v_mov_b32_e32 v26, 20
	s_cbranch_scc1 .LBB56_341
; %bb.339:
	scratch_load_dword v26, off, off offset:132 ; 4-byte Folded Reload
	s_mov_b32 s0, 21
	s_waitcnt vmcnt(0)
	v_add_u32_e32 v27, 0x54, v26
	v_mov_b32_e32 v26, 20
.LBB56_340:                             ; =>This Inner Loop Header: Depth=1
	ds_read_b32 v29, v27
	v_mov_b32_e32 v30, s0
	s_add_i32 s0, s0, 1
	v_add_u32_e32 v27, 4, v27
	s_cmp_lg_u32 s14, s0
	s_waitcnt lgkmcnt(0)
	v_cmp_lt_f32_e64 vcc, |v28|, |v29|
	s_nop 1
	v_cndmask_b32_e32 v28, v28, v29, vcc
	v_cndmask_b32_e32 v26, v26, v30, vcc
	s_cbranch_scc1 .LBB56_340
.LBB56_341:
	s_waitcnt lgkmcnt(0)
	v_cmp_eq_f32_e32 vcc, 0, v28
	s_and_saveexec_b64 s[0:1], vcc
	s_xor_b64 s[0:1], exec, s[0:1]
	s_cbranch_execz .LBB56_343
; %bb.342:
	scratch_load_dword v27, off, off offset:136 ; 4-byte Folded Reload
	s_waitcnt vmcnt(0)
	v_cmp_ne_u32_e32 vcc, 0, v27
	s_nop 1
	v_cndmask_b32_e32 v27, 21, v27, vcc
	scratch_store_dword off, v27, off offset:136 ; 4-byte Folded Spill
.LBB56_343:
	s_andn2_saveexec_b64 s[0:1], s[0:1]
	s_cbranch_execz .LBB56_345
; %bb.344:
	v_div_scale_f32 v27, s[2:3], v28, v28, 1.0
	v_rcp_f32_e32 v29, v27
	v_div_scale_f32 v30, vcc, 1.0, v28, 1.0
	v_fma_f32 v31, -v27, v29, 1.0
	v_fmac_f32_e32 v29, v31, v29
	v_mul_f32_e32 v31, v30, v29
	v_fma_f32 v57, -v27, v31, v30
	v_fmac_f32_e32 v31, v57, v29
	v_fma_f32 v27, -v27, v31, v30
	v_div_fmas_f32 v27, v27, v29, v31
	v_div_fixup_f32 v28, v27, v28, 1.0
.LBB56_345:
	s_or_b64 exec, exec, s[0:1]
	scratch_load_dword v27, off, off offset:4 ; 4-byte Folded Reload
	s_waitcnt vmcnt(0)
	v_cmp_ne_u32_e32 vcc, v27, v26
	s_and_saveexec_b64 s[0:1], vcc
	s_xor_b64 s[0:1], exec, s[0:1]
	s_cbranch_execz .LBB56_351
; %bb.346:
	scratch_load_dword v27, off, off offset:4 ; 4-byte Folded Reload
	s_waitcnt vmcnt(0)
	v_cmp_eq_u32_e32 vcc, 20, v27
	s_and_saveexec_b64 s[2:3], vcc
	s_cbranch_execz .LBB56_350
; %bb.347:
	v_cmp_ne_u32_e32 vcc, 20, v26
	s_xor_b64 s[18:19], s[16:17], -1
	s_and_b64 s[20:21], s[18:19], vcc
	s_and_saveexec_b64 s[18:19], s[20:21]
	s_cbranch_execz .LBB56_349
; %bb.348:
	s_movk_i32 s20, 0x1098
	scratch_load_dwordx2 v[58:59], off, s20 ; 8-byte Folded Reload
	v_ashrrev_i32_e32 v27, 31, v26
	s_waitcnt vmcnt(0)
	v_lshl_add_u64 v[30:31], v[26:27], 2, v[58:59]
	global_load_dword v27, v[30:31], off
	global_load_dword v29, v[58:59], off offset:80
	s_waitcnt vmcnt(1)
	global_store_dword v[58:59], v27, off offset:80
	s_waitcnt vmcnt(1)
	global_store_dword v[30:31], v29, off
.LBB56_349:
	s_or_b64 exec, exec, s[18:19]
	v_mov_b32_e32 v27, v26
	scratch_store_dword off, v27, off offset:2704 ; 4-byte Folded Spill
	scratch_store_dword off, v26, off offset:4 ; 4-byte Folded Spill
.LBB56_350:
	s_or_b64 exec, exec, s[2:3]
.LBB56_351:
	s_andn2_saveexec_b64 s[0:1], s[0:1]
	s_cbranch_execz .LBB56_353
; %bb.352:
	scratch_load_dword v26, off, off offset:132 ; 4-byte Folded Reload
	s_waitcnt vmcnt(0)
	ds_write2_b32 v26, v209, v210 offset0:21 offset1:22
	ds_write2_b32 v26, v211, v212 offset0:23 offset1:24
	;; [unrolled: 1-line block ×4, first 2 shown]
	v_mov_b32_e32 v26, 20
	scratch_store_dword off, v26, off offset:4 ; 4-byte Folded Spill
.LBB56_353:
	s_or_b64 exec, exec, s[0:1]
	s_waitcnt lgkmcnt(0)
	s_barrier
	scratch_load_dword v26, off, off offset:4 ; 4-byte Folded Reload
	s_waitcnt vmcnt(0)
	v_cmp_lt_i32_e32 vcc, 20, v26
	s_and_saveexec_b64 s[0:1], vcc
	s_cbranch_execz .LBB56_355
; %bb.354:
	scratch_load_dwordx4 v[32:35], off, off offset:1936 ; 16-byte Folded Reload
	scratch_load_dwordx4 v[36:39], off, off offset:1952 ; 16-byte Folded Reload
	;; [unrolled: 1-line block ×8, first 2 shown]
	scratch_load_dword v8, off, off offset:132 ; 4-byte Folded Reload
	s_waitcnt vmcnt(3)
	v_mul_f32_e32 v52, v118, v28
	v_mov_b32_e32 v3, v210
	v_mov_b32_e32 v2, v209
	;; [unrolled: 1-line block ×15, first 2 shown]
	s_waitcnt vmcnt(0)
	ds_read2_b32 v[0:1], v8 offset0:21 offset1:22
	ds_read2_b32 v[4:5], v8 offset0:23 offset1:24
	;; [unrolled: 1-line block ×4, first 2 shown]
	v_mov_b32_e32 v16, v48
	v_mov_b32_e32 v17, v49
	;; [unrolled: 1-line block ×3, first 2 shown]
	s_waitcnt lgkmcnt(3)
	v_pk_fma_f32 v[26:27], v[52:53], v[0:1], v[2:3] op_sel_hi:[0,1,1] neg_lo:[1,0,0] neg_hi:[1,0,0]
	v_mov_b32_e32 v1, v212
	v_mov_b32_e32 v0, v211
	s_waitcnt lgkmcnt(2)
	v_pk_fma_f32 v[28:29], v[52:53], v[4:5], v[0:1] op_sel_hi:[0,1,1] neg_lo:[1,0,0] neg_hi:[1,0,0]
	v_mov_b32_e32 v1, v214
	v_mov_b32_e32 v0, v213
	;; [unrolled: 4-line block ×4, first 2 shown]
	v_mov_b32_e32 v2, v34
	v_mov_b32_e32 v3, v35
	;; [unrolled: 1-line block ×15, first 2 shown]
	scratch_store_dwordx4 off, v[0:3], off offset:1552 ; 16-byte Folded Spill
	s_nop 0
	scratch_store_dwordx4 off, v[4:7], off offset:1568 ; 16-byte Folded Spill
	scratch_store_dwordx4 off, v[8:11], off offset:1584 ; 16-byte Folded Spill
	;; [unrolled: 1-line block ×7, first 2 shown]
	v_mov_b32_e32 v162, v34
	v_mov_b32_e32 v163, v35
	;; [unrolled: 1-line block ×78, first 2 shown]
	scratch_store_dwordx4 off, v[160:163], off offset:272 ; 16-byte Folded Spill
	s_nop 0
	scratch_store_dwordx4 off, v[164:167], off offset:288 ; 16-byte Folded Spill
	scratch_store_dwordx4 off, v[168:171], off offset:304 ; 16-byte Folded Spill
	scratch_store_dwordx4 off, v[172:175], off offset:320 ; 16-byte Folded Spill
	scratch_store_dwordx4 off, v[176:179], off offset:336 ; 16-byte Folded Spill
	scratch_store_dwordx4 off, v[180:183], off offset:352 ; 16-byte Folded Spill
	scratch_store_dwordx4 off, v[184:187], off offset:368 ; 16-byte Folded Spill
	scratch_store_dwordx4 off, v[188:191], off offset:384 ; 16-byte Folded Spill
	scratch_store_dwordx4 off, v[0:3], off offset:1424 ; 16-byte Folded Spill
	s_nop 0
	scratch_store_dwordx4 off, v[4:7], off offset:1440 ; 16-byte Folded Spill
	scratch_store_dwordx4 off, v[8:11], off offset:1456 ; 16-byte Folded Spill
	;; [unrolled: 1-line block ×7, first 2 shown]
	v_mov_b32_e32 v106, v44
	v_mov_b32_e32 v107, v45
	;; [unrolled: 1-line block ×14, first 2 shown]
	scratch_store_dwordx4 off, v[60:63], off offset:912 ; 16-byte Folded Spill
	s_nop 0
	scratch_store_dwordx4 off, v[64:67], off offset:928 ; 16-byte Folded Spill
	scratch_store_dwordx4 off, v[68:71], off offset:944 ; 16-byte Folded Spill
	;; [unrolled: 1-line block ×7, first 2 shown]
	v_mov_b32_e32 v149, v26
	v_mov_b32_e32 v150, v27
	;; [unrolled: 1-line block ×6, first 2 shown]
	v_mov_b64_e32 v[218:219], v[158:159]
	v_mov_b64_e32 v[216:217], v[156:157]
	;; [unrolled: 1-line block ×16, first 2 shown]
	v_mov_b32_e32 v119, v26
	v_mov_b32_e32 v186, v27
	;; [unrolled: 1-line block ×6, first 2 shown]
	scratch_store_dwordx2 off, v[58:59], off offset:264 ; 8-byte Folded Spill
	scratch_store_dwordx4 off, v[32:35], off offset:1808 ; 16-byte Folded Spill
	s_nop 0
	scratch_store_dwordx4 off, v[36:39], off offset:1824 ; 16-byte Folded Spill
	scratch_store_dwordx4 off, v[40:43], off offset:1840 ; 16-byte Folded Spill
	;; [unrolled: 1-line block ×8, first 2 shown]
	s_nop 0
	scratch_store_dwordx4 off, v[36:39], off offset:1056 ; 16-byte Folded Spill
	scratch_store_dwordx4 off, v[40:43], off offset:1072 ; 16-byte Folded Spill
	;; [unrolled: 1-line block ×7, first 2 shown]
.LBB56_355:
	s_or_b64 exec, exec, s[0:1]
	s_barrier
	scratch_load_dword v27, off, off offset:132 ; 4-byte Folded Reload
	scratch_load_dword v26, off, off offset:4 ; 4-byte Folded Reload
	s_cmp_lt_i32 s14, 23
	s_waitcnt vmcnt(0)
	v_lshl_add_u32 v26, v26, 2, v27
	ds_write_b32 v26, v119
	s_waitcnt lgkmcnt(0)
	s_barrier
	ds_read_b32 v28, v27 offset:84
	v_mov_b32_e32 v26, 21
	s_cbranch_scc1 .LBB56_358
; %bb.356:
	scratch_load_dword v26, off, off offset:132 ; 4-byte Folded Reload
	s_mov_b32 s0, 22
	s_waitcnt vmcnt(0)
	v_add_u32_e32 v27, 0x58, v26
	v_mov_b32_e32 v26, 21
.LBB56_357:                             ; =>This Inner Loop Header: Depth=1
	ds_read_b32 v29, v27
	v_mov_b32_e32 v30, s0
	s_add_i32 s0, s0, 1
	v_add_u32_e32 v27, 4, v27
	s_cmp_lg_u32 s14, s0
	s_waitcnt lgkmcnt(0)
	v_cmp_lt_f32_e64 vcc, |v28|, |v29|
	s_nop 1
	v_cndmask_b32_e32 v28, v28, v29, vcc
	v_cndmask_b32_e32 v26, v26, v30, vcc
	s_cbranch_scc1 .LBB56_357
.LBB56_358:
	s_waitcnt lgkmcnt(0)
	v_cmp_eq_f32_e32 vcc, 0, v28
	s_and_saveexec_b64 s[0:1], vcc
	s_xor_b64 s[0:1], exec, s[0:1]
	s_cbranch_execz .LBB56_360
; %bb.359:
	scratch_load_dword v27, off, off offset:136 ; 4-byte Folded Reload
	s_waitcnt vmcnt(0)
	v_cmp_ne_u32_e32 vcc, 0, v27
	s_nop 1
	v_cndmask_b32_e32 v27, 22, v27, vcc
	scratch_store_dword off, v27, off offset:136 ; 4-byte Folded Spill
.LBB56_360:
	s_andn2_saveexec_b64 s[0:1], s[0:1]
	s_cbranch_execz .LBB56_362
; %bb.361:
	v_div_scale_f32 v27, s[2:3], v28, v28, 1.0
	v_rcp_f32_e32 v29, v27
	v_div_scale_f32 v30, vcc, 1.0, v28, 1.0
	v_fma_f32 v31, -v27, v29, 1.0
	v_fmac_f32_e32 v29, v31, v29
	v_mul_f32_e32 v31, v30, v29
	v_fma_f32 v57, -v27, v31, v30
	v_fmac_f32_e32 v31, v57, v29
	v_fma_f32 v27, -v27, v31, v30
	v_div_fmas_f32 v27, v27, v29, v31
	v_div_fixup_f32 v28, v27, v28, 1.0
.LBB56_362:
	s_or_b64 exec, exec, s[0:1]
	scratch_load_dword v27, off, off offset:4 ; 4-byte Folded Reload
	s_waitcnt vmcnt(0)
	v_cmp_ne_u32_e32 vcc, v27, v26
	s_and_saveexec_b64 s[0:1], vcc
	s_xor_b64 s[0:1], exec, s[0:1]
	s_cbranch_execz .LBB56_368
; %bb.363:
	scratch_load_dword v27, off, off offset:4 ; 4-byte Folded Reload
	s_waitcnt vmcnt(0)
	v_cmp_eq_u32_e32 vcc, 21, v27
	s_and_saveexec_b64 s[2:3], vcc
	s_cbranch_execz .LBB56_367
; %bb.364:
	v_cmp_ne_u32_e32 vcc, 21, v26
	s_xor_b64 s[18:19], s[16:17], -1
	s_and_b64 s[20:21], s[18:19], vcc
	s_and_saveexec_b64 s[18:19], s[20:21]
	s_cbranch_execz .LBB56_366
; %bb.365:
	s_movk_i32 s20, 0x1098
	scratch_load_dwordx2 v[58:59], off, s20 ; 8-byte Folded Reload
	v_ashrrev_i32_e32 v27, 31, v26
	s_waitcnt vmcnt(0)
	v_lshl_add_u64 v[30:31], v[26:27], 2, v[58:59]
	global_load_dword v27, v[30:31], off
	global_load_dword v29, v[58:59], off offset:84
	s_waitcnt vmcnt(1)
	global_store_dword v[58:59], v27, off offset:84
	s_waitcnt vmcnt(1)
	global_store_dword v[30:31], v29, off
.LBB56_366:
	s_or_b64 exec, exec, s[18:19]
	v_mov_b32_e32 v27, v26
	scratch_store_dword off, v27, off offset:2704 ; 4-byte Folded Spill
	scratch_store_dword off, v26, off offset:4 ; 4-byte Folded Spill
.LBB56_367:
	s_or_b64 exec, exec, s[2:3]
.LBB56_368:
	s_andn2_saveexec_b64 s[0:1], s[0:1]
	s_cbranch_execz .LBB56_370
; %bb.369:
	scratch_load_dword v29, off, off offset:132 ; 4-byte Folded Reload
	s_waitcnt vmcnt(0)
	ds_write2_b32 v29, v210, v211 offset0:22 offset1:23
	ds_write2_b32 v29, v212, v213 offset0:24 offset1:25
	;; [unrolled: 1-line block ×3, first 2 shown]
	scratch_load_dwordx2 v[26:27], off, off offset:264 ; 8-byte Folded Reload
	s_waitcnt vmcnt(0)
	v_mov_b32_e32 v26, 21
	scratch_store_dword off, v26, off offset:4 ; 4-byte Folded Spill
	ds_write_b32 v29, v27 offset:112
.LBB56_370:
	s_or_b64 exec, exec, s[0:1]
	s_waitcnt lgkmcnt(0)
	s_barrier
	scratch_load_dword v26, off, off offset:4 ; 4-byte Folded Reload
	s_waitcnt vmcnt(0)
	v_cmp_lt_i32_e32 vcc, 21, v26
	s_and_saveexec_b64 s[0:1], vcc
	s_cbranch_execz .LBB56_372
; %bb.371:
	scratch_load_dword v8, off, off offset:132 ; 4-byte Folded Reload
	v_mul_f32_e32 v26, v119, v28
	v_mov_b32_e32 v2, v210
	v_mov_b32_e32 v3, v211
	;; [unrolled: 1-line block ×4, first 2 shown]
	s_waitcnt vmcnt(0)
	ds_read2_b32 v[0:1], v8 offset0:22 offset1:23
	ds_read2_b32 v[4:5], v8 offset0:24 offset1:25
	;; [unrolled: 1-line block ×3, first 2 shown]
	ds_read_b32 v8, v8 offset:112
	s_waitcnt lgkmcnt(3)
	v_pk_fma_f32 v[116:117], v[26:27], v[0:1], v[2:3] op_sel_hi:[0,1,1] neg_lo:[1,0,0] neg_hi:[1,0,0]
	v_mov_b32_e32 v0, v212
	v_mov_b32_e32 v1, v213
	s_waitcnt lgkmcnt(2)
	v_pk_fma_f32 v[52:53], v[26:27], v[4:5], v[0:1] op_sel_hi:[0,1,1] neg_lo:[1,0,0] neg_hi:[1,0,0]
	v_mov_b32_e32 v0, v214
	v_mov_b32_e32 v1, v215
	s_waitcnt lgkmcnt(1)
	v_pk_fma_f32 v[184:185], v[26:27], v[6:7], v[0:1] op_sel_hi:[0,1,1] neg_lo:[1,0,0] neg_hi:[1,0,0]
	scratch_load_dwordx2 v[0:1], off, off offset:264 ; 8-byte Folded Reload
	scratch_load_dwordx4 v[192:195], off, off offset:1040 ; 16-byte Folded Reload
	scratch_load_dwordx4 v[196:199], off, off offset:1056 ; 16-byte Folded Reload
	;; [unrolled: 1-line block ×8, first 2 shown]
	v_mov_b32_e32 v22, v116
	v_mov_b32_e32 v23, v117
	s_waitcnt vmcnt(2)
	v_mov_b32_e32 v213, v26
	v_mov_b32_e32 v150, v116
	v_mov_b32_e32 v151, v117
	v_mov_b32_e32 v152, v52
	v_mov_b32_e32 v153, v53
	v_mov_b32_e32 v154, v184
	v_mov_b32_e32 v155, v185
	v_mov_b32_e32 v50, v116
	v_mov_b32_e32 v51, v117
	v_mov_b32_e32 v182, v52
	v_mov_b32_e32 v183, v53
	v_mov_b32_e32 v180, v116
	v_mov_b32_e32 v181, v117
	v_mov_b32_e32 v186, v116
	v_mov_b32_e32 v127, v117
	v_mov_b32_e32 v0, v192
	v_mov_b32_e32 v2, v194
	v_mov_b32_e32 v3, v195
	v_mov_b32_e32 v4, v196
	v_mov_b32_e32 v5, v197
	v_mov_b32_e32 v6, v198
	s_waitcnt lgkmcnt(0)
	v_fma_f32 v156, -v26, v8, v1
	v_mov_b32_e32 v1, v193
	v_mov_b32_e32 v7, v199
	;; [unrolled: 1-line block ×15, first 2 shown]
	scratch_store_dwordx4 off, v[0:3], off offset:1552 ; 16-byte Folded Spill
	s_nop 0
	scratch_store_dwordx4 off, v[4:7], off offset:1568 ; 16-byte Folded Spill
	scratch_store_dwordx4 off, v[8:11], off offset:1584 ; 16-byte Folded Spill
	;; [unrolled: 1-line block ×7, first 2 shown]
	v_mov_b32_e32 v128, v192
	v_mov_b32_e32 v24, v52
	;; [unrolled: 1-line block ×73, first 2 shown]
	scratch_store_dwordx4 off, v[0:3], off offset:1424 ; 16-byte Folded Spill
	s_nop 0
	scratch_store_dwordx4 off, v[4:7], off offset:1440 ; 16-byte Folded Spill
	scratch_store_dwordx4 off, v[8:11], off offset:1456 ; 16-byte Folded Spill
	;; [unrolled: 1-line block ×7, first 2 shown]
	v_mov_b32_e32 v165, v199
	v_mov_b32_e32 v166, v200
	;; [unrolled: 1-line block ×14, first 2 shown]
	scratch_store_dwordx4 off, v[192:195], off offset:1808 ; 16-byte Folded Spill
	s_nop 0
	scratch_store_dwordx4 off, v[196:199], off offset:1824 ; 16-byte Folded Spill
	scratch_store_dwordx4 off, v[200:203], off offset:1840 ; 16-byte Folded Spill
	;; [unrolled: 1-line block ×5, first 2 shown]
	s_waitcnt vmcnt(23)
	scratch_store_dwordx4 off, v[216:219], off offset:1904 ; 16-byte Folded Spill
	s_waitcnt vmcnt(23)
	scratch_store_dwordx4 off, v[220:223], off offset:1920 ; 16-byte Folded Spill
	v_mov_b32_e32 v27, v156
	v_mov_b32_e32 v149, v26
	v_mov_b64_e32 v[54:55], v[128:129]
	v_mov_b64_e32 v[68:69], v[142:143]
	v_mov_b32_e32 v179, v26
	v_mov_b64_e32 v[56:57], v[130:131]
	v_mov_b64_e32 v[58:59], v[132:133]
	;; [unrolled: 1-line block ×7, first 2 shown]
	v_mov_b32_e32 v26, v185
	v_mov_b64_e32 v[200:201], v[66:67]
	v_mov_b64_e32 v[198:199], v[64:65]
	;; [unrolled: 1-line block ×7, first 2 shown]
	scratch_store_dwordx2 off, v[26:27], off offset:264 ; 8-byte Folded Spill
	v_mov_b32_e32 v222, v52
	scratch_store_dwordx4 off, v[28:31], off offset:272 ; 16-byte Folded Spill
	s_nop 0
	scratch_store_dwordx4 off, v[32:35], off offset:288 ; 16-byte Folded Spill
	scratch_store_dwordx4 off, v[36:39], off offset:304 ; 16-byte Folded Spill
	;; [unrolled: 1-line block ×7, first 2 shown]
	v_mov_b64_e32 v[80:81], v[154:155]
	v_mov_b64_e32 v[70:71], v[144:145]
	;; [unrolled: 1-line block ×9, first 2 shown]
	v_mov_b32_e32 v42, v174
	v_mov_b64_e32 v[212:213], v[78:79]
	v_mov_b64_e32 v[210:211], v[76:77]
	;; [unrolled: 1-line block ×5, first 2 shown]
	v_mov_b32_e32 v216, v82
	v_mov_b64_e32 v[28:29], v[160:161]
	v_mov_b64_e32 v[30:31], v[162:163]
	;; [unrolled: 1-line block ×7, first 2 shown]
	v_mov_b32_e32 v43, v175
	v_mov_b32_e32 v44, v176
	v_mov_b32_e32 v45, v177
	v_mov_b32_e32 v46, v178
	v_mov_b32_e32 v47, v179
	v_mov_b32_e32 v48, v180
	v_mov_b32_e32 v49, v181
	v_mov_b32_e32 v50, v182
	v_mov_b32_e32 v51, v183
	v_mov_b32_e32 v52, v184
	v_mov_b32_e32 v170, v184
	v_mov_b64_e32 v[84:85], v[158:159]
	v_mov_b32_e32 v185, v53
	scratch_store_dwordx4 off, v[26:29], off offset:912 ; 16-byte Folded Spill
	s_nop 0
	scratch_store_dwordx4 off, v[30:33], off offset:928 ; 16-byte Folded Spill
	scratch_store_dwordx4 off, v[34:37], off offset:944 ; 16-byte Folded Spill
	;; [unrolled: 1-line block ×7, first 2 shown]
.LBB56_372:
	s_or_b64 exec, exec, s[0:1]
	s_barrier
	scratch_load_dword v27, off, off offset:132 ; 4-byte Folded Reload
	scratch_load_dword v26, off, off offset:4 ; 4-byte Folded Reload
	s_cmp_lt_i32 s14, 24
	s_waitcnt vmcnt(0)
	v_lshl_add_u32 v26, v26, 2, v27
	ds_write_b32 v26, v186
	s_waitcnt lgkmcnt(0)
	s_barrier
	ds_read_b32 v28, v27 offset:88
	v_mov_b32_e32 v26, 22
	s_cbranch_scc1 .LBB56_375
; %bb.373:
	scratch_load_dword v26, off, off offset:132 ; 4-byte Folded Reload
	s_mov_b32 s0, 23
	s_waitcnt vmcnt(0)
	v_add_u32_e32 v27, 0x5c, v26
	v_mov_b32_e32 v26, 22
.LBB56_374:                             ; =>This Inner Loop Header: Depth=1
	ds_read_b32 v29, v27
	v_mov_b32_e32 v30, s0
	s_add_i32 s0, s0, 1
	v_add_u32_e32 v27, 4, v27
	s_cmp_lg_u32 s14, s0
	s_waitcnt lgkmcnt(0)
	v_cmp_lt_f32_e64 vcc, |v28|, |v29|
	s_nop 1
	v_cndmask_b32_e32 v28, v28, v29, vcc
	v_cndmask_b32_e32 v26, v26, v30, vcc
	s_cbranch_scc1 .LBB56_374
.LBB56_375:
	s_waitcnt lgkmcnt(0)
	v_cmp_eq_f32_e32 vcc, 0, v28
	s_and_saveexec_b64 s[0:1], vcc
	s_xor_b64 s[0:1], exec, s[0:1]
	s_cbranch_execz .LBB56_377
; %bb.376:
	scratch_load_dword v27, off, off offset:136 ; 4-byte Folded Reload
	s_waitcnt vmcnt(0)
	v_cmp_ne_u32_e32 vcc, 0, v27
	s_nop 1
	v_cndmask_b32_e32 v27, 23, v27, vcc
	scratch_store_dword off, v27, off offset:136 ; 4-byte Folded Spill
.LBB56_377:
	s_andn2_saveexec_b64 s[0:1], s[0:1]
	s_cbranch_execz .LBB56_379
; %bb.378:
	v_div_scale_f32 v27, s[2:3], v28, v28, 1.0
	v_rcp_f32_e32 v29, v27
	v_div_scale_f32 v30, vcc, 1.0, v28, 1.0
	v_fma_f32 v31, -v27, v29, 1.0
	v_fmac_f32_e32 v29, v31, v29
	v_mul_f32_e32 v31, v30, v29
	v_fma_f32 v57, -v27, v31, v30
	v_fmac_f32_e32 v31, v57, v29
	v_fma_f32 v27, -v27, v31, v30
	v_div_fmas_f32 v27, v27, v29, v31
	v_div_fixup_f32 v28, v27, v28, 1.0
.LBB56_379:
	s_or_b64 exec, exec, s[0:1]
	scratch_load_dword v27, off, off offset:4 ; 4-byte Folded Reload
	s_waitcnt vmcnt(0)
	v_cmp_ne_u32_e32 vcc, v27, v26
	s_and_saveexec_b64 s[0:1], vcc
	s_xor_b64 s[0:1], exec, s[0:1]
	s_cbranch_execz .LBB56_385
; %bb.380:
	scratch_load_dword v27, off, off offset:4 ; 4-byte Folded Reload
	s_waitcnt vmcnt(0)
	v_cmp_eq_u32_e32 vcc, 22, v27
	s_and_saveexec_b64 s[2:3], vcc
	s_cbranch_execz .LBB56_384
; %bb.381:
	v_cmp_ne_u32_e32 vcc, 22, v26
	s_xor_b64 s[18:19], s[16:17], -1
	s_and_b64 s[20:21], s[18:19], vcc
	s_and_saveexec_b64 s[18:19], s[20:21]
	s_cbranch_execz .LBB56_383
; %bb.382:
	s_movk_i32 s20, 0x1098
	scratch_load_dwordx2 v[58:59], off, s20 ; 8-byte Folded Reload
	v_ashrrev_i32_e32 v27, 31, v26
	s_waitcnt vmcnt(0)
	v_lshl_add_u64 v[30:31], v[26:27], 2, v[58:59]
	global_load_dword v27, v[30:31], off
	global_load_dword v29, v[58:59], off offset:88
	s_waitcnt vmcnt(1)
	global_store_dword v[58:59], v27, off offset:88
	s_waitcnt vmcnt(1)
	global_store_dword v[30:31], v29, off
.LBB56_383:
	s_or_b64 exec, exec, s[18:19]
	v_mov_b32_e32 v27, v26
	scratch_store_dword off, v27, off offset:2704 ; 4-byte Folded Spill
	scratch_store_dword off, v26, off offset:4 ; 4-byte Folded Spill
.LBB56_384:
	s_or_b64 exec, exec, s[2:3]
.LBB56_385:
	s_andn2_saveexec_b64 s[0:1], s[0:1]
	s_cbranch_execz .LBB56_387
; %bb.386:
	scratch_load_dword v26, off, off offset:132 ; 4-byte Folded Reload
	s_waitcnt vmcnt(0)
	ds_write2_b32 v26, v211, v212 offset0:23 offset1:24
	ds_write2_b32 v26, v213, v214 offset0:25 offset1:26
	;; [unrolled: 1-line block ×3, first 2 shown]
	v_mov_b32_e32 v26, 22
	scratch_store_dword off, v26, off offset:4 ; 4-byte Folded Spill
.LBB56_387:
	s_or_b64 exec, exec, s[0:1]
	s_waitcnt lgkmcnt(0)
	s_barrier
	scratch_load_dword v26, off, off offset:4 ; 4-byte Folded Reload
	s_waitcnt vmcnt(0)
	v_cmp_lt_i32_e32 vcc, 22, v26
	s_and_saveexec_b64 s[0:1], vcc
	s_cbranch_execz .LBB56_389
; %bb.388:
	scratch_load_dwordx4 v[96:99], off, off offset:1808 ; 16-byte Folded Reload
	scratch_load_dwordx4 v[100:103], off, off offset:1824 ; 16-byte Folded Reload
	;; [unrolled: 1-line block ×8, first 2 shown]
	scratch_load_dword v6, off, off offset:132 ; 4-byte Folded Reload
	s_waitcnt vmcnt(3)
	v_mul_f32_e32 v118, v186, v28
	v_mov_b32_e32 v3, v212
	v_mov_b32_e32 v2, v211
	;; [unrolled: 1-line block ×13, first 2 shown]
	s_waitcnt vmcnt(0)
	ds_read2_b32 v[0:1], v6 offset0:23 offset1:24
	ds_read2_b32 v[4:5], v6 offset0:25 offset1:26
	;; [unrolled: 1-line block ×3, first 2 shown]
	v_mov_b32_e32 v14, v110
	v_mov_b32_e32 v15, v111
	;; [unrolled: 1-line block ×3, first 2 shown]
	s_waitcnt lgkmcnt(2)
	v_pk_fma_f32 v[26:27], v[118:119], v[0:1], v[2:3] op_sel_hi:[0,1,1] neg_lo:[1,0,0] neg_hi:[1,0,0]
	v_mov_b32_e32 v1, v214
	v_mov_b32_e32 v0, v213
	s_waitcnt lgkmcnt(1)
	v_pk_fma_f32 v[28:29], v[118:119], v[4:5], v[0:1] op_sel_hi:[0,1,1] neg_lo:[1,0,0] neg_hi:[1,0,0]
	v_mov_b32_e32 v1, v216
	v_mov_b32_e32 v0, v215
	;; [unrolled: 4-line block ×3, first 2 shown]
	v_mov_b32_e32 v2, v98
	v_mov_b32_e32 v3, v99
	;; [unrolled: 1-line block ×14, first 2 shown]
	scratch_store_dwordx4 off, v[0:3], off offset:272 ; 16-byte Folded Spill
	s_nop 0
	scratch_store_dwordx4 off, v[4:7], off offset:288 ; 16-byte Folded Spill
	scratch_store_dwordx4 off, v[8:11], off offset:304 ; 16-byte Folded Spill
	;; [unrolled: 1-line block ×7, first 2 shown]
	v_mov_b32_e32 v34, v98
	v_mov_b32_e32 v35, v99
	;; [unrolled: 1-line block ×43, first 2 shown]
	scratch_store_dwordx4 off, v[0:3], off offset:1424 ; 16-byte Folded Spill
	s_nop 0
	scratch_store_dwordx4 off, v[4:7], off offset:1440 ; 16-byte Folded Spill
	scratch_store_dwordx4 off, v[8:11], off offset:1456 ; 16-byte Folded Spill
	;; [unrolled: 1-line block ×7, first 2 shown]
	v_mov_b32_e32 v55, v26
	v_mov_b32_e32 v56, v27
	v_mov_b32_e32 v57, v28
	v_mov_b32_e32 v58, v29
	scratch_store_dwordx4 off, v[32:35], off offset:912 ; 16-byte Folded Spill
	s_nop 0
	scratch_store_dwordx4 off, v[36:39], off offset:928 ; 16-byte Folded Spill
	scratch_store_dwordx4 off, v[40:43], off offset:944 ; 16-byte Folded Spill
	;; [unrolled: 1-line block ×7, first 2 shown]
	scratch_store_dwordx2 off, v[30:31], off offset:264 ; 8-byte Folded Spill
	scratch_store_dwordx4 off, v[96:99], off offset:1552 ; 16-byte Folded Spill
	s_nop 0
	scratch_store_dwordx4 off, v[100:103], off offset:1568 ; 16-byte Folded Spill
	scratch_store_dwordx4 off, v[104:107], off offset:1584 ; 16-byte Folded Spill
	;; [unrolled: 1-line block ×7, first 2 shown]
	v_mov_b32_e32 v151, v26
	v_mov_b32_e32 v152, v27
	;; [unrolled: 1-line block ×6, first 2 shown]
	v_mov_b64_e32 v[218:219], v[158:159]
	v_mov_b64_e32 v[216:217], v[156:157]
	;; [unrolled: 1-line block ×16, first 2 shown]
	v_mov_b32_e32 v222, v27
	v_mov_b32_e32 v185, v28
	;; [unrolled: 1-line block ×3, first 2 shown]
	v_mov_b64_e32 v[94:95], v[96:97]
	v_mov_b64_e32 v[96:97], v[98:99]
	;; [unrolled: 1-line block ×16, first 2 shown]
	v_mov_b32_e32 v127, v26
.LBB56_389:
	s_or_b64 exec, exec, s[0:1]
	s_barrier
	scratch_load_dword v27, off, off offset:132 ; 4-byte Folded Reload
	scratch_load_dword v26, off, off offset:4 ; 4-byte Folded Reload
	s_cmp_lt_i32 s14, 25
	s_waitcnt vmcnt(0)
	v_lshl_add_u32 v26, v26, 2, v27
	ds_write_b32 v26, v127
	s_waitcnt lgkmcnt(0)
	s_barrier
	ds_read_b32 v28, v27 offset:92
	v_mov_b32_e32 v26, 23
	s_cbranch_scc1 .LBB56_392
; %bb.390:
	scratch_load_dword v26, off, off offset:132 ; 4-byte Folded Reload
	s_mov_b32 s0, 24
	s_waitcnt vmcnt(0)
	v_add_u32_e32 v27, 0x60, v26
	v_mov_b32_e32 v26, 23
.LBB56_391:                             ; =>This Inner Loop Header: Depth=1
	ds_read_b32 v29, v27
	v_mov_b32_e32 v30, s0
	s_add_i32 s0, s0, 1
	v_add_u32_e32 v27, 4, v27
	s_cmp_lg_u32 s14, s0
	s_waitcnt lgkmcnt(0)
	v_cmp_lt_f32_e64 vcc, |v28|, |v29|
	s_nop 1
	v_cndmask_b32_e32 v28, v28, v29, vcc
	v_cndmask_b32_e32 v26, v26, v30, vcc
	s_cbranch_scc1 .LBB56_391
.LBB56_392:
	s_waitcnt lgkmcnt(0)
	v_cmp_eq_f32_e32 vcc, 0, v28
	s_and_saveexec_b64 s[0:1], vcc
	s_xor_b64 s[0:1], exec, s[0:1]
	s_cbranch_execz .LBB56_394
; %bb.393:
	scratch_load_dword v27, off, off offset:136 ; 4-byte Folded Reload
	s_waitcnt vmcnt(0)
	v_cmp_ne_u32_e32 vcc, 0, v27
	s_nop 1
	v_cndmask_b32_e32 v27, 24, v27, vcc
	scratch_store_dword off, v27, off offset:136 ; 4-byte Folded Spill
.LBB56_394:
	s_andn2_saveexec_b64 s[0:1], s[0:1]
	s_cbranch_execz .LBB56_396
; %bb.395:
	v_div_scale_f32 v27, s[2:3], v28, v28, 1.0
	v_rcp_f32_e32 v29, v27
	v_div_scale_f32 v30, vcc, 1.0, v28, 1.0
	v_fma_f32 v31, -v27, v29, 1.0
	v_fmac_f32_e32 v29, v31, v29
	v_mul_f32_e32 v31, v30, v29
	v_fma_f32 v57, -v27, v31, v30
	v_fmac_f32_e32 v31, v57, v29
	v_fma_f32 v27, -v27, v31, v30
	v_div_fmas_f32 v27, v27, v29, v31
	v_div_fixup_f32 v28, v27, v28, 1.0
.LBB56_396:
	s_or_b64 exec, exec, s[0:1]
	scratch_load_dword v27, off, off offset:4 ; 4-byte Folded Reload
	s_waitcnt vmcnt(0)
	v_cmp_ne_u32_e32 vcc, v27, v26
	s_and_saveexec_b64 s[0:1], vcc
	s_xor_b64 s[0:1], exec, s[0:1]
	s_cbranch_execz .LBB56_402
; %bb.397:
	scratch_load_dword v27, off, off offset:4 ; 4-byte Folded Reload
	s_waitcnt vmcnt(0)
	v_cmp_eq_u32_e32 vcc, 23, v27
	s_and_saveexec_b64 s[2:3], vcc
	s_cbranch_execz .LBB56_401
; %bb.398:
	v_cmp_ne_u32_e32 vcc, 23, v26
	s_xor_b64 s[18:19], s[16:17], -1
	s_and_b64 s[20:21], s[18:19], vcc
	s_and_saveexec_b64 s[18:19], s[20:21]
	s_cbranch_execz .LBB56_400
; %bb.399:
	s_movk_i32 s20, 0x1098
	scratch_load_dwordx2 v[58:59], off, s20 ; 8-byte Folded Reload
	v_ashrrev_i32_e32 v27, 31, v26
	s_waitcnt vmcnt(0)
	v_lshl_add_u64 v[30:31], v[26:27], 2, v[58:59]
	global_load_dword v27, v[30:31], off
	global_load_dword v29, v[58:59], off offset:92
	s_waitcnt vmcnt(1)
	global_store_dword v[58:59], v27, off offset:92
	s_waitcnt vmcnt(1)
	global_store_dword v[30:31], v29, off
.LBB56_400:
	s_or_b64 exec, exec, s[18:19]
	v_mov_b32_e32 v27, v26
	scratch_store_dword off, v27, off offset:2704 ; 4-byte Folded Spill
	scratch_store_dword off, v26, off offset:4 ; 4-byte Folded Spill
.LBB56_401:
	s_or_b64 exec, exec, s[2:3]
.LBB56_402:
	s_andn2_saveexec_b64 s[0:1], s[0:1]
	s_cbranch_execz .LBB56_404
; %bb.403:
	scratch_load_dword v29, off, off offset:132 ; 4-byte Folded Reload
	s_waitcnt vmcnt(0)
	ds_write2_b32 v29, v212, v213 offset0:24 offset1:25
	ds_write2_b32 v29, v214, v215 offset0:26 offset1:27
	scratch_load_dwordx2 v[26:27], off, off offset:264 ; 8-byte Folded Reload
	s_waitcnt vmcnt(0)
	v_mov_b32_e32 v26, 23
	scratch_store_dword off, v26, off offset:4 ; 4-byte Folded Spill
	ds_write_b32 v29, v27 offset:112
.LBB56_404:
	s_or_b64 exec, exec, s[0:1]
	s_waitcnt lgkmcnt(0)
	s_barrier
	scratch_load_dword v26, off, off offset:4 ; 4-byte Folded Reload
	s_waitcnt vmcnt(0)
	v_cmp_lt_i32_e32 vcc, 23, v26
	s_and_saveexec_b64 s[0:1], vcc
	s_cbranch_execz .LBB56_406
; %bb.405:
	scratch_load_dword v6, off, off offset:132 ; 4-byte Folded Reload
	v_mul_f32_e32 v26, v127, v28
	v_mov_b32_e32 v2, v212
	v_mov_b32_e32 v3, v213
	;; [unrolled: 1-line block ×78, first 2 shown]
	s_waitcnt vmcnt(0)
	ds_read2_b32 v[0:1], v6 offset0:24 offset1:25
	ds_read2_b32 v[4:5], v6 offset0:26 offset1:27
	ds_read_b32 v6, v6 offset:112
	v_mov_b32_e32 v129, v105
	v_mov_b32_e32 v130, v106
	;; [unrolled: 1-line block ×3, first 2 shown]
	s_waitcnt lgkmcnt(2)
	v_pk_fma_f32 v[52:53], v[26:27], v[0:1], v[2:3] op_sel_hi:[0,1,1] neg_lo:[1,0,0] neg_hi:[1,0,0]
	v_mov_b32_e32 v0, v214
	v_mov_b32_e32 v1, v215
	s_waitcnt lgkmcnt(1)
	v_pk_fma_f32 v[144:145], v[26:27], v[4:5], v[0:1] op_sel_hi:[0,1,1] neg_lo:[1,0,0] neg_hi:[1,0,0]
	scratch_load_dwordx2 v[0:1], off, off offset:264 ; 8-byte Folded Reload
	s_waitcnt vmcnt(0)
	v_mov_b32_e32 v0, v94
	v_mov_b32_e32 v2, v96
	;; [unrolled: 1-line block ×24, first 2 shown]
	s_waitcnt lgkmcnt(0)
	v_fma_f32 v212, -v26, v6, v1
	v_mov_b32_e32 v1, v95
	v_mov_b32_e32 v6, v100
	scratch_store_dwordx4 off, v[0:3], off offset:1424 ; 16-byte Folded Spill
	s_nop 0
	scratch_store_dwordx4 off, v[4:7], off offset:1440 ; 16-byte Folded Spill
	scratch_store_dwordx4 off, v[8:11], off offset:1456 ; 16-byte Folded Spill
	;; [unrolled: 1-line block ×8, first 2 shown]
	s_nop 0
	scratch_store_dwordx4 off, v[98:101], off offset:1568 ; 16-byte Folded Spill
	scratch_store_dwordx4 off, v[102:105], off offset:1584 ; 16-byte Folded Spill
	;; [unrolled: 1-line block ×7, first 2 shown]
	v_mov_b32_e32 v27, v212
	v_mov_b32_e32 v207, v26
	v_mov_b64_e32 v[54:55], v[184:185]
	v_mov_b64_e32 v[68:69], v[198:199]
	;; [unrolled: 1-line block ×24, first 2 shown]
	scratch_store_dwordx4 off, v[28:31], off offset:272 ; 16-byte Folded Spill
	s_nop 0
	scratch_store_dwordx4 off, v[32:35], off offset:288 ; 16-byte Folded Spill
	scratch_store_dwordx4 off, v[36:39], off offset:304 ; 16-byte Folded Spill
	scratch_store_dwordx4 off, v[40:43], off offset:320 ; 16-byte Folded Spill
	scratch_store_dwordx4 off, v[44:47], off offset:336 ; 16-byte Folded Spill
	scratch_store_dwordx4 off, v[48:51], off offset:352 ; 16-byte Folded Spill
	scratch_store_dwordx4 off, v[52:55], off offset:368 ; 16-byte Folded Spill
	scratch_store_dwordx4 off, v[56:59], off offset:384 ; 16-byte Folded Spill
	v_mov_b32_e32 v141, v26
	v_mov_b32_e32 v26, v145
	v_mov_b64_e32 v[214:215], v[80:81]
	scratch_store_dwordx2 off, v[26:27], off offset:264 ; 8-byte Folded Spill
	v_mov_b64_e32 v[26:27], v[118:119]
	v_mov_b32_e32 v42, v134
	v_mov_b64_e32 v[212:213], v[78:79]
	v_mov_b64_e32 v[210:211], v[76:77]
	;; [unrolled: 1-line block ×5, first 2 shown]
	v_mov_b32_e32 v216, v82
	v_mov_b64_e32 v[28:29], v[120:121]
	v_mov_b64_e32 v[30:31], v[122:123]
	;; [unrolled: 1-line block ×7, first 2 shown]
	v_mov_b32_e32 v43, v135
	v_mov_b32_e32 v44, v136
	;; [unrolled: 1-line block ×11, first 2 shown]
	scratch_store_dwordx4 off, v[26:29], off offset:912 ; 16-byte Folded Spill
	s_nop 0
	scratch_store_dwordx4 off, v[30:33], off offset:928 ; 16-byte Folded Spill
	scratch_store_dwordx4 off, v[34:37], off offset:944 ; 16-byte Folded Spill
	scratch_store_dwordx4 off, v[38:41], off offset:960 ; 16-byte Folded Spill
	scratch_store_dwordx4 off, v[42:45], off offset:976 ; 16-byte Folded Spill
	scratch_store_dwordx4 off, v[46:49], off offset:992 ; 16-byte Folded Spill
	scratch_store_dwordx4 off, v[50:53], off offset:1008 ; 16-byte Folded Spill
	scratch_store_dwordx4 off, v[54:57], off offset:1024 ; 16-byte Folded Spill
.LBB56_406:
	s_or_b64 exec, exec, s[0:1]
	s_barrier
	scratch_load_dword v27, off, off offset:132 ; 4-byte Folded Reload
	scratch_load_dword v26, off, off offset:4 ; 4-byte Folded Reload
	s_cmp_lt_i32 s14, 26
	s_waitcnt vmcnt(0)
	v_lshl_add_u32 v26, v26, 2, v27
	ds_write_b32 v26, v222
	s_waitcnt lgkmcnt(0)
	s_barrier
	ds_read_b32 v28, v27 offset:96
	v_mov_b32_e32 v26, 24
	s_cbranch_scc1 .LBB56_500
; %bb.407:
	scratch_load_dword v26, off, off offset:132 ; 4-byte Folded Reload
	scratch_load_dwordx4 v[116:119], off, off offset:1424 ; 16-byte Folded Reload
	scratch_load_dwordx4 v[120:123], off, off offset:1440 ; 16-byte Folded Reload
	;; [unrolled: 1-line block ×8, first 2 shown]
	s_mov_b32 s0, 25
	s_waitcnt vmcnt(8)
	v_add_u32_e32 v27, 0x64, v26
	v_mov_b32_e32 v26, 24
.LBB56_408:                             ; =>This Inner Loop Header: Depth=1
	ds_read_b32 v29, v27
	v_mov_b32_e32 v30, s0
	s_add_i32 s0, s0, 1
	v_add_u32_e32 v27, 4, v27
	s_cmp_lg_u32 s14, s0
	s_waitcnt lgkmcnt(0)
	v_cmp_lt_f32_e64 vcc, |v28|, |v29|
	s_nop 1
	v_cndmask_b32_e32 v28, v28, v29, vcc
	v_cndmask_b32_e32 v26, v26, v30, vcc
	s_cbranch_scc1 .LBB56_408
; %bb.409:
	v_cmp_eq_f32_e32 vcc, 0, v28
	s_and_saveexec_b64 s[0:1], vcc
	s_xor_b64 s[0:1], exec, s[0:1]
	s_cbranch_execz .LBB56_411
.LBB56_410:
	scratch_load_dword v27, off, off offset:136 ; 4-byte Folded Reload
	s_waitcnt vmcnt(0)
	v_cmp_ne_u32_e32 vcc, 0, v27
	s_nop 1
	v_cndmask_b32_e32 v27, 25, v27, vcc
	scratch_store_dword off, v27, off offset:136 ; 4-byte Folded Spill
.LBB56_411:
	s_andn2_saveexec_b64 s[0:1], s[0:1]
	s_cbranch_execz .LBB56_413
; %bb.412:
	v_div_scale_f32 v27, s[2:3], v28, v28, 1.0
	v_rcp_f32_e32 v29, v27
	v_div_scale_f32 v30, vcc, 1.0, v28, 1.0
	v_fma_f32 v31, -v27, v29, 1.0
	v_fmac_f32_e32 v29, v31, v29
	v_mul_f32_e32 v31, v30, v29
	v_fma_f32 v57, -v27, v31, v30
	v_fmac_f32_e32 v31, v57, v29
	v_fma_f32 v27, -v27, v31, v30
	v_div_fmas_f32 v27, v27, v29, v31
	v_div_fixup_f32 v28, v27, v28, 1.0
.LBB56_413:
	s_or_b64 exec, exec, s[0:1]
	scratch_load_dword v27, off, off offset:4 ; 4-byte Folded Reload
	s_waitcnt vmcnt(0)
	v_cmp_ne_u32_e32 vcc, v27, v26
	s_and_saveexec_b64 s[0:1], vcc
	s_xor_b64 s[0:1], exec, s[0:1]
	s_cbranch_execz .LBB56_419
; %bb.414:
	scratch_load_dword v27, off, off offset:4 ; 4-byte Folded Reload
	s_waitcnt vmcnt(0)
	v_cmp_eq_u32_e32 vcc, 24, v27
	s_and_saveexec_b64 s[2:3], vcc
	s_cbranch_execz .LBB56_418
; %bb.415:
	v_cmp_ne_u32_e32 vcc, 24, v26
	s_xor_b64 s[18:19], s[16:17], -1
	s_and_b64 s[20:21], s[18:19], vcc
	s_and_saveexec_b64 s[18:19], s[20:21]
	s_cbranch_execz .LBB56_417
; %bb.416:
	s_movk_i32 s20, 0x1098
	scratch_load_dwordx2 v[58:59], off, s20 ; 8-byte Folded Reload
	v_ashrrev_i32_e32 v27, 31, v26
	s_waitcnt vmcnt(0)
	v_lshl_add_u64 v[30:31], v[26:27], 2, v[58:59]
	global_load_dword v27, v[30:31], off
	global_load_dword v29, v[58:59], off offset:96
	s_waitcnt vmcnt(1)
	global_store_dword v[58:59], v27, off offset:96
	s_waitcnt vmcnt(1)
	global_store_dword v[30:31], v29, off
.LBB56_417:
	s_or_b64 exec, exec, s[18:19]
	v_mov_b32_e32 v27, v26
	scratch_store_dword off, v27, off offset:2704 ; 4-byte Folded Spill
	scratch_store_dword off, v26, off offset:4 ; 4-byte Folded Spill
.LBB56_418:
	s_or_b64 exec, exec, s[2:3]
.LBB56_419:
	s_andn2_saveexec_b64 s[0:1], s[0:1]
	s_cbranch_execz .LBB56_421
; %bb.420:
	scratch_load_dword v26, off, off offset:132 ; 4-byte Folded Reload
	s_waitcnt vmcnt(0)
	ds_write2_b32 v26, v213, v214 offset0:25 offset1:26
	ds_write2_b32 v26, v215, v216 offset0:27 offset1:28
	v_mov_b32_e32 v26, 24
	scratch_store_dword off, v26, off offset:4 ; 4-byte Folded Spill
.LBB56_421:
	s_or_b64 exec, exec, s[0:1]
	s_waitcnt lgkmcnt(0)
	s_barrier
	scratch_load_dword v26, off, off offset:4 ; 4-byte Folded Reload
	s_waitcnt vmcnt(0)
	v_cmp_lt_i32_e32 vcc, 24, v26
	s_and_saveexec_b64 s[0:1], vcc
	s_cbranch_execz .LBB56_423
; %bb.422:
	scratch_load_dword v2, off, off offset:132 ; 4-byte Folded Reload
	v_mov_b32_e32 v3, v214
	s_waitcnt vmcnt(0)
	ds_read2_b32 v[0:1], v2 offset0:25 offset1:26
	scratch_load_dwordx4 v[160:163], off, off offset:1552 ; 16-byte Folded Reload
	scratch_load_dwordx4 v[164:167], off, off offset:1568 ; 16-byte Folded Reload
	;; [unrolled: 1-line block ×8, first 2 shown]
	ds_read2_b32 v[4:5], v2 offset0:27 offset1:28
	s_waitcnt vmcnt(1)
	v_mul_f32_e32 v184, v222, v28
	v_mov_b32_e32 v2, v213
	v_mov_b32_e32 v152, v184
	;; [unrolled: 1-line block ×9, first 2 shown]
	s_waitcnt lgkmcnt(1)
	v_pk_fma_f32 v[90:91], v[184:185], v[0:1], v[2:3] op_sel_hi:[0,1,1] neg_lo:[1,0,0] neg_hi:[1,0,0]
	v_mov_b32_e32 v1, v216
	v_mov_b32_e32 v0, v215
	s_waitcnt lgkmcnt(0)
	v_pk_fma_f32 v[0:1], v[184:185], v[4:5], v[0:1] op_sel_hi:[0,1,1] neg_lo:[1,0,0] neg_hi:[1,0,0]
	v_mov_b32_e32 v134, v166
	v_mov_b32_e32 v135, v167
	;; [unrolled: 1-line block ×22, first 2 shown]
	s_waitcnt vmcnt(0)
	v_mov_b64_e32 v[218:219], v[158:159]
	v_mov_b32_e32 v185, v90
	v_mov_b32_e32 v2, v160
	v_mov_b32_e32 v3, v161
	v_mov_b32_e32 v4, v162
	v_mov_b32_e32 v5, v163
	v_mov_b32_e32 v6, v164
	v_mov_b32_e32 v7, v165
	v_mov_b32_e32 v8, v166
	v_mov_b32_e32 v9, v167
	v_mov_b32_e32 v10, v168
	v_mov_b32_e32 v11, v169
	v_mov_b32_e32 v12, v170
	v_mov_b32_e32 v13, v171
	v_mov_b32_e32 v14, v172
	v_mov_b32_e32 v15, v173
	v_mov_b32_e32 v16, v174
	v_mov_b32_e32 v17, v175
	v_mov_b32_e32 v18, v176
	v_mov_b32_e32 v19, v177
	v_mov_b32_e32 v20, v178
	v_mov_b32_e32 v21, v179
	v_mov_b32_e32 v22, v180
	v_mov_b32_e32 v23, v181
	v_mov_b32_e32 v24, v182
	v_mov_b32_e32 v25, v183
	v_mov_b32_e32 v27, v90
	v_mov_b32_e32 v28, v91
	v_mov_b64_e32 v[216:217], v[156:157]
	v_mov_b64_e32 v[214:215], v[154:155]
	;; [unrolled: 1-line block ×16, first 2 shown]
	scratch_store_dwordx4 off, v[2:5], off offset:912 ; 16-byte Folded Spill
	s_nop 0
	scratch_store_dwordx4 off, v[6:9], off offset:928 ; 16-byte Folded Spill
	scratch_store_dwordx4 off, v[10:13], off offset:944 ; 16-byte Folded Spill
	;; [unrolled: 1-line block ×7, first 2 shown]
	scratch_store_dwordx2 off, v[0:1], off offset:264 ; 8-byte Folded Spill
	v_mov_b64_e32 v[118:119], v[162:163]
	v_mov_b64_e32 v[120:121], v[164:165]
	;; [unrolled: 1-line block ×15, first 2 shown]
	scratch_store_dwordx4 off, v[160:163], off offset:272 ; 16-byte Folded Spill
	s_nop 0
	scratch_store_dwordx4 off, v[164:167], off offset:288 ; 16-byte Folded Spill
	scratch_store_dwordx4 off, v[168:171], off offset:304 ; 16-byte Folded Spill
	;; [unrolled: 1-line block ×7, first 2 shown]
	v_mov_b32_e32 v170, v91
.LBB56_423:
	s_or_b64 exec, exec, s[0:1]
	s_barrier
	scratch_load_dword v27, off, off offset:132 ; 4-byte Folded Reload
	scratch_load_dword v26, off, off offset:4 ; 4-byte Folded Reload
	s_cmp_lt_i32 s14, 27
	s_waitcnt vmcnt(0)
	v_lshl_add_u32 v26, v26, 2, v27
	ds_write_b32 v26, v185
	s_waitcnt lgkmcnt(0)
	s_barrier
	ds_read_b32 v28, v27 offset:100
	v_mov_b32_e32 v26, 25
	s_cbranch_scc1 .LBB56_426
; %bb.424:
	scratch_load_dword v26, off, off offset:132 ; 4-byte Folded Reload
	s_mov_b32 s0, 26
	s_waitcnt vmcnt(0)
	v_add_u32_e32 v27, 0x68, v26
	v_mov_b32_e32 v26, 25
.LBB56_425:                             ; =>This Inner Loop Header: Depth=1
	ds_read_b32 v29, v27
	v_mov_b32_e32 v30, s0
	s_add_i32 s0, s0, 1
	v_add_u32_e32 v27, 4, v27
	s_cmp_lg_u32 s14, s0
	s_waitcnt lgkmcnt(0)
	v_cmp_lt_f32_e64 vcc, |v28|, |v29|
	s_nop 1
	v_cndmask_b32_e32 v28, v28, v29, vcc
	v_cndmask_b32_e32 v26, v26, v30, vcc
	s_cbranch_scc1 .LBB56_425
.LBB56_426:
	s_waitcnt lgkmcnt(0)
	v_cmp_eq_f32_e32 vcc, 0, v28
	s_and_saveexec_b64 s[0:1], vcc
	s_xor_b64 s[0:1], exec, s[0:1]
	s_cbranch_execz .LBB56_428
; %bb.427:
	scratch_load_dword v27, off, off offset:136 ; 4-byte Folded Reload
	s_waitcnt vmcnt(0)
	v_cmp_ne_u32_e32 vcc, 0, v27
	s_nop 1
	v_cndmask_b32_e32 v27, 26, v27, vcc
	scratch_store_dword off, v27, off offset:136 ; 4-byte Folded Spill
.LBB56_428:
	s_andn2_saveexec_b64 s[0:1], s[0:1]
	s_cbranch_execz .LBB56_430
; %bb.429:
	v_div_scale_f32 v27, s[2:3], v28, v28, 1.0
	v_rcp_f32_e32 v29, v27
	v_div_scale_f32 v30, vcc, 1.0, v28, 1.0
	v_fma_f32 v31, -v27, v29, 1.0
	v_fmac_f32_e32 v29, v31, v29
	v_mul_f32_e32 v31, v30, v29
	v_fma_f32 v57, -v27, v31, v30
	v_fmac_f32_e32 v31, v57, v29
	v_fma_f32 v27, -v27, v31, v30
	v_div_fmas_f32 v27, v27, v29, v31
	v_div_fixup_f32 v28, v27, v28, 1.0
.LBB56_430:
	s_or_b64 exec, exec, s[0:1]
	scratch_load_dword v27, off, off offset:4 ; 4-byte Folded Reload
	s_waitcnt vmcnt(0)
	v_cmp_ne_u32_e32 vcc, v27, v26
	s_and_saveexec_b64 s[0:1], vcc
	s_xor_b64 s[0:1], exec, s[0:1]
	s_cbranch_execz .LBB56_436
; %bb.431:
	scratch_load_dword v27, off, off offset:4 ; 4-byte Folded Reload
	s_waitcnt vmcnt(0)
	v_cmp_eq_u32_e32 vcc, 25, v27
	s_and_saveexec_b64 s[2:3], vcc
	s_cbranch_execz .LBB56_435
; %bb.432:
	v_cmp_ne_u32_e32 vcc, 25, v26
	s_xor_b64 s[18:19], s[16:17], -1
	s_and_b64 s[20:21], s[18:19], vcc
	s_and_saveexec_b64 s[18:19], s[20:21]
	s_cbranch_execz .LBB56_434
; %bb.433:
	s_movk_i32 s20, 0x1098
	scratch_load_dwordx2 v[58:59], off, s20 ; 8-byte Folded Reload
	v_ashrrev_i32_e32 v27, 31, v26
	s_waitcnt vmcnt(0)
	v_lshl_add_u64 v[30:31], v[26:27], 2, v[58:59]
	global_load_dword v27, v[30:31], off
	global_load_dword v29, v[58:59], off offset:100
	s_waitcnt vmcnt(1)
	global_store_dword v[58:59], v27, off offset:100
	s_waitcnt vmcnt(1)
	global_store_dword v[30:31], v29, off
.LBB56_434:
	s_or_b64 exec, exec, s[18:19]
	v_mov_b32_e32 v27, v26
	scratch_store_dword off, v27, off offset:2704 ; 4-byte Folded Spill
	scratch_store_dword off, v26, off offset:4 ; 4-byte Folded Spill
.LBB56_435:
	s_or_b64 exec, exec, s[2:3]
.LBB56_436:
	s_andn2_saveexec_b64 s[0:1], s[0:1]
	s_cbranch_execz .LBB56_438
; %bb.437:
	scratch_load_dword v29, off, off offset:132 ; 4-byte Folded Reload
	scratch_load_dwordx2 v[26:27], off, off offset:264 ; 8-byte Folded Reload
	s_waitcnt vmcnt(0)
	v_mov_b32_e32 v26, 25
	scratch_store_dword off, v26, off offset:4 ; 4-byte Folded Spill
	ds_write2_b32 v29, v214, v215 offset0:26 offset1:27
	ds_write_b32 v29, v27 offset:112
.LBB56_438:
	s_or_b64 exec, exec, s[0:1]
	s_waitcnt lgkmcnt(0)
	s_barrier
	scratch_load_dword v26, off, off offset:4 ; 4-byte Folded Reload
	s_waitcnt vmcnt(0)
	v_cmp_lt_i32_e32 vcc, 25, v26
	s_and_saveexec_b64 s[0:1], vcc
	s_cbranch_execz .LBB56_440
; %bb.439:
	scratch_load_dword v2, off, off offset:132 ; 4-byte Folded Reload
	v_mov_b32_e32 v4, v214
	v_mov_b32_e32 v5, v215
	s_waitcnt vmcnt(0)
	ds_read2_b32 v[0:1], v2 offset0:26 offset1:27
	ds_read_b32 v3, v2 offset:112
	v_mul_f32_e32 v2, v185, v28
	v_mov_b32_e32 v113, v2
	v_mov_b32_e32 v83, v2
	s_waitcnt lgkmcnt(0)
	v_pk_fma_f32 v[114:115], v[2:3], v[0:1], v[4:5] op_sel_hi:[0,1,1] neg_lo:[1,0,0] neg_hi:[1,0,0]
	scratch_load_dwordx2 v[0:1], off, off offset:264 ; 8-byte Folded Reload
	scratch_load_dwordx4 v[4:7], off, off offset:272 ; 16-byte Folded Reload
	scratch_load_dwordx4 v[8:11], off, off offset:288 ; 16-byte Folded Reload
	;; [unrolled: 1-line block ×8, first 2 shown]
	s_waitcnt vmcnt(1)
	v_mov_b32_e32 v29, v2
	v_mov_b32_e32 v84, v114
	;; [unrolled: 1-line block ×10, first 2 shown]
	v_fma_f32 v86, -v2, v3, v1
	s_waitcnt vmcnt(0)
	v_mov_b64_e32 v[146:147], v[34:35]
	v_mov_b32_e32 v94, v10
	v_mov_b32_e32 v95, v11
	;; [unrolled: 1-line block ×44, first 2 shown]
	v_mov_b64_e32 v[218:219], v[88:89]
	v_mov_b64_e32 v[118:119], v[6:7]
	;; [unrolled: 1-line block ×18, first 2 shown]
	scratch_store_dwordx4 off, v[88:91], off offset:912 ; 16-byte Folded Spill
	s_nop 0
	scratch_store_dwordx4 off, v[92:95], off offset:928 ; 16-byte Folded Spill
	scratch_store_dwordx4 off, v[96:99], off offset:944 ; 16-byte Folded Spill
	;; [unrolled: 1-line block ×7, first 2 shown]
	v_mov_b64_e32 v[144:145], v[32:33]
	v_mov_b64_e32 v[142:143], v[30:31]
	;; [unrolled: 1-line block ×13, first 2 shown]
	v_mov_b32_e32 v27, v86
	v_mov_b32_e32 v26, v115
	scratch_store_dwordx2 off, v[26:27], off offset:264 ; 8-byte Folded Spill
.LBB56_440:
	s_or_b64 exec, exec, s[0:1]
	s_barrier
	scratch_load_dword v27, off, off offset:132 ; 4-byte Folded Reload
	scratch_load_dword v26, off, off offset:4 ; 4-byte Folded Reload
	s_cmp_lt_i32 s14, 28
	s_waitcnt vmcnt(0)
	v_lshl_add_u32 v26, v26, 2, v27
	ds_write_b32 v26, v170
	s_waitcnt lgkmcnt(0)
	s_barrier
	ds_read_b32 v28, v27 offset:104
	v_mov_b32_e32 v26, 26
	s_cbranch_scc1 .LBB56_443
; %bb.441:
	scratch_load_dword v26, off, off offset:132 ; 4-byte Folded Reload
	s_mov_b32 s0, 27
	s_waitcnt vmcnt(0)
	v_add_u32_e32 v27, 0x6c, v26
	v_mov_b32_e32 v26, 26
.LBB56_442:                             ; =>This Inner Loop Header: Depth=1
	ds_read_b32 v29, v27
	v_mov_b32_e32 v30, s0
	s_add_i32 s0, s0, 1
	v_add_u32_e32 v27, 4, v27
	s_cmp_lg_u32 s14, s0
	s_waitcnt lgkmcnt(0)
	v_cmp_lt_f32_e64 vcc, |v28|, |v29|
	s_nop 1
	v_cndmask_b32_e32 v28, v28, v29, vcc
	v_cndmask_b32_e32 v26, v26, v30, vcc
	s_cbranch_scc1 .LBB56_442
.LBB56_443:
	s_waitcnt lgkmcnt(0)
	v_cmp_eq_f32_e32 vcc, 0, v28
	s_and_saveexec_b64 s[0:1], vcc
	s_xor_b64 s[0:1], exec, s[0:1]
	s_cbranch_execz .LBB56_445
; %bb.444:
	scratch_load_dword v27, off, off offset:136 ; 4-byte Folded Reload
	s_waitcnt vmcnt(0)
	v_cmp_ne_u32_e32 vcc, 0, v27
	s_nop 1
	v_cndmask_b32_e32 v27, 27, v27, vcc
	scratch_store_dword off, v27, off offset:136 ; 4-byte Folded Spill
.LBB56_445:
	s_andn2_saveexec_b64 s[0:1], s[0:1]
	s_cbranch_execz .LBB56_447
; %bb.446:
	v_div_scale_f32 v27, s[2:3], v28, v28, 1.0
	v_rcp_f32_e32 v29, v27
	v_div_scale_f32 v30, vcc, 1.0, v28, 1.0
	v_fma_f32 v31, -v27, v29, 1.0
	v_fmac_f32_e32 v29, v31, v29
	v_mul_f32_e32 v31, v30, v29
	v_fma_f32 v32, -v27, v31, v30
	v_fmac_f32_e32 v31, v32, v29
	v_fma_f32 v27, -v27, v31, v30
	v_div_fmas_f32 v27, v27, v29, v31
	v_div_fixup_f32 v28, v27, v28, 1.0
.LBB56_447:
	s_or_b64 exec, exec, s[0:1]
	scratch_load_dword v27, off, off offset:4 ; 4-byte Folded Reload
	s_waitcnt vmcnt(0)
	v_cmp_ne_u32_e32 vcc, v27, v26
	s_and_saveexec_b64 s[0:1], vcc
	s_xor_b64 s[0:1], exec, s[0:1]
	s_cbranch_execz .LBB56_453
; %bb.448:
	scratch_load_dword v27, off, off offset:4 ; 4-byte Folded Reload
	s_waitcnt vmcnt(0)
	v_cmp_eq_u32_e32 vcc, 26, v27
	s_and_saveexec_b64 s[2:3], vcc
	s_cbranch_execz .LBB56_452
; %bb.449:
	v_cmp_ne_u32_e32 vcc, 26, v26
	s_xor_b64 s[18:19], s[16:17], -1
	s_and_b64 s[20:21], s[18:19], vcc
	s_and_saveexec_b64 s[18:19], s[20:21]
	s_cbranch_execz .LBB56_451
; %bb.450:
	s_movk_i32 s20, 0x1098
	scratch_load_dwordx2 v[32:33], off, s20 ; 8-byte Folded Reload
	v_ashrrev_i32_e32 v27, 31, v26
	s_waitcnt vmcnt(0)
	v_lshl_add_u64 v[30:31], v[26:27], 2, v[32:33]
	global_load_dword v27, v[30:31], off
	global_load_dword v29, v[32:33], off offset:104
	s_waitcnt vmcnt(1)
	global_store_dword v[32:33], v27, off offset:104
	s_waitcnt vmcnt(1)
	global_store_dword v[30:31], v29, off
.LBB56_451:
	s_or_b64 exec, exec, s[18:19]
	v_mov_b32_e32 v27, v26
	scratch_store_dword off, v27, off offset:2704 ; 4-byte Folded Spill
	scratch_store_dword off, v26, off offset:4 ; 4-byte Folded Spill
.LBB56_452:
	s_or_b64 exec, exec, s[2:3]
.LBB56_453:
	s_andn2_saveexec_b64 s[0:1], s[0:1]
	s_cbranch_execz .LBB56_455
; %bb.454:
	scratch_load_dword v26, off, off offset:132 ; 4-byte Folded Reload
	s_waitcnt vmcnt(0)
	ds_write2_b32 v26, v215, v216 offset0:27 offset1:28
	v_mov_b32_e32 v26, 26
	scratch_store_dword off, v26, off offset:4 ; 4-byte Folded Spill
.LBB56_455:
	s_or_b64 exec, exec, s[0:1]
	s_waitcnt lgkmcnt(0)
	s_barrier
	scratch_load_dword v26, off, off offset:4 ; 4-byte Folded Reload
	s_waitcnt vmcnt(0)
	v_cmp_lt_i32_e32 vcc, 26, v26
	s_and_saveexec_b64 s[0:1], vcc
	s_cbranch_execz .LBB56_457
; %bb.456:
	scratch_load_dword v26, off, off offset:132 ; 4-byte Folded Reload
	v_mul_f32_e32 v142, v170, v28
	v_mov_b32_e32 v29, v216
	v_mov_b32_e32 v28, v215
	s_waitcnt vmcnt(0)
	ds_read2_b32 v[30:31], v26 offset0:27 offset1:28
	s_waitcnt lgkmcnt(0)
	v_pk_fma_f32 v[28:29], v[142:143], v[30:31], v[28:29] op_sel_hi:[0,1,1] neg_lo:[1,0,0] neg_hi:[1,0,0]
	v_mov_b32_e32 v143, v28
	v_mov_b32_e32 v144, v29
	v_mov_b64_e32 v[218:219], v[146:147]
	v_mov_b64_e32 v[216:217], v[144:145]
	;; [unrolled: 1-line block ×16, first 2 shown]
	scratch_store_dwordx2 off, v[28:29], off offset:264 ; 8-byte Folded Spill
	scratch_store_dwordx4 off, v[116:119], off offset:912 ; 16-byte Folded Spill
	s_nop 0
	scratch_store_dwordx4 off, v[120:123], off offset:928 ; 16-byte Folded Spill
	scratch_store_dwordx4 off, v[124:127], off offset:944 ; 16-byte Folded Spill
	;; [unrolled: 1-line block ×7, first 2 shown]
.LBB56_457:
	s_or_b64 exec, exec, s[0:1]
	s_barrier
	scratch_load_dword v1, off, off offset:132 ; 4-byte Folded Reload
	scratch_load_dword v0, off, off offset:4 ; 4-byte Folded Reload
	scratch_load_dwordx2 v[2:3], off, off offset:264 ; 8-byte Folded Reload
	s_cmp_lt_i32 s14, 29
	s_waitcnt vmcnt(1)
	v_lshl_add_u32 v0, v0, 2, v1
	s_waitcnt vmcnt(0)
	ds_write_b32 v0, v2
	s_waitcnt lgkmcnt(0)
	s_barrier
	ds_read_b32 v2, v1 offset:108
	v_mov_b32_e32 v0, 27
	s_cbranch_scc1 .LBB56_460
; %bb.458:
	scratch_load_dword v0, off, off offset:132 ; 4-byte Folded Reload
	s_mov_b32 s0, 28
	s_waitcnt vmcnt(0)
	v_add_u32_e32 v1, 0x70, v0
	v_mov_b32_e32 v0, 27
.LBB56_459:                             ; =>This Inner Loop Header: Depth=1
	ds_read_b32 v3, v1
	v_mov_b32_e32 v4, s0
	s_add_i32 s0, s0, 1
	v_add_u32_e32 v1, 4, v1
	s_cmp_lg_u32 s14, s0
	s_waitcnt lgkmcnt(0)
	v_cmp_lt_f32_e64 vcc, |v2|, |v3|
	s_nop 1
	v_cndmask_b32_e32 v2, v2, v3, vcc
	v_cndmask_b32_e32 v0, v0, v4, vcc
	s_cbranch_scc1 .LBB56_459
.LBB56_460:
	s_waitcnt lgkmcnt(0)
	v_cmp_eq_f32_e32 vcc, 0, v2
	s_and_saveexec_b64 s[0:1], vcc
	s_xor_b64 s[0:1], exec, s[0:1]
	s_cbranch_execz .LBB56_462
; %bb.461:
	scratch_load_dword v1, off, off offset:136 ; 4-byte Folded Reload
	s_waitcnt vmcnt(0)
	v_cmp_ne_u32_e32 vcc, 0, v1
	s_nop 1
	v_cndmask_b32_e32 v1, 28, v1, vcc
	scratch_store_dword off, v1, off offset:136 ; 4-byte Folded Spill
.LBB56_462:
	s_andn2_saveexec_b64 s[0:1], s[0:1]
	s_cbranch_execz .LBB56_464
; %bb.463:
	v_div_scale_f32 v1, s[2:3], v2, v2, 1.0
	v_rcp_f32_e32 v3, v1
	v_div_scale_f32 v4, vcc, 1.0, v2, 1.0
	v_fma_f32 v5, -v1, v3, 1.0
	v_fmac_f32_e32 v3, v5, v3
	v_mul_f32_e32 v5, v4, v3
	v_fma_f32 v6, -v1, v5, v4
	v_fmac_f32_e32 v5, v6, v3
	v_fma_f32 v1, -v1, v5, v4
	v_div_fmas_f32 v1, v1, v3, v5
	v_div_fixup_f32 v2, v1, v2, 1.0
.LBB56_464:
	s_or_b64 exec, exec, s[0:1]
	scratch_load_dword v1, off, off offset:4 ; 4-byte Folded Reload
	s_waitcnt vmcnt(0)
	v_cmp_ne_u32_e32 vcc, v1, v0
	s_and_saveexec_b64 s[0:1], vcc
	s_xor_b64 s[0:1], exec, s[0:1]
	s_cbranch_execz .LBB56_470
; %bb.465:
	scratch_load_dword v1, off, off offset:4 ; 4-byte Folded Reload
	s_waitcnt vmcnt(0)
	v_cmp_eq_u32_e32 vcc, 27, v1
	s_and_saveexec_b64 s[2:3], vcc
	s_cbranch_execz .LBB56_469
; %bb.466:
	v_cmp_ne_u32_e32 vcc, 27, v0
	s_xor_b64 s[18:19], s[16:17], -1
	s_and_b64 s[20:21], s[18:19], vcc
	s_and_saveexec_b64 s[18:19], s[20:21]
	s_cbranch_execz .LBB56_468
; %bb.467:
	s_movk_i32 s20, 0x1098
	scratch_load_dwordx2 v[6:7], off, s20   ; 8-byte Folded Reload
	v_ashrrev_i32_e32 v1, 31, v0
	s_waitcnt vmcnt(0)
	v_lshl_add_u64 v[4:5], v[0:1], 2, v[6:7]
	global_load_dword v1, v[4:5], off
	global_load_dword v3, v[6:7], off offset:108
	s_waitcnt vmcnt(1)
	global_store_dword v[6:7], v1, off offset:108
	s_waitcnt vmcnt(1)
	global_store_dword v[4:5], v3, off
.LBB56_468:
	s_or_b64 exec, exec, s[18:19]
	v_mov_b32_e32 v1, v0
	scratch_store_dword off, v1, off offset:2704 ; 4-byte Folded Spill
	scratch_store_dword off, v0, off offset:4 ; 4-byte Folded Spill
.LBB56_469:
	s_or_b64 exec, exec, s[2:3]
.LBB56_470:
	s_andn2_saveexec_b64 s[0:1], s[0:1]
	s_cbranch_execz .LBB56_472
; %bb.471:
	scratch_load_dwordx2 v[0:1], off, off offset:264 ; 8-byte Folded Reload
	scratch_load_dword v0, off, off offset:132 ; 4-byte Folded Reload
	s_waitcnt vmcnt(0)
	ds_write_b32 v0, v1 offset:112
	v_mov_b32_e32 v0, 27
	scratch_store_dword off, v0, off offset:4 ; 4-byte Folded Spill
.LBB56_472:
	s_or_b64 exec, exec, s[0:1]
	s_waitcnt lgkmcnt(0)
	s_barrier
	scratch_load_dword v0, off, off offset:4 ; 4-byte Folded Reload
	s_waitcnt vmcnt(0)
	v_cmp_lt_i32_e32 vcc, 27, v0
	s_and_saveexec_b64 s[0:1], vcc
	s_cbranch_execz .LBB56_474
; %bb.473:
	scratch_load_dword v0, off, off offset:132 ; 4-byte Folded Reload
	s_waitcnt vmcnt(0)
	ds_read_b32 v0, v0 offset:112
	scratch_load_dwordx2 v[4:5], off, off offset:264 ; 8-byte Folded Reload
	scratch_load_dwordx4 v[6:9], off, off offset:912 ; 16-byte Folded Reload
	scratch_load_dwordx4 v[10:13], off, off offset:928 ; 16-byte Folded Reload
	;; [unrolled: 1-line block ×8, first 2 shown]
	s_waitcnt vmcnt(1)
	v_mul_f32_e32 v33, v4, v2
	s_waitcnt vmcnt(0) lgkmcnt(0)
	v_fma_f32 v34, -v33, v0, v5
	v_mov_b32_e32 v1, v34
	scratch_store_dwordx2 off, v[0:1], off offset:264 ; 8-byte Folded Spill
	v_mov_b64_e32 v[218:219], v[36:37]
	v_mov_b64_e32 v[216:217], v[34:35]
	;; [unrolled: 1-line block ×16, first 2 shown]
.LBB56_474:
	s_or_b64 exec, exec, s[0:1]
	s_barrier
	scratch_load_dword v1, off, off offset:132 ; 4-byte Folded Reload
	scratch_load_dword v0, off, off offset:4 ; 4-byte Folded Reload
	scratch_load_dwordx2 v[2:3], off, off offset:264 ; 8-byte Folded Reload
	s_cmp_lt_i32 s14, 30
	s_waitcnt vmcnt(1)
	v_lshl_add_u32 v0, v0, 2, v1
	s_waitcnt vmcnt(0)
	ds_write_b32 v0, v3
	s_waitcnt lgkmcnt(0)
	s_barrier
	ds_read_b32 v4, v1 offset:112
	v_mov_b32_e32 v0, 28
	s_cbranch_scc1 .LBB56_477
; %bb.475:
	scratch_load_dword v0, off, off offset:132 ; 4-byte Folded Reload
	s_mov_b32 s0, 29
	s_waitcnt vmcnt(0)
	v_add_u32_e32 v1, 0x74, v0
	v_mov_b32_e32 v0, 28
.LBB56_476:                             ; =>This Inner Loop Header: Depth=1
	ds_read_b32 v2, v1
	v_mov_b32_e32 v3, s0
	s_add_i32 s0, s0, 1
	v_add_u32_e32 v1, 4, v1
	s_cmp_lg_u32 s14, s0
	s_waitcnt lgkmcnt(0)
	v_cmp_lt_f32_e64 vcc, |v4|, |v2|
	s_nop 1
	v_cndmask_b32_e32 v4, v4, v2, vcc
	v_cndmask_b32_e32 v0, v0, v3, vcc
	s_cbranch_scc1 .LBB56_476
.LBB56_477:
	s_waitcnt lgkmcnt(0)
	v_cmp_eq_f32_e32 vcc, 0, v4
	s_and_saveexec_b64 s[0:1], vcc
	s_xor_b64 s[0:1], exec, s[0:1]
	s_cbranch_execz .LBB56_479
; %bb.478:
	scratch_load_dword v1, off, off offset:136 ; 4-byte Folded Reload
	s_waitcnt vmcnt(0)
	v_cmp_ne_u32_e32 vcc, 0, v1
	s_nop 1
	v_cndmask_b32_e32 v1, 29, v1, vcc
	scratch_store_dword off, v1, off offset:136 ; 4-byte Folded Spill
.LBB56_479:
	s_andn2_saveexec_b64 s[0:1], s[0:1]
	s_cbranch_execz .LBB56_481
; %bb.480:
	v_div_scale_f32 v1, s[2:3], v4, v4, 1.0
	v_rcp_f32_e32 v2, v1
	v_div_scale_f32 v3, vcc, 1.0, v4, 1.0
	v_fma_f32 v5, -v1, v2, 1.0
	v_fmac_f32_e32 v2, v5, v2
	v_mul_f32_e32 v5, v3, v2
	v_fma_f32 v6, -v1, v5, v3
	v_fmac_f32_e32 v5, v6, v2
	v_fma_f32 v1, -v1, v5, v3
	v_div_fmas_f32 v1, v1, v2, v5
	v_div_fixup_f32 v4, v1, v4, 1.0
.LBB56_481:
	s_or_b64 exec, exec, s[0:1]
	scratch_load_dword v1, off, off offset:4 ; 4-byte Folded Reload
	v_mov_b32_e32 v2, 28
	s_waitcnt vmcnt(0)
	v_cmp_ne_u32_e32 vcc, v1, v0
	s_and_saveexec_b64 s[0:1], vcc
	s_cbranch_execz .LBB56_487
; %bb.482:
	scratch_load_dword v1, off, off offset:4 ; 4-byte Folded Reload
	s_waitcnt vmcnt(0)
	v_cmp_eq_u32_e32 vcc, 28, v1
	s_and_saveexec_b64 s[2:3], vcc
	s_cbranch_execz .LBB56_486
; %bb.483:
	v_cmp_ne_u32_e32 vcc, 28, v0
	s_xor_b64 s[16:17], s[16:17], -1
	s_and_b64 s[18:19], s[16:17], vcc
	s_and_saveexec_b64 s[16:17], s[18:19]
	s_cbranch_execz .LBB56_485
; %bb.484:
	s_movk_i32 s14, 0x1098
	scratch_load_dwordx2 v[6:7], off, s14   ; 8-byte Folded Reload
	v_ashrrev_i32_e32 v1, 31, v0
	s_waitcnt vmcnt(0)
	v_lshl_add_u64 v[2:3], v[0:1], 2, v[6:7]
	global_load_dword v1, v[2:3], off
	global_load_dword v5, v[6:7], off offset:112
	s_waitcnt vmcnt(1)
	global_store_dword v[6:7], v1, off offset:112
	s_waitcnt vmcnt(1)
	global_store_dword v[2:3], v5, off
.LBB56_485:
	s_or_b64 exec, exec, s[16:17]
	v_mov_b32_e32 v1, v0
	scratch_store_dword off, v1, off offset:2704 ; 4-byte Folded Spill
	scratch_store_dword off, v0, off offset:4 ; 4-byte Folded Spill
.LBB56_486:
	s_or_b64 exec, exec, s[2:3]
	scratch_load_dword v2, off, off offset:4 ; 4-byte Folded Reload
.LBB56_487:
	s_or_b64 exec, exec, s[0:1]
	s_waitcnt vmcnt(0)
	v_cmp_gt_i32_e32 vcc, 29, v2
	v_ashrrev_i32_e32 v3, 31, v2
	s_barrier
	s_barrier
	s_and_saveexec_b64 s[0:1], vcc
	s_cbranch_execz .LBB56_489
; %bb.488:
	s_movk_i32 s2, 0x1628
	scratch_load_dwordx2 v[6:7], off, s2    ; 8-byte Folded Reload
	v_mov_b32_e32 v0, s6
	v_mov_b32_e32 v1, s7
	s_waitcnt vmcnt(0)
	v_mul_lo_u32 v5, s11, v6
	v_mul_lo_u32 v8, s10, v7
	v_mad_u64_u32 v[6:7], s[2:3], s10, v6, 0
	v_add3_u32 v7, v7, v8, v5
	scratch_load_dword v5, off, off offset:2704 ; 4-byte Folded Reload
	v_lshl_add_u64 v[0:1], v[6:7], 2, v[0:1]
	v_lshl_add_u64 v[0:1], s[8:9], 2, v[0:1]
	;; [unrolled: 1-line block ×3, first 2 shown]
	s_waitcnt vmcnt(0)
	v_add3_u32 v5, v5, s15, 1
	global_store_dword v[0:1], v5, off
.LBB56_489:
	s_or_b64 exec, exec, s[0:1]
	v_cmp_eq_u32_e32 vcc, 0, v2
	s_and_saveexec_b64 s[2:3], vcc
	s_cbranch_execz .LBB56_492
; %bb.490:
	s_movk_i32 s0, 0x1628
	scratch_load_dwordx2 v[6:7], off, s0    ; 8-byte Folded Reload
	v_mov_b32_e32 v0, s4
	v_mov_b32_e32 v1, s5
	s_waitcnt vmcnt(0)
	v_lshl_add_u64 v[0:1], v[6:7], 2, v[0:1]
	global_load_dword v5, v[0:1], off
	s_waitcnt vmcnt(0)
	v_cmp_eq_u32_e32 vcc, 0, v5
	scratch_load_dword v5, off, off offset:136 ; 4-byte Folded Reload
	s_waitcnt vmcnt(0)
	v_cmp_ne_u32_e64 s[0:1], 0, v5
	s_and_b64 s[0:1], vcc, s[0:1]
	s_and_b64 exec, exec, s[0:1]
	s_cbranch_execz .LBB56_492
; %bb.491:
	scratch_load_dword v5, off, off offset:136 ; 4-byte Folded Reload
	s_waitcnt vmcnt(0)
	v_add_u32_e32 v5, s15, v5
	global_store_dword v[0:1], v5, off
.LBB56_492:
	s_or_b64 exec, exec, s[2:3]
	scratch_load_dwordx2 v[0:1], off, off offset:264 ; 8-byte Folded Reload
	s_movk_i32 s0, 0x1620
	scratch_load_dwordx2 v[6:7], off, s0    ; 8-byte Folded Reload
	v_cmp_lt_i32_e32 vcc, 28, v2
	s_waitcnt vmcnt(1)
	v_mul_f32_e32 v0, v1, v4
	v_cndmask_b32_e32 v4, v216, v0, vcc
	s_waitcnt vmcnt(0)
	v_lshl_add_u64 v[0:1], v[2:3], 2, v[6:7]
	global_store_dword v[0:1], v188, off
	v_lshl_add_u64 v[0:1], s[12:13], 2, v[0:1]
	global_store_dword v[0:1], v189, off
	v_add_u32_e32 v0, s22, v2
	v_ashrrev_i32_e32 v1, 31, v0
	v_lshl_add_u64 v[2:3], v[0:1], 2, v[6:7]
	v_add_u32_e32 v0, s12, v0
	v_ashrrev_i32_e32 v1, 31, v0
	global_store_dword v[2:3], v190, off
	v_lshl_add_u64 v[2:3], v[0:1], 2, v[6:7]
	v_add_u32_e32 v0, s12, v0
	v_ashrrev_i32_e32 v1, 31, v0
	global_store_dword v[2:3], v191, off
	;; [unrolled: 4-line block ×25, first 2 shown]
	v_lshl_add_u64 v[2:3], v[0:1], 2, v[6:7]
	v_add_u32_e32 v0, s12, v0
	v_ashrrev_i32_e32 v1, 31, v0
	v_lshl_add_u64 v[0:1], v[0:1], 2, v[6:7]
	global_store_dword v[2:3], v215, off
	global_store_dword v[0:1], v4, off
.LBB56_493:
	s_endpgm
.LBB56_494:
	v_mov_b32_e32 v35, v39
	v_mov_b32_e32 v38, v74
	;; [unrolled: 1-line block ×4, first 2 shown]
	s_waitcnt lgkmcnt(0)
	v_cmp_eq_f32_e32 vcc, 0, v28
	s_and_saveexec_b64 s[0:1], vcc
	s_xor_b64 s[0:1], exec, s[0:1]
	s_cbranch_execnz .LBB56_70
	s_branch .LBB56_71
.LBB56_495:
	v_mov_b32_e32 v33, v35
	v_mov_b32_e32 v32, v74
	v_mov_b32_e32 v37, v47
	v_mov_b32_e32 v39, v49
	s_waitcnt lgkmcnt(0)
	v_cmp_eq_f32_e32 vcc, 0, v28
	s_and_saveexec_b64 s[0:1], vcc
	s_xor_b64 s[0:1], exec, s[0:1]
	s_cbranch_execnz .LBB56_104
	s_branch .LBB56_105
.LBB56_496:
	v_mov_b32_e32 v32, v74
	v_mov_b32_e32 v35, v153
	s_waitcnt lgkmcnt(0)
	v_cmp_eq_f32_e32 vcc, 0, v28
	s_and_saveexec_b64 s[0:1], vcc
	s_xor_b64 s[0:1], exec, s[0:1]
	s_cbranch_execnz .LBB56_138
	s_branch .LBB56_139
.LBB56_497:
	v_mov_b32_e32 v32, v74
	s_waitcnt lgkmcnt(0)
	v_cmp_eq_f32_e32 vcc, 0, v28
	s_and_saveexec_b64 s[0:1], vcc
	s_xor_b64 s[0:1], exec, s[0:1]
	s_cbranch_execnz .LBB56_172
	s_branch .LBB56_173
.LBB56_498:
	v_mov_b32_e32 v32, v74
	s_waitcnt lgkmcnt(0)
	v_cmp_eq_f32_e32 vcc, 0, v28
	s_and_saveexec_b64 s[0:1], vcc
	s_xor_b64 s[0:1], exec, s[0:1]
	s_cbranch_execnz .LBB56_206
	s_branch .LBB56_207
.LBB56_499:
	s_waitcnt vmcnt(0)
	v_mov_b32_e32 v64, v24
	s_waitcnt lgkmcnt(0)
	v_cmp_eq_f32_e32 vcc, 0, v28
	s_and_saveexec_b64 s[0:1], vcc
	s_xor_b64 s[0:1], exec, s[0:1]
	s_cbranch_execnz .LBB56_240
	s_branch .LBB56_241
.LBB56_500:
	scratch_load_dwordx4 v[116:119], off, off offset:1424 ; 16-byte Folded Reload
	scratch_load_dwordx4 v[120:123], off, off offset:1440 ; 16-byte Folded Reload
	;; [unrolled: 1-line block ×8, first 2 shown]
	s_waitcnt lgkmcnt(0)
	v_cmp_eq_f32_e32 vcc, 0, v28
	s_and_saveexec_b64 s[0:1], vcc
	s_xor_b64 s[0:1], exec, s[0:1]
	s_cbranch_execnz .LBB56_410
	s_branch .LBB56_411
	.section	.rodata,"a",@progbits
	.p2align	6, 0x0
	.amdhsa_kernel _ZN9rocsolver6v33100L18getf2_small_kernelILi29EfiiPfEEvT1_T3_lS3_lPS3_llPT2_S3_S3_S5_l
		.amdhsa_group_segment_fixed_size 0
		.amdhsa_private_segment_fixed_size 5680
		.amdhsa_kernarg_size 352
		.amdhsa_user_sgpr_count 2
		.amdhsa_user_sgpr_dispatch_ptr 0
		.amdhsa_user_sgpr_queue_ptr 0
		.amdhsa_user_sgpr_kernarg_segment_ptr 1
		.amdhsa_user_sgpr_dispatch_id 0
		.amdhsa_user_sgpr_kernarg_preload_length 0
		.amdhsa_user_sgpr_kernarg_preload_offset 0
		.amdhsa_user_sgpr_private_segment_size 0
		.amdhsa_uses_dynamic_stack 0
		.amdhsa_enable_private_segment 1
		.amdhsa_system_sgpr_workgroup_id_x 1
		.amdhsa_system_sgpr_workgroup_id_y 1
		.amdhsa_system_sgpr_workgroup_id_z 0
		.amdhsa_system_sgpr_workgroup_info 0
		.amdhsa_system_vgpr_workitem_id 1
		.amdhsa_next_free_vgpr 256
		.amdhsa_next_free_sgpr 26
		.amdhsa_accum_offset 256
		.amdhsa_reserve_vcc 1
		.amdhsa_float_round_mode_32 0
		.amdhsa_float_round_mode_16_64 0
		.amdhsa_float_denorm_mode_32 3
		.amdhsa_float_denorm_mode_16_64 3
		.amdhsa_dx10_clamp 1
		.amdhsa_ieee_mode 1
		.amdhsa_fp16_overflow 0
		.amdhsa_tg_split 0
		.amdhsa_exception_fp_ieee_invalid_op 0
		.amdhsa_exception_fp_denorm_src 0
		.amdhsa_exception_fp_ieee_div_zero 0
		.amdhsa_exception_fp_ieee_overflow 0
		.amdhsa_exception_fp_ieee_underflow 0
		.amdhsa_exception_fp_ieee_inexact 0
		.amdhsa_exception_int_div_zero 0
	.end_amdhsa_kernel
	.section	.text._ZN9rocsolver6v33100L18getf2_small_kernelILi29EfiiPfEEvT1_T3_lS3_lPS3_llPT2_S3_S3_S5_l,"axG",@progbits,_ZN9rocsolver6v33100L18getf2_small_kernelILi29EfiiPfEEvT1_T3_lS3_lPS3_llPT2_S3_S3_S5_l,comdat
.Lfunc_end56:
	.size	_ZN9rocsolver6v33100L18getf2_small_kernelILi29EfiiPfEEvT1_T3_lS3_lPS3_llPT2_S3_S3_S5_l, .Lfunc_end56-_ZN9rocsolver6v33100L18getf2_small_kernelILi29EfiiPfEEvT1_T3_lS3_lPS3_llPT2_S3_S3_S5_l
                                        ; -- End function
	.set _ZN9rocsolver6v33100L18getf2_small_kernelILi29EfiiPfEEvT1_T3_lS3_lPS3_llPT2_S3_S3_S5_l.num_vgpr, 256
	.set _ZN9rocsolver6v33100L18getf2_small_kernelILi29EfiiPfEEvT1_T3_lS3_lPS3_llPT2_S3_S3_S5_l.num_agpr, 0
	.set _ZN9rocsolver6v33100L18getf2_small_kernelILi29EfiiPfEEvT1_T3_lS3_lPS3_llPT2_S3_S3_S5_l.numbered_sgpr, 26
	.set _ZN9rocsolver6v33100L18getf2_small_kernelILi29EfiiPfEEvT1_T3_lS3_lPS3_llPT2_S3_S3_S5_l.num_named_barrier, 0
	.set _ZN9rocsolver6v33100L18getf2_small_kernelILi29EfiiPfEEvT1_T3_lS3_lPS3_llPT2_S3_S3_S5_l.private_seg_size, 5680
	.set _ZN9rocsolver6v33100L18getf2_small_kernelILi29EfiiPfEEvT1_T3_lS3_lPS3_llPT2_S3_S3_S5_l.uses_vcc, 1
	.set _ZN9rocsolver6v33100L18getf2_small_kernelILi29EfiiPfEEvT1_T3_lS3_lPS3_llPT2_S3_S3_S5_l.uses_flat_scratch, 0
	.set _ZN9rocsolver6v33100L18getf2_small_kernelILi29EfiiPfEEvT1_T3_lS3_lPS3_llPT2_S3_S3_S5_l.has_dyn_sized_stack, 0
	.set _ZN9rocsolver6v33100L18getf2_small_kernelILi29EfiiPfEEvT1_T3_lS3_lPS3_llPT2_S3_S3_S5_l.has_recursion, 0
	.set _ZN9rocsolver6v33100L18getf2_small_kernelILi29EfiiPfEEvT1_T3_lS3_lPS3_llPT2_S3_S3_S5_l.has_indirect_call, 0
	.section	.AMDGPU.csdata,"",@progbits
; Kernel info:
; codeLenInByte = 103536
; TotalNumSgprs: 32
; NumVgprs: 256
; NumAgprs: 0
; TotalNumVgprs: 256
; ScratchSize: 5680
; MemoryBound: 0
; FloatMode: 240
; IeeeMode: 1
; LDSByteSize: 0 bytes/workgroup (compile time only)
; SGPRBlocks: 3
; VGPRBlocks: 31
; NumSGPRsForWavesPerEU: 32
; NumVGPRsForWavesPerEU: 256
; AccumOffset: 256
; Occupancy: 2
; WaveLimiterHint : 0
; COMPUTE_PGM_RSRC2:SCRATCH_EN: 1
; COMPUTE_PGM_RSRC2:USER_SGPR: 2
; COMPUTE_PGM_RSRC2:TRAP_HANDLER: 0
; COMPUTE_PGM_RSRC2:TGID_X_EN: 1
; COMPUTE_PGM_RSRC2:TGID_Y_EN: 1
; COMPUTE_PGM_RSRC2:TGID_Z_EN: 0
; COMPUTE_PGM_RSRC2:TIDIG_COMP_CNT: 1
; COMPUTE_PGM_RSRC3_GFX90A:ACCUM_OFFSET: 63
; COMPUTE_PGM_RSRC3_GFX90A:TG_SPLIT: 0
	.section	.text._ZN9rocsolver6v33100L23getf2_npvt_small_kernelILi29EfiiPfEEvT1_T3_lS3_lPT2_S3_S3_,"axG",@progbits,_ZN9rocsolver6v33100L23getf2_npvt_small_kernelILi29EfiiPfEEvT1_T3_lS3_lPT2_S3_S3_,comdat
	.globl	_ZN9rocsolver6v33100L23getf2_npvt_small_kernelILi29EfiiPfEEvT1_T3_lS3_lPT2_S3_S3_ ; -- Begin function _ZN9rocsolver6v33100L23getf2_npvt_small_kernelILi29EfiiPfEEvT1_T3_lS3_lPT2_S3_S3_
	.p2align	8
	.type	_ZN9rocsolver6v33100L23getf2_npvt_small_kernelILi29EfiiPfEEvT1_T3_lS3_lPT2_S3_S3_,@function
_ZN9rocsolver6v33100L23getf2_npvt_small_kernelILi29EfiiPfEEvT1_T3_lS3_lPT2_S3_S3_: ; @_ZN9rocsolver6v33100L23getf2_npvt_small_kernelILi29EfiiPfEEvT1_T3_lS3_lPT2_S3_S3_
; %bb.0:
	s_load_dword s2, s[0:1], 0x44
	s_load_dwordx2 s[8:9], s[0:1], 0x30
	v_bfe_u32 v26, v0, 10, 10
	s_waitcnt lgkmcnt(0)
	s_lshr_b32 s10, s2, 16
	s_mul_i32 s3, s3, s10
	v_add_u32_e32 v2, s3, v26
	v_cmp_gt_i32_e32 vcc, s8, v2
	s_and_saveexec_b64 s[2:3], vcc
	s_cbranch_execz .LBB57_150
; %bb.1:
	s_load_dwordx4 s[12:15], s[0:1], 0x8
	s_load_dword s2, s[0:1], 0x18
	s_load_dwordx4 s[4:7], s[0:1], 0x20
	v_ashrrev_i32_e32 v3, 31, v2
	s_movk_i32 s0, 0x17fc
	scratch_store_dwordx2 off, v[2:3], s0   ; 8-byte Folded Spill
	v_and_b32_e32 v251, 0x3ff, v0
	s_waitcnt lgkmcnt(0)
	v_mul_lo_u32 v4, s5, v2
	v_mul_lo_u32 v5, s4, v3
	v_mad_u64_u32 v[2:3], s[0:1], s4, v2, 0
	v_mov_b32_e32 v0, s12
	v_mov_b32_e32 v1, s13
	v_add3_u32 v3, v3, v5, v4
	v_lshl_add_u64 v[0:1], v[2:3], 2, v[0:1]
	v_lshl_add_u64 v[0:1], s[14:15], 2, v[0:1]
	v_lshlrev_b32_e32 v2, 2, v251
	v_mov_b32_e32 v3, 0
	s_add_i32 s0, s2, s2
	v_lshl_add_u64 v[28:29], v[0:1], 0, v[2:3]
	v_add_u32_e32 v2, s0, v251
	v_ashrrev_i32_e32 v3, 31, v2
	v_lshl_add_u64 v[22:23], v[2:3], 2, v[0:1]
	v_add_u32_e32 v2, s2, v2
	v_ashrrev_i32_e32 v3, 31, v2
	;; [unrolled: 3-line block ×26, first 2 shown]
	s_movk_i32 s0, 0x17cc
	v_lshl_add_u64 v[60:61], v[2:3], 2, v[0:1]
	v_add_u32_e32 v2, s2, v2
	scratch_store_dwordx2 off, v[56:57], s0 ; 8-byte Folded Spill
	s_movk_i32 s0, 0x17d4
	v_ashrrev_i32_e32 v3, 31, v2
	scratch_store_dwordx2 off, v[58:59], s0 ; 8-byte Folded Spill
	s_movk_i32 s0, 0x17dc
	v_lshl_add_u64 v[2:3], v[2:3], 2, v[0:1]
	scratch_store_dwordx2 off, v[60:61], s0 ; 8-byte Folded Spill
	s_movk_i32 s0, 0x17e4
	scratch_store_dwordx2 off, v[2:3], s0   ; 8-byte Folded Spill
	s_movk_i32 s0, 0x17c4
	scratch_store_dwordx2 off, v[8:9], s0   ; 8-byte Folded Spill
	;; [unrolled: 2-line block ×4, first 2 shown]
	s_movk_i32 s0, 0x179c
	scratch_store_dwordx2 off, v[44:45], s0 ; 8-byte Folded Spill
	s_movk_i32 s0, 0x17a4
	scratch_store_dwordx2 off, v[46:47], s0 ; 8-byte Folded Spill
	;; [unrolled: 2-line block ×12, first 2 shown]
	s_movk_i32 s0, 0x177c
	s_ashr_i32 s3, s2, 31
	scratch_store_dwordx2 off, v[42:43], s0 ; 8-byte Folded Spill
	s_movk_i32 s0, 0x1744
	v_lshl_add_u64 v[62:63], s[2:3], 2, v[28:29]
	scratch_store_dwordx2 off, v[18:19], s0 ; 8-byte Folded Spill
	s_movk_i32 s0, 0x17ec
	scratch_store_dwordx2 off, v[62:63], s0 ; 8-byte Folded Spill
	s_movk_i32 s0, 0x1714
	;; [unrolled: 2-line block ×3, first 2 shown]
	global_load_dword v0, v[56:57], off
	global_load_dword v247, v[2:3], off
	;; [unrolled: 1-line block ×5, first 2 shown]
	s_mulk_i32 s10, 0x74
	global_load_dword v11, v[10:11], off
	s_add_i32 s1, s10, 0
	global_load_dword v3, v[8:9], off
	global_load_dword v2, v[54:55], off
	;; [unrolled: 1-line block ×3, first 2 shown]
	v_lshl_add_u32 v252, v26, 2, s1
	global_load_dword v12, v[12:13], off
	v_cmp_ne_u32_e64 s[2:3], 0, v251
	global_load_dword v19, v[18:19], off
	s_nop 0
	global_load_dword v8, v[4:5], off
	global_load_dword v9, v[6:7], off
	;; [unrolled: 1-line block ×4, first 2 shown]
	s_nop 0
	global_load_dword v4, v[44:45], off
	global_load_dword v14, v[16:17], off
	;; [unrolled: 1-line block ×6, first 2 shown]
	s_nop 0
	global_load_dword v17, v[40:41], off
	global_load_dword v16, v[38:39], off
	global_load_dword v21, v[22:23], off
	global_load_dword v20, v[62:63], off
	s_nop 0
	scratch_store_dwordx2 off, v[24:25], s0 ; 8-byte Folded Spill
	global_load_dword v22, v[24:25], off
	global_load_dword v23, v[30:31], off
	s_movk_i32 s0, 0x1724
	global_load_dword v24, v[32:33], off
	global_load_dword v25, v[34:35], off
	s_nop 0
	scratch_store_dwordx2 off, v[30:31], s0 ; 8-byte Folded Spill
	s_movk_i32 s0, 0x172c
	scratch_store_dwordx2 off, v[32:33], s0 ; 8-byte Folded Spill
	s_movk_i32 s0, 0x1734
	;; [unrolled: 2-line block ×5, first 2 shown]
	v_mad_u32_u24 v250, v26, s0, 0
	v_cmp_eq_u32_e64 s[0:1], 0, v251
	s_and_saveexec_b64 s[4:5], s[0:1]
	s_cbranch_execz .LBB57_4
; %bb.2:
	s_waitcnt vmcnt(32)
	ds_write_b32 v252, v164
	s_waitcnt vmcnt(10)
	ds_write2_b32 v250, v20, v21 offset0:1 offset1:2
	s_waitcnt vmcnt(7)
	ds_write2_b32 v250, v22, v23 offset0:3 offset1:4
	;; [unrolled: 2-line block ×3, first 2 shown]
	ds_write2_b32 v250, v18, v19 offset0:7 offset1:8
	ds_write2_b32 v250, v12, v13 offset0:9 offset1:10
	ds_write2_b32 v250, v14, v15 offset0:11 offset1:12
	ds_write2_b32 v250, v16, v17 offset0:13 offset1:14
	ds_write2_b32 v250, v10, v11 offset0:15 offset1:16
	ds_write2_b32 v250, v8, v9 offset0:17 offset1:18
	ds_write2_b32 v250, v4, v5 offset0:19 offset1:20
	ds_write2_b32 v250, v6, v7 offset0:21 offset1:22
	ds_write2_b32 v250, v2, v3 offset0:23 offset1:24
	ds_write2_b32 v250, v0, v1 offset0:25 offset1:26
	ds_write2_b32 v250, v246, v247 offset0:27 offset1:28
	ds_read_b32 v26, v252
	s_waitcnt lgkmcnt(0)
	v_cmp_neq_f32_e32 vcc, 0, v26
	s_and_b64 exec, exec, vcc
	s_cbranch_execz .LBB57_4
; %bb.3:
	v_div_scale_f32 v27, s[10:11], v26, v26, 1.0
	v_rcp_f32_e32 v28, v27
	v_div_scale_f32 v29, vcc, 1.0, v26, 1.0
	v_fma_f32 v30, -v27, v28, 1.0
	v_fmac_f32_e32 v28, v30, v28
	v_mul_f32_e32 v30, v29, v28
	v_fma_f32 v31, -v27, v30, v29
	v_fmac_f32_e32 v30, v31, v28
	v_fma_f32 v27, -v27, v30, v29
	v_div_fmas_f32 v27, v27, v28, v30
	v_div_fixup_f32 v26, v27, v26, 1.0
	ds_write_b32 v252, v26
.LBB57_4:
	s_or_b64 exec, exec, s[4:5]
	s_waitcnt lgkmcnt(0)
	s_barrier
	ds_read_b32 v26, v252
	s_movk_i32 s4, 0x17f4
                                        ; implicit-def: $vgpr220
                                        ; implicit-def: $vgpr51
                                        ; implicit-def: $vgpr50
                                        ; implicit-def: $vgpr49
                                        ; implicit-def: $vgpr48
                                        ; implicit-def: $vgpr47
                                        ; implicit-def: $vgpr46
                                        ; implicit-def: $vgpr243
                                        ; implicit-def: $vgpr44
                                        ; implicit-def: $vgpr71
                                        ; implicit-def: $vgpr240
                                        ; implicit-def: $vgpr45
                                        ; implicit-def: $vgpr42
                                        ; implicit-def: $vgpr39
                                        ; implicit-def: $vgpr38
                                        ; implicit-def: $vgpr37
                                        ; implicit-def: $vgpr36
                                        ; implicit-def: $vgpr35
                                        ; implicit-def: $vgpr34
                                        ; implicit-def: $vgpr33
                                        ; implicit-def: $vgpr32
                                        ; implicit-def: $vgpr31
                                        ; implicit-def: $vgpr30
                                        ; implicit-def: $vgpr29
                                        ; implicit-def: $vgpr28
	s_waitcnt lgkmcnt(0)
	scratch_store_dword off, v26, s4        ; 4-byte Folded Spill
                                        ; implicit-def: $vgpr26
	s_and_saveexec_b64 s[4:5], s[2:3]
	s_xor_b64 s[2:3], exec, s[4:5]
	s_cbranch_execz .LBB57_6
; %bb.5:
	s_movk_i32 s4, 0x17f4
	ds_read2_b32 v[26:27], v250 offset0:1 offset1:2
	ds_read2_b32 v[28:29], v250 offset0:3 offset1:4
	;; [unrolled: 1-line block ×3, first 2 shown]
	scratch_load_dword v32, off, s4         ; 4-byte Folded Reload
	s_waitcnt vmcnt(0)
	v_mul_f32_e32 v164, v164, v32
	ds_read2_b32 v[32:33], v250 offset0:7 offset1:8
	s_waitcnt lgkmcnt(3)
	v_pk_fma_f32 v[26:27], v[164:165], v[26:27], v[20:21] op_sel_hi:[0,1,1] neg_lo:[1,0,0] neg_hi:[1,0,0]
	s_waitcnt lgkmcnt(2)
	v_pk_fma_f32 v[28:29], v[164:165], v[28:29], v[22:23] op_sel_hi:[0,1,1] neg_lo:[1,0,0] neg_hi:[1,0,0]
	;; [unrolled: 2-line block ×3, first 2 shown]
	ds_read2_b32 v[20:21], v250 offset0:9 offset1:10
	ds_read2_b32 v[22:23], v250 offset0:11 offset1:12
	;; [unrolled: 1-line block ×3, first 2 shown]
	s_waitcnt lgkmcnt(3)
	v_pk_fma_f32 v[32:33], v[164:165], v[32:33], v[18:19] op_sel_hi:[0,1,1] neg_lo:[1,0,0] neg_hi:[1,0,0]
	ds_read2_b32 v[18:19], v250 offset0:15 offset1:16
	s_waitcnt lgkmcnt(3)
	v_pk_fma_f32 v[34:35], v[164:165], v[20:21], v[12:13] op_sel_hi:[0,1,1] neg_lo:[1,0,0] neg_hi:[1,0,0]
	ds_read2_b32 v[12:13], v250 offset0:17 offset1:18
	s_waitcnt lgkmcnt(3)
	v_pk_fma_f32 v[36:37], v[164:165], v[22:23], v[14:15] op_sel_hi:[0,1,1] neg_lo:[1,0,0] neg_hi:[1,0,0]
	s_waitcnt lgkmcnt(2)
	v_pk_fma_f32 v[38:39], v[164:165], v[24:25], v[16:17] op_sel_hi:[0,1,1] neg_lo:[1,0,0] neg_hi:[1,0,0]
	;; [unrolled: 2-line block ×3, first 2 shown]
	ds_read2_b32 v[10:11], v250 offset0:19 offset1:20
	ds_read2_b32 v[14:15], v250 offset0:21 offset1:22
	;; [unrolled: 1-line block ×3, first 2 shown]
	s_waitcnt lgkmcnt(3)
	v_pk_fma_f32 v[42:43], v[164:165], v[12:13], v[8:9] op_sel_hi:[0,1,1] neg_lo:[1,0,0] neg_hi:[1,0,0]
	ds_read2_b32 v[8:9], v250 offset0:25 offset1:26
	ds_read2_b32 v[12:13], v250 offset0:27 offset1:28
	s_waitcnt lgkmcnt(4)
	v_pk_fma_f32 v[44:45], v[164:165], v[10:11], v[4:5] op_sel_hi:[0,1,1] neg_lo:[1,0,0] neg_hi:[1,0,0]
	s_waitcnt lgkmcnt(3)
	v_pk_fma_f32 v[46:47], v[164:165], v[14:15], v[6:7] op_sel_hi:[0,1,1] neg_lo:[1,0,0] neg_hi:[1,0,0]
	;; [unrolled: 2-line block ×5, first 2 shown]
	v_mov_b32_e32 v220, v51
                                        ; implicit-def: $vgpr20
                                        ; implicit-def: $vgpr22
                                        ; implicit-def: $vgpr24
                                        ; implicit-def: $vgpr18
                                        ; implicit-def: $vgpr12
                                        ; implicit-def: $vgpr14
                                        ; implicit-def: $vgpr16
                                        ; implicit-def: $vgpr10
                                        ; implicit-def: $vgpr8
                                        ; implicit-def: $vgpr4
                                        ; implicit-def: $vgpr6
                                        ; implicit-def: $vgpr2
                                        ; implicit-def: $vgpr0
	v_mov_b32_e32 v51, v50
	v_mov_b32_e32 v50, v49
	;; [unrolled: 1-line block ×24, first 2 shown]
.LBB57_6:
	s_or_saveexec_b64 s[2:3], s[2:3]
	v_mov_b32_e32 v165, v26
	s_xor_b64 exec, exec, s[2:3]
	s_cbranch_execz .LBB57_8
; %bb.7:
	s_waitcnt vmcnt(11)
	v_mov_b32_e32 v165, v20
	v_mov_b32_e32 v28, v21
	s_waitcnt vmcnt(9)
	v_mov_b32_e32 v29, v22
	s_waitcnt vmcnt(8)
	;; [unrolled: 2-line block ×4, first 2 shown]
	v_mov_b32_e32 v32, v25
	v_mov_b32_e32 v33, v18
	;; [unrolled: 1-line block ×21, first 2 shown]
.LBB57_8:
	s_or_b64 exec, exec, s[2:3]
	s_waitcnt vmcnt(16)
	v_mov_b32_e32 v6, v28
	v_mov_b32_e32 v166, v28
	v_mov_b32_e32 v167, v29
	v_mov_b32_e32 v8, v30
	v_mov_b32_e32 v168, v30
	s_waitcnt vmcnt(15)
	v_mov_b32_e32 v7, v31
	v_mov_b32_e32 v169, v31
	s_waitcnt vmcnt(11)
	v_mov_b32_e32 v20, v32
	v_mov_b32_e32 v170, v32
	v_mov_b32_e32 v41, v33
	v_mov_b32_e32 v171, v33
	v_mov_b32_e32 v120, v34
	v_mov_b32_e32 v172, v34
	v_mov_b32_e32 v111, v35
	v_mov_b32_e32 v173, v35
	v_mov_b32_e32 v100, v36
	v_mov_b32_e32 v174, v36
	v_mov_b32_e32 v101, v37
	v_mov_b32_e32 v175, v37
	v_mov_b32_e32 v176, v38
	v_mov_b32_e32 v236, v38
	v_mov_b32_e32 v177, v39
	v_mov_b32_e32 v178, v42
	v_mov_b32_e32 v179, v45
	v_mov_b32_e32 v180, v240
	v_mov_b32_e32 v181, v71
	v_mov_b32_e32 v182, v44
	v_mov_b32_e32 v183, v243
	v_mov_b32_e32 v184, v46
	v_mov_b32_e32 v185, v47
	v_mov_b32_e32 v186, v48
	v_mov_b32_e32 v187, v49
	v_mov_b32_e32 v188, v50
	v_mov_b32_e32 v189, v51
	v_mov_b32_e32 v190, v220
	v_mov_b32_e32 v191, v246
	v_mov_b32_e32 v192, v247
	v_cmp_eq_u32_e32 vcc, 1, v251
	s_barrier
	s_and_saveexec_b64 s[2:3], vcc
	s_cbranch_execz .LBB57_11
; %bb.9:
	ds_write_b32 v252, v165
	ds_write2_b32 v250, v6, v29 offset0:2 offset1:3
	ds_write2_b32 v250, v8, v7 offset0:4 offset1:5
	;; [unrolled: 1-line block ×13, first 2 shown]
	ds_write_b32 v250, v247 offset:112
	ds_read_b32 v0, v252
	s_waitcnt lgkmcnt(0)
	v_cmp_neq_f32_e32 vcc, 0, v0
	s_and_b64 exec, exec, vcc
	s_cbranch_execz .LBB57_11
; %bb.10:
	v_div_scale_f32 v1, s[4:5], v0, v0, 1.0
	v_rcp_f32_e32 v2, v1
	v_div_scale_f32 v3, vcc, 1.0, v0, 1.0
	v_fma_f32 v4, -v1, v2, 1.0
	v_fmac_f32_e32 v2, v4, v2
	v_mul_f32_e32 v4, v3, v2
	v_fma_f32 v5, -v1, v4, v3
	v_fmac_f32_e32 v4, v5, v2
	v_fma_f32 v1, -v1, v4, v3
	v_div_fmas_f32 v1, v1, v2, v4
	v_div_fixup_f32 v0, v1, v0, 1.0
	ds_write_b32 v252, v0
.LBB57_11:
	s_or_b64 exec, exec, s[2:3]
	v_mov_b32_e32 v3, v29
	v_mov_b32_e32 v11, v29
	;; [unrolled: 1-line block ×3, first 2 shown]
	scratch_store_dwordx4 off, v[26:29], off offset:900 ; 16-byte Folded Spill
	s_nop 0
	scratch_store_dwordx4 off, v[30:33], off offset:916 ; 16-byte Folded Spill
	scratch_store_dwordx4 off, v[34:37], off offset:932 ; 16-byte Folded Spill
	;; [unrolled: 1-line block ×7, first 2 shown]
	v_mov_b32_e32 v12, v8
	v_mov_b32_e32 v4, v164
	;; [unrolled: 1-line block ×13, first 2 shown]
	v_mov_b64_e32 v[78:79], v[18:19]
	v_mov_b32_e32 v130, v6
	v_mov_b32_e32 v36, v6
	;; [unrolled: 1-line block ×9, first 2 shown]
	v_mov_b64_e32 v[76:77], v[16:17]
	v_mov_b64_e32 v[74:75], v[14:15]
	v_mov_b32_e32 v134, v20
	v_mov_b32_e32 v40, v20
	;; [unrolled: 1-line block ×16, first 2 shown]
	v_mov_b64_e32 v[144:145], v[2:3]
	v_mov_b64_e32 v[126:127], v[78:79]
	v_mov_b32_e32 v158, v10
	v_mov_b32_e32 v133, v79
	;; [unrolled: 1-line block ×9, first 2 shown]
	v_mov_b64_e32 v[124:125], v[76:77]
	v_mov_b64_e32 v[122:123], v[74:75]
	v_mov_b32_e32 v228, v10
	v_mov_b32_e32 v4, v10
	;; [unrolled: 1-line block ×20, first 2 shown]
	s_waitcnt vmcnt(15)
	v_mov_b32_e32 v14, v90
	v_mov_b32_e32 v13, v39
	;; [unrolled: 1-line block ×32, first 2 shown]
	v_mov_b64_e32 v[142:143], v[0:1]
	v_mov_b32_e32 v248, v220
	v_mov_b32_e32 v231, v41
	v_mov_b32_e32 v235, v101
	v_mov_b32_e32 v2, v148
	v_mov_b32_e32 v3, v145
	v_mov_b32_e32 v5, v127
	v_mov_b32_e32 v6, v134
	v_mov_b32_e32 v7, v41
	v_mov_b32_e32 v8, v120
	v_mov_b32_e32 v9, v111
	v_mov_b32_e32 v12, v236
	v_mov_b32_e32 v220, v24
	v_mov_b64_e32 v[206:207], v[10:11]
	scratch_store_dwordx4 off, v[74:77], off offset:132 ; 16-byte Folded Spill
	s_nop 0
	scratch_store_dwordx4 off, v[78:81], off offset:148 ; 16-byte Folded Spill
	scratch_store_dwordx4 off, v[82:85], off offset:164 ; 16-byte Folded Spill
	scratch_store_dwordx4 off, v[86:89], off offset:180 ; 16-byte Folded Spill
	scratch_store_dwordx4 off, v[90:93], off offset:196 ; 16-byte Folded Spill
	scratch_store_dwordx4 off, v[94:97], off offset:212 ; 16-byte Folded Spill
	scratch_store_dwordx4 off, v[98:101], off offset:228 ; 16-byte Folded Spill
	scratch_store_dwordx4 off, v[102:105], off offset:244 ; 16-byte Folded Spill
	v_mov_b32_e32 v249, v51
	scratch_store_dwordx4 off, v[26:29], off offset:1284 ; 16-byte Folded Spill
	s_nop 0
	scratch_store_dwordx4 off, v[30:33], off offset:1300 ; 16-byte Folded Spill
	scratch_store_dwordx4 off, v[34:37], off offset:1316 ; 16-byte Folded Spill
	scratch_store_dwordx4 off, v[38:41], off offset:1332 ; 16-byte Folded Spill
	scratch_store_dwordx4 off, v[42:45], off offset:1348 ; 16-byte Folded Spill
	scratch_store_dwordx4 off, v[46:49], off offset:1364 ; 16-byte Folded Spill
	scratch_store_dwordx4 off, v[50:53], off offset:1380 ; 16-byte Folded Spill
	scratch_store_dwordx4 off, v[54:57], off offset:1396 ; 16-byte Folded Spill
	v_mov_b32_e32 v234, v24
	v_mov_b32_e32 v219, v23
	;; [unrolled: 1-line block ×11, first 2 shown]
	v_mov_b64_e32 v[204:205], v[8:9]
	v_mov_b64_e32 v[202:203], v[6:7]
	v_mov_b64_e32 v[200:201], v[4:5]
	v_mov_b64_e32 v[198:199], v[2:3]
	v_mov_b64_e32 v[196:197], v[0:1]
	v_mov_b64_e32 v[208:209], v[12:13]
	v_mov_b64_e32 v[0:1], v[164:165]
	s_waitcnt vmcnt(30)
	v_mov_b64_e32 v[16:17], v[180:181]
	v_mov_b32_e32 v128, v164
	v_mov_b32_e32 v129, v165
	;; [unrolled: 1-line block ×6, first 2 shown]
	v_mov_b64_e32 v[2:3], v[166:167]
	v_mov_b64_e32 v[4:5], v[168:169]
	;; [unrolled: 1-line block ×12, first 2 shown]
	v_mov_b32_e32 v28, v192
	scratch_load_dwordx4 v[164:167], off, off offset:132 ; 16-byte Folded Reload
	scratch_load_dwordx4 v[168:171], off, off offset:148 ; 16-byte Folded Reload
	;; [unrolled: 1-line block ×8, first 2 shown]
	v_mov_b32_e32 v50, v146
	v_mov_b32_e32 v52, v148
	v_mov_b64_e32 v[162:163], v[144:145]
	v_mov_b32_e32 v226, v148
	v_mov_b32_e32 v227, v145
	;; [unrolled: 1-line block ×6, first 2 shown]
	v_mov_b64_e32 v[160:161], v[142:143]
	v_mov_b32_e32 v141, v163
	v_mov_b32_e32 v142, v158
	v_mov_b32_e32 v143, v127
	v_mov_b32_e32 v144, v134
	v_mov_b32_e32 v146, v120
	v_mov_b32_e32 v147, v111
	v_mov_b32_e32 v148, v220
	v_mov_b32_e32 v150, v236
	v_mov_b32_e32 v151, v209
	v_mov_b32_e32 v229, v127
	v_mov_b32_e32 v230, v134
	v_mov_b32_e32 v232, v120
	v_mov_b32_e32 v233, v111
	v_mov_b64_e32 v[72:73], v[224:225]
	s_waitcnt vmcnt(1)
	v_mov_b64_e32 v[180:181], v[196:197]
	v_mov_b64_e32 v[74:75], v[226:227]
	;; [unrolled: 1-line block ×7, first 2 shown]
	v_mov_b32_e32 v149, v101
	v_mov_b64_e32 v[184:185], v[200:201]
	v_mov_b32_e32 v153, v45
	v_mov_b32_e32 v145, v41
	v_mov_b64_e32 v[186:187], v[202:203]
	v_mov_b64_e32 v[188:189], v[204:205]
	;; [unrolled: 1-line block ×3, first 2 shown]
	s_waitcnt vmcnt(0)
	v_mov_b64_e32 v[192:193], v[208:209]
	v_mov_b32_e32 v54, v0
	v_mov_b32_e32 v55, v1
	;; [unrolled: 1-line block ×17, first 2 shown]
	s_movk_i32 s2, 0x1184
	v_mov_b32_e32 v152, v178
	v_mov_b64_e32 v[178:179], v[152:153]
	v_mov_b64_e32 v[176:177], v[150:151]
	v_mov_b64_e32 v[174:175], v[148:149]
	v_mov_b64_e32 v[172:173], v[146:147]
	v_mov_b64_e32 v[170:171], v[144:145]
	v_mov_b64_e32 v[168:169], v[142:143]
	v_mov_b64_e32 v[166:167], v[140:141]
	v_mov_b64_e32 v[164:165], v[138:139]
	v_mov_b32_e32 v136, v210
	v_mov_b32_e32 v137, v211
	;; [unrolled: 1-line block ×11, first 2 shown]
	scratch_load_dwordx4 v[194:197], off, off offset:132 ; 16-byte Folded Reload
	scratch_load_dwordx4 v[198:201], off, off offset:148 ; 16-byte Folded Reload
	scratch_load_dwordx4 v[202:205], off, off offset:164 ; 16-byte Folded Reload
	scratch_load_dwordx4 v[206:209], off, off offset:180 ; 16-byte Folded Reload
	scratch_load_dwordx4 v[210:213], off, off offset:196 ; 16-byte Folded Reload
	scratch_load_dwordx4 v[214:217], off, off offset:212 ; 16-byte Folded Reload
	scratch_load_dwordx4 v[218:221], off, off offset:228 ; 16-byte Folded Reload
	scratch_load_dwordx4 v[222:225], off, off offset:244 ; 16-byte Folded Reload
	v_mov_b32_e32 v64, v146
	s_waitcnt vmcnt(4)
	v_mov_b32_e32 v68, v208
	s_waitcnt vmcnt(3)
	v_mov_b64_e32 v[212:213], v[178:179]
	v_mov_b64_e32 v[210:211], v[176:177]
	;; [unrolled: 1-line block ×8, first 2 shown]
	scratch_store_dwordx4 off, v[198:201], off offset:388 ; 16-byte Folded Spill
	s_nop 0
	scratch_store_dwordx4 off, v[202:205], off offset:404 ; 16-byte Folded Spill
	scratch_store_dwordx4 off, v[206:209], off offset:420 ; 16-byte Folded Spill
	;; [unrolled: 1-line block ×3, first 2 shown]
	s_waitcnt vmcnt(6)
	scratch_store_dwordx4 off, v[214:217], off offset:452 ; 16-byte Folded Spill
	s_waitcnt vmcnt(6)
	scratch_store_dwordx4 off, v[218:221], off offset:468 ; 16-byte Folded Spill
	;; [unrolled: 2-line block ×3, first 2 shown]
	scratch_store_dwordx4 off, v[226:229], off offset:500 ; 16-byte Folded Spill
	v_mov_b64_e32 v[234:235], v[82:83]
	v_mov_b64_e32 v[232:233], v[80:81]
	v_mov_b64_e32 v[230:231], v[78:79]
	v_mov_b64_e32 v[228:229], v[76:77]
	v_mov_b64_e32 v[226:227], v[74:75]
	v_mov_b64_e32 v[224:225], v[72:73]
	v_mov_b32_e32 v69, v213
	v_mov_b64_e32 v[210:211], v[68:69]
	v_mov_b64_e32 v[208:209], v[66:67]
	;; [unrolled: 1-line block ×8, first 2 shown]
	scratch_store_dwordx4 off, v[180:183], off offset:2948 ; 16-byte Folded Spill
	s_nop 0
	scratch_store_dwordx4 off, v[184:187], off offset:2964 ; 16-byte Folded Spill
	scratch_store_dwordx4 off, v[188:191], off offset:2980 ; 16-byte Folded Spill
	;; [unrolled: 1-line block ×7, first 2 shown]
	scratch_load_dwordx4 v[164:167], off, off offset:132 ; 16-byte Folded Reload
	s_nop 0
	scratch_load_dwordx4 v[168:171], off, off offset:148 ; 16-byte Folded Reload
	scratch_load_dwordx4 v[172:175], off, off offset:164 ; 16-byte Folded Reload
	;; [unrolled: 1-line block ×7, first 2 shown]
	s_waitcnt vmcnt(0)
	v_mov_b64_e32 v[194:195], v[196:197]
	v_mov_b64_e32 v[196:197], v[198:199]
	;; [unrolled: 1-line block ×4, first 2 shown]
	v_mov_b32_e32 v68, v178
	scratch_store_dwordx4 off, v[54:57], off offset:516 ; 16-byte Folded Spill
	s_nop 0
	scratch_store_dwordx4 off, v[58:61], off offset:532 ; 16-byte Folded Spill
	scratch_store_dwordx4 off, v[62:65], off offset:548 ; 16-byte Folded Spill
	scratch_store_dwordx4 off, v[66:69], off offset:564 ; 16-byte Folded Spill
	scratch_store_dwordx4 off, v[70:73], off offset:580 ; 16-byte Folded Spill
	scratch_store_dwordx4 off, v[74:77], off offset:596 ; 16-byte Folded Spill
	scratch_store_dwordx4 off, v[78:81], off offset:612 ; 16-byte Folded Spill
	scratch_store_dwordx4 off, v[82:85], off offset:628 ; 16-byte Folded Spill
	v_mov_b64_e32 v[70:71], v[40:41]
	v_mov_b32_e32 v78, v128
	v_mov_b32_e32 v79, v129
	v_mov_b32_e32 v80, v130
	v_mov_b32_e32 v81, v131
	v_mov_b32_e32 v82, v132
	v_mov_b32_e32 v83, v133
	v_mov_b32_e32 v84, v134
	scratch_store_dwordx4 off, v[78:81], off offset:2052 ; 16-byte Folded Spill
	s_nop 0
	scratch_store_dwordx4 off, v[82:85], off offset:2068 ; 16-byte Folded Spill
	scratch_store_dwordx4 off, v[86:89], off offset:2084 ; 16-byte Folded Spill
	;; [unrolled: 1-line block ×7, first 2 shown]
	v_mov_b64_e32 v[68:69], v[38:39]
	v_mov_b64_e32 v[66:67], v[36:37]
	;; [unrolled: 1-line block ×3, first 2 shown]
	scratch_store_dwordx4 off, v[112:115], off offset:3844 ; 16-byte Folded Spill
	s_nop 0
	scratch_store_dwordx4 off, v[116:119], off offset:3860 ; 16-byte Folded Spill
	scratch_store_dwordx4 off, v[120:123], off offset:3876 ; 16-byte Folded Spill
	scratch_store_dwordx4 off, v[124:127], off offset:3892 ; 16-byte Folded Spill
	scratch_store_dwordx4 off, v[128:131], off offset:3908 ; 16-byte Folded Spill
	scratch_store_dwordx4 off, v[132:135], off offset:3924 ; 16-byte Folded Spill
	scratch_store_dwordx4 off, v[136:139], off offset:3940 ; 16-byte Folded Spill
	scratch_store_dwordx4 off, v[140:143], off offset:3956 ; 16-byte Folded Spill
	scratch_store_dwordx4 off, v[102:105], off offset:3972 ; 16-byte Folded Spill
	s_nop 0
	scratch_store_dwordx4 off, v[106:109], off offset:3988 ; 16-byte Folded Spill
	scratch_store_dwordx4 off, v[110:113], off offset:4004 ; 16-byte Folded Spill
	scratch_store_dwordx4 off, v[114:117], off offset:4020 ; 16-byte Folded Spill
	scratch_store_dwordx4 off, v[118:121], off offset:4036 ; 16-byte Folded Spill
	scratch_store_dwordx4 off, v[122:125], off offset:4052 ; 16-byte Folded Spill
	scratch_store_dwordx4 off, v[126:129], off offset:4068 ; 16-byte Folded Spill
	scratch_store_dwordx4 off, v[130:133], off offset:4084 ; 16-byte Folded Spill
	;; [unrolled: 9-line block ×5, first 2 shown]
	v_mov_b64_e32 v[202:203], v[204:205]
	v_mov_b64_e32 v[204:205], v[206:207]
	;; [unrolled: 1-line block ×4, first 2 shown]
	v_mov_b32_e32 v210, v240
	v_mov_b32_e32 v78, v0
	;; [unrolled: 1-line block ×4, first 2 shown]
	v_mov_b64_e32 v[216:217], v[126:127]
	v_mov_b64_e32 v[214:215], v[124:125]
	v_mov_b64_e32 v[212:213], v[122:123]
	v_mov_b64_e32 v[184:185], v[212:213]
	v_mov_b64_e32 v[188:189], v[216:217]
	v_mov_b32_e32 v83, v217
	v_mov_b64_e32 v[186:187], v[214:215]
	v_mov_b64_e32 v[192:193], v[162:163]
	;; [unrolled: 1-line block ×3, first 2 shown]
	v_mov_b32_e32 v88, v146
	v_mov_b32_e32 v81, v193
	;; [unrolled: 1-line block ×14, first 2 shown]
	scratch_store_dwordx4 off, v[220:223], off offset:3716 ; 16-byte Folded Spill
	s_nop 0
	scratch_store_dwordx4 off, v[224:227], off offset:3732 ; 16-byte Folded Spill
	scratch_store_dwordx4 off, v[228:231], off offset:3748 ; 16-byte Folded Spill
	;; [unrolled: 1-line block ×7, first 2 shown]
	scratch_store_dwordx4 off, v[40:43], s2 ; 16-byte Folded Spill
	s_nop 0
	scratch_store_dwordx4 off, v[44:47], s2 offset:16 ; 16-byte Folded Spill
	scratch_store_dwordx4 off, v[48:51], s2 offset:32 ; 16-byte Folded Spill
	;; [unrolled: 1-line block ×7, first 2 shown]
	scratch_load_dwordx4 v[98:101], off, off offset:2948 ; 16-byte Folded Reload
	scratch_load_dwordx4 v[102:105], off, off offset:2964 ; 16-byte Folded Reload
	;; [unrolled: 1-line block ×16, first 2 shown]
	s_movk_i32 s2, 0x1104
	s_waitcnt vmcnt(0)
	v_mov_b64_e32 v[180:181], v[26:27]
	v_mov_b32_e32 v220, v0
	v_mov_b32_e32 v221, v1
	v_mov_b64_e32 v[178:179], v[24:25]
	v_mov_b64_e32 v[176:177], v[22:23]
	;; [unrolled: 1-line block ×5, first 2 shown]
	v_mov_b32_e32 v182, v28
	v_mov_b32_e32 v223, v193
	v_mov_b64_e32 v[30:31], v[224:225]
	v_mov_b64_e32 v[32:33], v[226:227]
	;; [unrolled: 1-line block ×5, first 2 shown]
	v_mov_b32_e32 v91, v111
	scratch_load_dwordx4 v[98:101], off, off offset:388 ; 16-byte Folded Reload
	scratch_load_dwordx4 v[102:105], off, off offset:404 ; 16-byte Folded Reload
	;; [unrolled: 1-line block ×8, first 2 shown]
	v_mov_b64_e32 v[40:41], v[234:235]
	v_mov_b32_e32 v42, v236
	v_mov_b32_e32 v82, v44
	;; [unrolled: 1-line block ×3, first 2 shown]
	v_mov_b64_e32 v[168:169], v[14:15]
	v_mov_b32_e32 v224, v44
	v_mov_b64_e32 v[166:167], v[12:13]
	v_mov_b64_e32 v[164:165], v[10:11]
	v_mov_b64_e32 v[162:163], v[8:9]
	v_mov_b64_e32 v[160:161], v[6:7]
	v_mov_b64_e32 v[158:159], v[4:5]
	v_mov_b64_e32 v[156:157], v[2:3]
	v_mov_b64_e32 v[154:155], v[0:1]
	v_mov_b32_e32 v232, v236
	v_mov_b32_e32 v225, v217
	;; [unrolled: 1-line block ×5, first 2 shown]
	s_waitcnt vmcnt(4)
	v_mov_b32_e32 v93, v113
	scratch_load_dwordx4 v[98:101], off, off offset:516 ; 16-byte Folded Reload
	scratch_load_dwordx4 v[102:105], off, off offset:532 ; 16-byte Folded Reload
	;; [unrolled: 1-line block ×16, first 2 shown]
	s_waitcnt vmcnt(6)
	v_mov_b32_e32 v226, v128
	v_mov_b64_e32 v[46:47], v[98:99]
	v_mov_b64_e32 v[48:49], v[100:101]
	;; [unrolled: 1-line block ×13, first 2 shown]
	scratch_store_dwordx4 off, v[98:101], s2 ; 16-byte Folded Spill
	s_nop 0
	scratch_store_dwordx4 off, v[102:105], s2 offset:16 ; 16-byte Folded Spill
	scratch_store_dwordx4 off, v[106:109], s2 offset:32 ; 16-byte Folded Spill
	;; [unrolled: 1-line block ×7, first 2 shown]
	scratch_load_dwordx4 v[106:109], off, off offset:3844 ; 16-byte Folded Reload
	s_nop 0
	scratch_load_dwordx4 v[110:113], off, off offset:3860 ; 16-byte Folded Reload
	scratch_load_dwordx4 v[114:117], off, off offset:3876 ; 16-byte Folded Reload
	;; [unrolled: 1-line block ×7, first 2 shown]
	s_movk_i32 s2, 0x1004
	v_mov_b32_e32 v95, v63
	v_mov_b32_e32 v227, v105
	s_waitcnt vmcnt(0)
	v_mov_b32_e32 v138, v114
	v_mov_b32_e32 v137, v113
	;; [unrolled: 1-line block ×9, first 2 shown]
	scratch_load_dwordx4 v[106:109], off, off offset:3972 ; 16-byte Folded Reload
	scratch_load_dwordx4 v[110:113], off, off offset:3988 ; 16-byte Folded Reload
	scratch_load_dwordx4 v[114:117], off, off offset:4004 ; 16-byte Folded Reload
	scratch_load_dwordx4 v[118:121], off, off offset:4020 ; 16-byte Folded Reload
	scratch_load_dwordx4 v[122:125], off, off offset:4036 ; 16-byte Folded Reload
	scratch_load_dwordx4 v[126:129], off, off offset:4052 ; 16-byte Folded Reload
	scratch_load_dwordx4 v[130:133], off, off offset:4068 ; 16-byte Folded Reload
	scratch_load_dwordx4 v[134:137], off, off offset:4084 ; 16-byte Folded Reload
	v_mov_b32_e32 v228, v138
	s_waitcnt vmcnt(5)
	v_mov_b64_e32 v[148:149], v[114:115]
	v_mov_b64_e32 v[146:147], v[112:113]
	;; [unrolled: 1-line block ×5, first 2 shown]
	scratch_load_dwordx4 v[106:109], off, off offset:3204 ; 16-byte Folded Reload
	scratch_load_dwordx4 v[110:113], off, off offset:3220 ; 16-byte Folded Reload
	;; [unrolled: 1-line block ×8, first 2 shown]
	v_mov_b32_e32 v229, v149
	v_mov_b32_e32 v142, v238
	v_mov_b32_e32 v140, v96
	s_waitcnt vmcnt(5)
	v_mov_b32_e32 v230, v116
	scratch_load_dwordx4 v[106:109], off, off offset:3588 ; 16-byte Folded Reload
	scratch_load_dwordx4 v[110:113], off, off offset:3604 ; 16-byte Folded Reload
	;; [unrolled: 1-line block ×8, first 2 shown]
	s_nop 0
	scratch_store_dwordx4 off, v[30:33], s2 ; 16-byte Folded Spill
	s_nop 0
	scratch_store_dwordx4 off, v[34:37], s2 offset:16 ; 16-byte Folded Spill
	scratch_store_dwordx4 off, v[38:41], s2 offset:32 ; 16-byte Folded Spill
	;; [unrolled: 1-line block ×7, first 2 shown]
	scratch_load_dwordx4 v[0:3], off, off offset:2948 ; 16-byte Folded Reload
	s_nop 0
	scratch_load_dwordx4 v[4:7], off, off offset:2964 ; 16-byte Folded Reload
	scratch_load_dwordx4 v[8:11], off, off offset:2980 ; 16-byte Folded Reload
	;; [unrolled: 1-line block ×15, first 2 shown]
	s_waitcnt vmcnt(3)
	v_mov_b32_e32 v33, v243
	v_mov_b32_e32 v32, v96
	;; [unrolled: 1-line block ×3, first 2 shown]
	s_movk_i32 s2, 0x1184
	v_mov_b32_e32 v231, v117
	scratch_load_dwordx4 v[106:109], off, off offset:388 ; 16-byte Folded Reload
	scratch_load_dwordx4 v[110:113], off, off offset:404 ; 16-byte Folded Reload
	;; [unrolled: 1-line block ×8, first 2 shown]
	v_mov_b64_e32 v[14:15], v[220:221]
	v_mov_b32_e32 v233, v13
	v_mov_b32_e32 v234, v28
	;; [unrolled: 1-line block ×3, first 2 shown]
	v_mov_b64_e32 v[16:17], v[222:223]
	v_mov_b64_e32 v[18:19], v[224:225]
	;; [unrolled: 1-line block ×5, first 2 shown]
	v_mov_b32_e32 v28, v234
	v_mov_b64_e32 v[228:229], v[62:63]
	v_mov_b32_e32 v27, v233
	v_mov_b32_e32 v31, v229
	v_mov_b64_e32 v[76:77], v[32:33]
	v_mov_b64_e32 v[74:75], v[30:31]
	v_mov_b32_e32 v139, v229
	v_mov_b32_e32 v141, v77
	s_waitcnt vmcnt(0)
	v_mov_b64_e32 v[136:137], v[120:121]
	v_mov_b32_e32 v29, v137
	v_mov_b64_e32 v[72:73], v[28:29]
	v_mov_b64_e32 v[70:71], v[26:27]
	;; [unrolled: 1-line block ×8, first 2 shown]
	scratch_load_dwordx4 v[26:29], off, off offset:3716 ; 16-byte Folded Reload
	scratch_load_dwordx4 v[30:33], off, off offset:3732 ; 16-byte Folded Reload
	;; [unrolled: 1-line block ×8, first 2 shown]
	v_mov_b64_e32 v[124:125], v[108:109]
	v_mov_b64_e32 v[126:127], v[110:111]
	;; [unrolled: 1-line block ×7, first 2 shown]
	v_mov_b32_e32 v129, v105
	v_mov_b32_e32 v122, v154
	v_mov_b32_e32 v123, v155
	v_mov_b32_e32 v125, v193
	v_mov_b32_e32 v127, v189
	v_mov_b32_e32 v130, v138
	v_mov_b32_e32 v131, v149
	v_mov_b32_e32 v138, v210
	v_mov_b32_e32 v116, v154
	v_mov_b32_e32 v117, v155
	v_mov_b32_e32 v119, v193
	v_mov_b32_e32 v121, v189
	s_waitcnt vmcnt(7)
	v_mov_b32_e32 v124, v28
	scratch_load_dwordx4 v[0:3], off, s2    ; 16-byte Folded Reload
	scratch_load_dwordx4 v[4:7], off, s2 offset:16 ; 16-byte Folded Reload
	scratch_load_dwordx4 v[8:11], off, s2 offset:32 ; 16-byte Folded Reload
	;; [unrolled: 1-line block ×7, first 2 shown]
	s_movk_i32 s2, 0x1004
	s_waitcnt vmcnt(6)
	v_mov_b32_e32 v126, v4
	scratch_load_dwordx4 v[0:3], off, off offset:2052 ; 16-byte Folded Reload
	scratch_load_dwordx4 v[4:7], off, off offset:2068 ; 16-byte Folded Reload
	scratch_load_dwordx4 v[8:11], off, off offset:2084 ; 16-byte Folded Reload
	scratch_load_dwordx4 v[12:15], off, off offset:2100 ; 16-byte Folded Reload
	scratch_load_dwordx4 v[16:19], off, off offset:2116 ; 16-byte Folded Reload
	scratch_load_dwordx4 v[20:23], off, off offset:2132 ; 16-byte Folded Reload
	scratch_load_dwordx4 v[24:27], off, off offset:2148 ; 16-byte Folded Reload
	scratch_load_dwordx4 v[28:31], off, off offset:2164 ; 16-byte Folded Reload
	s_waitcnt vmcnt(6)
	v_mov_b32_e32 v128, v6
	scratch_load_dwordx4 v[0:3], off, off offset:3204 ; 16-byte Folded Reload
	scratch_load_dwordx4 v[4:7], off, off offset:3220 ; 16-byte Folded Reload
	scratch_load_dwordx4 v[8:11], off, off offset:3236 ; 16-byte Folded Reload
	scratch_load_dwordx4 v[12:15], off, off offset:3252 ; 16-byte Folded Reload
	scratch_load_dwordx4 v[16:19], off, off offset:3268 ; 16-byte Folded Reload
	scratch_load_dwordx4 v[20:23], off, off offset:3284 ; 16-byte Folded Reload
	scratch_load_dwordx4 v[24:27], off, off offset:3300 ; 16-byte Folded Reload
	scratch_load_dwordx4 v[28:31], off, off offset:3316 ; 16-byte Folded Reload
	;; [unrolled: 10-line block ×3, first 2 shown]
	s_waitcnt vmcnt(5)
	v_mov_b64_e32 v[108:109], v[10:11]
	v_mov_b64_e32 v[106:107], v[8:9]
	v_mov_b64_e32 v[104:105], v[6:7]
	v_mov_b64_e32 v[102:103], v[4:5]
	v_mov_b64_e32 v[100:101], v[2:3]
	v_mov_b64_e32 v[98:99], v[0:1]
	scratch_load_dwordx4 v[0:3], off, s2    ; 16-byte Folded Reload
	scratch_load_dwordx4 v[4:7], off, s2 offset:16 ; 16-byte Folded Reload
	scratch_load_dwordx4 v[8:11], off, s2 offset:32 ; 16-byte Folded Reload
	;; [unrolled: 1-line block ×7, first 2 shown]
	v_mov_b32_e32 v133, v109
	s_movk_i32 s2, 0x1184
	s_waitcnt vmcnt(4)
	v_mov_b32_e32 v134, v12
	scratch_load_dwordx4 v[0:3], off, off offset:2948 ; 16-byte Folded Reload
	scratch_load_dwordx4 v[4:7], off, off offset:2964 ; 16-byte Folded Reload
	;; [unrolled: 1-line block ×8, first 2 shown]
	s_waitcnt vmcnt(4)
	v_mov_b32_e32 v135, v13
	scratch_load_dwordx4 v[0:3], off, off offset:132 ; 16-byte Folded Reload
	scratch_load_dwordx4 v[4:7], off, off offset:148 ; 16-byte Folded Reload
	;; [unrolled: 1-line block ×8, first 2 shown]
	s_waitcnt vmcnt(4)
	v_mov_b32_e32 v136, v14
	scratch_store_dwordx4 off, v[122:125], off offset:644 ; 16-byte Folded Spill
	s_nop 0
	scratch_store_dwordx4 off, v[126:129], off offset:660 ; 16-byte Folded Spill
	scratch_store_dwordx4 off, v[130:133], off offset:676 ; 16-byte Folded Spill
	;; [unrolled: 1-line block ×7, first 2 shown]
	v_mov_b32_e32 v137, v237
	scratch_load_dwordx4 v[212:215], off, off offset:3716 ; 16-byte Folded Reload
	scratch_load_dwordx4 v[216:219], off, off offset:3732 ; 16-byte Folded Reload
	scratch_load_dwordx4 v[220:223], off, off offset:3748 ; 16-byte Folded Reload
	scratch_load_dwordx4 v[224:227], off, off offset:3764 ; 16-byte Folded Reload
	scratch_load_dwordx4 v[228:231], off, off offset:3780 ; 16-byte Folded Reload
	scratch_load_dwordx4 v[232:235], off, off offset:3796 ; 16-byte Folded Reload
	scratch_load_dwordx4 v[236:239], off, off offset:3812 ; 16-byte Folded Reload
	scratch_load_dwordx4 v[240:243], off, off offset:3828 ; 16-byte Folded Reload
	scratch_load_dwordx4 v[16:19], off, s2  ; 16-byte Folded Reload
	scratch_load_dwordx4 v[20:23], off, s2 offset:16 ; 16-byte Folded Reload
	scratch_load_dwordx4 v[24:27], off, s2 offset:32 ; 16-byte Folded Reload
	;; [unrolled: 1-line block ×7, first 2 shown]
	s_movk_i32 s2, 0x1104
	v_mov_b64_e32 v[152:153], v[108:109]
	v_mov_b32_e32 v127, v153
	v_mov_b64_e32 v[150:151], v[106:107]
	v_mov_b64_e32 v[148:149], v[104:105]
	;; [unrolled: 1-line block ×6, first 2 shown]
	v_mov_b32_e32 v130, v14
	v_mov_b64_e32 v[106:107], v[8:9]
	v_mov_b64_e32 v[104:105], v[6:7]
	;; [unrolled: 1-line block ×7, first 2 shown]
	v_mov_b32_e32 v245, v137
	s_waitcnt vmcnt(15)
	v_mov_b32_e32 v118, v214
	scratch_load_dwordx4 v[212:215], off, off offset:2052 ; 16-byte Folded Reload
	scratch_load_dwordx4 v[216:219], off, off offset:2068 ; 16-byte Folded Reload
	scratch_load_dwordx4 v[220:223], off, off offset:2084 ; 16-byte Folded Reload
	scratch_load_dwordx4 v[224:227], off, off offset:2100 ; 16-byte Folded Reload
	scratch_load_dwordx4 v[228:231], off, off offset:2116 ; 16-byte Folded Reload
	scratch_load_dwordx4 v[232:235], off, off offset:2132 ; 16-byte Folded Reload
	scratch_load_dwordx4 v[236:239], off, off offset:2148 ; 16-byte Folded Reload
	scratch_load_dwordx4 v[240:243], off, off offset:2164 ; 16-byte Folded Reload
	s_waitcnt vmcnt(14)
	v_mov_b32_e32 v120, v20
	scratch_load_dwordx4 v[16:19], off, s2  ; 16-byte Folded Reload
	scratch_load_dwordx4 v[20:23], off, s2 offset:16 ; 16-byte Folded Reload
	scratch_load_dwordx4 v[24:27], off, s2 offset:32 ; 16-byte Folded Reload
	;; [unrolled: 1-line block ×7, first 2 shown]
	s_movk_i32 s2, 0x1004
	s_waitcnt vmcnt(8)
	v_mov_b32_e32 v240, v210
	v_mov_b32_e32 v243, v77
	;; [unrolled: 1-line block ×4, first 2 shown]
	s_waitcnt vmcnt(6)
	v_mov_b32_e32 v123, v23
	scratch_load_dwordx4 v[16:19], off, off offset:3844 ; 16-byte Folded Reload
	scratch_load_dwordx4 v[20:23], off, off offset:3860 ; 16-byte Folded Reload
	scratch_load_dwordx4 v[24:27], off, off offset:3876 ; 16-byte Folded Reload
	scratch_load_dwordx4 v[28:31], off, off offset:3892 ; 16-byte Folded Reload
	scratch_load_dwordx4 v[32:35], off, off offset:3908 ; 16-byte Folded Reload
	scratch_load_dwordx4 v[36:39], off, off offset:3924 ; 16-byte Folded Reload
	scratch_load_dwordx4 v[40:43], off, off offset:3940 ; 16-byte Folded Reload
	scratch_load_dwordx4 v[44:47], off, off offset:3956 ; 16-byte Folded Reload
	s_waitcnt vmcnt(5)
	v_mov_b32_e32 v124, v24
	scratch_load_dwordx4 v[16:19], off, off offset:3972 ; 16-byte Folded Reload
	scratch_load_dwordx4 v[20:23], off, off offset:3988 ; 16-byte Folded Reload
	scratch_load_dwordx4 v[24:27], off, off offset:4004 ; 16-byte Folded Reload
	scratch_load_dwordx4 v[28:31], off, off offset:4020 ; 16-byte Folded Reload
	scratch_load_dwordx4 v[32:35], off, off offset:4036 ; 16-byte Folded Reload
	scratch_load_dwordx4 v[36:39], off, off offset:4052 ; 16-byte Folded Reload
	scratch_load_dwordx4 v[40:43], off, off offset:4068 ; 16-byte Folded Reload
	scratch_load_dwordx4 v[44:47], off, off offset:4084 ; 16-byte Folded Reload
	;; [unrolled: 10-line block ×3, first 2 shown]
	s_waitcnt vmcnt(5)
	v_mov_b32_e32 v126, v26
	scratch_load_dwordx4 v[16:19], off, s2  ; 16-byte Folded Reload
	scratch_load_dwordx4 v[20:23], off, s2 offset:16 ; 16-byte Folded Reload
	scratch_load_dwordx4 v[24:27], off, s2 offset:32 ; 16-byte Folded Reload
	;; [unrolled: 1-line block ×7, first 2 shown]
	v_mov_b64_e32 v[234:235], v[126:127]
	v_mov_b64_e32 v[224:225], v[116:117]
	s_movk_i32 s2, 0x1304
	v_mov_b64_e32 v[232:233], v[124:125]
	v_mov_b64_e32 v[230:231], v[122:123]
	;; [unrolled: 1-line block ×4, first 2 shown]
	s_waitcnt vmcnt(4)
	v_mov_b32_e32 v128, v28
	scratch_load_dwordx4 v[26:29], off, off offset:2948 ; 16-byte Folded Reload
	scratch_load_dwordx4 v[30:33], off, off offset:2964 ; 16-byte Folded Reload
	;; [unrolled: 1-line block ×8, first 2 shown]
	s_waitcnt vmcnt(4)
	v_mov_b32_e32 v129, v39
	scratch_load_dwordx4 v[26:29], off, off offset:388 ; 16-byte Folded Reload
	scratch_load_dwordx4 v[30:33], off, off offset:404 ; 16-byte Folded Reload
	;; [unrolled: 1-line block ×8, first 2 shown]
	s_nop 0
	scratch_store_dwordx4 off, v[194:197], off offset:1412 ; 16-byte Folded Spill
	s_nop 0
	scratch_store_dwordx4 off, v[198:201], off offset:1428 ; 16-byte Folded Spill
	scratch_store_dwordx4 off, v[202:205], off offset:1444 ; 16-byte Folded Spill
	;; [unrolled: 1-line block ×7, first 2 shown]
	scratch_load_dwordx4 v[0:3], off, off offset:516 ; 16-byte Folded Reload
	scratch_load_dwordx4 v[4:7], off, off offset:532 ; 16-byte Folded Reload
	;; [unrolled: 1-line block ×8, first 2 shown]
	s_nop 0
	scratch_store_dwordx4 off, v[58:61], off offset:1028 ; 16-byte Folded Spill
	s_nop 0
	scratch_store_dwordx4 off, v[62:65], off offset:1044 ; 16-byte Folded Spill
	scratch_store_dwordx4 off, v[66:69], off offset:1060 ; 16-byte Folded Spill
	;; [unrolled: 1-line block ×7, first 2 shown]
	v_mov_b32_e32 v238, v130
	v_mov_b32_e32 v237, v129
	v_mov_b32_e32 v236, v128
	s_waitcnt vmcnt(28)
	v_mov_b32_e32 v239, v41
	scratch_load_dwordx4 v[18:21], off, off offset:644 ; 16-byte Folded Reload
	scratch_load_dwordx4 v[22:25], off, off offset:660 ; 16-byte Folded Reload
	;; [unrolled: 1-line block ×8, first 2 shown]
	s_waitcnt vmcnt(19)
	v_mov_b32_e32 v241, v17
	s_waitcnt vmcnt(2)
	v_mov_b32_e32 v74, v38
	v_mov_b32_e32 v73, v37
	;; [unrolled: 1-line block ×5, first 2 shown]
	scratch_load_dwordx4 v[18:21], off, off offset:900 ; 16-byte Folded Reload
	scratch_load_dwordx4 v[22:25], off, off offset:916 ; 16-byte Folded Reload
	;; [unrolled: 1-line block ×8, first 2 shown]
	s_nop 0
	scratch_store_dwordx4 off, v[78:81], off offset:772 ; 16-byte Folded Spill
	s_nop 0
	scratch_store_dwordx4 off, v[82:85], off offset:788 ; 16-byte Folded Spill
	scratch_store_dwordx4 off, v[86:89], off offset:804 ; 16-byte Folded Spill
	;; [unrolled: 1-line block ×7, first 2 shown]
	v_mov_b32_e32 v244, v74
	s_waitcnt vmcnt(10)
	v_mov_b32_e32 v25, v41
	scratch_load_dwordx4 v[26:29], off, off offset:3716 ; 16-byte Folded Reload
	scratch_load_dwordx4 v[30:33], off, off offset:3732 ; 16-byte Folded Reload
	;; [unrolled: 1-line block ×8, first 2 shown]
	s_nop 0
	scratch_store_dwordx4 off, v[142:145], s2 ; 16-byte Folded Spill
	s_nop 0
	scratch_store_dwordx4 off, v[146:149], s2 offset:16 ; 16-byte Folded Spill
	scratch_store_dwordx4 off, v[150:153], s2 offset:32 ; 16-byte Folded Spill
	;; [unrolled: 1-line block ×7, first 2 shown]
	s_movk_i32 s2, 0x1184
	scratch_load_dwordx4 v[54:57], off, s2  ; 16-byte Folded Reload
	scratch_load_dwordx4 v[58:61], off, s2 offset:16 ; 16-byte Folded Reload
	scratch_load_dwordx4 v[62:65], off, s2 offset:32 ; 16-byte Folded Reload
	scratch_load_dwordx4 v[66:69], off, s2 offset:48 ; 16-byte Folded Reload
	scratch_load_dwordx4 v[70:73], off, s2 offset:64 ; 16-byte Folded Reload
	scratch_load_dwordx4 v[74:77], off, s2 offset:80 ; 16-byte Folded Reload
	scratch_load_dwordx4 v[78:81], off, s2 offset:96 ; 16-byte Folded Reload
	scratch_load_dwordx4 v[82:85], off, s2 offset:112 ; 16-byte Folded Reload
	scratch_load_dwordx4 v[92:95], off, off offset:260 ; 16-byte Folded Reload
	scratch_load_dwordx4 v[96:99], off, off offset:276 ; 16-byte Folded Reload
	;; [unrolled: 1-line block ×8, first 2 shown]
	s_movk_i32 s2, 0x1104
	s_waitcnt vmcnt(11)
	v_mov_b64_e32 v[66:67], v[184:185]
	v_mov_b64_e32 v[68:69], v[186:187]
	;; [unrolled: 1-line block ×3, first 2 shown]
	v_mov_b32_e32 v147, v71
	v_mov_b32_e32 v18, v26
	v_mov_b64_e32 v[208:209], v[168:169]
	v_mov_b64_e32 v[194:195], v[154:155]
	;; [unrolled: 1-line block ×8, first 2 shown]
	s_waitcnt vmcnt(3)
	v_mov_b64_e32 v[96:97], v[194:195]
	v_mov_b32_e32 v142, v194
	v_mov_b32_e32 v143, v195
	v_mov_b64_e32 v[98:99], v[196:197]
	v_mov_b64_e32 v[100:101], v[198:199]
	;; [unrolled: 1-line block ×7, first 2 shown]
	v_mov_b32_e32 v206, v28
	v_mov_b32_e32 v198, v58
	;; [unrolled: 1-line block ×10, first 2 shown]
	scratch_load_dwordx4 v[26:29], off, off offset:2052 ; 16-byte Folded Reload
	scratch_load_dwordx4 v[30:33], off, off offset:2068 ; 16-byte Folded Reload
	;; [unrolled: 1-line block ×8, first 2 shown]
	v_mov_b32_e32 v144, v20
	v_mov_b32_e32 v146, v58
	v_mov_b64_e32 v[204:205], v[188:189]
	v_mov_b32_e32 v159, v17
	v_mov_b64_e32 v[200:201], v[184:185]
	v_mov_b64_e32 v[202:203], v[186:187]
	v_mov_b32_e32 v163, v137
	v_mov_b64_e32 v[140:141], v[110:111]
	v_mov_b64_e32 v[126:127], v[96:97]
	v_mov_b32_e32 v2, v126
	v_mov_b32_e32 v3, v127
	;; [unrolled: 1-line block ×3, first 2 shown]
	v_mov_b64_e32 v[138:139], v[108:109]
	v_mov_b64_e32 v[136:137], v[106:107]
	;; [unrolled: 1-line block ×6, first 2 shown]
	s_waitcnt vmcnt(10)
	v_mov_b32_e32 v164, v114
	s_waitcnt vmcnt(8)
	v_mov_b64_e32 v[112:113], v[170:171]
	v_mov_b64_e32 v[114:115], v[172:173]
	;; [unrolled: 1-line block ×6, first 2 shown]
	s_waitcnt vmcnt(6)
	v_mov_b32_e32 v18, v26
	v_mov_b32_e32 v19, v27
	;; [unrolled: 1-line block ×7, first 2 shown]
	scratch_load_dwordx4 v[26:29], off, s2  ; 16-byte Folded Reload
	scratch_load_dwordx4 v[30:33], off, s2 offset:16 ; 16-byte Folded Reload
	scratch_load_dwordx4 v[34:37], off, s2 offset:32 ; 16-byte Folded Reload
	;; [unrolled: 1-line block ×7, first 2 shown]
	s_movk_i32 s2, 0x1004
	v_mov_b32_e32 v16, v194
	v_mov_b32_e32 v17, v195
	;; [unrolled: 1-line block ×4, first 2 shown]
	v_mov_b64_e32 v[14:15], v[200:201]
	v_mov_b32_e32 v20, v198
	v_mov_b64_e32 v[16:17], v[202:203]
	v_mov_b64_e32 v[18:19], v[204:205]
	v_mov_b32_e32 v148, v24
	v_mov_b32_e32 v6, v20
	v_mov_b64_e32 v[206:207], v[122:123]
	v_mov_b64_e32 v[204:205], v[120:121]
	v_mov_b64_e32 v[202:203], v[118:119]
	v_mov_b64_e32 v[200:201], v[116:117]
	v_mov_b64_e32 v[198:199], v[114:115]
	v_mov_b64_e32 v[196:197], v[112:113]
	s_waitcnt vmcnt(0)
	v_mov_b64_e32 v[62:63], v[32:33]
	v_mov_b64_e32 v[56:57], v[26:27]
	;; [unrolled: 1-line block ×4, first 2 shown]
	scratch_load_dwordx4 v[26:29], off, off offset:3844 ; 16-byte Folded Reload
	scratch_load_dwordx4 v[30:33], off, off offset:3860 ; 16-byte Folded Reload
	;; [unrolled: 1-line block ×8, first 2 shown]
	v_mov_b32_e32 v149, v63
	v_mov_b32_e32 v9, v63
	s_waitcnt vmcnt(0)
	v_mov_b32_e32 v60, v34
	v_mov_b32_e32 v57, v31
	;; [unrolled: 1-line block ×9, first 2 shown]
	scratch_load_dwordx4 v[26:29], off, off offset:3972 ; 16-byte Folded Reload
	scratch_load_dwordx4 v[30:33], off, off offset:3988 ; 16-byte Folded Reload
	;; [unrolled: 1-line block ×8, first 2 shown]
	v_mov_b32_e32 v150, v60
	v_mov_b32_e32 v10, v60
	s_waitcnt vmcnt(0)
	v_mov_b64_e32 v[58:59], v[34:35]
	v_mov_b64_e32 v[56:57], v[32:33]
	;; [unrolled: 1-line block ×5, first 2 shown]
	scratch_load_dwordx4 v[26:29], off, off offset:3204 ; 16-byte Folded Reload
	scratch_load_dwordx4 v[30:33], off, off offset:3220 ; 16-byte Folded Reload
	;; [unrolled: 1-line block ×8, first 2 shown]
	v_mov_b32_e32 v151, v59
	v_mov_b32_e32 v11, v59
	s_waitcnt vmcnt(0)
	v_mov_b32_e32 v58, v36
	v_mov_b32_e32 v57, v35
	;; [unrolled: 1-line block ×11, first 2 shown]
	scratch_load_dwordx4 v[26:29], off, s2  ; 16-byte Folded Reload
	scratch_load_dwordx4 v[30:33], off, s2 offset:16 ; 16-byte Folded Reload
	scratch_load_dwordx4 v[34:37], off, s2 offset:32 ; 16-byte Folded Reload
	;; [unrolled: 1-line block ×7, first 2 shown]
	s_movk_i32 s2, 0x1304
	v_mov_b32_e32 v152, v58
	v_mov_b32_e32 v12, v58
	s_waitcnt vmcnt(4)
	v_mov_b32_e32 v220, v38
	v_mov_b32_e32 v154, v38
	scratch_load_dwordx4 v[26:29], off, off offset:2948 ; 16-byte Folded Reload
	scratch_load_dwordx4 v[30:33], off, off offset:2964 ; 16-byte Folded Reload
	;; [unrolled: 1-line block ×8, first 2 shown]
	s_waitcnt vmcnt(4)
	v_mov_b64_e32 v[192:193], v[38:39]
	scratch_load_dwordx4 v[26:29], off, off offset:132 ; 16-byte Folded Reload
	scratch_load_dwordx4 v[30:33], off, off offset:148 ; 16-byte Folded Reload
	;; [unrolled: 1-line block ×8, first 2 shown]
	v_mov_b32_e32 v155, v193
	s_waitcnt vmcnt(4)
	v_mov_b32_e32 v90, v40
	v_mov_b32_e32 v89, v39
	;; [unrolled: 1-line block ×3, first 2 shown]
	scratch_load_dwordx4 v[26:29], off, off offset:388 ; 16-byte Folded Reload
	scratch_load_dwordx4 v[30:33], off, off offset:404 ; 16-byte Folded Reload
	;; [unrolled: 1-line block ×8, first 2 shown]
	v_mov_b32_e32 v156, v90
	s_waitcnt vmcnt(4)
	v_mov_b32_e32 v157, v41
	scratch_load_dwordx4 v[26:29], off, off offset:1412 ; 16-byte Folded Reload
	scratch_load_dwordx4 v[30:33], off, off offset:1428 ; 16-byte Folded Reload
	;; [unrolled: 1-line block ×16, first 2 shown]
	s_waitcnt vmcnt(11)
	v_mov_b32_e32 v158, v42
	s_waitcnt vmcnt(3)
	v_mov_b32_e32 v160, v82
	scratch_load_dwordx4 v[26:29], off, off offset:1028 ; 16-byte Folded Reload
	scratch_load_dwordx4 v[30:33], off, off offset:1044 ; 16-byte Folded Reload
	;; [unrolled: 1-line block ×16, first 2 shown]
	s_nop 0
	scratch_store_dwordx4 off, v[224:227], off offset:4 ; 16-byte Folded Spill
	s_nop 0
	scratch_store_dwordx4 off, v[228:231], off offset:20 ; 16-byte Folded Spill
	scratch_store_dwordx4 off, v[232:235], off offset:36 ; 16-byte Folded Spill
	;; [unrolled: 1-line block ×7, first 2 shown]
	v_cmp_lt_u32_e32 vcc, 1, v251
	s_waitcnt vmcnt(19)
	v_mov_b32_e32 v161, v45
	s_waitcnt vmcnt(10)
	v_mov_b32_e32 v162, v84
	scratch_load_dwordx4 v[64:67], off, s2  ; 16-byte Folded Reload
	scratch_load_dwordx4 v[68:71], off, s2 offset:16 ; 16-byte Folded Reload
	scratch_load_dwordx4 v[72:75], off, s2 offset:32 ; 16-byte Folded Reload
	;; [unrolled: 1-line block ×7, first 2 shown]
	s_movk_i32 s2, 0x1504
	scratch_store_dwordx4 off, v[14:17], s2 ; 16-byte Folded Spill
	s_nop 0
	scratch_store_dwordx4 off, v[18:21], s2 offset:16 ; 16-byte Folded Spill
	scratch_store_dwordx4 off, v[22:25], s2 offset:32 ; 16-byte Folded Spill
	;; [unrolled: 1-line block ×7, first 2 shown]
	v_mov_b32_e32 v14, v220
	v_mov_b32_e32 v15, v193
	v_mov_b64_e32 v[222:223], v[14:15]
	v_mov_b32_e32 v178, v164
	v_mov_b32_e32 v177, v163
	;; [unrolled: 1-line block ×7, first 2 shown]
	v_mov_b64_e32 v[170:171], v[156:157]
	v_mov_b64_e32 v[168:169], v[154:155]
	;; [unrolled: 1-line block ×9, first 2 shown]
	s_movk_i32 s2, 0x1304
	v_mov_b64_e32 v[150:151], v[120:121]
	v_mov_b64_e32 v[148:149], v[118:119]
	;; [unrolled: 1-line block ×5, first 2 shown]
	v_mov_b32_e32 v16, v126
	v_mov_b32_e32 v17, v127
	;; [unrolled: 1-line block ×3, first 2 shown]
	v_mov_b64_e32 v[194:195], v[140:141]
	v_mov_b64_e32 v[192:193], v[138:139]
	;; [unrolled: 1-line block ×8, first 2 shown]
	v_mov_b32_e32 v232, v178
	v_mov_b32_e32 v208, v154
	s_waitcnt vmcnt(15)
	v_mov_b32_e32 v5, v67
	scratch_load_dwordx4 v[54:57], off, off offset:3588 ; 16-byte Folded Reload
	scratch_load_dwordx4 v[58:61], off, off offset:3604 ; 16-byte Folded Reload
	;; [unrolled: 1-line block ×8, first 2 shown]
	v_mov_b32_e32 v8, v24
	v_mov_b32_e32 v233, v25
	;; [unrolled: 1-line block ×3, first 2 shown]
	s_waitcnt vmcnt(5)
	v_mov_b32_e32 v13, v65
	scratch_load_dwordx4 v[54:57], off, off offset:132 ; 16-byte Folded Reload
	scratch_load_dwordx4 v[58:61], off, off offset:148 ; 16-byte Folded Reload
	;; [unrolled: 1-line block ×16, first 2 shown]
	v_mov_b64_e32 v[220:221], v[12:13]
	v_mov_b64_e32 v[218:219], v[10:11]
	;; [unrolled: 1-line block ×6, first 2 shown]
	s_waitcnt vmcnt(12)
	v_mov_b32_e32 v224, v68
	s_waitcnt vmcnt(4)
	v_mov_b64_e32 v[0:1], v[22:23]
	v_mov_b64_e32 v[2:3], v[24:25]
	;; [unrolled: 1-line block ×8, first 2 shown]
	scratch_load_dwordx4 v[22:25], off, off offset:1412 ; 16-byte Folded Reload
	scratch_load_dwordx4 v[26:29], off, off offset:1428 ; 16-byte Folded Reload
	;; [unrolled: 1-line block ×16, first 2 shown]
	v_mov_b32_e32 v225, v15
	s_waitcnt vmcnt(11)
	v_mov_b32_e32 v70, v38
	s_waitcnt vmcnt(3)
	v_mov_b32_e32 v227, v89
	scratch_load_dwordx4 v[72:75], off, off offset:772 ; 16-byte Folded Reload
	scratch_load_dwordx4 v[76:79], off, off offset:788 ; 16-byte Folded Reload
	;; [unrolled: 1-line block ×8, first 2 shown]
	v_mov_b32_e32 v226, v38
	scratch_load_dwordx4 v[22:25], off, off offset:1028 ; 16-byte Folded Reload
	scratch_load_dwordx4 v[26:29], off, off offset:1044 ; 16-byte Folded Reload
	;; [unrolled: 1-line block ×8, first 2 shown]
	s_waitcnt vmcnt(11)
	v_mov_b32_e32 v228, v90
	scratch_load_dwordx4 v[72:75], off, off offset:644 ; 16-byte Folded Reload
	scratch_load_dwordx4 v[76:79], off, off offset:660 ; 16-byte Folded Reload
	scratch_load_dwordx4 v[80:83], off, off offset:676 ; 16-byte Folded Reload
	scratch_load_dwordx4 v[84:87], off, off offset:692 ; 16-byte Folded Reload
	scratch_load_dwordx4 v[88:91], off, off offset:708 ; 16-byte Folded Reload
	scratch_load_dwordx4 v[92:95], off, off offset:724 ; 16-byte Folded Reload
	scratch_load_dwordx4 v[96:99], off, off offset:740 ; 16-byte Folded Reload
	scratch_load_dwordx4 v[100:103], off, off offset:756 ; 16-byte Folded Reload
	s_waitcnt vmcnt(11)
	v_mov_b32_e32 v229, v41
	s_waitcnt vmcnt(2)
	v_mov_b32_e32 v230, v92
	scratch_load_dwordx4 v[72:75], off, off offset:4 ; 16-byte Folded Reload
	scratch_load_dwordx4 v[76:79], off, off offset:20 ; 16-byte Folded Reload
	;; [unrolled: 1-line block ×16, first 2 shown]
	s_waitcnt vmcnt(10)
	v_mov_b32_e32 v231, v93
	scratch_load_dwordx4 v[72:75], off, off offset:3716 ; 16-byte Folded Reload
	scratch_load_dwordx4 v[76:79], off, off offset:3732 ; 16-byte Folded Reload
	;; [unrolled: 1-line block ×8, first 2 shown]
	scratch_load_dwordx4 v[88:91], off, s2  ; 16-byte Folded Reload
	scratch_load_dwordx4 v[92:95], off, s2 offset:16 ; 16-byte Folded Reload
	scratch_load_dwordx4 v[96:99], off, s2 offset:32 ; 16-byte Folded Reload
	;; [unrolled: 1-line block ×7, first 2 shown]
	s_waitcnt vmcnt(1)
	v_mov_b32_e32 v112, v46
	v_mov_b32_e32 v92, v20
	;; [unrolled: 1-line block ×3, first 2 shown]
	s_movk_i32 s2, 0x1104
	v_mov_b32_e32 v103, v15
	v_mov_b32_e32 v110, v178
	;; [unrolled: 1-line block ×8, first 2 shown]
	scratch_load_dwordx4 v[16:19], off, off offset:2052 ; 16-byte Folded Reload
	scratch_load_dwordx4 v[20:23], off, off offset:2068 ; 16-byte Folded Reload
	;; [unrolled: 1-line block ×8, first 2 shown]
	s_waitcnt vmcnt(6)
	v_mov_b32_e32 v94, v22
	scratch_load_dwordx4 v[16:19], off, s2  ; 16-byte Folded Reload
	scratch_load_dwordx4 v[20:23], off, s2 offset:16 ; 16-byte Folded Reload
	scratch_load_dwordx4 v[24:27], off, s2 offset:32 ; 16-byte Folded Reload
	;; [unrolled: 1-line block ×7, first 2 shown]
	s_movk_i32 s2, 0x1004
	s_waitcnt vmcnt(6)
	v_mov_b32_e32 v95, v23
	scratch_load_dwordx4 v[16:19], off, off offset:3844 ; 16-byte Folded Reload
	scratch_load_dwordx4 v[20:23], off, off offset:3860 ; 16-byte Folded Reload
	scratch_load_dwordx4 v[24:27], off, off offset:3876 ; 16-byte Folded Reload
	scratch_load_dwordx4 v[28:31], off, off offset:3892 ; 16-byte Folded Reload
	scratch_load_dwordx4 v[32:35], off, off offset:3908 ; 16-byte Folded Reload
	scratch_load_dwordx4 v[36:39], off, off offset:3924 ; 16-byte Folded Reload
	scratch_load_dwordx4 v[40:43], off, off offset:3940 ; 16-byte Folded Reload
	scratch_load_dwordx4 v[44:47], off, off offset:3956 ; 16-byte Folded Reload
	s_waitcnt vmcnt(5)
	v_mov_b32_e32 v96, v24
	scratch_load_dwordx4 v[16:19], off, off offset:3972 ; 16-byte Folded Reload
	scratch_load_dwordx4 v[20:23], off, off offset:3988 ; 16-byte Folded Reload
	scratch_load_dwordx4 v[24:27], off, off offset:4004 ; 16-byte Folded Reload
	scratch_load_dwordx4 v[28:31], off, off offset:4020 ; 16-byte Folded Reload
	scratch_load_dwordx4 v[32:35], off, off offset:4036 ; 16-byte Folded Reload
	scratch_load_dwordx4 v[36:39], off, off offset:4052 ; 16-byte Folded Reload
	scratch_load_dwordx4 v[40:43], off, off offset:4068 ; 16-byte Folded Reload
	scratch_load_dwordx4 v[44:47], off, off offset:4084 ; 16-byte Folded Reload
	;; [unrolled: 10-line block ×4, first 2 shown]
	s_waitcnt vmcnt(5)
	v_mov_b32_e32 v99, v27
	scratch_load_dwordx4 v[16:19], off, s2  ; 16-byte Folded Reload
	scratch_load_dwordx4 v[20:23], off, s2 offset:16 ; 16-byte Folded Reload
	scratch_load_dwordx4 v[24:27], off, s2 offset:32 ; 16-byte Folded Reload
	;; [unrolled: 1-line block ×7, first 2 shown]
	s_movk_i32 s2, 0x1304
	s_waitcnt vmcnt(4)
	v_mov_b32_e32 v100, v28
	scratch_load_dwordx4 v[16:19], off, off offset:2948 ; 16-byte Folded Reload
	scratch_load_dwordx4 v[20:23], off, off offset:2964 ; 16-byte Folded Reload
	scratch_load_dwordx4 v[24:27], off, off offset:2980 ; 16-byte Folded Reload
	scratch_load_dwordx4 v[28:31], off, off offset:2996 ; 16-byte Folded Reload
	scratch_load_dwordx4 v[32:35], off, off offset:3012 ; 16-byte Folded Reload
	scratch_load_dwordx4 v[36:39], off, off offset:3028 ; 16-byte Folded Reload
	scratch_load_dwordx4 v[40:43], off, off offset:3044 ; 16-byte Folded Reload
	scratch_load_dwordx4 v[44:47], off, off offset:3060 ; 16-byte Folded Reload
	s_waitcnt vmcnt(4)
	v_mov_b32_e32 v101, v29
	scratch_load_dwordx4 v[16:19], off, off offset:132 ; 16-byte Folded Reload
	scratch_load_dwordx4 v[20:23], off, off offset:148 ; 16-byte Folded Reload
	scratch_load_dwordx4 v[24:27], off, off offset:164 ; 16-byte Folded Reload
	scratch_load_dwordx4 v[28:31], off, off offset:180 ; 16-byte Folded Reload
	scratch_load_dwordx4 v[32:35], off, off offset:196 ; 16-byte Folded Reload
	scratch_load_dwordx4 v[36:39], off, off offset:212 ; 16-byte Folded Reload
	scratch_load_dwordx4 v[40:43], off, off offset:228 ; 16-byte Folded Reload
	scratch_load_dwordx4 v[44:47], off, off offset:244 ; 16-byte Folded Reload
	;; [unrolled: 10-line block ×4, first 2 shown]
	scratch_load_dwordx4 v[120:123], off, off offset:1028 ; 16-byte Folded Reload
	scratch_load_dwordx4 v[124:127], off, off offset:1044 ; 16-byte Folded Reload
	;; [unrolled: 1-line block ×8, first 2 shown]
	s_waitcnt vmcnt(0)
	v_mov_b32_e32 v151, v233
	v_mov_b32_e32 v106, v18
	scratch_load_dwordx4 v[0:3], off, off offset:644 ; 16-byte Folded Reload
	scratch_load_dwordx4 v[4:7], off, off offset:660 ; 16-byte Folded Reload
	scratch_load_dwordx4 v[8:11], off, off offset:676 ; 16-byte Folded Reload
	scratch_load_dwordx4 v[12:15], off, off offset:692 ; 16-byte Folded Reload
	scratch_load_dwordx4 v[16:19], off, off offset:708 ; 16-byte Folded Reload
	scratch_load_dwordx4 v[20:23], off, off offset:724 ; 16-byte Folded Reload
	scratch_load_dwordx4 v[24:27], off, off offset:740 ; 16-byte Folded Reload
	scratch_load_dwordx4 v[28:31], off, off offset:756 ; 16-byte Folded Reload
	v_mov_b32_e32 v107, v139
	v_mov_b64_e32 v[142:143], v[102:103]
	v_mov_b64_e32 v[140:141], v[100:101]
	;; [unrolled: 1-line block ×8, first 2 shown]
	s_waitcnt vmcnt(2)
	v_mov_b32_e32 v108, v20
	scratch_load_dwordx4 v[0:3], off, off offset:4 ; 16-byte Folded Reload
	scratch_load_dwordx4 v[4:7], off, off offset:20 ; 16-byte Folded Reload
	;; [unrolled: 1-line block ×8, first 2 shown]
	s_nop 0
	scratch_store_dwordx4 off, v[156:159], off offset:260 ; 16-byte Folded Spill
	s_nop 0
	scratch_store_dwordx4 off, v[160:163], off offset:276 ; 16-byte Folded Spill
	scratch_store_dwordx4 off, v[164:167], off offset:292 ; 16-byte Folded Spill
	;; [unrolled: 1-line block ×8, first 2 shown]
	s_nop 0
	scratch_store_dwordx4 off, v[214:217], off offset:916 ; 16-byte Folded Spill
	scratch_store_dwordx4 off, v[218:221], off offset:932 ; 16-byte Folded Spill
	;; [unrolled: 1-line block ×7, first 2 shown]
	scratch_load_dwordx4 v[54:57], off, off offset:3716 ; 16-byte Folded Reload
	scratch_load_dwordx4 v[58:61], off, off offset:3732 ; 16-byte Folded Reload
	;; [unrolled: 1-line block ×8, first 2 shown]
	s_waitcnt vmcnt(31)
	v_mov_b32_e32 v0, v180
	v_mov_b32_e32 v1, v181
	s_waitcnt vmcnt(7)
	v_mov_b32_e32 v2, v56
	v_mov_b32_e32 v26, v2
	;; [unrolled: 1-line block ×10, first 2 shown]
	scratch_load_dwordx4 v[96:99], off, s2  ; 16-byte Folded Reload
	scratch_load_dwordx4 v[100:103], off, s2 offset:16 ; 16-byte Folded Reload
	scratch_load_dwordx4 v[104:107], off, s2 offset:32 ; 16-byte Folded Reload
	;; [unrolled: 1-line block ×7, first 2 shown]
	s_movk_i32 s2, 0x1184
	scratch_load_dwordx4 v[54:57], off, s2  ; 16-byte Folded Reload
	scratch_load_dwordx4 v[58:61], off, s2 offset:16 ; 16-byte Folded Reload
	scratch_load_dwordx4 v[62:65], off, s2 offset:32 ; 16-byte Folded Reload
	;; [unrolled: 1-line block ×7, first 2 shown]
	s_movk_i32 s2, 0x1504
	v_mov_b32_e32 v25, v1
	v_mov_b32_e32 v24, v0
	v_mov_b64_e32 v[154:155], v[180:181]
	v_mov_b64_e32 v[156:157], v[182:183]
	;; [unrolled: 1-line block ×14, first 2 shown]
	v_mov_b32_e32 v182, v208
	v_mov_b64_e32 v[198:199], v[142:143]
	v_mov_b32_e32 v208, v152
	v_mov_b64_e32 v[196:197], v[140:141]
	v_mov_b64_e32 v[194:195], v[138:139]
	;; [unrolled: 1-line block ×7, first 2 shown]
	v_mov_b32_e32 v207, v151
	v_mov_b32_e32 v206, v150
	;; [unrolled: 1-line block ×8, first 2 shown]
	s_waitcnt vmcnt(8)
	v_mov_b64_e32 v[120:121], v[154:155]
	v_mov_b64_e32 v[136:137], v[170:171]
	;; [unrolled: 1-line block ×14, first 2 shown]
	v_mov_b32_e32 v148, v182
	v_mov_b64_e32 v[174:175], v[184:185]
	v_mov_b64_e32 v[176:177], v[186:187]
	;; [unrolled: 1-line block ×8, first 2 shown]
	v_mov_b32_e32 v190, v200
	v_mov_b32_e32 v198, v208
	;; [unrolled: 1-line block ×10, first 2 shown]
	s_waitcnt vmcnt(6)
	v_mov_b32_e32 v28, v58
	scratch_load_dwordx4 v[54:57], off, s2  ; 16-byte Folded Reload
	scratch_load_dwordx4 v[58:61], off, s2 offset:16 ; 16-byte Folded Reload
	scratch_load_dwordx4 v[62:65], off, s2 offset:32 ; 16-byte Folded Reload
	;; [unrolled: 1-line block ×7, first 2 shown]
	s_movk_i32 s2, 0x1104
	s_waitcnt vmcnt(6)
	v_mov_b32_e32 v29, v59
	scratch_load_dwordx4 v[54:57], off, off offset:2052 ; 16-byte Folded Reload
	scratch_load_dwordx4 v[58:61], off, off offset:2068 ; 16-byte Folded Reload
	;; [unrolled: 1-line block ×8, first 2 shown]
	s_waitcnt vmcnt(6)
	v_mov_b32_e32 v30, v60
	scratch_load_dwordx4 v[54:57], off, s2  ; 16-byte Folded Reload
	scratch_load_dwordx4 v[58:61], off, s2 offset:16 ; 16-byte Folded Reload
	scratch_load_dwordx4 v[62:65], off, s2 offset:32 ; 16-byte Folded Reload
	;; [unrolled: 1-line block ×7, first 2 shown]
	s_movk_i32 s2, 0x1004
	s_waitcnt vmcnt(6)
	v_mov_b32_e32 v31, v61
	scratch_load_dwordx4 v[54:57], off, off offset:3844 ; 16-byte Folded Reload
	scratch_load_dwordx4 v[58:61], off, off offset:3860 ; 16-byte Folded Reload
	scratch_load_dwordx4 v[62:65], off, off offset:3876 ; 16-byte Folded Reload
	scratch_load_dwordx4 v[66:69], off, off offset:3892 ; 16-byte Folded Reload
	scratch_load_dwordx4 v[70:73], off, off offset:3908 ; 16-byte Folded Reload
	scratch_load_dwordx4 v[74:77], off, off offset:3924 ; 16-byte Folded Reload
	scratch_load_dwordx4 v[78:81], off, off offset:3940 ; 16-byte Folded Reload
	scratch_load_dwordx4 v[82:85], off, off offset:3956 ; 16-byte Folded Reload
	s_waitcnt vmcnt(5)
	v_mov_b32_e32 v32, v62
	scratch_load_dwordx4 v[54:57], off, off offset:3972 ; 16-byte Folded Reload
	scratch_load_dwordx4 v[58:61], off, off offset:3988 ; 16-byte Folded Reload
	scratch_load_dwordx4 v[62:65], off, off offset:4004 ; 16-byte Folded Reload
	scratch_load_dwordx4 v[66:69], off, off offset:4020 ; 16-byte Folded Reload
	scratch_load_dwordx4 v[70:73], off, off offset:4036 ; 16-byte Folded Reload
	scratch_load_dwordx4 v[74:77], off, off offset:4052 ; 16-byte Folded Reload
	scratch_load_dwordx4 v[78:81], off, off offset:4068 ; 16-byte Folded Reload
	scratch_load_dwordx4 v[82:85], off, off offset:4084 ; 16-byte Folded Reload
	;; [unrolled: 10-line block ×4, first 2 shown]
	s_waitcnt vmcnt(5)
	v_mov_b32_e32 v35, v65
	scratch_load_dwordx4 v[54:57], off, s2  ; 16-byte Folded Reload
	scratch_load_dwordx4 v[58:61], off, s2 offset:16 ; 16-byte Folded Reload
	scratch_load_dwordx4 v[62:65], off, s2 offset:32 ; 16-byte Folded Reload
	;; [unrolled: 1-line block ×7, first 2 shown]
	s_movk_i32 s2, 0x1304
	s_waitcnt vmcnt(4)
	v_mov_b32_e32 v36, v66
	scratch_load_dwordx4 v[54:57], off, off offset:2948 ; 16-byte Folded Reload
	scratch_load_dwordx4 v[58:61], off, off offset:2964 ; 16-byte Folded Reload
	scratch_load_dwordx4 v[62:65], off, off offset:2980 ; 16-byte Folded Reload
	scratch_load_dwordx4 v[66:69], off, off offset:2996 ; 16-byte Folded Reload
	scratch_load_dwordx4 v[70:73], off, off offset:3012 ; 16-byte Folded Reload
	scratch_load_dwordx4 v[74:77], off, off offset:3028 ; 16-byte Folded Reload
	scratch_load_dwordx4 v[78:81], off, off offset:3044 ; 16-byte Folded Reload
	scratch_load_dwordx4 v[82:85], off, off offset:3060 ; 16-byte Folded Reload
	s_waitcnt vmcnt(4)
	v_mov_b32_e32 v37, v67
	scratch_load_dwordx4 v[54:57], off, off offset:132 ; 16-byte Folded Reload
	scratch_load_dwordx4 v[58:61], off, off offset:148 ; 16-byte Folded Reload
	scratch_load_dwordx4 v[62:65], off, off offset:164 ; 16-byte Folded Reload
	scratch_load_dwordx4 v[66:69], off, off offset:180 ; 16-byte Folded Reload
	scratch_load_dwordx4 v[70:73], off, off offset:196 ; 16-byte Folded Reload
	scratch_load_dwordx4 v[74:77], off, off offset:212 ; 16-byte Folded Reload
	scratch_load_dwordx4 v[78:81], off, off offset:228 ; 16-byte Folded Reload
	scratch_load_dwordx4 v[82:85], off, off offset:244 ; 16-byte Folded Reload
	;; [unrolled: 10-line block ×6, first 2 shown]
	s_waitcnt vmcnt(3)
	v_mov_b32_e32 v104, v72
	v_mov_b32_e32 v103, v71
	;; [unrolled: 1-line block ×3, first 2 shown]
	scratch_load_dwordx4 v[50:53], off, off offset:1028 ; 16-byte Folded Reload
	scratch_load_dwordx4 v[54:57], off, off offset:1044 ; 16-byte Folded Reload
	;; [unrolled: 1-line block ×8, first 2 shown]
	v_mov_b32_e32 v42, v104
	s_waitcnt vmcnt(3)
	v_mov_b32_e32 v43, v69
	scratch_load_dwordx4 v[54:57], off, off offset:644 ; 16-byte Folded Reload
	scratch_load_dwordx4 v[58:61], off, off offset:660 ; 16-byte Folded Reload
	;; [unrolled: 1-line block ×8, first 2 shown]
	s_waitcnt vmcnt(4)
	v_mov_b64_e32 v[2:3], v[54:55]
	v_mov_b64_e32 v[4:5], v[56:57]
	s_waitcnt vmcnt(2)
	v_mov_b32_e32 v18, v70
	v_mov_b64_e32 v[6:7], v[58:59]
	v_mov_b64_e32 v[8:9], v[60:61]
	v_mov_b64_e32 v[10:11], v[62:63]
	v_mov_b64_e32 v[12:13], v[64:65]
	v_mov_b64_e32 v[14:15], v[66:67]
	v_mov_b64_e32 v[16:17], v[68:69]
	v_mov_b32_e32 v19, v71
	v_mov_b32_e32 v20, v72
	v_mov_b32_e32 v21, v73
	v_mov_b32_e32 v22, v74
	scratch_load_dwordx4 v[54:57], off, off offset:4 ; 16-byte Folded Reload
	scratch_load_dwordx4 v[58:61], off, off offset:20 ; 16-byte Folded Reload
	;; [unrolled: 1-line block ×16, first 2 shown]
	v_mov_b32_e32 v44, v22
	s_waitcnt vmcnt(8)
	v_mov_b32_e32 v85, v249
	v_mov_b32_e32 v84, v208
	s_waitcnt vmcnt(1)
	v_mov_b32_e32 v235, v249
	v_mov_b32_e32 v45, v75
	scratch_load_dwordx4 v[50:53], off, off offset:900 ; 16-byte Folded Reload
	scratch_load_dwordx4 v[54:57], off, off offset:916 ; 16-byte Folded Reload
	scratch_load_dwordx4 v[58:61], off, off offset:932 ; 16-byte Folded Reload
	scratch_load_dwordx4 v[62:65], off, off offset:948 ; 16-byte Folded Reload
	scratch_load_dwordx4 v[66:69], off, off offset:964 ; 16-byte Folded Reload
	scratch_load_dwordx4 v[70:73], off, off offset:980 ; 16-byte Folded Reload
	scratch_load_dwordx4 v[74:77], off, off offset:996 ; 16-byte Folded Reload
	scratch_load_dwordx4 v[78:81], off, off offset:1012 ; 16-byte Folded Reload
	scratch_load_dwordx4 v[86:89], off, off offset:3716 ; 16-byte Folded Reload
	scratch_load_dwordx4 v[90:93], off, off offset:3732 ; 16-byte Folded Reload
	scratch_load_dwordx4 v[94:97], off, off offset:3748 ; 16-byte Folded Reload
	scratch_load_dwordx4 v[98:101], off, off offset:3764 ; 16-byte Folded Reload
	scratch_load_dwordx4 v[102:105], off, off offset:3780 ; 16-byte Folded Reload
	scratch_load_dwordx4 v[106:109], off, off offset:3796 ; 16-byte Folded Reload
	scratch_load_dwordx4 v[110:113], off, off offset:3812 ; 16-byte Folded Reload
	scratch_load_dwordx4 v[114:117], off, off offset:3828 ; 16-byte Folded Reload
	v_mov_b32_e32 v46, v232
	s_waitcnt vmcnt(13)
	v_mov_b32_e32 v58, v248
	v_mov_b32_e32 v52, v22
	v_mov_b32_e32 v56, v208
	v_mov_b32_e32 v57, v249
	s_waitcnt vmcnt(10)
	v_mov_b32_e32 v47, v73
	s_waitcnt vmcnt(9)
	v_mov_b64_e32 v[74:75], v[38:39]
	v_mov_b64_e32 v[72:73], v[36:37]
	;; [unrolled: 1-line block ×8, first 2 shown]
	s_waitcnt vmcnt(7)
	v_mov_b32_e32 v34, v88
	scratch_load_dwordx4 v[88:91], off, s2  ; 16-byte Folded Reload
	scratch_load_dwordx4 v[92:95], off, s2 offset:16 ; 16-byte Folded Reload
	scratch_load_dwordx4 v[96:99], off, s2 offset:32 ; 16-byte Folded Reload
	;; [unrolled: 1-line block ×7, first 2 shown]
	s_movk_i32 s2, 0x1184
	v_mov_b64_e32 v[82:83], v[46:47]
	v_mov_b64_e32 v[80:81], v[44:45]
	;; [unrolled: 1-line block ×4, first 2 shown]
	v_mov_b32_e32 v32, v120
	v_mov_b32_e32 v33, v121
	v_mov_b32_e32 v24, v198
	s_waitcnt vmcnt(7)
	v_mov_b32_e32 v35, v91
	scratch_load_dwordx4 v[86:89], off, s2  ; 16-byte Folded Reload
	scratch_load_dwordx4 v[90:93], off, s2 offset:16 ; 16-byte Folded Reload
	scratch_load_dwordx4 v[94:97], off, s2 offset:32 ; 16-byte Folded Reload
	;; [unrolled: 1-line block ×7, first 2 shown]
	s_movk_i32 s2, 0x1504
	s_waitcnt vmcnt(6)
	v_mov_b32_e32 v36, v90
	scratch_load_dwordx4 v[86:89], off, s2  ; 16-byte Folded Reload
	scratch_load_dwordx4 v[90:93], off, s2 offset:16 ; 16-byte Folded Reload
	scratch_load_dwordx4 v[94:97], off, s2 offset:32 ; 16-byte Folded Reload
	;; [unrolled: 1-line block ×7, first 2 shown]
	s_movk_i32 s2, 0x1104
	s_waitcnt vmcnt(6)
	v_mov_b32_e32 v37, v91
	scratch_load_dwordx4 v[86:89], off, off offset:2052 ; 16-byte Folded Reload
	scratch_load_dwordx4 v[90:93], off, off offset:2068 ; 16-byte Folded Reload
	;; [unrolled: 1-line block ×8, first 2 shown]
	s_waitcnt vmcnt(6)
	v_mov_b32_e32 v38, v92
	scratch_load_dwordx4 v[86:89], off, s2  ; 16-byte Folded Reload
	scratch_load_dwordx4 v[90:93], off, s2 offset:16 ; 16-byte Folded Reload
	scratch_load_dwordx4 v[94:97], off, s2 offset:32 ; 16-byte Folded Reload
	;; [unrolled: 1-line block ×7, first 2 shown]
	s_movk_i32 s2, 0x1004
	s_waitcnt vmcnt(6)
	v_mov_b32_e32 v39, v93
	scratch_load_dwordx4 v[86:89], off, off offset:3844 ; 16-byte Folded Reload
	scratch_load_dwordx4 v[90:93], off, off offset:3860 ; 16-byte Folded Reload
	scratch_load_dwordx4 v[94:97], off, off offset:3876 ; 16-byte Folded Reload
	scratch_load_dwordx4 v[98:101], off, off offset:3892 ; 16-byte Folded Reload
	scratch_load_dwordx4 v[102:105], off, off offset:3908 ; 16-byte Folded Reload
	scratch_load_dwordx4 v[106:109], off, off offset:3924 ; 16-byte Folded Reload
	scratch_load_dwordx4 v[110:113], off, off offset:3940 ; 16-byte Folded Reload
	scratch_load_dwordx4 v[114:117], off, off offset:3956 ; 16-byte Folded Reload
	s_waitcnt vmcnt(5)
	v_mov_b32_e32 v40, v94
	scratch_load_dwordx4 v[86:89], off, off offset:3972 ; 16-byte Folded Reload
	scratch_load_dwordx4 v[90:93], off, off offset:3988 ; 16-byte Folded Reload
	scratch_load_dwordx4 v[94:97], off, off offset:4004 ; 16-byte Folded Reload
	scratch_load_dwordx4 v[98:101], off, off offset:4020 ; 16-byte Folded Reload
	scratch_load_dwordx4 v[102:105], off, off offset:4036 ; 16-byte Folded Reload
	scratch_load_dwordx4 v[106:109], off, off offset:4052 ; 16-byte Folded Reload
	scratch_load_dwordx4 v[110:113], off, off offset:4068 ; 16-byte Folded Reload
	scratch_load_dwordx4 v[114:117], off, off offset:4084 ; 16-byte Folded Reload
	;; [unrolled: 10-line block ×4, first 2 shown]
	s_waitcnt vmcnt(5)
	v_mov_b32_e32 v43, v97
	scratch_load_dwordx4 v[86:89], off, s2  ; 16-byte Folded Reload
	scratch_load_dwordx4 v[90:93], off, s2 offset:16 ; 16-byte Folded Reload
	scratch_load_dwordx4 v[94:97], off, s2 offset:32 ; 16-byte Folded Reload
	;; [unrolled: 1-line block ×7, first 2 shown]
	s_movk_i32 s2, 0x1684
	s_waitcnt vmcnt(4)
	v_mov_b32_e32 v44, v98
	scratch_load_dwordx4 v[86:89], off, off offset:2948 ; 16-byte Folded Reload
	scratch_load_dwordx4 v[90:93], off, off offset:2964 ; 16-byte Folded Reload
	scratch_load_dwordx4 v[94:97], off, off offset:2980 ; 16-byte Folded Reload
	scratch_load_dwordx4 v[98:101], off, off offset:2996 ; 16-byte Folded Reload
	scratch_load_dwordx4 v[102:105], off, off offset:3012 ; 16-byte Folded Reload
	scratch_load_dwordx4 v[106:109], off, off offset:3028 ; 16-byte Folded Reload
	scratch_load_dwordx4 v[110:113], off, off offset:3044 ; 16-byte Folded Reload
	scratch_load_dwordx4 v[114:117], off, off offset:3060 ; 16-byte Folded Reload
	s_waitcnt vmcnt(4)
	v_mov_b32_e32 v45, v99
	scratch_load_dwordx4 v[86:89], off, off offset:132 ; 16-byte Folded Reload
	scratch_load_dwordx4 v[90:93], off, off offset:148 ; 16-byte Folded Reload
	scratch_load_dwordx4 v[94:97], off, off offset:164 ; 16-byte Folded Reload
	scratch_load_dwordx4 v[98:101], off, off offset:180 ; 16-byte Folded Reload
	scratch_load_dwordx4 v[102:105], off, off offset:196 ; 16-byte Folded Reload
	scratch_load_dwordx4 v[106:109], off, off offset:212 ; 16-byte Folded Reload
	scratch_load_dwordx4 v[110:113], off, off offset:228 ; 16-byte Folded Reload
	scratch_load_dwordx4 v[114:117], off, off offset:244 ; 16-byte Folded Reload
	;; [unrolled: 10-line block ×7, first 2 shown]
	s_waitcnt vmcnt(4)
	v_mov_b64_e32 v[168:169], v[100:101]
	s_waitcnt vmcnt(3)
	v_mov_b64_e32 v[172:173], v[104:105]
	v_mov_b64_e32 v[166:167], v[98:99]
	;; [unrolled: 1-line block ×9, first 2 shown]
	scratch_load_dwordx4 v[86:89], off, off offset:4 ; 16-byte Folded Reload
	scratch_load_dwordx4 v[90:93], off, off offset:20 ; 16-byte Folded Reload
	;; [unrolled: 1-line block ×8, first 2 shown]
	v_mov_b32_e32 v51, v173
	s_waitcnt vmcnt(2)
	v_mov_b32_e32 v53, v107
	scratch_load_dwordx4 v[86:89], off, off offset:260 ; 16-byte Folded Reload
	scratch_load_dwordx4 v[90:93], off, off offset:276 ; 16-byte Folded Reload
	;; [unrolled: 1-line block ×8, first 2 shown]
	s_waitcnt vmcnt(2)
	v_mov_b32_e32 v54, v108
	scratch_load_dwordx4 v[86:89], off, off offset:900 ; 16-byte Folded Reload
	scratch_load_dwordx4 v[90:93], off, off offset:916 ; 16-byte Folded Reload
	;; [unrolled: 1-line block ×8, first 2 shown]
	s_waitcnt lgkmcnt(0)
	s_barrier
	ds_read_b32 v0, v252
	scratch_store_dword off, v251, s2       ; 4-byte Folded Spill
	s_movk_i32 s2, 0x1688
	scratch_store_dword off, v252, s2       ; 4-byte Folded Spill
	s_movk_i32 s2, 0x17f8
	s_waitcnt vmcnt(4)
	v_mov_b32_e32 v55, v109
	s_waitcnt lgkmcnt(0)
	scratch_store_dword off, v0, s2         ; 4-byte Folded Spill
	scratch_store_dwordx4 off, v[32:35], off offset:1156 ; 16-byte Folded Spill
	s_nop 0
	scratch_store_dwordx4 off, v[36:39], off offset:1172 ; 16-byte Folded Spill
	scratch_store_dwordx4 off, v[40:43], off offset:1188 ; 16-byte Folded Spill
	scratch_store_dwordx4 off, v[44:47], off offset:1204 ; 16-byte Folded Spill
	scratch_store_dwordx4 off, v[48:51], off offset:1220 ; 16-byte Folded Spill
	scratch_store_dwordx4 off, v[52:55], off offset:1236 ; 16-byte Folded Spill
	scratch_store_dwordx4 off, v[56:59], off offset:1252 ; 16-byte Folded Spill
	scratch_store_dwordx4 off, v[60:63], off offset:1268 ; 16-byte Folded Spill
	scratch_store_dwordx4 off, v[60:63], off offset:1796 ; 16-byte Folded Spill
	s_nop 0
	scratch_store_dwordx4 off, v[64:67], off offset:1812 ; 16-byte Folded Spill
	scratch_store_dwordx4 off, v[68:71], off offset:1828 ; 16-byte Folded Spill
	scratch_store_dwordx4 off, v[72:75], off offset:1844 ; 16-byte Folded Spill
	scratch_store_dwordx4 off, v[76:79], off offset:1860 ; 16-byte Folded Spill
	scratch_store_dwordx4 off, v[80:83], off offset:1876 ; 16-byte Folded Spill
	scratch_store_dwordx4 off, v[84:87], off offset:1892 ; 16-byte Folded Spill
	scratch_store_dwordx4 off, v[88:91], off offset:1908 ; 16-byte Folded Spill
	;; [unrolled: 9-line block ×4, first 2 shown]
	v_mov_b64_e32 v[40:41], v[102:103]
	v_mov_b64_e32 v[42:43], v[104:105]
	v_mov_b64_e32 v[44:45], v[106:107]
	v_mov_b64_e32 v[46:47], v[108:109]
	v_mov_b64_e32 v[64:65], v[120:121]
	v_mov_b64_e32 v[66:67], v[122:123]
	v_mov_b64_e32 v[68:69], v[124:125]
	v_mov_b64_e32 v[70:71], v[126:127]
	v_mov_b64_e32 v[72:73], v[128:129]
	v_mov_b64_e32 v[74:75], v[130:131]
	v_mov_b64_e32 v[76:77], v[132:133]
	v_mov_b64_e32 v[78:79], v[134:135]
	s_movk_i32 s2, 0x1004
	v_mov_b64_e32 v[24:25], v[86:87]
	v_mov_b64_e32 v[26:27], v[88:89]
	;; [unrolled: 1-line block ×8, first 2 shown]
	v_mov_b32_e32 v97, v47
	scratch_store_dwordx4 off, v[24:27], off offset:1924 ; 16-byte Folded Spill
	s_nop 0
	scratch_store_dwordx4 off, v[28:31], off offset:1940 ; 16-byte Folded Spill
	scratch_store_dwordx4 off, v[32:35], off offset:1956 ; 16-byte Folded Spill
	;; [unrolled: 1-line block ×7, first 2 shown]
	scratch_load_dwordx4 v[24:27], off, off offset:260 ; 16-byte Folded Reload
	s_nop 0
	scratch_load_dwordx4 v[28:31], off, off offset:276 ; 16-byte Folded Reload
	scratch_load_dwordx4 v[32:35], off, off offset:292 ; 16-byte Folded Reload
	;; [unrolled: 1-line block ×7, first 2 shown]
	v_mov_b64_e32 v[80:81], v[136:137]
	v_mov_b64_e32 v[82:83], v[138:139]
	;; [unrolled: 1-line block ×6, first 2 shown]
	v_mov_b32_e32 v92, v148
	s_waitcnt vmcnt(4)
	v_mov_b64_e32 v[144:145], v[38:39]
	v_mov_b64_e32 v[142:143], v[36:37]
	s_waitcnt vmcnt(2)
	v_mov_b32_e32 v152, v46
	v_mov_b64_e32 v[140:141], v[34:35]
	v_mov_b64_e32 v[138:139], v[32:33]
	;; [unrolled: 1-line block ×6, first 2 shown]
	v_mov_b32_e32 v151, v45
	v_mov_b32_e32 v150, v44
	;; [unrolled: 1-line block ×6, first 2 shown]
	scratch_store_dwordx4 off, v[130:133], off offset:1540 ; 16-byte Folded Spill
	s_nop 0
	scratch_store_dwordx4 off, v[134:137], off offset:1556 ; 16-byte Folded Spill
	scratch_store_dwordx4 off, v[138:141], off offset:1572 ; 16-byte Folded Spill
	;; [unrolled: 1-line block ×7, first 2 shown]
	scratch_load_dwordx4 v[24:27], off, off offset:4 ; 16-byte Folded Reload
	scratch_load_dwordx4 v[28:31], off, off offset:20 ; 16-byte Folded Reload
	scratch_load_dwordx4 v[32:35], off, off offset:36 ; 16-byte Folded Reload
	scratch_load_dwordx4 v[36:39], off, off offset:52 ; 16-byte Folded Reload
	scratch_load_dwordx4 v[40:43], off, off offset:68 ; 16-byte Folded Reload
	scratch_load_dwordx4 v[44:47], off, off offset:84 ; 16-byte Folded Reload
	scratch_load_dwordx4 v[48:51], off, off offset:100 ; 16-byte Folded Reload
	scratch_load_dwordx4 v[52:55], off, off offset:116 ; 16-byte Folded Reload
	s_waitcnt vmcnt(2)
	v_mov_b32_e32 v245, v45
	scratch_store_dwordx4 off, v[24:27], off offset:2564 ; 16-byte Folded Spill
	s_nop 0
	scratch_store_dwordx4 off, v[28:31], off offset:2580 ; 16-byte Folded Spill
	scratch_store_dwordx4 off, v[32:35], off offset:2596 ; 16-byte Folded Spill
	scratch_store_dwordx4 off, v[36:39], off offset:2612 ; 16-byte Folded Spill
	scratch_store_dwordx4 off, v[40:43], off offset:2628 ; 16-byte Folded Spill
	scratch_store_dwordx4 off, v[44:47], off offset:2644 ; 16-byte Folded Spill
	s_waitcnt vmcnt(7)
	scratch_store_dwordx4 off, v[48:51], off offset:2660 ; 16-byte Folded Spill
	s_waitcnt vmcnt(7)
	scratch_store_dwordx4 off, v[52:55], off offset:2676 ; 16-byte Folded Spill
	scratch_store_dwordx4 off, v[2:5], off offset:1668 ; 16-byte Folded Spill
	s_nop 0
	scratch_store_dwordx4 off, v[6:9], off offset:1684 ; 16-byte Folded Spill
	scratch_store_dwordx4 off, v[10:13], off offset:1700 ; 16-byte Folded Spill
	;; [unrolled: 1-line block ×8, first 2 shown]
	s_nop 0
	scratch_store_dwordx4 off, v[158:161], off offset:2708 ; 16-byte Folded Spill
	scratch_store_dwordx4 off, v[162:165], off offset:2724 ; 16-byte Folded Spill
	;; [unrolled: 1-line block ×7, first 2 shown]
	scratch_load_dwordx4 v[20:23], off, off offset:772 ; 16-byte Folded Reload
	scratch_load_dwordx4 v[24:27], off, off offset:788 ; 16-byte Folded Reload
	scratch_load_dwordx4 v[28:31], off, off offset:804 ; 16-byte Folded Reload
	scratch_load_dwordx4 v[32:35], off, off offset:820 ; 16-byte Folded Reload
	scratch_load_dwordx4 v[36:39], off, off offset:836 ; 16-byte Folded Reload
	scratch_load_dwordx4 v[40:43], off, off offset:852 ; 16-byte Folded Reload
	scratch_load_dwordx4 v[44:47], off, off offset:868 ; 16-byte Folded Reload
	scratch_load_dwordx4 v[48:51], off, off offset:884 ; 16-byte Folded Reload
	s_waitcnt vmcnt(7)
	scratch_store_dwordx4 off, v[20:23], off offset:2180 ; 16-byte Folded Spill
	s_waitcnt vmcnt(7)
	scratch_store_dwordx4 off, v[24:27], off offset:2196 ; 16-byte Folded Spill
	;; [unrolled: 2-line block ×8, first 2 shown]
	scratch_load_dwordx4 v[0:3], off, off offset:516 ; 16-byte Folded Reload
	s_nop 0
	scratch_load_dwordx4 v[4:7], off, off offset:532 ; 16-byte Folded Reload
	scratch_load_dwordx4 v[8:11], off, off offset:548 ; 16-byte Folded Reload
	;; [unrolled: 1-line block ×7, first 2 shown]
	s_waitcnt vmcnt(7)
	scratch_store_dwordx4 off, v[0:3], off offset:2820 ; 16-byte Folded Spill
	s_waitcnt vmcnt(7)
	scratch_store_dwordx4 off, v[4:7], off offset:2836 ; 16-byte Folded Spill
	;; [unrolled: 2-line block ×8, first 2 shown]
	scratch_load_dwordx4 v[0:3], off, off offset:1412 ; 16-byte Folded Reload
	s_nop 0
	scratch_load_dwordx4 v[4:7], off, off offset:1428 ; 16-byte Folded Reload
	scratch_load_dwordx4 v[8:11], off, off offset:1444 ; 16-byte Folded Reload
	;; [unrolled: 1-line block ×7, first 2 shown]
	s_waitcnt vmcnt(4)
	v_mov_b64_e32 v[170:171], v[14:15]
	v_mov_b64_e32 v[168:169], v[12:13]
	;; [unrolled: 1-line block ×8, first 2 shown]
	s_waitcnt vmcnt(3)
	v_mov_b32_e32 v172, v16
	scratch_store_dwordx4 off, v[156:159], off offset:2308 ; 16-byte Folded Spill
	s_nop 0
	scratch_store_dwordx4 off, v[160:163], off offset:2324 ; 16-byte Folded Spill
	scratch_store_dwordx4 off, v[164:167], off offset:2340 ; 16-byte Folded Spill
	;; [unrolled: 1-line block ×7, first 2 shown]
	scratch_load_dwordx4 v[0:3], off, off offset:388 ; 16-byte Folded Reload
	scratch_load_dwordx4 v[4:7], off, off offset:404 ; 16-byte Folded Reload
	;; [unrolled: 1-line block ×8, first 2 shown]
	s_waitcnt vmcnt(7)
	scratch_store_dwordx4 off, v[0:3], off offset:3076 ; 16-byte Folded Spill
	s_waitcnt vmcnt(7)
	scratch_store_dwordx4 off, v[4:7], off offset:3092 ; 16-byte Folded Spill
	;; [unrolled: 2-line block ×8, first 2 shown]
	scratch_load_dwordx4 v[0:3], off, off offset:132 ; 16-byte Folded Reload
	s_nop 0
	scratch_load_dwordx4 v[4:7], off, off offset:148 ; 16-byte Folded Reload
	scratch_load_dwordx4 v[8:11], off, off offset:164 ; 16-byte Folded Reload
	;; [unrolled: 1-line block ×7, first 2 shown]
	s_waitcnt vmcnt(7)
	scratch_store_dwordx4 off, v[0:3], off offset:2436 ; 16-byte Folded Spill
	s_waitcnt vmcnt(7)
	scratch_store_dwordx4 off, v[4:7], off offset:2452 ; 16-byte Folded Spill
	;; [unrolled: 2-line block ×8, first 2 shown]
	scratch_load_dwordx4 v[0:3], off, off offset:2948 ; 16-byte Folded Reload
	s_nop 0
	scratch_load_dwordx4 v[4:7], off, off offset:2964 ; 16-byte Folded Reload
	scratch_load_dwordx4 v[8:11], off, off offset:2980 ; 16-byte Folded Reload
	;; [unrolled: 1-line block ×7, first 2 shown]
	v_mov_b64_e32 v[182:183], v[90:91]
	v_mov_b64_e32 v[180:181], v[88:89]
	;; [unrolled: 1-line block ×6, first 2 shown]
	v_mov_b32_e32 v184, v92
	s_waitcnt vmcnt(4)
	v_mov_b32_e32 v209, v13
	scratch_store_dwordx4 off, v[0:3], off offset:3332 ; 16-byte Folded Spill
	s_nop 0
	scratch_store_dwordx4 off, v[4:7], off offset:3348 ; 16-byte Folded Spill
	scratch_store_dwordx4 off, v[8:11], off offset:3364 ; 16-byte Folded Spill
	;; [unrolled: 1-line block ×3, first 2 shown]
	s_waitcnt vmcnt(7)
	scratch_store_dwordx4 off, v[16:19], off offset:3396 ; 16-byte Folded Spill
	s_waitcnt vmcnt(7)
	scratch_store_dwordx4 off, v[20:23], off offset:3412 ; 16-byte Folded Spill
	;; [unrolled: 2-line block ×4, first 2 shown]
	scratch_load_dwordx4 v[0:3], off, s2    ; 16-byte Folded Reload
	s_nop 0
	scratch_load_dwordx4 v[4:7], off, s2 offset:16 ; 16-byte Folded Reload
	scratch_load_dwordx4 v[8:11], off, s2 offset:32 ; 16-byte Folded Reload
	;; [unrolled: 1-line block ×7, first 2 shown]
	scratch_load_dwordx4 v[14:17], off, off offset:3588 ; 16-byte Folded Reload
	scratch_load_dwordx4 v[18:21], off, off offset:3604 ; 16-byte Folded Reload
	;; [unrolled: 1-line block ×8, first 2 shown]
	s_movk_i32 s2, 0x1084
	s_waitcnt vmcnt(5)
	v_mov_b32_e32 v211, v25
	scratch_store_dwordx4 off, v[14:17], s2 ; 16-byte Folded Spill
	s_nop 0
	scratch_store_dwordx4 off, v[18:21], s2 offset:16 ; 16-byte Folded Spill
	scratch_store_dwordx4 off, v[22:25], s2 offset:32 ; 16-byte Folded Spill
	s_waitcnt vmcnt(7)
	scratch_store_dwordx4 off, v[26:29], s2 offset:48 ; 16-byte Folded Spill
	s_waitcnt vmcnt(7)
	;; [unrolled: 2-line block ×5, first 2 shown]
	scratch_store_dwordx4 off, v[42:45], s2 offset:112 ; 16-byte Folded Spill
	scratch_load_dwordx4 v[14:17], off, off offset:3204 ; 16-byte Folded Reload
	s_nop 0
	scratch_load_dwordx4 v[18:21], off, off offset:3220 ; 16-byte Folded Reload
	scratch_load_dwordx4 v[22:25], off, off offset:3236 ; 16-byte Folded Reload
	;; [unrolled: 1-line block ×7, first 2 shown]
	s_movk_i32 s2, 0x1284
	v_mov_b32_e32 v210, v12
	s_waitcnt vmcnt(5)
	v_mov_b32_e32 v212, v24
	scratch_store_dwordx4 off, v[14:17], off offset:3460 ; 16-byte Folded Spill
	s_nop 0
	scratch_store_dwordx4 off, v[18:21], off offset:3476 ; 16-byte Folded Spill
	scratch_store_dwordx4 off, v[22:25], off offset:3492 ; 16-byte Folded Spill
	s_waitcnt vmcnt(7)
	scratch_store_dwordx4 off, v[26:29], off offset:3508 ; 16-byte Folded Spill
	s_waitcnt vmcnt(7)
	;; [unrolled: 2-line block ×5, first 2 shown]
	scratch_store_dwordx4 off, v[42:45], off offset:3572 ; 16-byte Folded Spill
	scratch_load_dwordx4 v[14:17], off, off offset:3972 ; 16-byte Folded Reload
	s_nop 0
	scratch_load_dwordx4 v[18:21], off, off offset:3988 ; 16-byte Folded Reload
	scratch_load_dwordx4 v[22:25], off, off offset:4004 ; 16-byte Folded Reload
	;; [unrolled: 1-line block ×7, first 2 shown]
	s_waitcnt vmcnt(5)
	v_mov_b32_e32 v213, v23
	scratch_store_dwordx4 off, v[14:17], s2 ; 16-byte Folded Spill
	s_nop 0
	scratch_store_dwordx4 off, v[18:21], s2 offset:16 ; 16-byte Folded Spill
	scratch_store_dwordx4 off, v[22:25], s2 offset:32 ; 16-byte Folded Spill
	s_waitcnt vmcnt(7)
	scratch_store_dwordx4 off, v[26:29], s2 offset:48 ; 16-byte Folded Spill
	s_waitcnt vmcnt(7)
	;; [unrolled: 2-line block ×5, first 2 shown]
	scratch_store_dwordx4 off, v[42:45], s2 offset:112 ; 16-byte Folded Spill
	scratch_load_dwordx4 v[14:17], off, off offset:3844 ; 16-byte Folded Reload
	s_nop 0
	scratch_load_dwordx4 v[18:21], off, off offset:3860 ; 16-byte Folded Reload
	scratch_load_dwordx4 v[22:25], off, off offset:3876 ; 16-byte Folded Reload
	;; [unrolled: 1-line block ×7, first 2 shown]
	s_movk_i32 s2, 0x1204
	s_waitcnt vmcnt(5)
	v_mov_b32_e32 v214, v22
	scratch_store_dwordx4 off, v[14:17], s2 ; 16-byte Folded Spill
	s_nop 0
	scratch_store_dwordx4 off, v[18:21], s2 offset:16 ; 16-byte Folded Spill
	scratch_store_dwordx4 off, v[22:25], s2 offset:32 ; 16-byte Folded Spill
	s_waitcnt vmcnt(7)
	scratch_store_dwordx4 off, v[26:29], s2 offset:48 ; 16-byte Folded Spill
	s_waitcnt vmcnt(7)
	;; [unrolled: 2-line block ×5, first 2 shown]
	scratch_store_dwordx4 off, v[42:45], s2 offset:112 ; 16-byte Folded Spill
	s_movk_i32 s2, 0x1104
	scratch_load_dwordx4 v[14:17], off, s2  ; 16-byte Folded Reload
	scratch_load_dwordx4 v[18:21], off, s2 offset:16 ; 16-byte Folded Reload
	scratch_load_dwordx4 v[22:25], off, s2 offset:32 ; 16-byte Folded Reload
	;; [unrolled: 1-line block ×7, first 2 shown]
	s_movk_i32 s2, 0x1384
	s_waitcnt vmcnt(6)
	v_mov_b32_e32 v217, v21
	scratch_store_dwordx4 off, v[14:17], s2 ; 16-byte Folded Spill
	s_nop 0
	scratch_store_dwordx4 off, v[18:21], s2 offset:16 ; 16-byte Folded Spill
	s_waitcnt vmcnt(7)
	scratch_store_dwordx4 off, v[22:25], s2 offset:32 ; 16-byte Folded Spill
	s_waitcnt vmcnt(7)
	;; [unrolled: 2-line block ×6, first 2 shown]
	scratch_store_dwordx4 off, v[42:45], s2 offset:112 ; 16-byte Folded Spill
	scratch_load_dwordx4 v[14:17], off, off offset:2052 ; 16-byte Folded Reload
	s_nop 0
	scratch_load_dwordx4 v[18:21], off, off offset:2068 ; 16-byte Folded Reload
	scratch_load_dwordx4 v[22:25], off, off offset:2084 ; 16-byte Folded Reload
	;; [unrolled: 1-line block ×7, first 2 shown]
	s_movk_i32 s2, 0x1404
	s_waitcnt vmcnt(7)
	scratch_store_dwordx4 off, v[14:17], s2 ; 16-byte Folded Spill
	s_waitcnt vmcnt(7)
	scratch_store_dwordx4 off, v[18:21], s2 offset:16 ; 16-byte Folded Spill
	s_waitcnt vmcnt(7)
	scratch_store_dwordx4 off, v[22:25], s2 offset:32 ; 16-byte Folded Spill
	;; [unrolled: 2-line block ×7, first 2 shown]
	s_movk_i32 s2, 0x1504
	scratch_load_dwordx4 v[14:17], off, s2  ; 16-byte Folded Reload
	scratch_load_dwordx4 v[18:21], off, s2 offset:16 ; 16-byte Folded Reload
	scratch_load_dwordx4 v[22:25], off, s2 offset:32 ; 16-byte Folded Reload
	;; [unrolled: 1-line block ×7, first 2 shown]
	s_movk_i32 s2, 0x1484
	s_waitcnt vmcnt(6)
	v_mov_b32_e32 v207, v19
	scratch_store_dwordx4 off, v[14:17], s2 ; 16-byte Folded Spill
	s_nop 0
	scratch_store_dwordx4 off, v[18:21], s2 offset:16 ; 16-byte Folded Spill
	s_waitcnt vmcnt(7)
	scratch_store_dwordx4 off, v[22:25], s2 offset:32 ; 16-byte Folded Spill
	s_waitcnt vmcnt(7)
	;; [unrolled: 2-line block ×6, first 2 shown]
	scratch_store_dwordx4 off, v[42:45], s2 offset:112 ; 16-byte Folded Spill
	s_movk_i32 s2, 0x1184
	scratch_load_dwordx4 v[14:17], off, s2  ; 16-byte Folded Reload
	scratch_load_dwordx4 v[18:21], off, s2 offset:16 ; 16-byte Folded Reload
	scratch_load_dwordx4 v[22:25], off, s2 offset:32 ; 16-byte Folded Reload
	;; [unrolled: 1-line block ×7, first 2 shown]
	s_movk_i32 s2, 0x1584
	s_waitcnt vmcnt(6)
	v_mov_b32_e32 v206, v18
	scratch_store_dwordx4 off, v[14:17], s2 ; 16-byte Folded Spill
	s_nop 0
	scratch_store_dwordx4 off, v[18:21], s2 offset:16 ; 16-byte Folded Spill
	s_waitcnt vmcnt(7)
	scratch_store_dwordx4 off, v[22:25], s2 offset:32 ; 16-byte Folded Spill
	s_waitcnt vmcnt(7)
	;; [unrolled: 2-line block ×6, first 2 shown]
	scratch_store_dwordx4 off, v[42:45], s2 offset:112 ; 16-byte Folded Spill
	s_movk_i32 s2, 0x1304
	scratch_load_dwordx4 v[130:133], off, s2 ; 16-byte Folded Reload
	scratch_load_dwordx4 v[134:137], off, s2 offset:16 ; 16-byte Folded Reload
	scratch_load_dwordx4 v[138:141], off, s2 offset:32 ; 16-byte Folded Reload
	;; [unrolled: 1-line block ×7, first 2 shown]
	s_movk_i32 s2, 0x1604
	s_waitcnt vmcnt(0)
	v_mov_b64_e32 v[170:171], v[78:79]
	v_mov_b64_e32 v[168:169], v[76:77]
	;; [unrolled: 1-line block ×10, first 2 shown]
	v_mov_b32_e32 v197, v17
	scratch_store_dwordx4 off, v[14:17], s2 ; 16-byte Folded Spill
	s_nop 0
	scratch_store_dwordx4 off, v[18:21], s2 offset:16 ; 16-byte Folded Spill
	scratch_store_dwordx4 off, v[22:25], s2 offset:32 ; 16-byte Folded Spill
	;; [unrolled: 1-line block ×7, first 2 shown]
	scratch_load_dwordx4 v[14:17], off, off offset:3716 ; 16-byte Folded Reload
	s_nop 0
	scratch_load_dwordx4 v[18:21], off, off offset:3732 ; 16-byte Folded Reload
	scratch_load_dwordx4 v[22:25], off, off offset:3748 ; 16-byte Folded Reload
	;; [unrolled: 1-line block ×7, first 2 shown]
	s_movk_i32 s2, 0x168c
	s_waitcnt vmcnt(7)
	v_mov_b32_e32 v196, v16
	scratch_store_dwordx4 off, v[14:17], s2 ; 16-byte Folded Spill
	s_waitcnt vmcnt(7)
	scratch_store_dwordx4 off, v[18:21], s2 offset:16 ; 16-byte Folded Spill
	s_waitcnt vmcnt(7)
	scratch_store_dwordx4 off, v[22:25], s2 offset:32 ; 16-byte Folded Spill
	;; [unrolled: 2-line block ×7, first 2 shown]
	scratch_store_dwordx4 off, v[156:159], off offset:4 ; 16-byte Folded Spill
	s_nop 0
	scratch_store_dwordx4 off, v[160:163], off offset:20 ; 16-byte Folded Spill
	scratch_store_dwordx4 off, v[164:167], off offset:36 ; 16-byte Folded Spill
	;; [unrolled: 1-line block ×7, first 2 shown]
	s_mov_b64 s[2:3], exec
	s_and_b64 s[4:5], s[2:3], vcc
	v_mov_b32_e32 v180, v248
	s_mov_b64 exec, s[4:5]
	s_cbranch_execz .LBB57_13
; %bb.12:
	scratch_load_dwordx4 v[0:3], off, off offset:2052 ; 16-byte Folded Reload
	scratch_load_dwordx4 v[4:7], off, off offset:2068 ; 16-byte Folded Reload
	;; [unrolled: 1-line block ×8, first 2 shown]
	s_movk_i32 s4, 0x17f8
	v_mov_b32_e32 v194, v206
	v_mov_b32_e32 v195, v207
	;; [unrolled: 1-line block ×10, first 2 shown]
	s_waitcnt vmcnt(6)
	v_mov_b32_e32 v190, v6
	scratch_load_dwordx4 v[0:3], off, off offset:132 ; 16-byte Folded Reload
	scratch_load_dwordx4 v[4:7], off, off offset:148 ; 16-byte Folded Reload
	scratch_load_dwordx4 v[8:11], off, off offset:164 ; 16-byte Folded Reload
	scratch_load_dwordx4 v[12:15], off, off offset:180 ; 16-byte Folded Reload
	scratch_load_dwordx4 v[16:19], off, off offset:196 ; 16-byte Folded Reload
	scratch_load_dwordx4 v[20:23], off, off offset:212 ; 16-byte Folded Reload
	scratch_load_dwordx4 v[24:27], off, off offset:228 ; 16-byte Folded Reload
	scratch_load_dwordx4 v[28:31], off, off offset:244 ; 16-byte Folded Reload
	s_waitcnt vmcnt(4)
	v_mov_b32_e32 v182, v14
	scratch_load_dwordx4 v[0:3], off, off offset:388 ; 16-byte Folded Reload
	scratch_load_dwordx4 v[4:7], off, off offset:404 ; 16-byte Folded Reload
	scratch_load_dwordx4 v[8:11], off, off offset:420 ; 16-byte Folded Reload
	scratch_load_dwordx4 v[12:15], off, off offset:436 ; 16-byte Folded Reload
	scratch_load_dwordx4 v[16:19], off, off offset:452 ; 16-byte Folded Reload
	scratch_load_dwordx4 v[20:23], off, off offset:468 ; 16-byte Folded Reload
	scratch_load_dwordx4 v[24:27], off, off offset:484 ; 16-byte Folded Reload
	scratch_load_dwordx4 v[28:31], off, off offset:500 ; 16-byte Folded Reload
	;; [unrolled: 10-line block ×5, first 2 shown]
	scratch_load_dwordx4 v[0:3], off, off offset:1028 ; 16-byte Folded Reload
	scratch_load_dwordx4 v[4:7], off, off offset:1044 ; 16-byte Folded Reload
	;; [unrolled: 1-line block ×16, first 2 shown]
	s_waitcnt vmcnt(2)
	v_mov_b32_e32 v131, v245
	v_mov_b32_e32 v167, v235
	;; [unrolled: 1-line block ×3, first 2 shown]
	scratch_load_dwordx4 v[0:3], off, off offset:260 ; 16-byte Folded Reload
	scratch_load_dwordx4 v[4:7], off, off offset:276 ; 16-byte Folded Reload
	;; [unrolled: 1-line block ×8, first 2 shown]
	s_waitcnt vmcnt(2)
	v_mov_b32_e32 v96, v22
	scratch_load_dwordx4 v[0:3], off, off offset:1284 ; 16-byte Folded Reload
	scratch_load_dwordx4 v[4:7], off, off offset:1300 ; 16-byte Folded Reload
	scratch_load_dwordx4 v[8:11], off, off offset:1316 ; 16-byte Folded Reload
	scratch_load_dwordx4 v[12:15], off, off offset:1332 ; 16-byte Folded Reload
	scratch_load_dwordx4 v[16:19], off, off offset:1348 ; 16-byte Folded Reload
	scratch_load_dwordx4 v[20:23], off, off offset:1364 ; 16-byte Folded Reload
	scratch_load_dwordx4 v[24:27], off, off offset:1380 ; 16-byte Folded Reload
	scratch_load_dwordx4 v[28:31], off, off offset:1396 ; 16-byte Folded Reload
	s_waitcnt vmcnt(7)
	ds_read2_b32 v[0:1], v250 offset0:2 offset1:3
	ds_read2_b32 v[2:3], v250 offset0:4 offset1:5
	s_waitcnt vmcnt(6)
	ds_read2_b32 v[4:5], v250 offset0:6 offset1:7
	ds_read2_b32 v[6:7], v250 offset0:8 offset1:9
	scratch_load_dword v8, off, s4          ; 4-byte Folded Reload
	scratch_load_dwordx4 v[64:67], off, off offset:4 ; 16-byte Folded Reload
	scratch_load_dwordx4 v[68:71], off, off offset:20 ; 16-byte Folded Reload
	;; [unrolled: 1-line block ×8, first 2 shown]
	s_movk_i32 s4, 0x168c
	s_waitcnt vmcnt(7)
	v_mul_f32_e32 v252, v65, v8
	s_waitcnt lgkmcnt(3)
	v_pk_fma_f32 v[196:197], v[252:253], v[0:1], v[196:197] op_sel_hi:[0,1,1] neg_lo:[1,0,0] neg_hi:[1,0,0]
	s_waitcnt lgkmcnt(2)
	v_pk_fma_f32 v[194:195], v[252:253], v[2:3], v[194:195] op_sel_hi:[0,1,1] neg_lo:[1,0,0] neg_hi:[1,0,0]
	;; [unrolled: 2-line block ×4, first 2 shown]
	ds_read2_b32 v[0:1], v250 offset0:10 offset1:11
	ds_read2_b32 v[2:3], v250 offset0:12 offset1:13
	;; [unrolled: 1-line block ×4, first 2 shown]
	v_mov_b32_e32 v65, v252
	s_waitcnt lgkmcnt(3)
	v_pk_fma_f32 v[186:187], v[252:253], v[0:1], v[186:187] op_sel_hi:[0,1,1] neg_lo:[1,0,0] neg_hi:[1,0,0]
	s_waitcnt lgkmcnt(2)
	v_pk_fma_f32 v[184:185], v[252:253], v[2:3], v[184:185] op_sel_hi:[0,1,1] neg_lo:[1,0,0] neg_hi:[1,0,0]
	;; [unrolled: 2-line block ×4, first 2 shown]
	ds_read2_b32 v[0:1], v250 offset0:18 offset1:19
	ds_read2_b32 v[2:3], v250 offset0:20 offset1:21
	;; [unrolled: 1-line block ×4, first 2 shown]
	s_waitcnt vmcnt(0)
	v_mov_b64_e32 v[228:229], v[94:95]
	s_waitcnt lgkmcnt(3)
	v_pk_fma_f32 v[164:165], v[252:253], v[0:1], v[164:165] op_sel_hi:[0,1,1] neg_lo:[1,0,0] neg_hi:[1,0,0]
	ds_read2_b32 v[0:1], v250 offset0:26 offset1:27
	v_mov_b64_e32 v[226:227], v[92:93]
	v_mov_b64_e32 v[224:225], v[90:91]
	;; [unrolled: 1-line block ×15, first 2 shown]
	v_mov_b32_e32 v66, v196
	s_waitcnt lgkmcnt(0)
	v_pk_fma_f32 v[180:181], v[252:253], v[0:1], v[180:181] op_sel_hi:[0,1,1] neg_lo:[1,0,0] neg_hi:[1,0,0]
	ds_read_b32 v0, v250 offset:112
	scratch_store_dwordx4 off, v[64:67], s4 ; 16-byte Folded Spill
	s_nop 0
	scratch_store_dwordx4 off, v[68:71], s4 offset:16 ; 16-byte Folded Spill
	scratch_store_dwordx4 off, v[72:75], s4 offset:32 ; 16-byte Folded Spill
	;; [unrolled: 1-line block ×7, first 2 shown]
	v_mov_b32_e32 v67, v197
	s_movk_i32 s4, 0x1604
	v_mov_b32_e32 v166, v24
	v_pk_fma_f32 v[130:131], v[252:253], v[2:3], v[130:131] op_sel_hi:[0,1,1] neg_lo:[1,0,0] neg_hi:[1,0,0]
	v_pk_fma_f32 v[96:97], v[252:253], v[4:5], v[96:97] op_sel_hi:[0,1,1] neg_lo:[1,0,0] neg_hi:[1,0,0]
	;; [unrolled: 1-line block ×3, first 2 shown]
	s_waitcnt lgkmcnt(0)
	v_fma_f32 v247, -v252, v0, v247
	v_mov_b32_e32 v206, v194
	v_mov_b32_e32 v207, v195
	;; [unrolled: 1-line block ×3, first 2 shown]
	scratch_store_dwordx4 off, v[64:67], s4 ; 16-byte Folded Spill
	s_nop 0
	scratch_store_dwordx4 off, v[68:71], s4 offset:16 ; 16-byte Folded Spill
	scratch_store_dwordx4 off, v[72:75], s4 offset:32 ; 16-byte Folded Spill
	scratch_store_dwordx4 off, v[76:79], s4 offset:48 ; 16-byte Folded Spill
	scratch_store_dwordx4 off, v[80:83], s4 offset:64 ; 16-byte Folded Spill
	scratch_store_dwordx4 off, v[84:87], s4 offset:80 ; 16-byte Folded Spill
	scratch_store_dwordx4 off, v[88:91], s4 offset:96 ; 16-byte Folded Spill
	scratch_store_dwordx4 off, v[92:95], s4 offset:112 ; 16-byte Folded Spill
	v_mov_b32_e32 v68, v194
	s_movk_i32 s4, 0x1584
	scratch_store_dwordx4 off, v[64:67], s4 ; 16-byte Folded Spill
	s_nop 0
	scratch_store_dwordx4 off, v[68:71], s4 offset:16 ; 16-byte Folded Spill
	scratch_store_dwordx4 off, v[72:75], s4 offset:32 ; 16-byte Folded Spill
	scratch_store_dwordx4 off, v[76:79], s4 offset:48 ; 16-byte Folded Spill
	scratch_store_dwordx4 off, v[80:83], s4 offset:64 ; 16-byte Folded Spill
	scratch_store_dwordx4 off, v[84:87], s4 offset:80 ; 16-byte Folded Spill
	scratch_store_dwordx4 off, v[88:91], s4 offset:96 ; 16-byte Folded Spill
	scratch_store_dwordx4 off, v[92:95], s4 offset:112 ; 16-byte Folded Spill
	v_mov_b32_e32 v69, v195
	s_movk_i32 s4, 0x1484
	;; [unrolled: 11-line block ×7, first 2 shown]
	scratch_store_dwordx4 off, v[64:67], off offset:3460 ; 16-byte Folded Spill
	s_nop 0
	scratch_store_dwordx4 off, v[68:71], off offset:3476 ; 16-byte Folded Spill
	scratch_store_dwordx4 off, v[72:75], off offset:3492 ; 16-byte Folded Spill
	;; [unrolled: 1-line block ×7, first 2 shown]
	v_mov_b32_e32 v75, v187
	scratch_store_dwordx4 off, v[64:67], s4 ; 16-byte Folded Spill
	s_nop 0
	scratch_store_dwordx4 off, v[68:71], s4 offset:16 ; 16-byte Folded Spill
	scratch_store_dwordx4 off, v[72:75], s4 offset:32 ; 16-byte Folded Spill
	;; [unrolled: 1-line block ×7, first 2 shown]
	v_mov_b32_e32 v76, v184
	v_mov_b64_e32 v[0:1], v[64:65]
	v_mov_b64_e32 v[2:3], v[66:67]
	;; [unrolled: 1-line block ×16, first 2 shown]
	v_mov_b32_e32 v77, v185
	scratch_store_dwordx4 off, v[64:67], off offset:3332 ; 16-byte Folded Spill
	s_nop 0
	scratch_store_dwordx4 off, v[68:71], off offset:3348 ; 16-byte Folded Spill
	scratch_store_dwordx4 off, v[72:75], off offset:3364 ; 16-byte Folded Spill
	scratch_store_dwordx4 off, v[76:79], off offset:3380 ; 16-byte Folded Spill
	scratch_store_dwordx4 off, v[80:83], off offset:3396 ; 16-byte Folded Spill
	scratch_store_dwordx4 off, v[84:87], off offset:3412 ; 16-byte Folded Spill
	scratch_store_dwordx4 off, v[88:91], off offset:3428 ; 16-byte Folded Spill
	scratch_store_dwordx4 off, v[92:95], off offset:3444 ; 16-byte Folded Spill
	v_mov_b32_e32 v78, v182
	scratch_store_dwordx4 off, v[64:67], off offset:2436 ; 16-byte Folded Spill
	s_nop 0
	scratch_store_dwordx4 off, v[68:71], off offset:2452 ; 16-byte Folded Spill
	scratch_store_dwordx4 off, v[72:75], off offset:2468 ; 16-byte Folded Spill
	scratch_store_dwordx4 off, v[76:79], off offset:2484 ; 16-byte Folded Spill
	scratch_store_dwordx4 off, v[80:83], off offset:2500 ; 16-byte Folded Spill
	scratch_store_dwordx4 off, v[84:87], off offset:2516 ; 16-byte Folded Spill
	scratch_store_dwordx4 off, v[88:91], off offset:2532 ; 16-byte Folded Spill
	scratch_store_dwordx4 off, v[92:95], off offset:2548 ; 16-byte Folded Spill
	;; [unrolled: 10-line block ×11, first 2 shown]
	s_nop 0
	v_mov_b32_e32 v88, v166
	scratch_store_dwordx4 off, v[64:67], off offset:900 ; 16-byte Folded Spill
	s_nop 0
	scratch_store_dwordx4 off, v[68:71], off offset:916 ; 16-byte Folded Spill
	scratch_store_dwordx4 off, v[72:75], off offset:932 ; 16-byte Folded Spill
	scratch_store_dwordx4 off, v[76:79], off offset:948 ; 16-byte Folded Spill
	scratch_store_dwordx4 off, v[80:83], off offset:964 ; 16-byte Folded Spill
	scratch_store_dwordx4 off, v[84:87], off offset:980 ; 16-byte Folded Spill
	scratch_store_dwordx4 off, v[88:91], off offset:996 ; 16-byte Folded Spill
	scratch_store_dwordx4 off, v[92:95], off offset:1012 ; 16-byte Folded Spill
	s_nop 0
	v_mov_b32_e32 v89, v167
	scratch_store_dwordx4 off, v[64:67], off offset:1796 ; 16-byte Folded Spill
	s_nop 0
	scratch_store_dwordx4 off, v[68:71], off offset:1812 ; 16-byte Folded Spill
	scratch_store_dwordx4 off, v[72:75], off offset:1828 ; 16-byte Folded Spill
	scratch_store_dwordx4 off, v[76:79], off offset:1844 ; 16-byte Folded Spill
	scratch_store_dwordx4 off, v[80:83], off offset:1860 ; 16-byte Folded Spill
	scratch_store_dwordx4 off, v[84:87], off offset:1876 ; 16-byte Folded Spill
	scratch_store_dwordx4 off, v[88:91], off offset:1892 ; 16-byte Folded Spill
	scratch_store_dwordx4 off, v[92:95], off offset:1908 ; 16-byte Folded Spill
	;; [unrolled: 11-line block ×3, first 2 shown]
	s_nop 0
	v_mov_b32_e32 v91, v181
	v_mov_b32_e32 v92, v247
	scratch_store_dwordx4 off, v[64:67], off offset:4 ; 16-byte Folded Spill
	s_nop 0
	scratch_store_dwordx4 off, v[68:71], off offset:20 ; 16-byte Folded Spill
	scratch_store_dwordx4 off, v[72:75], off offset:36 ; 16-byte Folded Spill
	;; [unrolled: 1-line block ×7, first 2 shown]
	v_mov_b64_e32 v[64:65], v[198:199]
	scratch_store_dwordx4 off, v[184:187], off offset:2052 ; 16-byte Folded Spill
	s_nop 0
	scratch_store_dwordx4 off, v[188:191], off offset:2068 ; 16-byte Folded Spill
	scratch_store_dwordx4 off, v[192:195], off offset:2084 ; 16-byte Folded Spill
	;; [unrolled: 1-line block ×7, first 2 shown]
	v_mov_b32_e32 v217, v191
	s_nop 0
	v_mov_b32_e32 v214, v188
	v_mov_b32_e32 v213, v189
	;; [unrolled: 1-line block ×6, first 2 shown]
	scratch_store_dwordx4 off, v[168:171], off offset:132 ; 16-byte Folded Spill
	s_nop 0
	scratch_store_dwordx4 off, v[172:175], off offset:148 ; 16-byte Folded Spill
	scratch_store_dwordx4 off, v[176:179], off offset:164 ; 16-byte Folded Spill
	scratch_store_dwordx4 off, v[180:183], off offset:180 ; 16-byte Folded Spill
	scratch_store_dwordx4 off, v[184:187], off offset:196 ; 16-byte Folded Spill
	scratch_store_dwordx4 off, v[188:191], off offset:212 ; 16-byte Folded Spill
	scratch_store_dwordx4 off, v[192:195], off offset:228 ; 16-byte Folded Spill
	scratch_store_dwordx4 off, v[196:199], off offset:244 ; 16-byte Folded Spill
	scratch_store_dwordx4 off, v[168:171], off offset:388 ; 16-byte Folded Spill
	s_nop 0
	scratch_store_dwordx4 off, v[172:175], off offset:404 ; 16-byte Folded Spill
	scratch_store_dwordx4 off, v[176:179], off offset:420 ; 16-byte Folded Spill
	scratch_store_dwordx4 off, v[180:183], off offset:436 ; 16-byte Folded Spill
	scratch_store_dwordx4 off, v[184:187], off offset:452 ; 16-byte Folded Spill
	scratch_store_dwordx4 off, v[188:191], off offset:468 ; 16-byte Folded Spill
	scratch_store_dwordx4 off, v[192:195], off offset:484 ; 16-byte Folded Spill
	scratch_store_dwordx4 off, v[196:199], off offset:500 ; 16-byte Folded Spill
	;; [unrolled: 9-line block ×9, first 2 shown]
	v_mov_b32_e32 v245, v131
	v_mov_b32_e32 v235, v167
.LBB57_13:
	s_or_b64 exec, exec, s[2:3]
	s_movk_i32 s2, 0x1684
	scratch_store_dwordx4 off, v[0:3], off offset:2948 ; 16-byte Folded Spill
	s_nop 0
	scratch_store_dwordx4 off, v[4:7], off offset:2964 ; 16-byte Folded Spill
	scratch_store_dwordx4 off, v[8:11], off offset:2980 ; 16-byte Folded Spill
	;; [unrolled: 1-line block ×7, first 2 shown]
	s_waitcnt vmcnt(63) expcnt(7) lgkmcnt(15)
	s_barrier
	scratch_load_dword v254, off, s2        ; 4-byte Folded Reload
	s_waitcnt vmcnt(0)
	v_cmp_eq_u32_e32 vcc, 2, v254
	s_mov_b64 s[2:3], exec
	s_movk_i32 s8, 0x1688
	scratch_load_dword v255, off, s8        ; 4-byte Folded Reload
	s_and_b64 s[4:5], s[2:3], vcc
	s_mov_b64 exec, s[4:5]
	s_cbranch_execz .LBB57_16
; %bb.14:
	s_waitcnt vmcnt(0)
	ds_write_b32 v255, v196
	scratch_load_dwordx4 v[0:3], off, off offset:4 ; 16-byte Folded Reload
	scratch_load_dwordx4 v[4:7], off, off offset:20 ; 16-byte Folded Reload
	;; [unrolled: 1-line block ×8, first 2 shown]
	s_waitcnt vmcnt(6)
	ds_write2_b32 v250, v3, v4 offset0:3 offset1:4
	ds_write2_b32 v250, v5, v6 offset0:5 offset1:6
	s_waitcnt vmcnt(5)
	ds_write2_b32 v250, v7, v8 offset0:7 offset1:8
	ds_write2_b32 v250, v9, v10 offset0:9 offset1:10
	;; [unrolled: 3-line block ×6, first 2 shown]
	s_waitcnt vmcnt(0)
	ds_write2_b32 v250, v27, v28 offset0:27 offset1:28
	ds_read_b32 v26, v255
	s_waitcnt lgkmcnt(0)
	v_cmp_neq_f32_e32 vcc, 0, v26
	s_and_b64 exec, exec, vcc
	s_cbranch_execz .LBB57_16
; %bb.15:
	v_div_scale_f32 v27, s[4:5], v26, v26, 1.0
	v_rcp_f32_e32 v28, v27
	v_div_scale_f32 v29, vcc, 1.0, v26, 1.0
	v_fma_f32 v30, -v27, v28, 1.0
	v_fmac_f32_e32 v28, v30, v28
	v_mul_f32_e32 v30, v29, v28
	v_fma_f32 v31, -v27, v30, v29
	v_fmac_f32_e32 v30, v31, v28
	v_fma_f32 v27, -v27, v30, v29
	v_div_fmas_f32 v27, v27, v28, v30
	v_div_fixup_f32 v26, v27, v26, 1.0
	ds_write_b32 v255, v26
.LBB57_16:
	s_or_b64 exec, exec, s[2:3]
	s_waitcnt lgkmcnt(0)
	s_barrier
	s_waitcnt vmcnt(0)
	ds_read_b32 v0, v255
	v_cmp_lt_u32_e32 vcc, 2, v254
	s_waitcnt lgkmcnt(0)
	scratch_store_dword off, v0, off offset:3716 ; 4-byte Folded Spill
	s_and_saveexec_b64 s[2:3], vcc
	s_cbranch_execz .LBB57_18
; %bb.17:
	scratch_load_dword v0, off, off offset:3716 ; 4-byte Folded Reload
	s_movk_i32 s4, 0x1584
	v_mov_b32_e32 v152, v64
	v_mov_b32_e32 v153, v65
	;; [unrolled: 1-line block ×6, first 2 shown]
	s_waitcnt vmcnt(0)
	v_mul_f32_e32 v66, v196, v0
	ds_read2_b32 v[0:1], v250 offset0:3 offset1:4
	scratch_load_dwordx4 v[24:27], off, off offset:4 ; 16-byte Folded Reload
	scratch_load_dwordx4 v[28:31], off, off offset:20 ; 16-byte Folded Reload
	;; [unrolled: 1-line block ×8, first 2 shown]
	ds_read2_b32 v[4:5], v250 offset0:5 offset1:6
	ds_read2_b32 v[6:7], v250 offset0:7 offset1:8
	;; [unrolled: 1-line block ×3, first 2 shown]
	v_mov_b32_e32 v154, v66
	v_mov_b32_e32 v134, v66
	;; [unrolled: 1-line block ×3, first 2 shown]
	s_waitcnt vmcnt(7)
	v_mov_b32_e32 v2, v27
	s_waitcnt vmcnt(6)
	v_mov_b32_e32 v3, v28
	s_waitcnt lgkmcnt(3)
	v_pk_fma_f32 v[26:27], v[66:67], v[0:1], v[2:3] op_sel_hi:[0,1,1] neg_lo:[1,0,0] neg_hi:[1,0,0]
	v_mov_b32_e32 v0, v29
	v_mov_b32_e32 v1, v30
	s_waitcnt lgkmcnt(2)
	v_pk_fma_f32 v[28:29], v[66:67], v[4:5], v[0:1] op_sel_hi:[0,1,1] neg_lo:[1,0,0] neg_hi:[1,0,0]
	v_mov_b32_e32 v0, v31
	s_waitcnt vmcnt(5)
	v_mov_b32_e32 v1, v32
	s_waitcnt lgkmcnt(1)
	v_pk_fma_f32 v[30:31], v[66:67], v[6:7], v[0:1] op_sel_hi:[0,1,1] neg_lo:[1,0,0] neg_hi:[1,0,0]
	v_mov_b32_e32 v0, v33
	v_mov_b32_e32 v1, v34
	s_waitcnt lgkmcnt(0)
	v_pk_fma_f32 v[56:57], v[66:67], v[8:9], v[0:1] op_sel_hi:[0,1,1] neg_lo:[1,0,0] neg_hi:[1,0,0]
	ds_read2_b32 v[0:1], v250 offset0:11 offset1:12
	ds_read2_b32 v[4:5], v250 offset0:13 offset1:14
	;; [unrolled: 1-line block ×4, first 2 shown]
	v_mov_b32_e32 v2, v35
	s_waitcnt vmcnt(4)
	v_mov_b32_e32 v3, v36
	v_mov_b32_e32 v161, v56
	s_waitcnt lgkmcnt(3)
	v_pk_fma_f32 v[58:59], v[66:67], v[0:1], v[2:3] op_sel_hi:[0,1,1] neg_lo:[1,0,0] neg_hi:[1,0,0]
	v_mov_b32_e32 v0, v37
	v_mov_b32_e32 v1, v38
	s_waitcnt lgkmcnt(2)
	v_pk_fma_f32 v[60:61], v[66:67], v[4:5], v[0:1] op_sel_hi:[0,1,1] neg_lo:[1,0,0] neg_hi:[1,0,0]
	v_mov_b32_e32 v0, v39
	s_waitcnt vmcnt(3)
	v_mov_b32_e32 v1, v40
	s_waitcnt lgkmcnt(1)
	v_pk_fma_f32 v[62:63], v[66:67], v[6:7], v[0:1] op_sel_hi:[0,1,1] neg_lo:[1,0,0] neg_hi:[1,0,0]
	v_mov_b32_e32 v0, v41
	v_mov_b32_e32 v1, v42
	s_waitcnt lgkmcnt(0)
	v_pk_fma_f32 v[86:87], v[66:67], v[8:9], v[0:1] op_sel_hi:[0,1,1] neg_lo:[1,0,0] neg_hi:[1,0,0]
	ds_read2_b32 v[0:1], v250 offset0:19 offset1:20
	v_mov_b32_e32 v2, v43
	s_waitcnt vmcnt(2)
	v_mov_b32_e32 v3, v44
	ds_read2_b32 v[4:5], v250 offset0:21 offset1:22
	ds_read2_b32 v[6:7], v250 offset0:23 offset1:24
	;; [unrolled: 1-line block ×3, first 2 shown]
	v_mov_b32_e32 v162, v57
	s_waitcnt lgkmcnt(3)
	v_pk_fma_f32 v[88:89], v[66:67], v[0:1], v[2:3] op_sel_hi:[0,1,1] neg_lo:[1,0,0] neg_hi:[1,0,0]
	ds_read2_b32 v[2:3], v250 offset0:27 offset1:28
	v_mov_b32_e32 v0, v45
	v_mov_b32_e32 v1, v46
	s_waitcnt lgkmcnt(3)
	v_pk_fma_f32 v[90:91], v[66:67], v[4:5], v[0:1] op_sel_hi:[0,1,1] neg_lo:[1,0,0] neg_hi:[1,0,0]
	v_mov_b32_e32 v0, v47
	s_waitcnt vmcnt(1)
	v_mov_b32_e32 v1, v48
	s_waitcnt lgkmcnt(2)
	v_pk_fma_f32 v[92:93], v[66:67], v[6:7], v[0:1] op_sel_hi:[0,1,1] neg_lo:[1,0,0] neg_hi:[1,0,0]
	v_mov_b32_e32 v0, v49
	v_mov_b32_e32 v1, v50
	s_waitcnt lgkmcnt(1)
	v_pk_fma_f32 v[94:95], v[66:67], v[8:9], v[0:1] op_sel_hi:[0,1,1] neg_lo:[1,0,0] neg_hi:[1,0,0]
	v_mov_b32_e32 v0, v51
	s_waitcnt vmcnt(0)
	v_mov_b32_e32 v1, v52
	s_waitcnt lgkmcnt(0)
	v_pk_fma_f32 v[246:247], v[66:67], v[2:3], v[0:1] op_sel_hi:[0,1,1] neg_lo:[1,0,0] neg_hi:[1,0,0]
	v_mov_b32_e32 v0, v64
	v_mov_b32_e32 v1, v65
	;; [unrolled: 1-line block ×6, first 2 shown]
	scratch_store_dwordx4 off, v[0:3], s4   ; 16-byte Folded Spill
	s_nop 0
	scratch_store_dwordx4 off, v[4:7], s4 offset:16 ; 16-byte Folded Spill
	scratch_store_dwordx4 off, v[8:11], s4 offset:32 ; 16-byte Folded Spill
	;; [unrolled: 1-line block ×7, first 2 shown]
	s_movk_i32 s4, 0x1484
	v_mov_b32_e32 v163, v58
	v_mov_b32_e32 v164, v59
	;; [unrolled: 1-line block ×46, first 2 shown]
	scratch_store_dwordx4 off, v[0:3], s4   ; 16-byte Folded Spill
	s_nop 0
	scratch_store_dwordx4 off, v[4:7], s4 offset:16 ; 16-byte Folded Spill
	scratch_store_dwordx4 off, v[8:11], s4 offset:32 ; 16-byte Folded Spill
	scratch_store_dwordx4 off, v[12:15], s4 offset:48 ; 16-byte Folded Spill
	scratch_store_dwordx4 off, v[16:19], s4 offset:64 ; 16-byte Folded Spill
	scratch_store_dwordx4 off, v[20:23], s4 offset:80 ; 16-byte Folded Spill
	scratch_store_dwordx4 off, v[24:27], s4 offset:96 ; 16-byte Folded Spill
	scratch_store_dwordx4 off, v[28:31], s4 offset:112 ; 16-byte Folded Spill
	s_movk_i32 s4, 0x1404
	v_mov_b32_e32 v6, v29
	scratch_store_dwordx4 off, v[0:3], s4   ; 16-byte Folded Spill
	s_nop 0
	scratch_store_dwordx4 off, v[4:7], s4 offset:16 ; 16-byte Folded Spill
	scratch_store_dwordx4 off, v[8:11], s4 offset:32 ; 16-byte Folded Spill
	scratch_store_dwordx4 off, v[12:15], s4 offset:48 ; 16-byte Folded Spill
	scratch_store_dwordx4 off, v[16:19], s4 offset:64 ; 16-byte Folded Spill
	scratch_store_dwordx4 off, v[20:23], s4 offset:80 ; 16-byte Folded Spill
	scratch_store_dwordx4 off, v[24:27], s4 offset:96 ; 16-byte Folded Spill
	scratch_store_dwordx4 off, v[28:31], s4 offset:112 ; 16-byte Folded Spill
	s_movk_i32 s4, 0x1384
	v_mov_b32_e32 v7, v30
	;; [unrolled: 11-line block ×3, first 2 shown]
	scratch_store_dwordx4 off, v[0:3], s4   ; 16-byte Folded Spill
	s_nop 0
	scratch_store_dwordx4 off, v[4:7], s4 offset:16 ; 16-byte Folded Spill
	scratch_store_dwordx4 off, v[8:11], s4 offset:32 ; 16-byte Folded Spill
	;; [unrolled: 1-line block ×7, first 2 shown]
	v_mov_b32_e32 v9, v56
	s_movk_i32 s4, 0x1284
	scratch_store_dwordx4 off, v[0:3], s4   ; 16-byte Folded Spill
	s_nop 0
	scratch_store_dwordx4 off, v[4:7], s4 offset:16 ; 16-byte Folded Spill
	scratch_store_dwordx4 off, v[8:11], s4 offset:32 ; 16-byte Folded Spill
	;; [unrolled: 1-line block ×7, first 2 shown]
	v_mov_b32_e32 v10, v57
	s_movk_i32 s4, 0x1084
	scratch_store_dwordx4 off, v[0:3], off offset:3460 ; 16-byte Folded Spill
	s_nop 0
	scratch_store_dwordx4 off, v[4:7], off offset:3476 ; 16-byte Folded Spill
	scratch_store_dwordx4 off, v[8:11], off offset:3492 ; 16-byte Folded Spill
	;; [unrolled: 1-line block ×7, first 2 shown]
	v_mov_b32_e32 v11, v58
	scratch_store_dwordx4 off, v[0:3], s4   ; 16-byte Folded Spill
	s_nop 0
	scratch_store_dwordx4 off, v[4:7], s4 offset:16 ; 16-byte Folded Spill
	scratch_store_dwordx4 off, v[8:11], s4 offset:32 ; 16-byte Folded Spill
	;; [unrolled: 1-line block ×7, first 2 shown]
	v_mov_b32_e32 v12, v59
	s_movk_i32 s4, 0x1604
	scratch_store_dwordx4 off, v[0:3], off offset:2948 ; 16-byte Folded Spill
	s_nop 0
	scratch_store_dwordx4 off, v[4:7], off offset:2964 ; 16-byte Folded Spill
	scratch_store_dwordx4 off, v[8:11], off offset:2980 ; 16-byte Folded Spill
	scratch_store_dwordx4 off, v[12:15], off offset:2996 ; 16-byte Folded Spill
	scratch_store_dwordx4 off, v[16:19], off offset:3012 ; 16-byte Folded Spill
	scratch_store_dwordx4 off, v[20:23], off offset:3028 ; 16-byte Folded Spill
	scratch_store_dwordx4 off, v[24:27], off offset:3044 ; 16-byte Folded Spill
	scratch_store_dwordx4 off, v[28:31], off offset:3060 ; 16-byte Folded Spill
	v_mov_b32_e32 v13, v60
	scratch_store_dwordx4 off, v[0:3], off offset:3332 ; 16-byte Folded Spill
	s_nop 0
	scratch_store_dwordx4 off, v[4:7], off offset:3348 ; 16-byte Folded Spill
	scratch_store_dwordx4 off, v[8:11], off offset:3364 ; 16-byte Folded Spill
	scratch_store_dwordx4 off, v[12:15], off offset:3380 ; 16-byte Folded Spill
	scratch_store_dwordx4 off, v[16:19], off offset:3396 ; 16-byte Folded Spill
	scratch_store_dwordx4 off, v[20:23], off offset:3412 ; 16-byte Folded Spill
	scratch_store_dwordx4 off, v[24:27], off offset:3428 ; 16-byte Folded Spill
	scratch_store_dwordx4 off, v[28:31], off offset:3444 ; 16-byte Folded Spill
	v_mov_b32_e32 v14, v61
	scratch_store_dwordx4 off, v[0:3], off offset:2436 ; 16-byte Folded Spill
	s_nop 0
	scratch_store_dwordx4 off, v[4:7], off offset:2452 ; 16-byte Folded Spill
	scratch_store_dwordx4 off, v[8:11], off offset:2468 ; 16-byte Folded Spill
	scratch_store_dwordx4 off, v[12:15], off offset:2484 ; 16-byte Folded Spill
	scratch_store_dwordx4 off, v[16:19], off offset:2500 ; 16-byte Folded Spill
	scratch_store_dwordx4 off, v[20:23], off offset:2516 ; 16-byte Folded Spill
	scratch_store_dwordx4 off, v[24:27], off offset:2532 ; 16-byte Folded Spill
	scratch_store_dwordx4 off, v[28:31], off offset:2548 ; 16-byte Folded Spill
	v_mov_b32_e32 v15, v62
	scratch_store_dwordx4 off, v[0:3], off offset:3076 ; 16-byte Folded Spill
	s_nop 0
	scratch_store_dwordx4 off, v[4:7], off offset:3092 ; 16-byte Folded Spill
	scratch_store_dwordx4 off, v[8:11], off offset:3108 ; 16-byte Folded Spill
	scratch_store_dwordx4 off, v[12:15], off offset:3124 ; 16-byte Folded Spill
	scratch_store_dwordx4 off, v[16:19], off offset:3140 ; 16-byte Folded Spill
	scratch_store_dwordx4 off, v[20:23], off offset:3156 ; 16-byte Folded Spill
	scratch_store_dwordx4 off, v[24:27], off offset:3172 ; 16-byte Folded Spill
	scratch_store_dwordx4 off, v[28:31], off offset:3188 ; 16-byte Folded Spill
	v_mov_b32_e32 v16, v63
	scratch_store_dwordx4 off, v[0:3], off offset:2308 ; 16-byte Folded Spill
	s_nop 0
	scratch_store_dwordx4 off, v[4:7], off offset:2324 ; 16-byte Folded Spill
	scratch_store_dwordx4 off, v[8:11], off offset:2340 ; 16-byte Folded Spill
	scratch_store_dwordx4 off, v[12:15], off offset:2356 ; 16-byte Folded Spill
	scratch_store_dwordx4 off, v[16:19], off offset:2372 ; 16-byte Folded Spill
	scratch_store_dwordx4 off, v[20:23], off offset:2388 ; 16-byte Folded Spill
	scratch_store_dwordx4 off, v[24:27], off offset:2404 ; 16-byte Folded Spill
	scratch_store_dwordx4 off, v[28:31], off offset:2420 ; 16-byte Folded Spill
	v_mov_b32_e32 v17, v86
	scratch_store_dwordx4 off, v[0:3], off offset:2820 ; 16-byte Folded Spill
	s_nop 0
	scratch_store_dwordx4 off, v[4:7], off offset:2836 ; 16-byte Folded Spill
	scratch_store_dwordx4 off, v[8:11], off offset:2852 ; 16-byte Folded Spill
	scratch_store_dwordx4 off, v[12:15], off offset:2868 ; 16-byte Folded Spill
	scratch_store_dwordx4 off, v[16:19], off offset:2884 ; 16-byte Folded Spill
	scratch_store_dwordx4 off, v[20:23], off offset:2900 ; 16-byte Folded Spill
	scratch_store_dwordx4 off, v[24:27], off offset:2916 ; 16-byte Folded Spill
	scratch_store_dwordx4 off, v[28:31], off offset:2932 ; 16-byte Folded Spill
	v_mov_b32_e32 v18, v87
	scratch_store_dwordx4 off, v[0:3], off offset:2180 ; 16-byte Folded Spill
	s_nop 0
	scratch_store_dwordx4 off, v[4:7], off offset:2196 ; 16-byte Folded Spill
	scratch_store_dwordx4 off, v[8:11], off offset:2212 ; 16-byte Folded Spill
	scratch_store_dwordx4 off, v[12:15], off offset:2228 ; 16-byte Folded Spill
	scratch_store_dwordx4 off, v[16:19], off offset:2244 ; 16-byte Folded Spill
	scratch_store_dwordx4 off, v[20:23], off offset:2260 ; 16-byte Folded Spill
	scratch_store_dwordx4 off, v[24:27], off offset:2276 ; 16-byte Folded Spill
	scratch_store_dwordx4 off, v[28:31], off offset:2292 ; 16-byte Folded Spill
	v_mov_b32_e32 v19, v88
	scratch_store_dwordx4 off, v[0:3], off offset:2692 ; 16-byte Folded Spill
	s_nop 0
	scratch_store_dwordx4 off, v[4:7], off offset:2708 ; 16-byte Folded Spill
	scratch_store_dwordx4 off, v[8:11], off offset:2724 ; 16-byte Folded Spill
	scratch_store_dwordx4 off, v[12:15], off offset:2740 ; 16-byte Folded Spill
	scratch_store_dwordx4 off, v[16:19], off offset:2756 ; 16-byte Folded Spill
	scratch_store_dwordx4 off, v[20:23], off offset:2772 ; 16-byte Folded Spill
	scratch_store_dwordx4 off, v[24:27], off offset:2788 ; 16-byte Folded Spill
	scratch_store_dwordx4 off, v[28:31], off offset:2804 ; 16-byte Folded Spill
	v_mov_b32_e32 v20, v89
	v_mov_b32_e32 v21, v90
	v_mov_b32_e32 v155, v26
	;; [unrolled: 1-line block ×7, first 2 shown]
	scratch_store_dwordx4 off, v[152:155], off offset:1668 ; 16-byte Folded Spill
	s_nop 0
	scratch_store_dwordx4 off, v[156:159], off offset:1684 ; 16-byte Folded Spill
	scratch_store_dwordx4 off, v[160:163], off offset:1700 ; 16-byte Folded Spill
	;; [unrolled: 1-line block ×8, first 2 shown]
	s_nop 0
	scratch_store_dwordx4 off, v[4:7], off offset:2580 ; 16-byte Folded Spill
	scratch_store_dwordx4 off, v[8:11], off offset:2596 ; 16-byte Folded Spill
	;; [unrolled: 1-line block ×7, first 2 shown]
	v_mov_b32_e32 v152, v89
	v_mov_b32_e32 v153, v90
	;; [unrolled: 1-line block ×30, first 2 shown]
	scratch_store_dwordx4 off, v[132:135], off offset:1540 ; 16-byte Folded Spill
	s_nop 0
	scratch_store_dwordx4 off, v[136:139], off offset:1556 ; 16-byte Folded Spill
	scratch_store_dwordx4 off, v[140:143], off offset:1572 ; 16-byte Folded Spill
	;; [unrolled: 1-line block ×8, first 2 shown]
	s_nop 0
	scratch_store_dwordx4 off, v[4:7], off offset:1940 ; 16-byte Folded Spill
	scratch_store_dwordx4 off, v[8:11], off offset:1956 ; 16-byte Folded Spill
	;; [unrolled: 1-line block ×7, first 2 shown]
	v_mov_b32_e32 v156, v64
	v_mov_b32_e32 v24, v93
	;; [unrolled: 1-line block ×4, first 2 shown]
	scratch_store_dwordx4 off, v[0:3], off offset:900 ; 16-byte Folded Spill
	s_nop 0
	scratch_store_dwordx4 off, v[4:7], off offset:916 ; 16-byte Folded Spill
	scratch_store_dwordx4 off, v[8:11], off offset:932 ; 16-byte Folded Spill
	;; [unrolled: 1-line block ×7, first 2 shown]
	s_nop 0
	v_mov_b32_e32 v25, v94
	scratch_store_dwordx4 off, v[0:3], off offset:1796 ; 16-byte Folded Spill
	s_nop 0
	scratch_store_dwordx4 off, v[4:7], off offset:1812 ; 16-byte Folded Spill
	scratch_store_dwordx4 off, v[8:11], off offset:1828 ; 16-byte Folded Spill
	;; [unrolled: 1-line block ×7, first 2 shown]
	v_mov_b32_e32 v99, v26
	v_mov_b32_e32 v100, v27
	;; [unrolled: 1-line block ×12, first 2 shown]
	scratch_store_dwordx4 off, v[96:99], off offset:1156 ; 16-byte Folded Spill
	s_nop 0
	scratch_store_dwordx4 off, v[100:103], off offset:1172 ; 16-byte Folded Spill
	scratch_store_dwordx4 off, v[104:107], off offset:1188 ; 16-byte Folded Spill
	;; [unrolled: 1-line block ×8, first 2 shown]
	s_nop 0
	scratch_store_dwordx4 off, v[160:163], off offset:20 ; 16-byte Folded Spill
	scratch_store_dwordx4 off, v[164:167], off offset:36 ; 16-byte Folded Spill
	;; [unrolled: 1-line block ×7, first 2 shown]
	scratch_store_dwordx4 off, v[64:67], s4 ; 16-byte Folded Spill
	s_nop 0
	scratch_store_dwordx4 off, v[68:71], s4 offset:16 ; 16-byte Folded Spill
	scratch_store_dwordx4 off, v[72:75], s4 offset:32 ; 16-byte Folded Spill
	;; [unrolled: 1-line block ×7, first 2 shown]
	s_movk_i32 s4, 0x168c
	v_mov_b32_e32 v197, v26
	v_mov_b32_e32 v206, v27
	;; [unrolled: 1-line block ×3, first 2 shown]
	scratch_store_dwordx4 off, v[64:67], s4 ; 16-byte Folded Spill
	s_nop 0
	scratch_store_dwordx4 off, v[68:71], s4 offset:16 ; 16-byte Folded Spill
	scratch_store_dwordx4 off, v[72:75], s4 offset:32 ; 16-byte Folded Spill
	;; [unrolled: 1-line block ×7, first 2 shown]
	scratch_store_dwordx4 off, v[0:3], off offset:2052 ; 16-byte Folded Spill
	s_nop 0
	scratch_store_dwordx4 off, v[4:7], off offset:2068 ; 16-byte Folded Spill
	scratch_store_dwordx4 off, v[8:11], off offset:2084 ; 16-byte Folded Spill
	;; [unrolled: 1-line block ×7, first 2 shown]
	v_mov_b32_e32 v245, v90
	v_mov_b32_e32 v217, v30
	;; [unrolled: 1-line block ×3, first 2 shown]
	scratch_store_dwordx4 off, v[0:3], off offset:132 ; 16-byte Folded Spill
	s_nop 0
	scratch_store_dwordx4 off, v[4:7], off offset:148 ; 16-byte Folded Spill
	scratch_store_dwordx4 off, v[8:11], off offset:164 ; 16-byte Folded Spill
	scratch_store_dwordx4 off, v[12:15], off offset:180 ; 16-byte Folded Spill
	scratch_store_dwordx4 off, v[16:19], off offset:196 ; 16-byte Folded Spill
	scratch_store_dwordx4 off, v[20:23], off offset:212 ; 16-byte Folded Spill
	scratch_store_dwordx4 off, v[24:27], off offset:228 ; 16-byte Folded Spill
	scratch_store_dwordx4 off, v[28:31], off offset:244 ; 16-byte Folded Spill
	scratch_store_dwordx4 off, v[0:3], off offset:388 ; 16-byte Folded Spill
	s_nop 0
	scratch_store_dwordx4 off, v[4:7], off offset:404 ; 16-byte Folded Spill
	scratch_store_dwordx4 off, v[8:11], off offset:420 ; 16-byte Folded Spill
	scratch_store_dwordx4 off, v[12:15], off offset:436 ; 16-byte Folded Spill
	scratch_store_dwordx4 off, v[16:19], off offset:452 ; 16-byte Folded Spill
	scratch_store_dwordx4 off, v[20:23], off offset:468 ; 16-byte Folded Spill
	scratch_store_dwordx4 off, v[24:27], off offset:484 ; 16-byte Folded Spill
	scratch_store_dwordx4 off, v[28:31], off offset:500 ; 16-byte Folded Spill
	;; [unrolled: 9-line block ×7, first 2 shown]
	v_mov_b32_e32 v97, v92
	v_mov_b32_e32 v235, v94
	;; [unrolled: 1-line block ×3, first 2 shown]
	scratch_store_dwordx4 off, v[0:3], off offset:260 ; 16-byte Folded Spill
	s_nop 0
	scratch_store_dwordx4 off, v[4:7], off offset:276 ; 16-byte Folded Spill
	scratch_store_dwordx4 off, v[8:11], off offset:292 ; 16-byte Folded Spill
	scratch_store_dwordx4 off, v[12:15], off offset:308 ; 16-byte Folded Spill
	scratch_store_dwordx4 off, v[16:19], off offset:324 ; 16-byte Folded Spill
	scratch_store_dwordx4 off, v[20:23], off offset:340 ; 16-byte Folded Spill
	scratch_store_dwordx4 off, v[24:27], off offset:356 ; 16-byte Folded Spill
	scratch_store_dwordx4 off, v[28:31], off offset:372 ; 16-byte Folded Spill
	scratch_store_dwordx4 off, v[0:3], off offset:1284 ; 16-byte Folded Spill
	s_nop 0
	scratch_store_dwordx4 off, v[4:7], off offset:1300 ; 16-byte Folded Spill
	scratch_store_dwordx4 off, v[8:11], off offset:1316 ; 16-byte Folded Spill
	;; [unrolled: 1-line block ×7, first 2 shown]
.LBB57_18:
	s_or_b64 exec, exec, s[2:3]
	v_cmp_eq_u32_e32 vcc, 3, v254
	s_waitcnt vmcnt(63) expcnt(7) lgkmcnt(15)
	s_barrier
	s_and_saveexec_b64 s[2:3], vcc
	s_cbranch_execz .LBB57_21
; %bb.19:
	ds_write_b32 v255, v197
	scratch_load_dwordx4 v[0:3], off, off offset:4 ; 16-byte Folded Reload
	scratch_load_dwordx4 v[4:7], off, off offset:20 ; 16-byte Folded Reload
	;; [unrolled: 1-line block ×8, first 2 shown]
	s_waitcnt vmcnt(6)
	ds_write2_b32 v250, v4, v5 offset0:4 offset1:5
	ds_write2_b32 v250, v6, v7 offset0:6 offset1:7
	s_waitcnt vmcnt(5)
	ds_write2_b32 v250, v8, v9 offset0:8 offset1:9
	ds_write2_b32 v250, v10, v11 offset0:10 offset1:11
	;; [unrolled: 3-line block ×6, first 2 shown]
	ds_write_b32 v250, v247 offset:112
	ds_read_b32 v26, v255
	s_waitcnt lgkmcnt(0)
	v_cmp_neq_f32_e32 vcc, 0, v26
	s_and_b64 exec, exec, vcc
	s_cbranch_execz .LBB57_21
; %bb.20:
	v_div_scale_f32 v27, s[4:5], v26, v26, 1.0
	s_waitcnt vmcnt(0)
	v_rcp_f32_e32 v28, v27
	v_div_scale_f32 v29, vcc, 1.0, v26, 1.0
	v_fma_f32 v30, -v27, v28, 1.0
	v_fmac_f32_e32 v28, v30, v28
	v_mul_f32_e32 v30, v29, v28
	v_fma_f32 v31, -v27, v30, v29
	v_fmac_f32_e32 v30, v31, v28
	v_fma_f32 v27, -v27, v30, v29
	v_div_fmas_f32 v27, v27, v28, v30
	v_div_fixup_f32 v26, v27, v26, 1.0
	ds_write_b32 v255, v26
.LBB57_21:
	s_or_b64 exec, exec, s[2:3]
	s_waitcnt lgkmcnt(0)
	s_barrier
	ds_read_b32 v0, v255
	v_cmp_lt_u32_e32 vcc, 3, v254
	s_waitcnt lgkmcnt(0)
	scratch_store_dword off, v0, off offset:3844 ; 4-byte Folded Spill
	s_and_saveexec_b64 s[2:3], vcc
	s_cbranch_execz .LBB57_23
; %bb.22:
	ds_read2_b32 v[2:3], v250 offset0:4 offset1:5
	ds_read2_b32 v[4:5], v250 offset0:6 offset1:7
	;; [unrolled: 1-line block ×3, first 2 shown]
	scratch_load_dword v0, off, off offset:3844 ; 4-byte Folded Reload
	ds_read2_b32 v[8:9], v250 offset0:10 offset1:11
	scratch_load_dwordx4 v[10:13], off, off offset:4 ; 16-byte Folded Reload
	scratch_load_dwordx4 v[14:17], off, off offset:20 ; 16-byte Folded Reload
	;; [unrolled: 1-line block ×8, first 2 shown]
	s_movk_i32 s4, 0x168c
	s_waitcnt vmcnt(3)
	v_mov_b64_e32 v[10:11], v[14:15]
	v_mul_f32_e32 v0, v197, v0
	s_waitcnt lgkmcnt(3)
	v_pk_fma_f32 v[182:183], v[0:1], v[2:3], v[10:11] op_sel_hi:[0,1,1] neg_lo:[1,0,0] neg_hi:[1,0,0]
	ds_read2_b32 v[2:3], v250 offset0:12 offset1:13
	v_mov_b64_e32 v[12:13], v[16:17]
	v_mov_b64_e32 v[14:15], v[18:19]
	;; [unrolled: 1-line block ×7, first 2 shown]
	s_waitcnt lgkmcnt(3)
	v_pk_fma_f32 v[50:51], v[0:1], v[4:5], v[12:13] op_sel_hi:[0,1,1] neg_lo:[1,0,0] neg_hi:[1,0,0]
	s_waitcnt lgkmcnt(2)
	v_pk_fma_f32 v[56:57], v[0:1], v[6:7], v[14:15] op_sel_hi:[0,1,1] neg_lo:[1,0,0] neg_hi:[1,0,0]
	;; [unrolled: 2-line block ×3, first 2 shown]
	ds_read2_b32 v[4:5], v250 offset0:14 offset1:15
	ds_read2_b32 v[6:7], v250 offset0:16 offset1:17
	;; [unrolled: 1-line block ×3, first 2 shown]
	s_waitcnt lgkmcnt(3)
	v_pk_fma_f32 v[204:205], v[0:1], v[2:3], v[18:19] op_sel_hi:[0,1,1] neg_lo:[1,0,0] neg_hi:[1,0,0]
	ds_read2_b32 v[2:3], v250 offset0:20 offset1:21
	ds_read2_b32 v[10:11], v250 offset0:22 offset1:23
	;; [unrolled: 1-line block ×4, first 2 shown]
	s_waitcnt vmcnt(1)
	v_mov_b64_e32 v[26:27], v[30:31]
	v_mov_b64_e32 v[28:29], v[32:33]
	;; [unrolled: 1-line block ×4, first 2 shown]
	s_waitcnt lgkmcnt(6)
	v_pk_fma_f32 v[16:17], v[0:1], v[4:5], v[20:21] op_sel_hi:[0,1,1] neg_lo:[1,0,0] neg_hi:[1,0,0]
	s_waitcnt lgkmcnt(5)
	v_pk_fma_f32 v[100:101], v[0:1], v[6:7], v[22:23] op_sel_hi:[0,1,1] neg_lo:[1,0,0] neg_hi:[1,0,0]
	;; [unrolled: 2-line block ×7, first 2 shown]
	scratch_load_dwordx4 v[18:21], off, s4  ; 16-byte Folded Reload
	scratch_load_dwordx4 v[22:25], off, s4 offset:16 ; 16-byte Folded Reload
	scratch_load_dwordx4 v[26:29], off, s4 offset:32 ; 16-byte Folded Reload
	;; [unrolled: 1-line block ×7, first 2 shown]
	v_mov_b32_e32 v5, v0
	v_mov_b32_e32 v6, v182
	v_mov_b32_e32 v7, v183
	s_movk_i32 s4, 0x1484
	v_mov_b64_e32 v[146:147], v[100:101]
	v_mov_b32_e32 v181, v0
	v_mov_b32_e32 v153, v0
	;; [unrolled: 1-line block ×31, first 2 shown]
	s_waitcnt vmcnt(7)
	v_mov_b32_e32 v188, v20
	v_mov_b32_e32 v187, v19
	v_mov_b32_e32 v186, v18
	v_mov_b32_e32 v2, v186
	v_mov_b32_e32 v3, v187
	v_mov_b32_e32 v4, v188
	scratch_store_dwordx4 off, v[2:5], s4   ; 16-byte Folded Spill
	s_nop 0
	scratch_store_dwordx4 off, v[6:9], s4 offset:16 ; 16-byte Folded Spill
	scratch_store_dwordx4 off, v[10:13], s4 offset:32 ; 16-byte Folded Spill
	;; [unrolled: 1-line block ×4, first 2 shown]
	s_waitcnt vmcnt(11)
	scratch_store_dwordx4 off, v[22:25], s4 offset:80 ; 16-byte Folded Spill
	s_waitcnt vmcnt(11)
	scratch_store_dwordx4 off, v[26:29], s4 offset:96 ; 16-byte Folded Spill
	;; [unrolled: 2-line block ×3, first 2 shown]
	v_mov_b64_e32 v[8:9], v[50:51]
	s_movk_i32 s4, 0x1384
	v_mov_b32_e32 v178, v186
	v_mov_b32_e32 v179, v187
	;; [unrolled: 1-line block ×18, first 2 shown]
	v_mov_b64_e32 v[24:25], v[8:9]
	v_mov_b64_e32 v[22:23], v[6:7]
	;; [unrolled: 1-line block ×4, first 2 shown]
	scratch_store_dwordx4 off, v[2:5], s4   ; 16-byte Folded Spill
	s_nop 0
	scratch_store_dwordx4 off, v[6:9], s4 offset:16 ; 16-byte Folded Spill
	scratch_store_dwordx4 off, v[10:13], s4 offset:32 ; 16-byte Folded Spill
	;; [unrolled: 1-line block ×7, first 2 shown]
	v_mov_b64_e32 v[10:11], v[56:57]
	s_movk_i32 s4, 0x1284
	v_mov_b64_e32 v[82:83], v[10:11]
	v_mov_b64_e32 v[80:81], v[8:9]
	;; [unrolled: 1-line block ×5, first 2 shown]
	scratch_store_dwordx4 off, v[2:5], s4   ; 16-byte Folded Spill
	s_nop 0
	scratch_store_dwordx4 off, v[6:9], s4 offset:16 ; 16-byte Folded Spill
	scratch_store_dwordx4 off, v[10:13], s4 offset:32 ; 16-byte Folded Spill
	;; [unrolled: 1-line block ×7, first 2 shown]
	v_mov_b32_e32 v12, v216
	v_mov_b32_e32 v13, v217
	s_movk_i32 s4, 0x1084
	v_mov_b32_e32 v214, v82
	v_mov_b32_e32 v215, v83
	;; [unrolled: 1-line block ×10, first 2 shown]
	scratch_store_dwordx4 off, v[2:5], s4   ; 16-byte Folded Spill
	s_nop 0
	scratch_store_dwordx4 off, v[6:9], s4 offset:16 ; 16-byte Folded Spill
	scratch_store_dwordx4 off, v[10:13], s4 offset:32 ; 16-byte Folded Spill
	;; [unrolled: 1-line block ×7, first 2 shown]
	v_mov_b32_e32 v14, v204
	v_mov_b32_e32 v15, v205
	s_movk_i32 s4, 0x1604
	v_mov_b32_e32 v198, v24
	v_mov_b32_e32 v199, v25
	scratch_store_dwordx4 off, v[2:5], off offset:3332 ; 16-byte Folded Spill
	s_nop 0
	scratch_store_dwordx4 off, v[6:9], off offset:3348 ; 16-byte Folded Spill
	scratch_store_dwordx4 off, v[10:13], off offset:3364 ; 16-byte Folded Spill
	;; [unrolled: 1-line block ×7, first 2 shown]
	v_mov_b32_e32 v18, v186
	v_mov_b32_e32 v19, v187
	;; [unrolled: 1-line block ×12, first 2 shown]
	v_mov_b64_e32 v[122:123], v[8:9]
	v_mov_b32_e32 v24, v122
	v_mov_b32_e32 v25, v123
	v_mov_b32_e32 v32, v16
	v_mov_b32_e32 v33, v17
	scratch_store_dwordx4 off, v[18:21], off offset:3076 ; 16-byte Folded Spill
	s_nop 0
	scratch_store_dwordx4 off, v[22:25], off offset:3092 ; 16-byte Folded Spill
	scratch_store_dwordx4 off, v[26:29], off offset:3108 ; 16-byte Folded Spill
	;; [unrolled: 1-line block ×3, first 2 shown]
	s_waitcnt vmcnt(47)
	scratch_store_dwordx4 off, v[34:37], off offset:3140 ; 16-byte Folded Spill
	s_waitcnt vmcnt(47)
	scratch_store_dwordx4 off, v[38:41], off offset:3156 ; 16-byte Folded Spill
	;; [unrolled: 2-line block ×4, first 2 shown]
	v_mov_b32_e32 v18, v186
	v_mov_b32_e32 v19, v187
	v_mov_b32_e32 v20, v188
	v_mov_b32_e32 v21, v0
	v_mov_b32_e32 v22, v182
	v_mov_b32_e32 v23, v183
	v_mov_b32_e32 v24, v122
	v_mov_b32_e32 v34, v146
	v_mov_b32_e32 v35, v147
	v_mov_b64_e32 v[164:165], v[8:9]
	v_mov_b64_e32 v[232:233], v[16:17]
	;; [unrolled: 1-line block ×5, first 2 shown]
	v_mov_b32_e32 v156, v164
	v_mov_b32_e32 v157, v165
	;; [unrolled: 1-line block ×8, first 2 shown]
	v_mov_b64_e32 v[72:73], v[8:9]
	v_mov_b64_e32 v[120:121], v[6:7]
	;; [unrolled: 1-line block ×17, first 2 shown]
	scratch_store_dwordx4 off, v[18:21], off offset:2820 ; 16-byte Folded Spill
	s_nop 0
	scratch_store_dwordx4 off, v[22:25], off offset:2836 ; 16-byte Folded Spill
	scratch_store_dwordx4 off, v[26:29], off offset:2852 ; 16-byte Folded Spill
	;; [unrolled: 1-line block ×7, first 2 shown]
	v_mov_b64_e32 v[36:37], v[54:55]
	v_mov_b64_e32 v[8:9], v[212:213]
	;; [unrolled: 1-line block ×4, first 2 shown]
	v_mov_b32_e32 v215, v0
	v_mov_b32_e32 v211, v0
	;; [unrolled: 1-line block ×22, first 2 shown]
	v_mov_b64_e32 v[54:55], v[32:33]
	v_mov_b64_e32 v[48:49], v[26:27]
	;; [unrolled: 1-line block ×10, first 2 shown]
	scratch_store_dwordx4 off, v[18:21], off offset:2692 ; 16-byte Folded Spill
	s_nop 0
	scratch_store_dwordx4 off, v[22:25], off offset:2708 ; 16-byte Folded Spill
	scratch_store_dwordx4 off, v[26:29], off offset:2724 ; 16-byte Folded Spill
	;; [unrolled: 1-line block ×7, first 2 shown]
	v_mov_b32_e32 v38, v104
	v_mov_b32_e32 v39, v105
	;; [unrolled: 1-line block ×6, first 2 shown]
	scratch_store_dwordx4 off, v[18:21], off offset:2564 ; 16-byte Folded Spill
	s_nop 0
	scratch_store_dwordx4 off, v[22:25], off offset:2580 ; 16-byte Folded Spill
	scratch_store_dwordx4 off, v[26:29], off offset:2596 ; 16-byte Folded Spill
	;; [unrolled: 1-line block ×7, first 2 shown]
	v_mov_b32_e32 v40, v128
	v_mov_b32_e32 v41, v129
	v_mov_b64_e32 v[56:57], v[32:33]
	v_mov_b64_e32 v[60:61], v[36:37]
	;; [unrolled: 1-line block ×9, first 2 shown]
	v_mov_b32_e32 v24, v164
	v_mov_b32_e32 v25, v165
	v_mov_b32_e32 v32, v232
	v_mov_b32_e32 v33, v233
	v_mov_b64_e32 v[58:59], v[34:35]
	scratch_store_dwordx4 off, v[18:21], off offset:1924 ; 16-byte Folded Spill
	s_nop 0
	scratch_store_dwordx4 off, v[22:25], off offset:1940 ; 16-byte Folded Spill
	scratch_store_dwordx4 off, v[26:29], off offset:1956 ; 16-byte Folded Spill
	;; [unrolled: 1-line block ×7, first 2 shown]
	v_mov_b32_e32 v164, v232
	v_mov_b32_e32 v165, v233
	v_mov_b32_e32 v168, v60
	v_mov_b32_e32 v169, v61
	scratch_store_dwordx4 off, v[150:153], off offset:900 ; 16-byte Folded Spill
	s_nop 0
	scratch_store_dwordx4 off, v[154:157], off offset:916 ; 16-byte Folded Spill
	scratch_store_dwordx4 off, v[158:161], off offset:932 ; 16-byte Folded Spill
	;; [unrolled: 1-line block ×7, first 2 shown]
	ds_read_b32 v1, v250 offset:112
	v_mov_b64_e32 v[64:65], v[60:61]
	v_mov_b32_e32 v155, v0
	v_mov_b64_e32 v[62:63], v[58:59]
	v_mov_b32_e32 v152, v186
	s_waitcnt lgkmcnt(0)
	v_fma_f32 v236, -v0, v1, v247
	v_mov_b64_e32 v[0:1], v[2:3]
	v_mov_b64_e32 v[2:3], v[4:5]
	;; [unrolled: 1-line block ×6, first 2 shown]
	v_mov_b32_e32 v162, v10
	v_mov_b32_e32 v163, v11
	;; [unrolled: 1-line block ×22, first 2 shown]
	v_mov_b64_e32 v[60:61], v[56:57]
	v_mov_b64_e32 v[58:59], v[54:55]
	;; [unrolled: 1-line block ×14, first 2 shown]
	scratch_load_dwordx4 v[0:3], off, off offset:900 ; 16-byte Folded Reload
	scratch_load_dwordx4 v[4:7], off, off offset:916 ; 16-byte Folded Reload
	;; [unrolled: 1-line block ×8, first 2 shown]
	s_waitcnt vmcnt(1)
	v_mov_b32_e32 v176, v24
	v_mov_b32_e32 v177, v25
	scratch_store_dwordx4 off, v[152:155], off offset:1796 ; 16-byte Folded Spill
	s_nop 0
	scratch_store_dwordx4 off, v[156:159], off offset:1812 ; 16-byte Folded Spill
	scratch_store_dwordx4 off, v[160:163], off offset:1828 ; 16-byte Folded Spill
	;; [unrolled: 1-line block ×8, first 2 shown]
	s_nop 0
	scratch_store_dwordx4 off, v[38:41], off offset:3476 ; 16-byte Folded Spill
	scratch_store_dwordx4 off, v[42:45], off offset:3492 ; 16-byte Folded Spill
	;; [unrolled: 1-line block ×7, first 2 shown]
	v_mov_b64_e32 v[176:177], v[238:239]
	scratch_store_dwordx4 off, v[218:221], off offset:2436 ; 16-byte Folded Spill
	s_nop 0
	scratch_store_dwordx4 off, v[222:225], off offset:2452 ; 16-byte Folded Spill
	scratch_store_dwordx4 off, v[226:229], off offset:2468 ; 16-byte Folded Spill
	;; [unrolled: 1-line block ×7, first 2 shown]
	v_mov_b32_e32 v153, v215
	v_mov_b32_e32 v152, v188
	;; [unrolled: 1-line block ×31, first 2 shown]
	scratch_store_dwordx4 off, v[150:153], off offset:1156 ; 16-byte Folded Spill
	s_nop 0
	scratch_store_dwordx4 off, v[154:157], off offset:1172 ; 16-byte Folded Spill
	scratch_store_dwordx4 off, v[158:161], off offset:1188 ; 16-byte Folded Spill
	;; [unrolled: 1-line block ×7, first 2 shown]
	scratch_load_dwordx4 v[130:133], off, off offset:3460 ; 16-byte Folded Reload
	s_nop 0
	scratch_load_dwordx4 v[134:137], off, off offset:3476 ; 16-byte Folded Reload
	scratch_load_dwordx4 v[138:141], off, off offset:3492 ; 16-byte Folded Reload
	;; [unrolled: 1-line block ×7, first 2 shown]
	v_mov_b32_e32 v226, v64
	v_mov_b32_e32 v227, v65
	;; [unrolled: 1-line block ×6, first 2 shown]
	s_waitcnt vmcnt(5)
	v_mov_b32_e32 v218, v140
	v_mov_b32_e32 v219, v141
	scratch_load_dwordx4 v[130:133], off, off offset:2436 ; 16-byte Folded Reload
	scratch_load_dwordx4 v[134:137], off, off offset:2452 ; 16-byte Folded Reload
	;; [unrolled: 1-line block ×8, first 2 shown]
	s_waitcnt vmcnt(3)
	v_mov_b64_e32 v[148:149], v[100:101]
	scratch_store_dwordx4 off, v[46:49], off offset:2180 ; 16-byte Folded Spill
	s_nop 0
	scratch_store_dwordx4 off, v[50:53], off offset:2196 ; 16-byte Folded Spill
	scratch_store_dwordx4 off, v[54:57], off offset:2212 ; 16-byte Folded Spill
	;; [unrolled: 1-line block ×7, first 2 shown]
	v_mov_b32_e32 v224, v148
	v_mov_b32_e32 v225, v149
	s_waitcnt vmcnt(8)
	v_mov_b64_e32 v[164:165], v[144:145]
	v_mov_b64_e32 v[162:163], v[142:143]
	;; [unrolled: 1-line block ×7, first 2 shown]
	v_mov_b32_e32 v222, v164
	v_mov_b32_e32 v223, v165
	v_mov_b64_e32 v[166:167], v[144:145]
	v_mov_b64_e32 v[150:151], v[130:131]
	;; [unrolled: 1-line block ×17, first 2 shown]
	scratch_store_dwordx4 off, v[84:87], off offset:1668 ; 16-byte Folded Spill
	s_nop 0
	scratch_store_dwordx4 off, v[88:91], off offset:1684 ; 16-byte Folded Spill
	scratch_store_dwordx4 off, v[92:95], off offset:1700 ; 16-byte Folded Spill
	;; [unrolled: 1-line block ×7, first 2 shown]
	scratch_load_dwordx4 v[0:3], off, off offset:1156 ; 16-byte Folded Reload
	scratch_load_dwordx4 v[4:7], off, off offset:1172 ; 16-byte Folded Reload
	;; [unrolled: 1-line block ×8, first 2 shown]
	s_nop 0
	scratch_store_dwordx4 off, v[186:189], s4 ; 16-byte Folded Spill
	s_nop 0
	scratch_store_dwordx4 off, v[190:193], s4 offset:16 ; 16-byte Folded Spill
	scratch_store_dwordx4 off, v[194:197], s4 offset:32 ; 16-byte Folded Spill
	;; [unrolled: 1-line block ×7, first 2 shown]
	s_movk_i32 s4, 0x1584
	v_mov_b64_e32 v[130:131], v[128:129]
	v_mov_b64_e32 v[84:85], v[82:83]
	;; [unrolled: 1-line block ×16, first 2 shown]
	s_waitcnt vmcnt(9)
	v_mov_b64_e32 v[52:53], v[26:27]
	v_mov_b32_e32 v234, v52
	v_mov_b32_e32 v235, v53
	v_mov_b64_e32 v[216:217], v[218:219]
	v_mov_b64_e32 v[218:219], v[220:221]
	v_mov_b64_e32 v[220:221], v[222:223]
	v_mov_b64_e32 v[222:223], v[224:225]
	v_mov_b64_e32 v[224:225], v[226:227]
	v_mov_b64_e32 v[226:227], v[228:229]
	v_mov_b64_e32 v[228:229], v[230:231]
	v_mov_b64_e32 v[230:231], v[232:233]
	v_mov_b64_e32 v[232:233], v[234:235]
	v_mov_b32_e32 v234, v236
	scratch_store_dwordx4 off, v[206:209], off offset:4 ; 16-byte Folded Spill
	s_nop 0
	scratch_store_dwordx4 off, v[210:213], off offset:20 ; 16-byte Folded Spill
	scratch_store_dwordx4 off, v[214:217], off offset:36 ; 16-byte Folded Spill
	;; [unrolled: 1-line block ×7, first 2 shown]
	v_mov_b64_e32 v[50:51], v[24:25]
	v_mov_b64_e32 v[48:49], v[22:23]
	;; [unrolled: 1-line block ×5, first 2 shown]
	s_waitcnt vmcnt(16)
	v_mov_b64_e32 v[40:41], v[14:15]
	v_mov_b64_e32 v[38:39], v[12:13]
	;; [unrolled: 1-line block ×24, first 2 shown]
	v_mov_b32_e32 v206, v182
	v_mov_b64_e32 v[20:21], v[68:69]
	v_mov_b64_e32 v[22:23], v[70:71]
	v_mov_b32_e32 v26, v24
	scratch_store_dwordx4 off, v[178:181], s4 ; 16-byte Folded Spill
	s_nop 0
	scratch_store_dwordx4 off, v[182:185], s4 offset:16 ; 16-byte Folded Spill
	scratch_store_dwordx4 off, v[186:189], s4 offset:32 ; 16-byte Folded Spill
	;; [unrolled: 1-line block ×7, first 2 shown]
	scratch_store_dwordx4 off, v[20:23], off offset:2052 ; 16-byte Folded Spill
	s_nop 0
	scratch_store_dwordx4 off, v[24:27], off offset:2068 ; 16-byte Folded Spill
	scratch_store_dwordx4 off, v[28:31], off offset:2084 ; 16-byte Folded Spill
	;; [unrolled: 1-line block ×7, first 2 shown]
	s_movk_i32 s4, 0x1404
	scratch_store_dwordx4 off, v[18:21], s4 ; 16-byte Folded Spill
	s_nop 0
	scratch_store_dwordx4 off, v[22:25], s4 offset:16 ; 16-byte Folded Spill
	scratch_store_dwordx4 off, v[26:29], s4 offset:32 ; 16-byte Folded Spill
	;; [unrolled: 1-line block ×7, first 2 shown]
	s_movk_i32 s4, 0x1204
	v_mov_b64_e32 v[118:119], v[116:117]
	v_mov_b64_e32 v[116:117], v[114:115]
	;; [unrolled: 1-line block ×6, first 2 shown]
	v_mov_b32_e32 v214, v84
	scratch_store_dwordx4 off, v[76:79], s4 ; 16-byte Folded Spill
	s_nop 0
	scratch_store_dwordx4 off, v[80:83], s4 offset:16 ; 16-byte Folded Spill
	scratch_store_dwordx4 off, v[84:87], s4 offset:32 ; 16-byte Folded Spill
	;; [unrolled: 1-line block ×7, first 2 shown]
	v_mov_b32_e32 v207, v183
	v_mov_b32_e32 v210, v204
	v_mov_b64_e32 v[90:91], v[124:125]
	v_mov_b64_e32 v[96:97], v[130:131]
	;; [unrolled: 1-line block ×4, first 2 shown]
	v_mov_b32_e32 v246, v55
	v_mov_b32_e32 v247, v236
	;; [unrolled: 1-line block ×4, first 2 shown]
	scratch_load_dwordx4 v[56:59], off, off offset:3460 ; 16-byte Folded Reload
	scratch_load_dwordx4 v[60:63], off, off offset:3476 ; 16-byte Folded Reload
	;; [unrolled: 1-line block ×8, first 2 shown]
	s_waitcnt vmcnt(5)
	v_mov_b64_e32 v[0:1], v[56:57]
	v_mov_b64_e32 v[2:3], v[58:59]
	;; [unrolled: 1-line block ×6, first 2 shown]
	v_mov_b32_e32 v212, v10
	v_mov_b32_e32 v211, v11
	v_mov_b64_e32 v[2:3], v[152:153]
	v_mov_b64_e32 v[16:17], v[166:167]
	;; [unrolled: 1-line block ×8, first 2 shown]
	v_mov_b32_e32 v18, v16
	scratch_store_dwordx4 off, v[192:195], off offset:2948 ; 16-byte Folded Spill
	s_nop 0
	scratch_store_dwordx4 off, v[196:199], off offset:2964 ; 16-byte Folded Spill
	scratch_store_dwordx4 off, v[200:203], off offset:2980 ; 16-byte Folded Spill
	scratch_store_dwordx4 off, v[204:207], off offset:2996 ; 16-byte Folded Spill
	scratch_store_dwordx4 off, v[208:211], off offset:3012 ; 16-byte Folded Spill
	scratch_store_dwordx4 off, v[212:215], off offset:3028 ; 16-byte Folded Spill
	scratch_store_dwordx4 off, v[216:219], off offset:3044 ; 16-byte Folded Spill
	scratch_store_dwordx4 off, v[220:223], off offset:3060 ; 16-byte Folded Spill
	scratch_store_dwordx4 off, v[4:7], off offset:132 ; 16-byte Folded Spill
	s_nop 0
	scratch_store_dwordx4 off, v[8:11], off offset:148 ; 16-byte Folded Spill
	scratch_store_dwordx4 off, v[12:15], off offset:164 ; 16-byte Folded Spill
	scratch_store_dwordx4 off, v[16:19], off offset:180 ; 16-byte Folded Spill
	scratch_store_dwordx4 off, v[20:23], off offset:196 ; 16-byte Folded Spill
	scratch_store_dwordx4 off, v[24:27], off offset:212 ; 16-byte Folded Spill
	scratch_store_dwordx4 off, v[28:31], off offset:228 ; 16-byte Folded Spill
	scratch_store_dwordx4 off, v[32:35], off offset:244 ; 16-byte Folded Spill
	;; [unrolled: 9-line block ×3, first 2 shown]
	v_mov_b32_e32 v16, v148
	scratch_store_dwordx4 off, v[0:3], off offset:1412 ; 16-byte Folded Spill
	s_nop 0
	scratch_store_dwordx4 off, v[4:7], off offset:1428 ; 16-byte Folded Spill
	scratch_store_dwordx4 off, v[8:11], off offset:1444 ; 16-byte Folded Spill
	scratch_store_dwordx4 off, v[12:15], off offset:1460 ; 16-byte Folded Spill
	scratch_store_dwordx4 off, v[16:19], off offset:1476 ; 16-byte Folded Spill
	scratch_store_dwordx4 off, v[20:23], off offset:1492 ; 16-byte Folded Spill
	scratch_store_dwordx4 off, v[24:27], off offset:1508 ; 16-byte Folded Spill
	scratch_store_dwordx4 off, v[28:31], off offset:1524 ; 16-byte Folded Spill
	scratch_store_dwordx4 off, v[132:135], off offset:2308 ; 16-byte Folded Spill
	s_nop 0
	scratch_store_dwordx4 off, v[136:139], off offset:2324 ; 16-byte Folded Spill
	scratch_store_dwordx4 off, v[140:143], off offset:2340 ; 16-byte Folded Spill
	scratch_store_dwordx4 off, v[144:147], off offset:2356 ; 16-byte Folded Spill
	scratch_store_dwordx4 off, v[148:151], off offset:2372 ; 16-byte Folded Spill
	scratch_store_dwordx4 off, v[152:155], off offset:2388 ; 16-byte Folded Spill
	scratch_store_dwordx4 off, v[156:159], off offset:2404 ; 16-byte Folded Spill
	scratch_store_dwordx4 off, v[160:163], off offset:2420 ; 16-byte Folded Spill
	;; [unrolled: 9-line block ×3, first 2 shown]
	scratch_load_dwordx4 v[152:155], off, off offset:2180 ; 16-byte Folded Reload
	s_nop 0
	scratch_load_dwordx4 v[156:159], off, off offset:2196 ; 16-byte Folded Reload
	scratch_load_dwordx4 v[160:163], off, off offset:2212 ; 16-byte Folded Reload
	;; [unrolled: 1-line block ×7, first 2 shown]
	v_mov_b32_e32 v209, v205
	s_waitcnt vmcnt(3)
	v_mov_b32_e32 v18, v170
	v_mov_b32_e32 v75, v171
	scratch_store_dwordx4 off, v[0:3], off offset:772 ; 16-byte Folded Spill
	s_nop 0
	scratch_store_dwordx4 off, v[4:7], off offset:788 ; 16-byte Folded Spill
	scratch_store_dwordx4 off, v[8:11], off offset:804 ; 16-byte Folded Spill
	;; [unrolled: 1-line block ×8, first 2 shown]
	s_nop 0
	scratch_store_dwordx4 off, v[60:63], off offset:1044 ; 16-byte Folded Spill
	scratch_store_dwordx4 off, v[64:67], off offset:1060 ; 16-byte Folded Spill
	;; [unrolled: 1-line block ×7, first 2 shown]
	scratch_load_dwordx4 v[56:59], off, off offset:1668 ; 16-byte Folded Reload
	s_nop 0
	scratch_load_dwordx4 v[60:63], off, off offset:1684 ; 16-byte Folded Reload
	scratch_load_dwordx4 v[64:67], off, off offset:1700 ; 16-byte Folded Reload
	scratch_load_dwordx4 v[68:71], off, off offset:1716 ; 16-byte Folded Reload
	scratch_load_dwordx4 v[72:75], off, off offset:1732 ; 16-byte Folded Reload
	scratch_load_dwordx4 v[76:79], off, off offset:1748 ; 16-byte Folded Reload
	scratch_load_dwordx4 v[80:83], off, off offset:1764 ; 16-byte Folded Reload
	scratch_load_dwordx4 v[84:87], off, off offset:1780 ; 16-byte Folded Reload
	s_waitcnt vmcnt(24)
	v_mov_b32_e32 v180, v54
	v_mov_b32_e32 v179, v53
	v_mov_b32_e32 v178, v52
	v_mov_b32_e32 v177, v51
	v_mov_b32_e32 v176, v50
	v_mov_b32_e32 v175, v49
	v_mov_b32_e32 v174, v48
	v_mov_b32_e32 v173, v47
	v_mov_b32_e32 v172, v46
	v_mov_b32_e32 v171, v45
	v_mov_b32_e32 v170, v44
	s_waitcnt vmcnt(2)
	v_mov_b64_e32 v[106:107], v[76:77]
	v_mov_b32_e32 v20, v106
	scratch_store_dwordx4 off, v[0:3], off offset:644 ; 16-byte Folded Spill
	s_nop 0
	scratch_store_dwordx4 off, v[4:7], off offset:660 ; 16-byte Folded Spill
	scratch_store_dwordx4 off, v[8:11], off offset:676 ; 16-byte Folded Spill
	;; [unrolled: 1-line block ×7, first 2 shown]
	v_mov_b32_e32 v22, v96
	scratch_store_dwordx4 off, v[0:3], off offset:260 ; 16-byte Folded Spill
	s_nop 0
	scratch_store_dwordx4 off, v[4:7], off offset:276 ; 16-byte Folded Spill
	scratch_store_dwordx4 off, v[8:11], off offset:292 ; 16-byte Folded Spill
	;; [unrolled: 1-line block ×8, first 2 shown]
	s_nop 0
	scratch_store_dwordx4 off, v[112:115], off offset:1556 ; 16-byte Folded Spill
	scratch_store_dwordx4 off, v[116:119], off offset:1572 ; 16-byte Folded Spill
	;; [unrolled: 1-line block ×7, first 2 shown]
	scratch_load_dwordx4 v[0:3], off, off offset:900 ; 16-byte Folded Reload
	scratch_load_dwordx4 v[4:7], off, off offset:916 ; 16-byte Folded Reload
	;; [unrolled: 1-line block ×8, first 2 shown]
	v_mov_b64_e32 v[104:105], v[74:75]
	v_mov_b64_e32 v[102:103], v[72:73]
	v_mov_b32_e32 v245, v107
	s_waitcnt vmcnt(1)
	v_mov_b64_e32 v[80:81], v[24:25]
	v_mov_b32_e32 v235, v81
	v_mov_b64_e32 v[78:79], v[22:23]
	v_mov_b64_e32 v[76:77], v[20:21]
	;; [unrolled: 1-line block ×4, first 2 shown]
	scratch_store_dwordx4 off, v[0:3], off offset:1284 ; 16-byte Folded Spill
	s_nop 0
	scratch_store_dwordx4 off, v[4:7], off offset:1300 ; 16-byte Folded Spill
	scratch_store_dwordx4 off, v[8:11], off offset:1316 ; 16-byte Folded Spill
	;; [unrolled: 1-line block ×6, first 2 shown]
	s_waitcnt vmcnt(7)
	scratch_store_dwordx4 off, v[28:31], off offset:1396 ; 16-byte Folded Spill
.LBB57_23:
	s_or_b64 exec, exec, s[2:3]
	v_cmp_eq_u32_e32 vcc, 4, v254
	s_waitcnt vmcnt(63) expcnt(7) lgkmcnt(15)
	s_barrier
	s_and_saveexec_b64 s[2:3], vcc
	s_cbranch_execz .LBB57_26
; %bb.24:
	ds_write_b32 v255, v206
	scratch_load_dwordx4 v[0:3], off, off offset:4 ; 16-byte Folded Reload
	scratch_load_dwordx4 v[4:7], off, off offset:20 ; 16-byte Folded Reload
	;; [unrolled: 1-line block ×8, first 2 shown]
	s_waitcnt vmcnt(6)
	ds_write2_b32 v250, v5, v6 offset0:5 offset1:6
	s_waitcnt vmcnt(5)
	ds_write2_b32 v250, v7, v8 offset0:7 offset1:8
	ds_write2_b32 v250, v9, v10 offset0:9 offset1:10
	s_waitcnt vmcnt(4)
	ds_write2_b32 v250, v11, v12 offset0:11 offset1:12
	;; [unrolled: 3-line block ×6, first 2 shown]
	ds_read_b32 v26, v255
	s_waitcnt lgkmcnt(0)
	v_cmp_neq_f32_e32 vcc, 0, v26
	s_and_b64 exec, exec, vcc
	s_cbranch_execz .LBB57_26
; %bb.25:
	v_div_scale_f32 v27, s[4:5], v26, v26, 1.0
	v_rcp_f32_e32 v28, v27
	v_div_scale_f32 v29, vcc, 1.0, v26, 1.0
	v_fma_f32 v30, -v27, v28, 1.0
	v_fmac_f32_e32 v28, v30, v28
	v_mul_f32_e32 v30, v29, v28
	v_fma_f32 v31, -v27, v30, v29
	v_fmac_f32_e32 v30, v31, v28
	v_fma_f32 v27, -v27, v30, v29
	v_div_fmas_f32 v27, v27, v28, v30
	v_div_fixup_f32 v26, v27, v26, 1.0
	ds_write_b32 v255, v26
.LBB57_26:
	s_or_b64 exec, exec, s[2:3]
	s_waitcnt lgkmcnt(0)
	s_barrier
	ds_read_b32 v0, v255
	v_cmp_lt_u32_e32 vcc, 4, v254
	s_waitcnt lgkmcnt(0)
	scratch_store_dword off, v0, off offset:3972 ; 4-byte Folded Spill
	s_and_saveexec_b64 s[2:3], vcc
	s_cbranch_execz .LBB57_28
; %bb.27:
	scratch_load_dword v0, off, off offset:3972 ; 4-byte Folded Reload
	s_movk_i32 s4, 0x1604
	scratch_load_dwordx4 v[64:67], off, s4  ; 16-byte Folded Reload
	scratch_load_dwordx4 v[68:71], off, s4 offset:16 ; 16-byte Folded Reload
	scratch_load_dwordx4 v[72:75], off, s4 offset:32 ; 16-byte Folded Reload
	;; [unrolled: 1-line block ×7, first 2 shown]
	s_movk_i32 s4, 0x1404
	s_waitcnt vmcnt(7)
	v_mov_b32_e32 v152, v64
	v_mov_b32_e32 v153, v65
	;; [unrolled: 1-line block ×5, first 2 shown]
	s_waitcnt vmcnt(6)
	v_mul_f32_e32 v68, v206, v0
	ds_read2_b32 v[0:1], v250 offset0:5 offset1:6
	scratch_load_dwordx4 v[22:25], off, off offset:4 ; 16-byte Folded Reload
	scratch_load_dwordx4 v[26:29], off, off offset:20 ; 16-byte Folded Reload
	;; [unrolled: 1-line block ×8, first 2 shown]
	ds_read2_b32 v[4:5], v250 offset0:7 offset1:8
	ds_read2_b32 v[6:7], v250 offset0:9 offset1:10
	;; [unrolled: 1-line block ×3, first 2 shown]
	v_mov_b32_e32 v156, v68
	v_mov_b32_e32 v133, v65
	;; [unrolled: 1-line block ×5, first 2 shown]
	s_waitcnt vmcnt(8)
	v_mov_b32_e32 v94, v64
	v_mov_b32_e32 v95, v65
	;; [unrolled: 1-line block ×5, first 2 shown]
	s_waitcnt vmcnt(6)
	v_mov_b32_e32 v2, v27
	v_mov_b32_e32 v3, v28
	s_waitcnt lgkmcnt(3)
	v_pk_fma_f32 v[26:27], v[68:69], v[0:1], v[2:3] op_sel_hi:[0,1,1] neg_lo:[1,0,0] neg_hi:[1,0,0]
	v_mov_b32_e32 v0, v29
	s_waitcnt vmcnt(5)
	v_mov_b32_e32 v1, v30
	s_waitcnt lgkmcnt(2)
	v_pk_fma_f32 v[28:29], v[68:69], v[4:5], v[0:1] op_sel_hi:[0,1,1] neg_lo:[1,0,0] neg_hi:[1,0,0]
	v_mov_b32_e32 v0, v31
	v_mov_b32_e32 v1, v32
	s_waitcnt lgkmcnt(1)
	v_pk_fma_f32 v[30:31], v[68:69], v[6:7], v[0:1] op_sel_hi:[0,1,1] neg_lo:[1,0,0] neg_hi:[1,0,0]
	v_mov_b32_e32 v0, v33
	s_waitcnt vmcnt(4)
	v_mov_b32_e32 v1, v34
	s_waitcnt lgkmcnt(0)
	v_pk_fma_f32 v[56:57], v[68:69], v[8:9], v[0:1] op_sel_hi:[0,1,1] neg_lo:[1,0,0] neg_hi:[1,0,0]
	ds_read2_b32 v[0:1], v250 offset0:13 offset1:14
	ds_read2_b32 v[4:5], v250 offset0:15 offset1:16
	;; [unrolled: 1-line block ×4, first 2 shown]
	v_mov_b32_e32 v2, v35
	v_mov_b32_e32 v3, v36
	;; [unrolled: 1-line block ×3, first 2 shown]
	s_waitcnt lgkmcnt(3)
	v_pk_fma_f32 v[58:59], v[68:69], v[0:1], v[2:3] op_sel_hi:[0,1,1] neg_lo:[1,0,0] neg_hi:[1,0,0]
	v_mov_b32_e32 v0, v37
	s_waitcnt vmcnt(3)
	v_mov_b32_e32 v1, v38
	s_waitcnt lgkmcnt(2)
	v_pk_fma_f32 v[60:61], v[68:69], v[4:5], v[0:1] op_sel_hi:[0,1,1] neg_lo:[1,0,0] neg_hi:[1,0,0]
	v_mov_b32_e32 v0, v39
	v_mov_b32_e32 v1, v40
	s_waitcnt lgkmcnt(1)
	v_pk_fma_f32 v[62:63], v[68:69], v[6:7], v[0:1] op_sel_hi:[0,1,1] neg_lo:[1,0,0] neg_hi:[1,0,0]
	v_mov_b32_e32 v0, v41
	s_waitcnt vmcnt(2)
	v_mov_b32_e32 v1, v42
	s_waitcnt lgkmcnt(0)
	v_pk_fma_f32 v[86:87], v[68:69], v[8:9], v[0:1] op_sel_hi:[0,1,1] neg_lo:[1,0,0] neg_hi:[1,0,0]
	ds_read2_b32 v[0:1], v250 offset0:21 offset1:22
	ds_read2_b32 v[4:5], v250 offset0:23 offset1:24
	;; [unrolled: 1-line block ×4, first 2 shown]
	v_mov_b32_e32 v2, v43
	v_mov_b32_e32 v3, v44
	;; [unrolled: 1-line block ×3, first 2 shown]
	s_waitcnt lgkmcnt(3)
	v_pk_fma_f32 v[88:89], v[68:69], v[0:1], v[2:3] op_sel_hi:[0,1,1] neg_lo:[1,0,0] neg_hi:[1,0,0]
	v_mov_b32_e32 v0, v45
	s_waitcnt vmcnt(1)
	v_mov_b32_e32 v1, v46
	s_waitcnt lgkmcnt(2)
	v_pk_fma_f32 v[90:91], v[68:69], v[4:5], v[0:1] op_sel_hi:[0,1,1] neg_lo:[1,0,0] neg_hi:[1,0,0]
	v_mov_b32_e32 v0, v47
	v_mov_b32_e32 v1, v48
	s_waitcnt lgkmcnt(1)
	v_pk_fma_f32 v[92:93], v[68:69], v[6:7], v[0:1] op_sel_hi:[0,1,1] neg_lo:[1,0,0] neg_hi:[1,0,0]
	v_mov_b32_e32 v0, v49
	s_waitcnt vmcnt(0)
	v_mov_b32_e32 v1, v50
	s_waitcnt lgkmcnt(0)
	v_pk_fma_f32 v[246:247], v[68:69], v[8:9], v[0:1] op_sel_hi:[0,1,1] neg_lo:[1,0,0] neg_hi:[1,0,0]
	v_mov_b32_e32 v0, v64
	v_mov_b32_e32 v1, v65
	;; [unrolled: 1-line block ×8, first 2 shown]
	scratch_store_dwordx4 off, v[0:3], s4   ; 16-byte Folded Spill
	s_nop 0
	scratch_store_dwordx4 off, v[4:7], s4 offset:16 ; 16-byte Folded Spill
	scratch_store_dwordx4 off, v[8:11], s4 offset:32 ; 16-byte Folded Spill
	;; [unrolled: 1-line block ×7, first 2 shown]
	s_movk_i32 s4, 0x1384
	v_mov_b32_e32 v165, v58
	v_mov_b32_e32 v166, v59
	;; [unrolled: 1-line block ×38, first 2 shown]
	scratch_store_dwordx4 off, v[0:3], s4   ; 16-byte Folded Spill
	s_nop 0
	scratch_store_dwordx4 off, v[4:7], s4 offset:16 ; 16-byte Folded Spill
	scratch_store_dwordx4 off, v[8:11], s4 offset:32 ; 16-byte Folded Spill
	scratch_store_dwordx4 off, v[12:15], s4 offset:48 ; 16-byte Folded Spill
	scratch_store_dwordx4 off, v[16:19], s4 offset:64 ; 16-byte Folded Spill
	scratch_store_dwordx4 off, v[20:23], s4 offset:80 ; 16-byte Folded Spill
	scratch_store_dwordx4 off, v[24:27], s4 offset:96 ; 16-byte Folded Spill
	scratch_store_dwordx4 off, v[28:31], s4 offset:112 ; 16-byte Folded Spill
	s_movk_i32 s4, 0x1204
	v_mov_b32_e32 v8, v29
	scratch_store_dwordx4 off, v[0:3], s4   ; 16-byte Folded Spill
	s_nop 0
	scratch_store_dwordx4 off, v[4:7], s4 offset:16 ; 16-byte Folded Spill
	scratch_store_dwordx4 off, v[8:11], s4 offset:32 ; 16-byte Folded Spill
	scratch_store_dwordx4 off, v[12:15], s4 offset:48 ; 16-byte Folded Spill
	scratch_store_dwordx4 off, v[16:19], s4 offset:64 ; 16-byte Folded Spill
	scratch_store_dwordx4 off, v[20:23], s4 offset:80 ; 16-byte Folded Spill
	scratch_store_dwordx4 off, v[24:27], s4 offset:96 ; 16-byte Folded Spill
	scratch_store_dwordx4 off, v[28:31], s4 offset:112 ; 16-byte Folded Spill
	s_movk_i32 s4, 0x1284
	v_mov_b32_e32 v9, v30
	scratch_store_dwordx4 off, v[0:3], s4   ; 16-byte Folded Spill
	s_nop 0
	scratch_store_dwordx4 off, v[4:7], s4 offset:16 ; 16-byte Folded Spill
	scratch_store_dwordx4 off, v[8:11], s4 offset:32 ; 16-byte Folded Spill
	scratch_store_dwordx4 off, v[12:15], s4 offset:48 ; 16-byte Folded Spill
	scratch_store_dwordx4 off, v[16:19], s4 offset:64 ; 16-byte Folded Spill
	scratch_store_dwordx4 off, v[20:23], s4 offset:80 ; 16-byte Folded Spill
	scratch_store_dwordx4 off, v[24:27], s4 offset:96 ; 16-byte Folded Spill
	scratch_store_dwordx4 off, v[28:31], s4 offset:112 ; 16-byte Folded Spill
	s_movk_i32 s4, 0x1084
	v_mov_b32_e32 v10, v31
	scratch_store_dwordx4 off, v[0:3], off offset:3460 ; 16-byte Folded Spill
	s_nop 0
	scratch_store_dwordx4 off, v[4:7], off offset:3476 ; 16-byte Folded Spill
	scratch_store_dwordx4 off, v[8:11], off offset:3492 ; 16-byte Folded Spill
	;; [unrolled: 1-line block ×7, first 2 shown]
	v_mov_b32_e32 v11, v56
	scratch_store_dwordx4 off, v[0:3], s4   ; 16-byte Folded Spill
	s_nop 0
	scratch_store_dwordx4 off, v[4:7], s4 offset:16 ; 16-byte Folded Spill
	scratch_store_dwordx4 off, v[8:11], s4 offset:32 ; 16-byte Folded Spill
	;; [unrolled: 1-line block ×7, first 2 shown]
	v_mov_b32_e32 v12, v57
	s_movk_i32 s4, 0x1484
	scratch_store_dwordx4 off, v[0:3], off offset:2948 ; 16-byte Folded Spill
	s_nop 0
	scratch_store_dwordx4 off, v[4:7], off offset:2964 ; 16-byte Folded Spill
	scratch_store_dwordx4 off, v[8:11], off offset:2980 ; 16-byte Folded Spill
	scratch_store_dwordx4 off, v[12:15], off offset:2996 ; 16-byte Folded Spill
	scratch_store_dwordx4 off, v[16:19], off offset:3012 ; 16-byte Folded Spill
	scratch_store_dwordx4 off, v[20:23], off offset:3028 ; 16-byte Folded Spill
	scratch_store_dwordx4 off, v[24:27], off offset:3044 ; 16-byte Folded Spill
	scratch_store_dwordx4 off, v[28:31], off offset:3060 ; 16-byte Folded Spill
	v_mov_b32_e32 v13, v58
	scratch_store_dwordx4 off, v[0:3], off offset:3332 ; 16-byte Folded Spill
	s_nop 0
	scratch_store_dwordx4 off, v[4:7], off offset:3348 ; 16-byte Folded Spill
	scratch_store_dwordx4 off, v[8:11], off offset:3364 ; 16-byte Folded Spill
	scratch_store_dwordx4 off, v[12:15], off offset:3380 ; 16-byte Folded Spill
	scratch_store_dwordx4 off, v[16:19], off offset:3396 ; 16-byte Folded Spill
	scratch_store_dwordx4 off, v[20:23], off offset:3412 ; 16-byte Folded Spill
	scratch_store_dwordx4 off, v[24:27], off offset:3428 ; 16-byte Folded Spill
	scratch_store_dwordx4 off, v[28:31], off offset:3444 ; 16-byte Folded Spill
	v_mov_b32_e32 v14, v59
	;; [unrolled: 10-line block ×8, first 2 shown]
	v_mov_b32_e32 v21, v88
	v_mov_b32_e32 v157, v26
	;; [unrolled: 1-line block ×7, first 2 shown]
	scratch_store_dwordx4 off, v[152:155], off offset:1668 ; 16-byte Folded Spill
	s_nop 0
	scratch_store_dwordx4 off, v[156:159], off offset:1684 ; 16-byte Folded Spill
	scratch_store_dwordx4 off, v[160:163], off offset:1700 ; 16-byte Folded Spill
	;; [unrolled: 1-line block ×8, first 2 shown]
	s_nop 0
	scratch_store_dwordx4 off, v[4:7], off offset:2580 ; 16-byte Folded Spill
	scratch_store_dwordx4 off, v[8:11], off offset:2596 ; 16-byte Folded Spill
	scratch_store_dwordx4 off, v[12:15], off offset:2612 ; 16-byte Folded Spill
	scratch_store_dwordx4 off, v[16:19], off offset:2628 ; 16-byte Folded Spill
	scratch_store_dwordx4 off, v[20:23], off offset:2644 ; 16-byte Folded Spill
	scratch_store_dwordx4 off, v[24:27], off offset:2660 ; 16-byte Folded Spill
	scratch_store_dwordx4 off, v[28:31], off offset:2676 ; 16-byte Folded Spill
	v_mov_b32_e32 v152, v87
	v_mov_b32_e32 v153, v88
	;; [unrolled: 1-line block ×28, first 2 shown]
	scratch_store_dwordx4 off, v[132:135], off offset:1540 ; 16-byte Folded Spill
	s_nop 0
	scratch_store_dwordx4 off, v[136:139], off offset:1556 ; 16-byte Folded Spill
	scratch_store_dwordx4 off, v[140:143], off offset:1572 ; 16-byte Folded Spill
	;; [unrolled: 1-line block ×8, first 2 shown]
	s_nop 0
	scratch_store_dwordx4 off, v[4:7], off offset:1940 ; 16-byte Folded Spill
	scratch_store_dwordx4 off, v[8:11], off offset:1956 ; 16-byte Folded Spill
	;; [unrolled: 1-line block ×7, first 2 shown]
	v_mov_b32_e32 v156, v64
	v_mov_b32_e32 v24, v91
	;; [unrolled: 1-line block ×6, first 2 shown]
	scratch_store_dwordx4 off, v[0:3], off offset:900 ; 16-byte Folded Spill
	s_nop 0
	scratch_store_dwordx4 off, v[4:7], off offset:916 ; 16-byte Folded Spill
	scratch_store_dwordx4 off, v[8:11], off offset:932 ; 16-byte Folded Spill
	;; [unrolled: 1-line block ×7, first 2 shown]
	s_nop 0
	v_mov_b32_e32 v25, v92
	scratch_store_dwordx4 off, v[0:3], off offset:1796 ; 16-byte Folded Spill
	s_nop 0
	scratch_store_dwordx4 off, v[4:7], off offset:1812 ; 16-byte Folded Spill
	scratch_store_dwordx4 off, v[8:11], off offset:1828 ; 16-byte Folded Spill
	;; [unrolled: 1-line block ×7, first 2 shown]
	v_mov_b32_e32 v99, v26
	v_mov_b32_e32 v100, v27
	;; [unrolled: 1-line block ×6, first 2 shown]
	scratch_store_dwordx4 off, v[94:97], off offset:1156 ; 16-byte Folded Spill
	s_nop 0
	scratch_store_dwordx4 off, v[98:101], off offset:1172 ; 16-byte Folded Spill
	scratch_store_dwordx4 off, v[102:105], off offset:1188 ; 16-byte Folded Spill
	;; [unrolled: 1-line block ×7, first 2 shown]
	v_mov_b32_e32 v161, v26
	v_mov_b32_e32 v162, v27
	;; [unrolled: 1-line block ×6, first 2 shown]
	scratch_store_dwordx4 off, v[156:159], off offset:4 ; 16-byte Folded Spill
	s_nop 0
	scratch_store_dwordx4 off, v[160:163], off offset:20 ; 16-byte Folded Spill
	scratch_store_dwordx4 off, v[164:167], off offset:36 ; 16-byte Folded Spill
	;; [unrolled: 1-line block ×7, first 2 shown]
	v_mov_b32_e32 v207, v26
	scratch_store_dwordx4 off, v[64:67], s4 ; 16-byte Folded Spill
	s_nop 0
	scratch_store_dwordx4 off, v[68:71], s4 offset:16 ; 16-byte Folded Spill
	scratch_store_dwordx4 off, v[72:75], s4 offset:32 ; 16-byte Folded Spill
	;; [unrolled: 1-line block ×7, first 2 shown]
	s_movk_i32 s4, 0x1584
	scratch_store_dwordx4 off, v[64:67], s4 ; 16-byte Folded Spill
	s_nop 0
	scratch_store_dwordx4 off, v[68:71], s4 offset:16 ; 16-byte Folded Spill
	scratch_store_dwordx4 off, v[72:75], s4 offset:32 ; 16-byte Folded Spill
	scratch_store_dwordx4 off, v[76:79], s4 offset:48 ; 16-byte Folded Spill
	scratch_store_dwordx4 off, v[80:83], s4 offset:64 ; 16-byte Folded Spill
	scratch_store_dwordx4 off, v[84:87], s4 offset:80 ; 16-byte Folded Spill
	scratch_store_dwordx4 off, v[88:91], s4 offset:96 ; 16-byte Folded Spill
	scratch_store_dwordx4 off, v[92:95], s4 offset:112 ; 16-byte Folded Spill
	scratch_store_dwordx4 off, v[0:3], off offset:2052 ; 16-byte Folded Spill
	s_nop 0
	scratch_store_dwordx4 off, v[4:7], off offset:2068 ; 16-byte Folded Spill
	scratch_store_dwordx4 off, v[8:11], off offset:2084 ; 16-byte Folded Spill
	;; [unrolled: 1-line block ×7, first 2 shown]
	v_mov_b32_e32 v245, v88
	v_mov_b32_e32 v217, v28
	v_mov_b32_e32 v214, v29
	v_mov_b32_e32 v213, v30
	v_mov_b32_e32 v212, v31
	scratch_store_dwordx4 off, v[0:3], off offset:132 ; 16-byte Folded Spill
	s_nop 0
	scratch_store_dwordx4 off, v[4:7], off offset:148 ; 16-byte Folded Spill
	scratch_store_dwordx4 off, v[8:11], off offset:164 ; 16-byte Folded Spill
	scratch_store_dwordx4 off, v[12:15], off offset:180 ; 16-byte Folded Spill
	scratch_store_dwordx4 off, v[16:19], off offset:196 ; 16-byte Folded Spill
	scratch_store_dwordx4 off, v[20:23], off offset:212 ; 16-byte Folded Spill
	scratch_store_dwordx4 off, v[24:27], off offset:228 ; 16-byte Folded Spill
	scratch_store_dwordx4 off, v[28:31], off offset:244 ; 16-byte Folded Spill
	scratch_store_dwordx4 off, v[0:3], off offset:388 ; 16-byte Folded Spill
	s_nop 0
	scratch_store_dwordx4 off, v[4:7], off offset:404 ; 16-byte Folded Spill
	scratch_store_dwordx4 off, v[8:11], off offset:420 ; 16-byte Folded Spill
	scratch_store_dwordx4 off, v[12:15], off offset:436 ; 16-byte Folded Spill
	scratch_store_dwordx4 off, v[16:19], off offset:452 ; 16-byte Folded Spill
	scratch_store_dwordx4 off, v[20:23], off offset:468 ; 16-byte Folded Spill
	scratch_store_dwordx4 off, v[24:27], off offset:484 ; 16-byte Folded Spill
	scratch_store_dwordx4 off, v[28:31], off offset:500 ; 16-byte Folded Spill
	;; [unrolled: 9-line block ×7, first 2 shown]
	v_mov_b32_e32 v97, v90
	v_mov_b32_e32 v235, v92
	;; [unrolled: 1-line block ×3, first 2 shown]
	scratch_store_dwordx4 off, v[0:3], off offset:260 ; 16-byte Folded Spill
	s_nop 0
	scratch_store_dwordx4 off, v[4:7], off offset:276 ; 16-byte Folded Spill
	scratch_store_dwordx4 off, v[8:11], off offset:292 ; 16-byte Folded Spill
	;; [unrolled: 1-line block ×8, first 2 shown]
	s_nop 0
	scratch_store_dwordx4 off, v[4:7], off offset:1300 ; 16-byte Folded Spill
	scratch_store_dwordx4 off, v[8:11], off offset:1316 ; 16-byte Folded Spill
	;; [unrolled: 1-line block ×7, first 2 shown]
.LBB57_28:
	s_or_b64 exec, exec, s[2:3]
	v_cmp_eq_u32_e32 vcc, 5, v254
	s_waitcnt vmcnt(63) expcnt(7) lgkmcnt(15)
	s_barrier
	s_and_saveexec_b64 s[2:3], vcc
	s_cbranch_execz .LBB57_31
; %bb.29:
	ds_write_b32 v255, v207
	scratch_load_dwordx4 v[0:3], off, off offset:4 ; 16-byte Folded Reload
	scratch_load_dwordx4 v[4:7], off, off offset:20 ; 16-byte Folded Reload
	;; [unrolled: 1-line block ×8, first 2 shown]
	s_waitcnt vmcnt(6)
	ds_write2_b32 v250, v6, v7 offset0:6 offset1:7
	s_waitcnt vmcnt(5)
	ds_write2_b32 v250, v8, v9 offset0:8 offset1:9
	ds_write2_b32 v250, v10, v11 offset0:10 offset1:11
	s_waitcnt vmcnt(4)
	ds_write2_b32 v250, v12, v13 offset0:12 offset1:13
	;; [unrolled: 3-line block ×5, first 2 shown]
	ds_write2_b32 v250, v26, v27 offset0:26 offset1:27
	ds_write_b32 v250, v247 offset:112
	ds_read_b32 v26, v255
	s_waitcnt lgkmcnt(0)
	v_cmp_neq_f32_e32 vcc, 0, v26
	s_and_b64 exec, exec, vcc
	s_cbranch_execz .LBB57_31
; %bb.30:
	v_div_scale_f32 v27, s[4:5], v26, v26, 1.0
	s_waitcnt vmcnt(0)
	v_rcp_f32_e32 v28, v27
	v_div_scale_f32 v29, vcc, 1.0, v26, 1.0
	v_fma_f32 v30, -v27, v28, 1.0
	v_fmac_f32_e32 v28, v30, v28
	v_mul_f32_e32 v30, v29, v28
	v_fma_f32 v31, -v27, v30, v29
	v_fmac_f32_e32 v30, v31, v28
	v_fma_f32 v27, -v27, v30, v29
	v_div_fmas_f32 v27, v27, v28, v30
	v_div_fixup_f32 v26, v27, v26, 1.0
	ds_write_b32 v255, v26
.LBB57_31:
	s_or_b64 exec, exec, s[2:3]
	s_waitcnt lgkmcnt(0)
	s_barrier
	ds_read_b32 v0, v255
	s_movk_i32 s2, 0x1004
	v_cmp_lt_u32_e32 vcc, 5, v254
	s_waitcnt lgkmcnt(0)
	scratch_store_dword off, v0, s2         ; 4-byte Folded Spill
	s_mov_b64 s[2:3], exec
	s_and_b64 s[4:5], s[2:3], vcc
	v_mov_b32_e32 v244, v254
	s_mov_b64 exec, s[4:5]
	s_cbranch_execz .LBB57_33
; %bb.32:
	s_movk_i32 s4, 0x1004
	ds_read2_b32 v[2:3], v250 offset0:6 offset1:7
	ds_read2_b32 v[4:5], v250 offset0:8 offset1:9
	;; [unrolled: 1-line block ×3, first 2 shown]
	scratch_load_dword v0, off, s4          ; 4-byte Folded Reload
	ds_read2_b32 v[8:9], v250 offset0:12 offset1:13
	scratch_load_dwordx4 v[10:13], off, off offset:4 ; 16-byte Folded Reload
	scratch_load_dwordx4 v[14:17], off, off offset:20 ; 16-byte Folded Reload
	;; [unrolled: 1-line block ×8, first 2 shown]
	s_movk_i32 s4, 0x1584
	s_waitcnt vmcnt(2)
	v_mov_b64_e32 v[10:11], v[16:17]
	v_mul_f32_e32 v0, v207, v0
	s_waitcnt lgkmcnt(3)
	v_pk_fma_f32 v[216:217], v[0:1], v[2:3], v[10:11] op_sel_hi:[0,1,1] neg_lo:[1,0,0] neg_hi:[1,0,0]
	ds_read2_b32 v[2:3], v250 offset0:14 offset1:15
	v_mov_b64_e32 v[12:13], v[18:19]
	v_mov_b64_e32 v[14:15], v[20:21]
	v_mov_b64_e32 v[16:17], v[22:23]
	v_mov_b64_e32 v[18:19], v[24:25]
	v_mov_b64_e32 v[20:21], v[26:27]
	v_mov_b64_e32 v[22:23], v[28:29]
	v_mov_b64_e32 v[24:25], v[30:31]
	s_waitcnt lgkmcnt(3)
	v_pk_fma_f32 v[62:63], v[0:1], v[4:5], v[12:13] op_sel_hi:[0,1,1] neg_lo:[1,0,0] neg_hi:[1,0,0]
	s_waitcnt lgkmcnt(2)
	v_pk_fma_f32 v[14:15], v[0:1], v[6:7], v[14:15] op_sel_hi:[0,1,1] neg_lo:[1,0,0] neg_hi:[1,0,0]
	;; [unrolled: 2-line block ×3, first 2 shown]
	ds_read2_b32 v[4:5], v250 offset0:16 offset1:17
	ds_read2_b32 v[6:7], v250 offset0:18 offset1:19
	;; [unrolled: 1-line block ×3, first 2 shown]
	s_waitcnt lgkmcnt(3)
	v_pk_fma_f32 v[16:17], v[0:1], v[2:3], v[18:19] op_sel_hi:[0,1,1] neg_lo:[1,0,0] neg_hi:[1,0,0]
	ds_read2_b32 v[2:3], v250 offset0:22 offset1:23
	ds_read2_b32 v[10:11], v250 offset0:24 offset1:25
	;; [unrolled: 1-line block ×3, first 2 shown]
	ds_read_b32 v1, v250 offset:112
	s_waitcnt vmcnt(1)
	v_mov_b64_e32 v[26:27], v[32:33]
	v_mov_b64_e32 v[28:29], v[34:35]
	;; [unrolled: 1-line block ×4, first 2 shown]
	s_waitcnt lgkmcnt(0)
	v_pk_fma_f32 v[84:85], v[0:1], v[4:5], v[20:21] op_sel_hi:[0,1,1] neg_lo:[1,0,0] neg_hi:[1,0,0]
	v_pk_fma_f32 v[52:53], v[0:1], v[6:7], v[22:23] op_sel_hi:[0,1,1] neg_lo:[1,0,0] neg_hi:[1,0,0]
	;; [unrolled: 1-line block ×6, first 2 shown]
	scratch_load_dwordx4 v[18:21], off, s4  ; 16-byte Folded Reload
	scratch_load_dwordx4 v[22:25], off, s4 offset:16 ; 16-byte Folded Reload
	scratch_load_dwordx4 v[26:29], off, s4 offset:32 ; 16-byte Folded Reload
	;; [unrolled: 1-line block ×7, first 2 shown]
	s_waitcnt vmcnt(6)
	v_mov_b32_e32 v23, v0
	v_mov_b32_e32 v7, v0
	;; [unrolled: 1-line block ×4, first 2 shown]
	s_movk_i32 s4, 0x1384
	v_mov_b64_e32 v[144:145], v[84:85]
	v_mov_b64_e32 v[146:147], v[144:145]
	v_mov_b32_e32 v155, v0
	v_mov_b32_e32 v156, v216
	;; [unrolled: 1-line block ×21, first 2 shown]
	scratch_store_dwordx4 off, v[2:5], s4   ; 16-byte Folded Spill
	s_nop 0
	scratch_store_dwordx4 off, v[6:9], s4 offset:16 ; 16-byte Folded Spill
	scratch_store_dwordx4 off, v[10:13], s4 offset:32 ; 16-byte Folded Spill
	;; [unrolled: 1-line block ×5, first 2 shown]
	s_waitcnt vmcnt(11)
	scratch_store_dwordx4 off, v[26:29], s4 offset:96 ; 16-byte Folded Spill
	s_waitcnt vmcnt(11)
	scratch_store_dwordx4 off, v[30:33], s4 offset:112 ; 16-byte Folded Spill
	v_mov_b64_e32 v[10:11], v[62:63]
	s_movk_i32 s4, 0x1284
	v_mov_b64_e32 v[70:71], v[10:11]
	v_mov_b64_e32 v[68:69], v[8:9]
	;; [unrolled: 1-line block ×5, first 2 shown]
	scratch_store_dwordx4 off, v[2:5], s4   ; 16-byte Folded Spill
	s_nop 0
	scratch_store_dwordx4 off, v[6:9], s4 offset:16 ; 16-byte Folded Spill
	scratch_store_dwordx4 off, v[10:13], s4 offset:32 ; 16-byte Folded Spill
	;; [unrolled: 1-line block ×7, first 2 shown]
	s_movk_i32 s4, 0x1084
	v_mov_b32_e32 v158, v70
	v_mov_b32_e32 v159, v71
	;; [unrolled: 1-line block ×4, first 2 shown]
	v_mov_b64_e32 v[12:13], v[14:15]
	v_mov_b64_e32 v[82:83], v[12:13]
	v_mov_b64_e32 v[80:81], v[10:11]
	v_mov_b64_e32 v[78:79], v[8:9]
	v_mov_b64_e32 v[76:77], v[6:7]
	v_mov_b64_e32 v[74:75], v[4:5]
	v_mov_b64_e32 v[72:73], v[2:3]
	scratch_store_dwordx4 off, v[2:5], s4   ; 16-byte Folded Spill
	s_nop 0
	scratch_store_dwordx4 off, v[6:9], s4 offset:16 ; 16-byte Folded Spill
	scratch_store_dwordx4 off, v[10:13], s4 offset:32 ; 16-byte Folded Spill
	;; [unrolled: 1-line block ×7, first 2 shown]
	v_mov_b32_e32 v14, v162
	v_mov_b32_e32 v15, v163
	;; [unrolled: 1-line block ×6, first 2 shown]
	s_movk_i32 s4, 0x1204
	scratch_store_dwordx4 off, v[2:5], off offset:3332 ; 16-byte Folded Spill
	s_nop 0
	scratch_store_dwordx4 off, v[6:9], off offset:3348 ; 16-byte Folded Spill
	scratch_store_dwordx4 off, v[10:13], off offset:3364 ; 16-byte Folded Spill
	;; [unrolled: 1-line block ×7, first 2 shown]
	v_mov_b32_e32 v24, v216
	v_mov_b32_e32 v25, v217
	;; [unrolled: 1-line block ×9, first 2 shown]
	v_mov_b64_e32 v[60:61], v[22:23]
	v_mov_b32_e32 v32, v16
	v_mov_b32_e32 v33, v17
	v_mov_b64_e32 v[58:59], v[20:21]
	v_mov_b64_e32 v[56:57], v[18:19]
	scratch_store_dwordx4 off, v[18:21], off offset:3076 ; 16-byte Folded Spill
	s_nop 0
	scratch_store_dwordx4 off, v[22:25], off offset:3092 ; 16-byte Folded Spill
	scratch_store_dwordx4 off, v[26:29], off offset:3108 ; 16-byte Folded Spill
	;; [unrolled: 1-line block ×3, first 2 shown]
	s_waitcnt vmcnt(39)
	scratch_store_dwordx4 off, v[34:37], off offset:3140 ; 16-byte Folded Spill
	s_waitcnt vmcnt(39)
	scratch_store_dwordx4 off, v[38:41], off offset:3156 ; 16-byte Folded Spill
	;; [unrolled: 2-line block ×4, first 2 shown]
	v_mov_b32_e32 v34, v144
	v_mov_b32_e32 v35, v145
	;; [unrolled: 1-line block ×14, first 2 shown]
	scratch_store_dwordx4 off, v[18:21], off offset:2820 ; 16-byte Folded Spill
	s_nop 0
	scratch_store_dwordx4 off, v[22:25], off offset:2836 ; 16-byte Folded Spill
	scratch_store_dwordx4 off, v[26:29], off offset:2852 ; 16-byte Folded Spill
	;; [unrolled: 1-line block ×7, first 2 shown]
	v_mov_b64_e32 v[36:37], v[52:53]
	v_mov_b32_e32 v34, v144
	scratch_store_dwordx4 off, v[18:21], off offset:2692 ; 16-byte Folded Spill
	s_nop 0
	scratch_store_dwordx4 off, v[22:25], off offset:2708 ; 16-byte Folded Spill
	scratch_store_dwordx4 off, v[26:29], off offset:2724 ; 16-byte Folded Spill
	;; [unrolled: 1-line block ×7, first 2 shown]
	v_mov_b64_e32 v[38:39], v[54:55]
	v_mov_b64_e32 v[54:55], v[162:163]
	v_mov_b32_e32 v230, v54
	v_mov_b32_e32 v231, v55
	v_mov_b64_e32 v[98:99], v[32:33]
	v_mov_b64_e32 v[104:105], v[38:39]
	;; [unrolled: 1-line block ×21, first 2 shown]
	scratch_store_dwordx4 off, v[18:21], off offset:2564 ; 16-byte Folded Spill
	s_nop 0
	scratch_store_dwordx4 off, v[22:25], off offset:2580 ; 16-byte Folded Spill
	scratch_store_dwordx4 off, v[26:29], off offset:2596 ; 16-byte Folded Spill
	;; [unrolled: 1-line block ×7, first 2 shown]
	v_mov_b64_e32 v[40:41], v[106:107]
	v_mov_b64_e32 v[52:53], v[12:13]
	;; [unrolled: 1-line block ×6, first 2 shown]
	v_mov_b32_e32 v170, v104
	v_mov_b32_e32 v171, v105
	v_mov_b64_e32 v[50:51], v[10:11]
	v_mov_b32_e32 v168, v194
	v_mov_b32_e32 v169, v195
	v_mov_b64_e32 v[144:145], v[32:33]
	v_mov_b64_e32 v[120:121], v[32:33]
	;; [unrolled: 1-line block ×20, first 2 shown]
	v_mov_b32_e32 v30, v54
	v_mov_b32_e32 v31, v55
	;; [unrolled: 1-line block ×10, first 2 shown]
	scratch_store_dwordx4 off, v[18:21], off offset:1924 ; 16-byte Folded Spill
	s_nop 0
	scratch_store_dwordx4 off, v[22:25], off offset:1940 ; 16-byte Folded Spill
	scratch_store_dwordx4 off, v[26:29], off offset:1956 ; 16-byte Folded Spill
	;; [unrolled: 1-line block ×8, first 2 shown]
	s_nop 0
	scratch_store_dwordx4 off, v[88:91], off offset:1684 ; 16-byte Folded Spill
	scratch_store_dwordx4 off, v[92:95], off offset:1700 ; 16-byte Folded Spill
	;; [unrolled: 1-line block ×7, first 2 shown]
	v_mov_b64_e32 v[36:37], v[16:17]
	v_mov_b64_e32 v[34:35], v[14:15]
	;; [unrolled: 1-line block ×9, first 2 shown]
	v_mov_b32_e32 v172, v128
	v_mov_b32_e32 v173, v129
	v_mov_b64_e32 v[4:5], v[178:179]
	v_mov_b64_e32 v[6:7], v[180:181]
	;; [unrolled: 1-line block ×7, first 2 shown]
	scratch_store_dwordx4 off, v[106:109], off offset:1540 ; 16-byte Folded Spill
	s_nop 0
	scratch_store_dwordx4 off, v[110:113], off offset:1556 ; 16-byte Folded Spill
	scratch_store_dwordx4 off, v[114:117], off offset:1572 ; 16-byte Folded Spill
	;; [unrolled: 1-line block ×8, first 2 shown]
	s_nop 0
	scratch_store_dwordx4 off, v[154:157], off offset:916 ; 16-byte Folded Spill
	scratch_store_dwordx4 off, v[158:161], off offset:932 ; 16-byte Folded Spill
	;; [unrolled: 1-line block ×7, first 2 shown]
	v_mov_b64_e32 v[18:19], v[192:193]
	v_mov_b64_e32 v[168:169], v[52:53]
	;; [unrolled: 1-line block ×3, first 2 shown]
	v_mov_b32_e32 v157, v0
	v_mov_b64_e32 v[160:161], v[44:45]
	v_mov_b64_e32 v[158:159], v[42:43]
	;; [unrolled: 1-line block ×10, first 2 shown]
	scratch_store_dwordx4 off, v[130:133], off offset:2308 ; 16-byte Folded Spill
	s_nop 0
	scratch_store_dwordx4 off, v[134:137], off offset:2324 ; 16-byte Folded Spill
	scratch_store_dwordx4 off, v[138:141], off offset:2340 ; 16-byte Folded Spill
	;; [unrolled: 1-line block ×7, first 2 shown]
	v_mov_b32_e32 v236, v20
	v_mov_b32_e32 v237, v21
	scratch_store_dwordx4 off, v[2:5], off offset:2180 ; 16-byte Folded Spill
	s_nop 0
	scratch_store_dwordx4 off, v[6:9], off offset:2196 ; 16-byte Folded Spill
	scratch_store_dwordx4 off, v[10:13], off offset:2212 ; 16-byte Folded Spill
	;; [unrolled: 1-line block ×7, first 2 shown]
	v_mov_b32_e32 v187, v0
	v_fma_f32 v180, -v0, v1, v247
	scratch_load_dwordx4 v[0:3], off, off offset:1668 ; 16-byte Folded Reload
	scratch_load_dwordx4 v[4:7], off, off offset:1684 ; 16-byte Folded Reload
	;; [unrolled: 1-line block ×8, first 2 shown]
	v_mov_b32_e32 v232, v36
	v_mov_b32_e32 v233, v37
	v_mov_b64_e32 v[166:167], v[50:51]
	v_mov_b64_e32 v[164:165], v[48:49]
	;; [unrolled: 1-line block ×4, first 2 shown]
	v_mov_b32_e32 v182, v56
	v_mov_b32_e32 v183, v57
	;; [unrolled: 1-line block ×9, first 2 shown]
	v_mov_b64_e32 v[176:177], v[54:55]
	v_mov_b32_e32 v154, v58
	v_mov_b32_e32 v155, v59
	v_mov_b32_e32 v156, v60
	v_mov_b64_e32 v[174:175], v[168:169]
	v_mov_b64_e32 v[172:173], v[166:167]
	v_mov_b64_e32 v[170:171], v[164:165]
	v_mov_b64_e32 v[168:169], v[162:163]
	v_mov_b64_e32 v[166:167], v[160:161]
	v_mov_b64_e32 v[164:165], v[158:159]
	v_mov_b32_e32 v158, v216
	v_mov_b32_e32 v159, v217
	s_waitcnt vmcnt(4)
	v_mov_b64_e32 v[146:147], v[14:15]
	v_mov_b64_e32 v[144:145], v[12:13]
	s_waitcnt vmcnt(2)
	v_mov_b64_e32 v[152:153], v[20:21]
	v_mov_b64_e32 v[142:143], v[10:11]
	;; [unrolled: 1-line block ×9, first 2 shown]
	scratch_load_dwordx4 v[0:3], off, off offset:1540 ; 16-byte Folded Reload
	scratch_load_dwordx4 v[4:7], off, off offset:1556 ; 16-byte Folded Reload
	;; [unrolled: 1-line block ×8, first 2 shown]
	v_mov_b32_e32 v238, v152
	v_mov_b32_e32 v239, v153
	;; [unrolled: 1-line block ×4, first 2 shown]
	v_mov_b64_e32 v[138:139], v[60:61]
	v_mov_b32_e32 v152, v56
	v_mov_b32_e32 v153, v57
	v_mov_b64_e32 v[136:137], v[58:59]
	v_mov_b64_e32 v[134:135], v[56:57]
	s_waitcnt vmcnt(4)
	v_mov_b64_e32 v[122:123], v[14:15]
	v_mov_b64_e32 v[120:121], v[12:13]
	s_waitcnt vmcnt(2)
	v_mov_b64_e32 v[130:131], v[22:23]
	v_mov_b64_e32 v[118:119], v[10:11]
	;; [unrolled: 1-line block ×10, first 2 shown]
	scratch_load_dwordx4 v[0:3], off, off offset:900 ; 16-byte Folded Reload
	scratch_load_dwordx4 v[4:7], off, off offset:916 ; 16-byte Folded Reload
	;; [unrolled: 1-line block ×8, first 2 shown]
	v_mov_b32_e32 v240, v130
	v_mov_b32_e32 v241, v131
	;; [unrolled: 1-line block ×4, first 2 shown]
	s_waitcnt vmcnt(0)
	v_mov_b64_e32 v[30:31], v[176:177]
	v_mov_b64_e32 v[132:133], v[130:131]
	;; [unrolled: 1-line block ×13, first 2 shown]
	v_mov_b32_e32 v242, v24
	v_mov_b32_e32 v243, v25
	scratch_store_dwordx4 off, v[218:221], off offset:1796 ; 16-byte Folded Spill
	s_nop 0
	scratch_store_dwordx4 off, v[222:225], off offset:1812 ; 16-byte Folded Spill
	scratch_store_dwordx4 off, v[226:229], off offset:1828 ; 16-byte Folded Spill
	;; [unrolled: 1-line block ×7, first 2 shown]
	scratch_store_dwordx4 off, v[62:65], s4 ; 16-byte Folded Spill
	s_nop 0
	scratch_store_dwordx4 off, v[66:69], s4 offset:16 ; 16-byte Folded Spill
	scratch_store_dwordx4 off, v[70:73], s4 offset:32 ; 16-byte Folded Spill
	;; [unrolled: 1-line block ×7, first 2 shown]
	scratch_store_dwordx4 off, v[72:75], off offset:3460 ; 16-byte Folded Spill
	s_nop 0
	scratch_store_dwordx4 off, v[76:79], off offset:3476 ; 16-byte Folded Spill
	scratch_store_dwordx4 off, v[80:83], off offset:3492 ; 16-byte Folded Spill
	scratch_store_dwordx4 off, v[84:87], off offset:3508 ; 16-byte Folded Spill
	scratch_store_dwordx4 off, v[88:91], off offset:3524 ; 16-byte Folded Spill
	scratch_store_dwordx4 off, v[92:95], off offset:3540 ; 16-byte Folded Spill
	scratch_store_dwordx4 off, v[96:99], off offset:3556 ; 16-byte Folded Spill
	scratch_store_dwordx4 off, v[100:103], off offset:3572 ; 16-byte Folded Spill
	v_mov_b64_e32 v[42:43], v[24:25]
	v_mov_b64_e32 v[40:41], v[22:23]
	;; [unrolled: 1-line block ×5, first 2 shown]
	v_mov_b32_e32 v190, v70
	v_mov_b32_e32 v191, v71
	;; [unrolled: 1-line block ×4, first 2 shown]
	v_mov_b64_e32 v[18:19], v[164:165]
	v_mov_b64_e32 v[20:21], v[166:167]
	;; [unrolled: 1-line block ×6, first 2 shown]
	v_mov_b32_e32 v164, v30
	v_mov_b32_e32 v165, v31
	;; [unrolled: 1-line block ×3, first 2 shown]
	v_mov_b64_e32 v[2:3], v[84:85]
	v_mov_b32_e32 v192, v82
	v_mov_b32_e32 v193, v83
	v_mov_b64_e32 v[4:5], v[86:87]
	v_mov_b64_e32 v[6:7], v[88:89]
	;; [unrolled: 1-line block ×7, first 2 shown]
	scratch_load_dwordx4 v[62:65], off, off offset:2308 ; 16-byte Folded Reload
	scratch_load_dwordx4 v[66:69], off, off offset:2324 ; 16-byte Folded Reload
	;; [unrolled: 1-line block ×8, first 2 shown]
	v_mov_b32_e32 v196, v16
	v_mov_b32_e32 v197, v17
	;; [unrolled: 1-line block ×4, first 2 shown]
	s_waitcnt vmcnt(3)
	v_mov_b32_e32 v198, v78
	v_mov_b32_e32 v199, v79
	scratch_load_dwordx4 v[62:65], off, off offset:2180 ; 16-byte Folded Reload
	scratch_load_dwordx4 v[66:69], off, off offset:2196 ; 16-byte Folded Reload
	;; [unrolled: 1-line block ×8, first 2 shown]
	s_waitcnt vmcnt(4)
	v_mov_b64_e32 v[232:233], v[76:77]
	s_waitcnt vmcnt(3)
	v_mov_b64_e32 v[236:237], v[80:81]
	v_mov_b32_e32 v200, v236
	v_mov_b32_e32 v201, v237
	scratch_store_dwordx4 off, v[182:185], off offset:1156 ; 16-byte Folded Spill
	s_nop 0
	scratch_store_dwordx4 off, v[186:189], off offset:1172 ; 16-byte Folded Spill
	scratch_store_dwordx4 off, v[190:193], off offset:1188 ; 16-byte Folded Spill
	;; [unrolled: 1-line block ×7, first 2 shown]
	v_mov_b64_e32 v[230:231], v[74:75]
	v_mov_b64_e32 v[206:207], v[42:43]
	;; [unrolled: 1-line block ×12, first 2 shown]
	scratch_load_dwordx4 v[32:35], off, s4  ; 16-byte Folded Reload
	scratch_load_dwordx4 v[36:39], off, s4 offset:16 ; 16-byte Folded Reload
	scratch_load_dwordx4 v[40:43], off, s4 offset:32 ; 16-byte Folded Reload
	;; [unrolled: 1-line block ×7, first 2 shown]
	scratch_load_dwordx4 v[42:45], off, off offset:3460 ; 16-byte Folded Reload
	scratch_load_dwordx4 v[46:49], off, off offset:3476 ; 16-byte Folded Reload
	scratch_load_dwordx4 v[50:53], off, off offset:3492 ; 16-byte Folded Reload
	scratch_load_dwordx4 v[54:57], off, off offset:3508 ; 16-byte Folded Reload
	scratch_load_dwordx4 v[58:61], off, off offset:3524 ; 16-byte Folded Reload
	scratch_load_dwordx4 v[62:65], off, off offset:3540 ; 16-byte Folded Reload
	scratch_load_dwordx4 v[66:69], off, off offset:3556 ; 16-byte Folded Reload
	scratch_load_dwordx4 v[70:73], off, off offset:3572 ; 16-byte Folded Reload
	v_mov_b64_e32 v[234:235], v[78:79]
	s_movk_i32 s4, 0x1484
	v_mov_b32_e32 v170, v236
	v_mov_b32_e32 v171, v237
	;; [unrolled: 1-line block ×4, first 2 shown]
	s_waitcnt vmcnt(13)
	v_mov_b32_e32 v160, v40
	v_mov_b32_e32 v161, v41
	scratch_store_dwordx4 off, v[18:21], off offset:2948 ; 16-byte Folded Spill
	s_nop 0
	scratch_store_dwordx4 off, v[22:25], off offset:2964 ; 16-byte Folded Spill
	scratch_store_dwordx4 off, v[26:29], off offset:2980 ; 16-byte Folded Spill
	;; [unrolled: 1-line block ×5, first 2 shown]
	s_waitcnt vmcnt(13)
	scratch_store_dwordx4 off, v[42:45], off offset:3044 ; 16-byte Folded Spill
	s_waitcnt vmcnt(13)
	scratch_store_dwordx4 off, v[46:49], off offset:3060 ; 16-byte Folded Spill
	scratch_load_dwordx4 v[54:57], off, off offset:2308 ; 16-byte Folded Reload
	scratch_load_dwordx4 v[58:61], off, off offset:2324 ; 16-byte Folded Reload
	;; [unrolled: 1-line block ×8, first 2 shown]
	s_waitcnt vmcnt(21)
	v_mov_b32_e32 v162, v52
	v_mov_b32_e32 v163, v53
	;; [unrolled: 1-line block ×3, first 2 shown]
	s_waitcnt vmcnt(3)
	v_mov_b64_e32 v[100:101], v[70:71]
	scratch_load_dwordx4 v[54:57], off, off offset:1668 ; 16-byte Folded Reload
	scratch_load_dwordx4 v[58:61], off, off offset:1684 ; 16-byte Folded Reload
	;; [unrolled: 1-line block ×8, first 2 shown]
	v_mov_b32_e32 v168, v100
	v_mov_b32_e32 v169, v101
	s_waitcnt vmcnt(2)
	v_mov_b64_e32 v[108:109], v[74:75]
	v_mov_b64_e32 v[106:107], v[72:73]
	;; [unrolled: 1-line block ×3, first 2 shown]
	scratch_load_dwordx4 v[62:65], off, off offset:1156 ; 16-byte Folded Reload
	scratch_load_dwordx4 v[66:69], off, off offset:1172 ; 16-byte Folded Reload
	;; [unrolled: 1-line block ×8, first 2 shown]
	s_nop 0
	scratch_store_dwordx4 off, v[134:137], s4 ; 16-byte Folded Spill
	s_nop 0
	scratch_store_dwordx4 off, v[138:141], s4 offset:16 ; 16-byte Folded Spill
	scratch_store_dwordx4 off, v[142:145], s4 offset:32 ; 16-byte Folded Spill
	;; [unrolled: 1-line block ×7, first 2 shown]
	v_mov_b32_e32 v172, v108
	v_mov_b32_e32 v173, v109
	v_mov_b64_e32 v[108:109], v[110:111]
	v_mov_b64_e32 v[110:111], v[112:113]
	;; [unrolled: 1-line block ×12, first 2 shown]
	v_mov_b32_e32 v174, v130
	v_mov_b32_e32 v175, v131
	s_movk_i32 s4, 0x1404
	s_waitcnt vmcnt(8)
	v_mov_b64_e32 v[90:91], v[124:125]
	v_mov_b64_e32 v[96:97], v[130:131]
	;; [unrolled: 1-line block ×10, first 2 shown]
	v_mov_b32_e32 v178, v208
	v_mov_b32_e32 v179, v209
	v_mov_b64_e32 v[160:161], v[162:163]
	v_mov_b64_e32 v[162:163], v[164:165]
	;; [unrolled: 1-line block ×9, first 2 shown]
	v_mov_b32_e32 v178, v180
	scratch_store_dwordx4 off, v[150:153], off offset:4 ; 16-byte Folded Spill
	s_nop 0
	scratch_store_dwordx4 off, v[154:157], off offset:20 ; 16-byte Folded Spill
	scratch_store_dwordx4 off, v[158:161], off offset:36 ; 16-byte Folded Spill
	scratch_store_dwordx4 off, v[162:165], off offset:52 ; 16-byte Folded Spill
	scratch_store_dwordx4 off, v[166:169], off offset:68 ; 16-byte Folded Spill
	scratch_store_dwordx4 off, v[170:173], off offset:84 ; 16-byte Folded Spill
	scratch_store_dwordx4 off, v[174:177], off offset:100 ; 16-byte Folded Spill
	scratch_store_dwordx4 off, v[178:181], off offset:116 ; 16-byte Folded Spill
	scratch_store_dwordx4 off, v[24:27], off offset:2052 ; 16-byte Folded Spill
	s_nop 0
	scratch_store_dwordx4 off, v[28:31], off offset:2068 ; 16-byte Folded Spill
	scratch_store_dwordx4 off, v[32:35], off offset:2084 ; 16-byte Folded Spill
	;; [unrolled: 1-line block ×7, first 2 shown]
	scratch_store_dwordx4 off, v[210:213], s4 ; 16-byte Folded Spill
	s_nop 0
	scratch_store_dwordx4 off, v[214:217], s4 offset:16 ; 16-byte Folded Spill
	scratch_store_dwordx4 off, v[218:221], s4 offset:32 ; 16-byte Folded Spill
	;; [unrolled: 1-line block ×7, first 2 shown]
	v_mov_b32_e32 v246, v209
	v_mov_b64_e32 v[196:197], v[76:77]
	v_mov_b64_e32 v[182:183], v[62:63]
	;; [unrolled: 1-line block ×13, first 2 shown]
	v_mov_b32_e32 v247, v180
	v_mov_b64_e32 v[18:19], v[42:43]
	v_mov_b64_e32 v[20:21], v[44:45]
	;; [unrolled: 1-line block ×6, first 2 shown]
	v_mov_b32_e32 v214, v40
	v_mov_b32_e32 v213, v41
	;; [unrolled: 1-line block ×4, first 2 shown]
	scratch_load_dwordx4 v[18:21], off, off offset:2948 ; 16-byte Folded Reload
	scratch_load_dwordx4 v[22:25], off, off offset:2964 ; 16-byte Folded Reload
	scratch_load_dwordx4 v[26:29], off, off offset:2980 ; 16-byte Folded Reload
	scratch_load_dwordx4 v[30:33], off, off offset:2996 ; 16-byte Folded Reload
	scratch_load_dwordx4 v[34:37], off, off offset:3012 ; 16-byte Folded Reload
	scratch_load_dwordx4 v[38:41], off, off offset:3028 ; 16-byte Folded Reload
	scratch_load_dwordx4 v[42:45], off, off offset:3044 ; 16-byte Folded Reload
	scratch_load_dwordx4 v[46:49], off, off offset:3060 ; 16-byte Folded Reload
	s_waitcnt vmcnt(7)
	v_mov_b32_e32 v18, v16
	v_mov_b64_e32 v[168:169], v[234:235]
	v_mov_b64_e32 v[170:171], v[236:237]
	s_waitcnt vmcnt(4)
	v_mov_b32_e32 v210, v30
	v_mov_b32_e32 v209, v31
	scratch_store_dwordx4 off, v[4:7], off offset:132 ; 16-byte Folded Spill
	s_nop 0
	scratch_store_dwordx4 off, v[8:11], off offset:148 ; 16-byte Folded Spill
	scratch_store_dwordx4 off, v[12:15], off offset:164 ; 16-byte Folded Spill
	;; [unrolled: 1-line block ×6, first 2 shown]
	s_waitcnt vmcnt(10)
	scratch_store_dwordx4 off, v[32:35], off offset:244 ; 16-byte Folded Spill
	scratch_store_dwordx4 off, v[2:5], off offset:2436 ; 16-byte Folded Spill
	s_nop 0
	scratch_store_dwordx4 off, v[6:9], off offset:2452 ; 16-byte Folded Spill
	scratch_store_dwordx4 off, v[10:13], off offset:2468 ; 16-byte Folded Spill
	;; [unrolled: 1-line block ×8, first 2 shown]
	s_nop 0
	scratch_store_dwordx4 off, v[6:9], off offset:404 ; 16-byte Folded Spill
	scratch_store_dwordx4 off, v[10:13], off offset:420 ; 16-byte Folded Spill
	;; [unrolled: 1-line block ×7, first 2 shown]
	scratch_load_dwordx4 v[132:135], off, off offset:2308 ; 16-byte Folded Reload
	scratch_load_dwordx4 v[136:139], off, off offset:2324 ; 16-byte Folded Reload
	;; [unrolled: 1-line block ×8, first 2 shown]
	s_waitcnt vmcnt(3)
	v_mov_b32_e32 v16, v148
	scratch_store_dwordx4 off, v[0:3], off offset:1412 ; 16-byte Folded Spill
	s_nop 0
	scratch_store_dwordx4 off, v[4:7], off offset:1428 ; 16-byte Folded Spill
	scratch_store_dwordx4 off, v[8:11], off offset:1444 ; 16-byte Folded Spill
	;; [unrolled: 1-line block ×8, first 2 shown]
	s_nop 0
	scratch_store_dwordx4 off, v[136:139], off offset:532 ; 16-byte Folded Spill
	scratch_store_dwordx4 off, v[140:143], off offset:548 ; 16-byte Folded Spill
	;; [unrolled: 1-line block ×4, first 2 shown]
	s_waitcnt vmcnt(15)
	scratch_store_dwordx4 off, v[152:155], off offset:596 ; 16-byte Folded Spill
	s_waitcnt vmcnt(15)
	scratch_store_dwordx4 off, v[156:159], off offset:612 ; 16-byte Folded Spill
	;; [unrolled: 2-line block ×3, first 2 shown]
	v_mov_b64_e32 v[152:153], v[218:219]
	v_mov_b64_e32 v[154:155], v[220:221]
	;; [unrolled: 1-line block ×8, first 2 shown]
	v_mov_b32_e32 v18, v170
	scratch_store_dwordx4 off, v[0:3], off offset:772 ; 16-byte Folded Spill
	s_nop 0
	scratch_store_dwordx4 off, v[4:7], off offset:788 ; 16-byte Folded Spill
	scratch_store_dwordx4 off, v[8:11], off offset:804 ; 16-byte Folded Spill
	;; [unrolled: 1-line block ×8, first 2 shown]
	s_nop 0
	scratch_store_dwordx4 off, v[156:159], off offset:1044 ; 16-byte Folded Spill
	scratch_store_dwordx4 off, v[160:163], off offset:1060 ; 16-byte Folded Spill
	scratch_store_dwordx4 off, v[164:167], off offset:1076 ; 16-byte Folded Spill
	scratch_store_dwordx4 off, v[168:171], off offset:1092 ; 16-byte Folded Spill
	scratch_store_dwordx4 off, v[172:175], off offset:1108 ; 16-byte Folded Spill
	scratch_store_dwordx4 off, v[176:179], off offset:1124 ; 16-byte Folded Spill
	scratch_store_dwordx4 off, v[180:183], off offset:1140 ; 16-byte Folded Spill
	scratch_load_dwordx4 v[0:3], off, off offset:1668 ; 16-byte Folded Reload
	scratch_load_dwordx4 v[4:7], off, off offset:1684 ; 16-byte Folded Reload
	;; [unrolled: 1-line block ×8, first 2 shown]
	v_mov_b32_e32 v170, v198
	v_mov_b32_e32 v180, v208
	v_mov_b32_e32 v171, v199
	v_mov_b32_e32 v172, v200
	v_mov_b32_e32 v173, v201
	v_mov_b32_e32 v174, v202
	v_mov_b32_e32 v175, v203
	v_mov_b32_e32 v176, v204
	v_mov_b32_e32 v177, v205
	v_mov_b32_e32 v178, v206
	v_mov_b32_e32 v179, v207
	s_waitcnt vmcnt(2)
	v_mov_b64_e32 v[106:107], v[20:21]
	v_mov_b64_e32 v[104:105], v[18:19]
	;; [unrolled: 1-line block ×3, first 2 shown]
	scratch_store_dwordx4 off, v[0:3], off offset:644 ; 16-byte Folded Spill
	s_nop 0
	scratch_store_dwordx4 off, v[4:7], off offset:660 ; 16-byte Folded Spill
	scratch_store_dwordx4 off, v[8:11], off offset:676 ; 16-byte Folded Spill
	;; [unrolled: 1-line block ×5, first 2 shown]
	s_waitcnt vmcnt(7)
	scratch_store_dwordx4 off, v[24:27], off offset:740 ; 16-byte Folded Spill
	s_waitcnt vmcnt(7)
	scratch_store_dwordx4 off, v[28:31], off offset:756 ; 16-byte Folded Spill
	v_mov_b32_e32 v22, v96
	scratch_store_dwordx4 off, v[0:3], off offset:260 ; 16-byte Folded Spill
	s_nop 0
	scratch_store_dwordx4 off, v[4:7], off offset:276 ; 16-byte Folded Spill
	scratch_store_dwordx4 off, v[8:11], off offset:292 ; 16-byte Folded Spill
	;; [unrolled: 1-line block ×7, first 2 shown]
	scratch_load_dwordx4 v[0:3], off, off offset:900 ; 16-byte Folded Reload
	s_nop 0
	scratch_load_dwordx4 v[4:7], off, off offset:916 ; 16-byte Folded Reload
	scratch_load_dwordx4 v[8:11], off, off offset:932 ; 16-byte Folded Reload
	;; [unrolled: 1-line block ×7, first 2 shown]
	v_mov_b32_e32 v245, v107
	s_waitcnt vmcnt(1)
	v_mov_b64_e32 v[80:81], v[24:25]
	v_mov_b32_e32 v235, v81
	v_mov_b64_e32 v[78:79], v[22:23]
	v_mov_b64_e32 v[76:77], v[20:21]
	;; [unrolled: 1-line block ×4, first 2 shown]
	scratch_store_dwordx4 off, v[0:3], off offset:1284 ; 16-byte Folded Spill
	s_nop 0
	scratch_store_dwordx4 off, v[4:7], off offset:1300 ; 16-byte Folded Spill
	scratch_store_dwordx4 off, v[8:11], off offset:1316 ; 16-byte Folded Spill
	;; [unrolled: 1-line block ×6, first 2 shown]
	s_waitcnt vmcnt(7)
	scratch_store_dwordx4 off, v[28:31], off offset:1396 ; 16-byte Folded Spill
.LBB57_33:
	s_or_b64 exec, exec, s[2:3]
	v_cmp_eq_u32_e32 vcc, 6, v254
	s_waitcnt vmcnt(63) expcnt(7) lgkmcnt(15)
	s_barrier
	s_and_saveexec_b64 s[2:3], vcc
	s_cbranch_execz .LBB57_36
; %bb.34:
	scratch_load_dwordx4 v[0:3], off, off offset:2052 ; 16-byte Folded Reload
	scratch_load_dwordx4 v[4:7], off, off offset:2068 ; 16-byte Folded Reload
	;; [unrolled: 1-line block ×8, first 2 shown]
	s_waitcnt vmcnt(6)
	ds_write_b32 v255, v6
	scratch_load_dwordx4 v[0:3], off, off offset:4 ; 16-byte Folded Reload
	scratch_load_dwordx4 v[4:7], off, off offset:20 ; 16-byte Folded Reload
	scratch_load_dwordx4 v[8:11], off, off offset:36 ; 16-byte Folded Reload
	scratch_load_dwordx4 v[12:15], off, off offset:52 ; 16-byte Folded Reload
	scratch_load_dwordx4 v[16:19], off, off offset:68 ; 16-byte Folded Reload
	scratch_load_dwordx4 v[20:23], off, off offset:84 ; 16-byte Folded Reload
	scratch_load_dwordx4 v[24:27], off, off offset:100 ; 16-byte Folded Reload
	scratch_load_dwordx4 v[28:31], off, off offset:116 ; 16-byte Folded Reload
	s_waitcnt vmcnt(5)
	ds_write2_b32 v250, v7, v8 offset0:7 offset1:8
	ds_write2_b32 v250, v9, v10 offset0:9 offset1:10
	s_waitcnt vmcnt(4)
	ds_write2_b32 v250, v11, v12 offset0:11 offset1:12
	ds_write2_b32 v250, v13, v14 offset0:13 offset1:14
	;; [unrolled: 3-line block ×5, first 2 shown]
	s_waitcnt vmcnt(0)
	ds_write2_b32 v250, v27, v28 offset0:27 offset1:28
	ds_read_b32 v26, v255
	s_waitcnt lgkmcnt(0)
	v_cmp_neq_f32_e32 vcc, 0, v26
	s_and_b64 exec, exec, vcc
	s_cbranch_execz .LBB57_36
; %bb.35:
	v_div_scale_f32 v27, s[4:5], v26, v26, 1.0
	v_rcp_f32_e32 v28, v27
	v_div_scale_f32 v29, vcc, 1.0, v26, 1.0
	v_fma_f32 v30, -v27, v28, 1.0
	v_fmac_f32_e32 v28, v30, v28
	v_mul_f32_e32 v30, v29, v28
	v_fma_f32 v31, -v27, v30, v29
	v_fmac_f32_e32 v30, v31, v28
	v_fma_f32 v27, -v27, v30, v29
	v_div_fmas_f32 v27, v27, v28, v30
	v_div_fixup_f32 v26, v27, v26, 1.0
	ds_write_b32 v255, v26
.LBB57_36:
	s_or_b64 exec, exec, s[2:3]
	s_waitcnt lgkmcnt(0)
	s_barrier
	ds_read_b32 v0, v255
	s_movk_i32 s2, 0x1104
	v_cmp_lt_u32_e32 vcc, 6, v254
	s_waitcnt lgkmcnt(0)
	scratch_store_dword off, v0, s2         ; 4-byte Folded Spill
	s_and_saveexec_b64 s[2:3], vcc
	s_cbranch_execz .LBB57_38
; %bb.37:
	s_movk_i32 s4, 0x1484
	scratch_load_dwordx4 v[64:67], off, s4  ; 16-byte Folded Reload
	scratch_load_dwordx4 v[68:71], off, s4 offset:16 ; 16-byte Folded Reload
	scratch_load_dwordx4 v[72:75], off, s4 offset:32 ; 16-byte Folded Reload
	;; [unrolled: 1-line block ×7, first 2 shown]
	scratch_load_dwordx4 v[0:3], off, off offset:2052 ; 16-byte Folded Reload
	scratch_load_dwordx4 v[4:7], off, off offset:2068 ; 16-byte Folded Reload
	;; [unrolled: 1-line block ×8, first 2 shown]
	s_movk_i32 s4, 0x1104
	scratch_load_dword v0, off, s4          ; 4-byte Folded Reload
	s_movk_i32 s4, 0x1204
	s_waitcnt vmcnt(16)
	v_mov_b32_e32 v152, v64
	v_mov_b32_e32 v153, v65
	;; [unrolled: 1-line block ×4, first 2 shown]
	s_waitcnt vmcnt(15)
	v_mov_b32_e32 v156, v68
	v_mov_b32_e32 v157, v69
	;; [unrolled: 1-line block ×8, first 2 shown]
	s_waitcnt vmcnt(9)
	v_mov_b32_e32 v92, v64
	v_mov_b32_e32 v93, v65
	v_mov_b32_e32 v94, v66
	v_mov_b32_e32 v95, v67
	v_mov_b32_e32 v96, v68
	s_waitcnt vmcnt(0)
	v_mul_f32_e32 v70, v6, v0
	ds_read2_b32 v[0:1], v250 offset0:7 offset1:8
	scratch_load_dwordx4 v[20:23], off, off offset:4 ; 16-byte Folded Reload
	scratch_load_dwordx4 v[24:27], off, off offset:20 ; 16-byte Folded Reload
	;; [unrolled: 1-line block ×8, first 2 shown]
	ds_read2_b32 v[4:5], v250 offset0:9 offset1:10
	ds_read2_b32 v[6:7], v250 offset0:11 offset1:12
	;; [unrolled: 1-line block ×3, first 2 shown]
	v_mov_b32_e32 v158, v70
	v_mov_b32_e32 v138, v70
	v_mov_b32_e32 v97, v69
	v_mov_b32_e32 v98, v70
	s_waitcnt vmcnt(6)
	v_mov_b32_e32 v2, v27
	s_waitcnt vmcnt(5)
	v_mov_b32_e32 v3, v28
	s_waitcnt lgkmcnt(3)
	v_pk_fma_f32 v[26:27], v[70:71], v[0:1], v[2:3] op_sel_hi:[0,1,1] neg_lo:[1,0,0] neg_hi:[1,0,0]
	v_mov_b32_e32 v0, v29
	v_mov_b32_e32 v1, v30
	s_waitcnt lgkmcnt(2)
	v_pk_fma_f32 v[28:29], v[70:71], v[4:5], v[0:1] op_sel_hi:[0,1,1] neg_lo:[1,0,0] neg_hi:[1,0,0]
	v_mov_b32_e32 v0, v31
	s_waitcnt vmcnt(4)
	v_mov_b32_e32 v1, v32
	s_waitcnt lgkmcnt(1)
	v_pk_fma_f32 v[30:31], v[70:71], v[6:7], v[0:1] op_sel_hi:[0,1,1] neg_lo:[1,0,0] neg_hi:[1,0,0]
	v_mov_b32_e32 v0, v33
	v_mov_b32_e32 v1, v34
	s_waitcnt lgkmcnt(0)
	v_pk_fma_f32 v[56:57], v[70:71], v[8:9], v[0:1] op_sel_hi:[0,1,1] neg_lo:[1,0,0] neg_hi:[1,0,0]
	ds_read2_b32 v[0:1], v250 offset0:15 offset1:16
	ds_read2_b32 v[4:5], v250 offset0:17 offset1:18
	;; [unrolled: 1-line block ×4, first 2 shown]
	v_mov_b32_e32 v2, v35
	s_waitcnt vmcnt(3)
	v_mov_b32_e32 v3, v36
	v_mov_b32_e32 v165, v56
	s_waitcnt lgkmcnt(3)
	v_pk_fma_f32 v[58:59], v[70:71], v[0:1], v[2:3] op_sel_hi:[0,1,1] neg_lo:[1,0,0] neg_hi:[1,0,0]
	v_mov_b32_e32 v0, v37
	v_mov_b32_e32 v1, v38
	s_waitcnt lgkmcnt(2)
	v_pk_fma_f32 v[60:61], v[70:71], v[4:5], v[0:1] op_sel_hi:[0,1,1] neg_lo:[1,0,0] neg_hi:[1,0,0]
	v_mov_b32_e32 v0, v39
	s_waitcnt vmcnt(2)
	v_mov_b32_e32 v1, v40
	s_waitcnt lgkmcnt(1)
	v_pk_fma_f32 v[62:63], v[70:71], v[6:7], v[0:1] op_sel_hi:[0,1,1] neg_lo:[1,0,0] neg_hi:[1,0,0]
	v_mov_b32_e32 v0, v41
	v_mov_b32_e32 v1, v42
	s_waitcnt lgkmcnt(0)
	v_pk_fma_f32 v[86:87], v[70:71], v[8:9], v[0:1] op_sel_hi:[0,1,1] neg_lo:[1,0,0] neg_hi:[1,0,0]
	ds_read2_b32 v[0:1], v250 offset0:23 offset1:24
	ds_read2_b32 v[4:5], v250 offset0:25 offset1:26
	;; [unrolled: 1-line block ×3, first 2 shown]
	v_mov_b32_e32 v2, v43
	s_waitcnt vmcnt(1)
	v_mov_b32_e32 v3, v44
	v_mov_b32_e32 v8, v27
	s_waitcnt lgkmcnt(2)
	v_pk_fma_f32 v[88:89], v[70:71], v[0:1], v[2:3] op_sel_hi:[0,1,1] neg_lo:[1,0,0] neg_hi:[1,0,0]
	v_mov_b32_e32 v0, v45
	v_mov_b32_e32 v1, v46
	s_waitcnt lgkmcnt(1)
	v_pk_fma_f32 v[90:91], v[70:71], v[4:5], v[0:1] op_sel_hi:[0,1,1] neg_lo:[1,0,0] neg_hi:[1,0,0]
	v_mov_b32_e32 v0, v47
	s_waitcnt vmcnt(0)
	v_mov_b32_e32 v1, v48
	s_waitcnt lgkmcnt(0)
	v_pk_fma_f32 v[246:247], v[70:71], v[6:7], v[0:1] op_sel_hi:[0,1,1] neg_lo:[1,0,0] neg_hi:[1,0,0]
	v_mov_b32_e32 v0, v64
	v_mov_b32_e32 v1, v65
	;; [unrolled: 1-line block ×9, first 2 shown]
	scratch_store_dwordx4 off, v[0:3], s4   ; 16-byte Folded Spill
	s_nop 0
	scratch_store_dwordx4 off, v[4:7], s4 offset:16 ; 16-byte Folded Spill
	scratch_store_dwordx4 off, v[8:11], s4 offset:32 ; 16-byte Folded Spill
	;; [unrolled: 1-line block ×7, first 2 shown]
	s_movk_i32 s4, 0x1284
	v_mov_b32_e32 v166, v57
	v_mov_b32_e32 v167, v58
	;; [unrolled: 1-line block ×31, first 2 shown]
	scratch_store_dwordx4 off, v[0:3], s4   ; 16-byte Folded Spill
	s_nop 0
	scratch_store_dwordx4 off, v[4:7], s4 offset:16 ; 16-byte Folded Spill
	scratch_store_dwordx4 off, v[8:11], s4 offset:32 ; 16-byte Folded Spill
	;; [unrolled: 1-line block ×7, first 2 shown]
	s_movk_i32 s4, 0x1084
	v_mov_b32_e32 v10, v29
	scratch_store_dwordx4 off, v[0:3], off offset:3460 ; 16-byte Folded Spill
	s_nop 0
	scratch_store_dwordx4 off, v[4:7], off offset:3476 ; 16-byte Folded Spill
	scratch_store_dwordx4 off, v[8:11], off offset:3492 ; 16-byte Folded Spill
	;; [unrolled: 1-line block ×7, first 2 shown]
	v_mov_b32_e32 v11, v30
	scratch_store_dwordx4 off, v[0:3], s4   ; 16-byte Folded Spill
	s_nop 0
	scratch_store_dwordx4 off, v[4:7], s4 offset:16 ; 16-byte Folded Spill
	scratch_store_dwordx4 off, v[8:11], s4 offset:32 ; 16-byte Folded Spill
	;; [unrolled: 1-line block ×7, first 2 shown]
	s_movk_i32 s4, 0x1384
	v_mov_b32_e32 v12, v31
	scratch_store_dwordx4 off, v[0:3], off offset:2948 ; 16-byte Folded Spill
	s_nop 0
	scratch_store_dwordx4 off, v[4:7], off offset:2964 ; 16-byte Folded Spill
	scratch_store_dwordx4 off, v[8:11], off offset:2980 ; 16-byte Folded Spill
	scratch_store_dwordx4 off, v[12:15], off offset:2996 ; 16-byte Folded Spill
	scratch_store_dwordx4 off, v[16:19], off offset:3012 ; 16-byte Folded Spill
	scratch_store_dwordx4 off, v[20:23], off offset:3028 ; 16-byte Folded Spill
	scratch_store_dwordx4 off, v[24:27], off offset:3044 ; 16-byte Folded Spill
	scratch_store_dwordx4 off, v[28:31], off offset:3060 ; 16-byte Folded Spill
	v_mov_b32_e32 v13, v56
	scratch_store_dwordx4 off, v[0:3], off offset:3332 ; 16-byte Folded Spill
	s_nop 0
	scratch_store_dwordx4 off, v[4:7], off offset:3348 ; 16-byte Folded Spill
	scratch_store_dwordx4 off, v[8:11], off offset:3364 ; 16-byte Folded Spill
	scratch_store_dwordx4 off, v[12:15], off offset:3380 ; 16-byte Folded Spill
	scratch_store_dwordx4 off, v[16:19], off offset:3396 ; 16-byte Folded Spill
	scratch_store_dwordx4 off, v[20:23], off offset:3412 ; 16-byte Folded Spill
	scratch_store_dwordx4 off, v[24:27], off offset:3428 ; 16-byte Folded Spill
	scratch_store_dwordx4 off, v[28:31], off offset:3444 ; 16-byte Folded Spill
	v_mov_b32_e32 v14, v57
	scratch_store_dwordx4 off, v[0:3], off offset:2436 ; 16-byte Folded Spill
	s_nop 0
	scratch_store_dwordx4 off, v[4:7], off offset:2452 ; 16-byte Folded Spill
	scratch_store_dwordx4 off, v[8:11], off offset:2468 ; 16-byte Folded Spill
	scratch_store_dwordx4 off, v[12:15], off offset:2484 ; 16-byte Folded Spill
	scratch_store_dwordx4 off, v[16:19], off offset:2500 ; 16-byte Folded Spill
	scratch_store_dwordx4 off, v[20:23], off offset:2516 ; 16-byte Folded Spill
	scratch_store_dwordx4 off, v[24:27], off offset:2532 ; 16-byte Folded Spill
	scratch_store_dwordx4 off, v[28:31], off offset:2548 ; 16-byte Folded Spill
	v_mov_b32_e32 v15, v58
	scratch_store_dwordx4 off, v[0:3], off offset:3076 ; 16-byte Folded Spill
	s_nop 0
	scratch_store_dwordx4 off, v[4:7], off offset:3092 ; 16-byte Folded Spill
	scratch_store_dwordx4 off, v[8:11], off offset:3108 ; 16-byte Folded Spill
	scratch_store_dwordx4 off, v[12:15], off offset:3124 ; 16-byte Folded Spill
	scratch_store_dwordx4 off, v[16:19], off offset:3140 ; 16-byte Folded Spill
	scratch_store_dwordx4 off, v[20:23], off offset:3156 ; 16-byte Folded Spill
	scratch_store_dwordx4 off, v[24:27], off offset:3172 ; 16-byte Folded Spill
	scratch_store_dwordx4 off, v[28:31], off offset:3188 ; 16-byte Folded Spill
	v_mov_b32_e32 v16, v59
	scratch_store_dwordx4 off, v[0:3], off offset:2308 ; 16-byte Folded Spill
	s_nop 0
	scratch_store_dwordx4 off, v[4:7], off offset:2324 ; 16-byte Folded Spill
	scratch_store_dwordx4 off, v[8:11], off offset:2340 ; 16-byte Folded Spill
	scratch_store_dwordx4 off, v[12:15], off offset:2356 ; 16-byte Folded Spill
	scratch_store_dwordx4 off, v[16:19], off offset:2372 ; 16-byte Folded Spill
	scratch_store_dwordx4 off, v[20:23], off offset:2388 ; 16-byte Folded Spill
	scratch_store_dwordx4 off, v[24:27], off offset:2404 ; 16-byte Folded Spill
	scratch_store_dwordx4 off, v[28:31], off offset:2420 ; 16-byte Folded Spill
	v_mov_b32_e32 v17, v60
	scratch_store_dwordx4 off, v[0:3], off offset:2820 ; 16-byte Folded Spill
	s_nop 0
	scratch_store_dwordx4 off, v[4:7], off offset:2836 ; 16-byte Folded Spill
	scratch_store_dwordx4 off, v[8:11], off offset:2852 ; 16-byte Folded Spill
	scratch_store_dwordx4 off, v[12:15], off offset:2868 ; 16-byte Folded Spill
	scratch_store_dwordx4 off, v[16:19], off offset:2884 ; 16-byte Folded Spill
	scratch_store_dwordx4 off, v[20:23], off offset:2900 ; 16-byte Folded Spill
	scratch_store_dwordx4 off, v[24:27], off offset:2916 ; 16-byte Folded Spill
	scratch_store_dwordx4 off, v[28:31], off offset:2932 ; 16-byte Folded Spill
	v_mov_b32_e32 v18, v61
	scratch_store_dwordx4 off, v[0:3], off offset:2180 ; 16-byte Folded Spill
	s_nop 0
	scratch_store_dwordx4 off, v[4:7], off offset:2196 ; 16-byte Folded Spill
	scratch_store_dwordx4 off, v[8:11], off offset:2212 ; 16-byte Folded Spill
	scratch_store_dwordx4 off, v[12:15], off offset:2228 ; 16-byte Folded Spill
	scratch_store_dwordx4 off, v[16:19], off offset:2244 ; 16-byte Folded Spill
	scratch_store_dwordx4 off, v[20:23], off offset:2260 ; 16-byte Folded Spill
	scratch_store_dwordx4 off, v[24:27], off offset:2276 ; 16-byte Folded Spill
	scratch_store_dwordx4 off, v[28:31], off offset:2292 ; 16-byte Folded Spill
	v_mov_b32_e32 v19, v62
	scratch_store_dwordx4 off, v[0:3], off offset:2692 ; 16-byte Folded Spill
	s_nop 0
	scratch_store_dwordx4 off, v[4:7], off offset:2708 ; 16-byte Folded Spill
	scratch_store_dwordx4 off, v[8:11], off offset:2724 ; 16-byte Folded Spill
	scratch_store_dwordx4 off, v[12:15], off offset:2740 ; 16-byte Folded Spill
	scratch_store_dwordx4 off, v[16:19], off offset:2756 ; 16-byte Folded Spill
	scratch_store_dwordx4 off, v[20:23], off offset:2772 ; 16-byte Folded Spill
	scratch_store_dwordx4 off, v[24:27], off offset:2788 ; 16-byte Folded Spill
	scratch_store_dwordx4 off, v[28:31], off offset:2804 ; 16-byte Folded Spill
	v_mov_b32_e32 v20, v63
	v_mov_b32_e32 v21, v86
	;; [unrolled: 1-line block ×8, first 2 shown]
	scratch_store_dwordx4 off, v[152:155], off offset:1668 ; 16-byte Folded Spill
	s_nop 0
	scratch_store_dwordx4 off, v[156:159], off offset:1684 ; 16-byte Folded Spill
	scratch_store_dwordx4 off, v[160:163], off offset:1700 ; 16-byte Folded Spill
	;; [unrolled: 1-line block ×8, first 2 shown]
	s_nop 0
	scratch_store_dwordx4 off, v[4:7], off offset:2580 ; 16-byte Folded Spill
	scratch_store_dwordx4 off, v[8:11], off offset:2596 ; 16-byte Folded Spill
	;; [unrolled: 1-line block ×7, first 2 shown]
	v_mov_b32_e32 v152, v63
	v_mov_b32_e32 v153, v86
	;; [unrolled: 1-line block ×26, first 2 shown]
	scratch_store_dwordx4 off, v[132:135], off offset:1540 ; 16-byte Folded Spill
	s_nop 0
	scratch_store_dwordx4 off, v[136:139], off offset:1556 ; 16-byte Folded Spill
	scratch_store_dwordx4 off, v[140:143], off offset:1572 ; 16-byte Folded Spill
	;; [unrolled: 1-line block ×8, first 2 shown]
	s_nop 0
	scratch_store_dwordx4 off, v[4:7], off offset:1940 ; 16-byte Folded Spill
	scratch_store_dwordx4 off, v[8:11], off offset:1956 ; 16-byte Folded Spill
	;; [unrolled: 1-line block ×7, first 2 shown]
	v_mov_b32_e32 v156, v64
	v_mov_b32_e32 v24, v89
	;; [unrolled: 1-line block ×8, first 2 shown]
	scratch_store_dwordx4 off, v[0:3], off offset:900 ; 16-byte Folded Spill
	s_nop 0
	scratch_store_dwordx4 off, v[4:7], off offset:916 ; 16-byte Folded Spill
	scratch_store_dwordx4 off, v[8:11], off offset:932 ; 16-byte Folded Spill
	scratch_store_dwordx4 off, v[12:15], off offset:948 ; 16-byte Folded Spill
	scratch_store_dwordx4 off, v[16:19], off offset:964 ; 16-byte Folded Spill
	scratch_store_dwordx4 off, v[20:23], off offset:980 ; 16-byte Folded Spill
	scratch_store_dwordx4 off, v[24:27], off offset:996 ; 16-byte Folded Spill
	scratch_store_dwordx4 off, v[28:31], off offset:1012 ; 16-byte Folded Spill
	s_nop 0
	v_mov_b32_e32 v25, v90
	scratch_store_dwordx4 off, v[0:3], off offset:1796 ; 16-byte Folded Spill
	s_nop 0
	scratch_store_dwordx4 off, v[4:7], off offset:1812 ; 16-byte Folded Spill
	scratch_store_dwordx4 off, v[8:11], off offset:1828 ; 16-byte Folded Spill
	scratch_store_dwordx4 off, v[12:15], off offset:1844 ; 16-byte Folded Spill
	scratch_store_dwordx4 off, v[16:19], off offset:1860 ; 16-byte Folded Spill
	scratch_store_dwordx4 off, v[20:23], off offset:1876 ; 16-byte Folded Spill
	scratch_store_dwordx4 off, v[24:27], off offset:1892 ; 16-byte Folded Spill
	scratch_store_dwordx4 off, v[28:31], off offset:1908 ; 16-byte Folded Spill
	v_mov_b32_e32 v99, v26
	v_mov_b32_e32 v100, v27
	v_mov_b32_e32 v101, v28
	v_mov_b32_e32 v102, v29
	v_mov_b32_e32 v103, v30
	v_mov_b32_e32 v104, v31
	scratch_store_dwordx4 off, v[92:95], off offset:1156 ; 16-byte Folded Spill
	s_nop 0
	scratch_store_dwordx4 off, v[96:99], off offset:1172 ; 16-byte Folded Spill
	scratch_store_dwordx4 off, v[100:103], off offset:1188 ; 16-byte Folded Spill
	scratch_store_dwordx4 off, v[104:107], off offset:1204 ; 16-byte Folded Spill
	scratch_store_dwordx4 off, v[108:111], off offset:1220 ; 16-byte Folded Spill
	scratch_store_dwordx4 off, v[112:115], off offset:1236 ; 16-byte Folded Spill
	scratch_store_dwordx4 off, v[116:119], off offset:1252 ; 16-byte Folded Spill
	scratch_store_dwordx4 off, v[120:123], off offset:1268 ; 16-byte Folded Spill
	v_mov_b32_e32 v163, v26
	v_mov_b32_e32 v164, v27
	v_mov_b32_e32 v165, v28
	v_mov_b32_e32 v166, v29
	v_mov_b32_e32 v167, v30
	;; [unrolled: 15-line block ×3, first 2 shown]
	v_mov_b32_e32 v210, v31
	scratch_store_dwordx4 off, v[64:67], s4 ; 16-byte Folded Spill
	s_nop 0
	scratch_store_dwordx4 off, v[68:71], s4 offset:16 ; 16-byte Folded Spill
	scratch_store_dwordx4 off, v[72:75], s4 offset:32 ; 16-byte Folded Spill
	;; [unrolled: 1-line block ×7, first 2 shown]
	s_movk_i32 s4, 0x1404
	scratch_store_dwordx4 off, v[64:67], s4 ; 16-byte Folded Spill
	s_nop 0
	scratch_store_dwordx4 off, v[68:71], s4 offset:16 ; 16-byte Folded Spill
	scratch_store_dwordx4 off, v[72:75], s4 offset:32 ; 16-byte Folded Spill
	;; [unrolled: 1-line block ×7, first 2 shown]
	scratch_store_dwordx4 off, v[0:3], off offset:132 ; 16-byte Folded Spill
	s_nop 0
	scratch_store_dwordx4 off, v[4:7], off offset:148 ; 16-byte Folded Spill
	scratch_store_dwordx4 off, v[8:11], off offset:164 ; 16-byte Folded Spill
	scratch_store_dwordx4 off, v[12:15], off offset:180 ; 16-byte Folded Spill
	scratch_store_dwordx4 off, v[16:19], off offset:196 ; 16-byte Folded Spill
	scratch_store_dwordx4 off, v[20:23], off offset:212 ; 16-byte Folded Spill
	scratch_store_dwordx4 off, v[24:27], off offset:228 ; 16-byte Folded Spill
	scratch_store_dwordx4 off, v[28:31], off offset:244 ; 16-byte Folded Spill
	scratch_store_dwordx4 off, v[0:3], off offset:388 ; 16-byte Folded Spill
	s_nop 0
	scratch_store_dwordx4 off, v[4:7], off offset:404 ; 16-byte Folded Spill
	scratch_store_dwordx4 off, v[8:11], off offset:420 ; 16-byte Folded Spill
	scratch_store_dwordx4 off, v[12:15], off offset:436 ; 16-byte Folded Spill
	scratch_store_dwordx4 off, v[16:19], off offset:452 ; 16-byte Folded Spill
	scratch_store_dwordx4 off, v[20:23], off offset:468 ; 16-byte Folded Spill
	scratch_store_dwordx4 off, v[24:27], off offset:484 ; 16-byte Folded Spill
	scratch_store_dwordx4 off, v[28:31], off offset:500 ; 16-byte Folded Spill
	;; [unrolled: 9-line block ×8, first 2 shown]
	v_mov_b32_e32 v245, v86
	v_mov_b32_e32 v97, v88
	;; [unrolled: 1-line block ×4, first 2 shown]
	scratch_store_dwordx4 off, v[0:3], off offset:1284 ; 16-byte Folded Spill
	s_nop 0
	scratch_store_dwordx4 off, v[4:7], off offset:1300 ; 16-byte Folded Spill
	scratch_store_dwordx4 off, v[8:11], off offset:1316 ; 16-byte Folded Spill
	;; [unrolled: 1-line block ×7, first 2 shown]
.LBB57_38:
	s_or_b64 exec, exec, s[2:3]
	v_cmp_eq_u32_e32 vcc, 7, v254
	s_waitcnt vmcnt(63) expcnt(7) lgkmcnt(15)
	s_barrier
	s_and_saveexec_b64 s[2:3], vcc
	s_cbranch_execz .LBB57_41
; %bb.39:
	ds_write_b32 v255, v217
	scratch_load_dwordx4 v[0:3], off, off offset:4 ; 16-byte Folded Reload
	scratch_load_dwordx4 v[4:7], off, off offset:20 ; 16-byte Folded Reload
	;; [unrolled: 1-line block ×8, first 2 shown]
	s_waitcnt vmcnt(5)
	ds_write2_b32 v250, v8, v9 offset0:8 offset1:9
	ds_write2_b32 v250, v10, v11 offset0:10 offset1:11
	s_waitcnt vmcnt(4)
	ds_write2_b32 v250, v12, v13 offset0:12 offset1:13
	ds_write2_b32 v250, v14, v15 offset0:14 offset1:15
	s_waitcnt vmcnt(3)
	ds_write2_b32 v250, v16, v17 offset0:16 offset1:17
	ds_write2_b32 v250, v18, v19 offset0:18 offset1:19
	s_waitcnt vmcnt(2)
	ds_write2_b32 v250, v20, v21 offset0:20 offset1:21
	ds_write2_b32 v250, v22, v23 offset0:22 offset1:23
	s_waitcnt vmcnt(1)
	ds_write2_b32 v250, v24, v25 offset0:24 offset1:25
	ds_write2_b32 v250, v26, v27 offset0:26 offset1:27
	ds_write_b32 v250, v247 offset:112
	ds_read_b32 v26, v255
	s_waitcnt lgkmcnt(0)
	v_cmp_neq_f32_e32 vcc, 0, v26
	s_and_b64 exec, exec, vcc
	s_cbranch_execz .LBB57_41
; %bb.40:
	v_div_scale_f32 v27, s[4:5], v26, v26, 1.0
	s_waitcnt vmcnt(0)
	v_rcp_f32_e32 v28, v27
	v_div_scale_f32 v29, vcc, 1.0, v26, 1.0
	v_fma_f32 v30, -v27, v28, 1.0
	v_fmac_f32_e32 v28, v30, v28
	v_mul_f32_e32 v30, v29, v28
	v_fma_f32 v31, -v27, v30, v29
	v_fmac_f32_e32 v30, v31, v28
	v_fma_f32 v27, -v27, v30, v29
	v_div_fmas_f32 v27, v27, v28, v30
	v_div_fixup_f32 v26, v27, v26, 1.0
	ds_write_b32 v255, v26
.LBB57_41:
	s_or_b64 exec, exec, s[2:3]
	s_waitcnt lgkmcnt(0)
	s_barrier
	ds_read_b32 v253, v255
	v_cmp_lt_u32_e32 vcc, 7, v254
	s_and_saveexec_b64 s[2:3], vcc
	s_cbranch_execz .LBB57_43
; %bb.42:
	ds_read2_b32 v[2:3], v250 offset0:8 offset1:9
	ds_read2_b32 v[4:5], v250 offset0:10 offset1:11
	;; [unrolled: 1-line block ×4, first 2 shown]
	scratch_load_dwordx4 v[10:13], off, off offset:4 ; 16-byte Folded Reload
	scratch_load_dwordx4 v[14:17], off, off offset:20 ; 16-byte Folded Reload
	;; [unrolled: 1-line block ×8, first 2 shown]
	s_waitcnt lgkmcnt(4)
	v_mul_f32_e32 v0, v217, v253
	s_movk_i32 s4, 0x1404
	v_mov_b32_e32 v157, v0
	v_mov_b32_e32 v83, v0
	;; [unrolled: 1-line block ×3, first 2 shown]
	s_waitcnt vmcnt(2)
	v_mov_b64_e32 v[10:11], v[18:19]
	s_waitcnt lgkmcnt(3)
	v_pk_fma_f32 v[50:51], v[0:1], v[2:3], v[10:11] op_sel_hi:[0,1,1] neg_lo:[1,0,0] neg_hi:[1,0,0]
	ds_read2_b32 v[2:3], v250 offset0:16 offset1:17
	v_mov_b64_e32 v[12:13], v[20:21]
	v_mov_b64_e32 v[14:15], v[22:23]
	;; [unrolled: 1-line block ×4, first 2 shown]
	s_waitcnt lgkmcnt(3)
	v_pk_fma_f32 v[12:13], v[0:1], v[4:5], v[12:13] op_sel_hi:[0,1,1] neg_lo:[1,0,0] neg_hi:[1,0,0]
	s_waitcnt lgkmcnt(2)
	v_pk_fma_f32 v[14:15], v[0:1], v[6:7], v[14:15] op_sel_hi:[0,1,1] neg_lo:[1,0,0] neg_hi:[1,0,0]
	;; [unrolled: 2-line block ×3, first 2 shown]
	ds_read2_b32 v[4:5], v250 offset0:18 offset1:19
	ds_read2_b32 v[6:7], v250 offset0:20 offset1:21
	;; [unrolled: 1-line block ×3, first 2 shown]
	s_waitcnt lgkmcnt(3)
	v_pk_fma_f32 v[56:57], v[0:1], v[2:3], v[18:19] op_sel_hi:[0,1,1] neg_lo:[1,0,0] neg_hi:[1,0,0]
	ds_read2_b32 v[2:3], v250 offset0:24 offset1:25
	ds_read2_b32 v[10:11], v250 offset0:26 offset1:27
	ds_read_b32 v1, v250 offset:112
	v_mov_b64_e32 v[20:21], v[28:29]
	v_mov_b64_e32 v[22:23], v[30:31]
	;; [unrolled: 1-line block ×3, first 2 shown]
	s_waitcnt vmcnt(1)
	v_mov_b64_e32 v[26:27], v[34:35]
	v_mov_b64_e32 v[28:29], v[36:37]
	s_waitcnt lgkmcnt(0)
	v_pk_fma_f32 v[58:59], v[0:1], v[4:5], v[20:21] op_sel_hi:[0,1,1] neg_lo:[1,0,0] neg_hi:[1,0,0]
	v_pk_fma_f32 v[52:53], v[0:1], v[6:7], v[22:23] op_sel_hi:[0,1,1] neg_lo:[1,0,0] neg_hi:[1,0,0]
	;; [unrolled: 1-line block ×5, first 2 shown]
	scratch_load_dwordx4 v[18:21], off, s4  ; 16-byte Folded Reload
	scratch_load_dwordx4 v[22:25], off, s4 offset:16 ; 16-byte Folded Reload
	scratch_load_dwordx4 v[26:29], off, s4 offset:32 ; 16-byte Folded Reload
	;; [unrolled: 1-line block ×7, first 2 shown]
	v_mov_b64_e32 v[10:11], v[50:51]
	v_mov_b32_e32 v9, v0
	s_movk_i32 s4, 0x1284
	v_mov_b64_e32 v[126:127], v[56:57]
	v_mov_b32_e32 v166, v126
	v_mov_b32_e32 v167, v127
	;; [unrolled: 1-line block ×4, first 2 shown]
	s_waitcnt vmcnt(6)
	v_mov_b32_e32 v82, v24
	v_mov_b32_e32 v81, v23
	v_mov_b32_e32 v80, v22
	v_mov_b32_e32 v79, v21
	v_mov_b32_e32 v78, v20
	v_mov_b32_e32 v77, v19
	v_mov_b32_e32 v76, v18
	v_mov_b32_e32 v2, v76
	v_mov_b32_e32 v3, v77
	v_mov_b32_e32 v4, v78
	v_mov_b32_e32 v5, v79
	v_mov_b32_e32 v6, v80
	v_mov_b32_e32 v7, v81
	v_mov_b32_e32 v8, v82
	v_mov_b64_e32 v[198:199], v[10:11]
	v_mov_b64_e32 v[196:197], v[8:9]
	;; [unrolled: 1-line block ×5, first 2 shown]
	scratch_store_dwordx4 off, v[2:5], s4   ; 16-byte Folded Spill
	s_nop 0
	scratch_store_dwordx4 off, v[6:9], s4 offset:16 ; 16-byte Folded Spill
	scratch_store_dwordx4 off, v[10:13], s4 offset:32 ; 16-byte Folded Spill
	;; [unrolled: 1-line block ×5, first 2 shown]
	s_waitcnt vmcnt(11)
	scratch_store_dwordx4 off, v[26:29], s4 offset:96 ; 16-byte Folded Spill
	s_waitcnt vmcnt(11)
	scratch_store_dwordx4 off, v[30:33], s4 offset:112 ; 16-byte Folded Spill
	s_movk_i32 s4, 0x1084
	v_mov_b32_e32 v150, v76
	v_mov_b32_e32 v151, v77
	;; [unrolled: 1-line block ×16, first 2 shown]
	v_mov_b64_e32 v[70:71], v[12:13]
	v_mov_b64_e32 v[68:69], v[10:11]
	;; [unrolled: 1-line block ×6, first 2 shown]
	scratch_store_dwordx4 off, v[2:5], s4   ; 16-byte Folded Spill
	s_nop 0
	scratch_store_dwordx4 off, v[6:9], s4 offset:16 ; 16-byte Folded Spill
	scratch_store_dwordx4 off, v[10:13], s4 offset:32 ; 16-byte Folded Spill
	;; [unrolled: 1-line block ×7, first 2 shown]
	v_mov_b32_e32 v160, v70
	v_mov_b32_e32 v161, v71
	s_movk_i32 s4, 0x1204
	v_mov_b64_e32 v[162:163], v[14:15]
	scratch_store_dwordx4 off, v[2:5], off offset:3332 ; 16-byte Folded Spill
	s_nop 0
	scratch_store_dwordx4 off, v[6:9], off offset:3348 ; 16-byte Folded Spill
	scratch_store_dwordx4 off, v[10:13], off offset:3364 ; 16-byte Folded Spill
	;; [unrolled: 1-line block ×7, first 2 shown]
	v_mov_b32_e32 v25, v0
	v_mov_b32_e32 v26, v198
	;; [unrolled: 1-line block ×9, first 2 shown]
	scratch_store_dwordx4 off, v[18:21], off offset:3076 ; 16-byte Folded Spill
	s_nop 0
	scratch_store_dwordx4 off, v[22:25], off offset:3092 ; 16-byte Folded Spill
	scratch_store_dwordx4 off, v[26:29], off offset:3108 ; 16-byte Folded Spill
	;; [unrolled: 1-line block ×3, first 2 shown]
	s_waitcnt vmcnt(31)
	scratch_store_dwordx4 off, v[34:37], off offset:3140 ; 16-byte Folded Spill
	s_waitcnt vmcnt(31)
	scratch_store_dwordx4 off, v[38:41], off offset:3156 ; 16-byte Folded Spill
	;; [unrolled: 2-line block ×4, first 2 shown]
	v_mov_b32_e32 v34, v126
	v_mov_b32_e32 v35, v127
	;; [unrolled: 1-line block ×4, first 2 shown]
	v_mov_b64_e32 v[124:125], v[32:33]
	v_mov_b64_e32 v[122:123], v[30:31]
	;; [unrolled: 1-line block ×8, first 2 shown]
	scratch_store_dwordx4 off, v[18:21], off offset:2820 ; 16-byte Folded Spill
	s_nop 0
	scratch_store_dwordx4 off, v[22:25], off offset:2836 ; 16-byte Folded Spill
	scratch_store_dwordx4 off, v[26:29], off offset:2852 ; 16-byte Folded Spill
	;; [unrolled: 1-line block ×7, first 2 shown]
	v_mov_b64_e32 v[36:37], v[58:59]
	v_mov_b32_e32 v34, v126
	v_mov_b64_e32 v[58:59], v[208:209]
	v_mov_b64_e32 v[142:143], v[32:33]
	;; [unrolled: 1-line block ×11, first 2 shown]
	scratch_store_dwordx4 off, v[18:21], off offset:2692 ; 16-byte Folded Spill
	s_nop 0
	scratch_store_dwordx4 off, v[22:25], off offset:2708 ; 16-byte Folded Spill
	scratch_store_dwordx4 off, v[26:29], off offset:2724 ; 16-byte Folded Spill
	;; [unrolled: 1-line block ×7, first 2 shown]
	v_mov_b64_e32 v[38:39], v[52:53]
	v_mov_b32_e32 v168, v146
	v_mov_b32_e32 v169, v147
	v_mov_b32_e32 v236, v146
	v_mov_b32_e32 v237, v147
	v_mov_b32_e32 v200, v146
	v_mov_b32_e32 v201, v147
	v_mov_b64_e32 v[224:225], v[32:33]
	v_mov_b64_e32 v[230:231], v[38:39]
	;; [unrolled: 1-line block ×11, first 2 shown]
	scratch_store_dwordx4 off, v[18:21], off offset:2564 ; 16-byte Folded Spill
	s_nop 0
	scratch_store_dwordx4 off, v[22:25], off offset:2580 ; 16-byte Folded Spill
	scratch_store_dwordx4 off, v[26:29], off offset:2596 ; 16-byte Folded Spill
	;; [unrolled: 1-line block ×7, first 2 shown]
	v_mov_b64_e32 v[40:41], v[54:55]
	v_mov_b64_e32 v[52:53], v[12:13]
	;; [unrolled: 1-line block ×7, first 2 shown]
	v_mov_b32_e32 v162, v54
	v_mov_b32_e32 v163, v55
	;; [unrolled: 1-line block ×4, first 2 shown]
	v_mov_b64_e32 v[50:51], v[10:11]
	v_mov_b32_e32 v226, v198
	v_mov_b32_e32 v227, v199
	;; [unrolled: 1-line block ×6, first 2 shown]
	v_mov_b64_e32 v[98:99], v[32:33]
	v_mov_b64_e32 v[96:97], v[30:31]
	;; [unrolled: 1-line block ×9, first 2 shown]
	v_mov_b32_e32 v30, v54
	v_mov_b32_e32 v31, v55
	v_mov_b64_e32 v[104:105], v[38:39]
	v_mov_b64_e32 v[102:103], v[36:37]
	;; [unrolled: 1-line block ×3, first 2 shown]
	scratch_store_dwordx4 off, v[18:21], off offset:1924 ; 16-byte Folded Spill
	s_nop 0
	scratch_store_dwordx4 off, v[22:25], off offset:1940 ; 16-byte Folded Spill
	scratch_store_dwordx4 off, v[26:29], off offset:1956 ; 16-byte Folded Spill
	;; [unrolled: 1-line block ×7, first 2 shown]
	v_mov_b32_e32 v172, v106
	v_mov_b32_e32 v173, v107
	v_mov_b64_e32 v[18:19], v[210:211]
	scratch_store_dwordx4 off, v[150:153], off offset:900 ; 16-byte Folded Spill
	s_nop 0
	scratch_store_dwordx4 off, v[154:157], off offset:916 ; 16-byte Folded Spill
	scratch_store_dwordx4 off, v[158:161], off offset:932 ; 16-byte Folded Spill
	;; [unrolled: 1-line block ×7, first 2 shown]
	v_mov_b64_e32 v[20:21], v[212:213]
	v_mov_b64_e32 v[22:23], v[214:215]
	;; [unrolled: 1-line block ×14, first 2 shown]
	scratch_store_dwordx4 off, v[2:5], off offset:2436 ; 16-byte Folded Spill
	s_nop 0
	scratch_store_dwordx4 off, v[6:9], off offset:2452 ; 16-byte Folded Spill
	scratch_store_dwordx4 off, v[10:13], off offset:2468 ; 16-byte Folded Spill
	;; [unrolled: 1-line block ×7, first 2 shown]
	v_mov_b32_e32 v240, v106
	v_mov_b32_e32 v241, v107
	scratch_store_dwordx4 off, v[84:87], off offset:1540 ; 16-byte Folded Spill
	s_nop 0
	scratch_store_dwordx4 off, v[88:91], off offset:1556 ; 16-byte Folded Spill
	scratch_store_dwordx4 off, v[92:95], off offset:1572 ; 16-byte Folded Spill
	;; [unrolled: 1-line block ×7, first 2 shown]
	v_fma_f32 v180, -v0, v1, v247
	v_mov_b32_e32 v159, v0
	v_mov_b32_e32 v225, v0
	;; [unrolled: 1-line block ×9, first 2 shown]
	v_mov_b64_e32 v[52:53], v[38:39]
	v_mov_b32_e32 v238, v38
	v_mov_b32_e32 v239, v39
	v_mov_b64_e32 v[50:51], v[36:37]
	v_mov_b64_e32 v[48:49], v[34:35]
	;; [unrolled: 1-line block ×3, first 2 shown]
	v_mov_b32_e32 v232, v16
	v_mov_b32_e32 v233, v17
	v_mov_b64_e32 v[44:45], v[30:31]
	v_mov_b64_e32 v[42:43], v[28:29]
	;; [unrolled: 1-line block ×7, first 2 shown]
	scratch_load_dwordx4 v[0:3], off, off offset:900 ; 16-byte Folded Reload
	scratch_load_dwordx4 v[4:7], off, off offset:916 ; 16-byte Folded Reload
	;; [unrolled: 1-line block ×8, first 2 shown]
	s_waitcnt vmcnt(4)
	v_mov_b64_e32 v[98:99], v[14:15]
	v_mov_b64_e32 v[96:97], v[12:13]
	;; [unrolled: 1-line block ×3, first 2 shown]
	s_waitcnt vmcnt(1)
	v_mov_b64_e32 v[108:109], v[24:25]
	v_mov_b32_e32 v242, v108
	v_mov_b32_e32 v243, v109
	scratch_store_dwordx4 off, v[218:221], off offset:1796 ; 16-byte Folded Spill
	s_nop 0
	scratch_store_dwordx4 off, v[222:225], off offset:1812 ; 16-byte Folded Spill
	scratch_store_dwordx4 off, v[226:229], off offset:1828 ; 16-byte Folded Spill
	;; [unrolled: 1-line block ×7, first 2 shown]
	v_mov_b64_e32 v[226:227], v[170:171]
	v_mov_b64_e32 v[216:217], v[160:161]
	;; [unrolled: 1-line block ×17, first 2 shown]
	v_mov_b32_e32 v194, v228
	v_mov_b32_e32 v195, v229
	v_mov_b64_e32 v[166:167], v[218:219]
	v_mov_b64_e32 v[168:169], v[220:221]
	;; [unrolled: 1-line block ×6, first 2 shown]
	scratch_load_dwordx4 v[210:213], off, off offset:2436 ; 16-byte Folded Reload
	scratch_load_dwordx4 v[214:217], off, off offset:2452 ; 16-byte Folded Reload
	;; [unrolled: 1-line block ×8, first 2 shown]
	v_mov_b32_e32 v198, v126
	v_mov_b32_e32 v199, v127
	scratch_store_dwordx4 off, v[110:113], off offset:2308 ; 16-byte Folded Spill
	s_nop 0
	scratch_store_dwordx4 off, v[114:117], off offset:2324 ; 16-byte Folded Spill
	scratch_store_dwordx4 off, v[118:121], off offset:2340 ; 16-byte Folded Spill
	;; [unrolled: 1-line block ×8, first 2 shown]
	s_nop 0
	scratch_store_dwordx4 off, v[132:135], off offset:2196 ; 16-byte Folded Spill
	scratch_store_dwordx4 off, v[136:139], off offset:2212 ; 16-byte Folded Spill
	;; [unrolled: 1-line block ×7, first 2 shown]
	scratch_load_dwordx4 v[110:113], off, off offset:1540 ; 16-byte Folded Reload
	s_nop 0
	scratch_load_dwordx4 v[114:117], off, off offset:1556 ; 16-byte Folded Reload
	scratch_load_dwordx4 v[118:121], off, off offset:1572 ; 16-byte Folded Reload
	;; [unrolled: 1-line block ×7, first 2 shown]
	v_mov_b64_e32 v[92:93], v[8:9]
	v_mov_b64_e32 v[90:91], v[6:7]
	;; [unrolled: 1-line block ×5, first 2 shown]
	s_waitcnt vmcnt(28)
	v_mov_b64_e32 v[0:1], v[210:211]
	v_mov_b32_e32 v190, v26
	v_mov_b32_e32 v191, v27
	v_mov_b64_e32 v[30:31], v[26:27]
	v_mov_b64_e32 v[2:3], v[212:213]
	;; [unrolled: 1-line block ×8, first 2 shown]
	s_waitcnt vmcnt(27)
	v_mov_b64_e32 v[228:229], v[98:99]
	v_mov_b64_e32 v[28:29], v[24:25]
	v_mov_b64_e32 v[26:27], v[22:23]
	v_mov_b64_e32 v[24:25], v[20:21]
	v_mov_b64_e32 v[22:23], v[18:19]
	v_mov_b32_e32 v196, v14
	v_mov_b32_e32 v197, v15
	v_mov_b64_e32 v[0:1], v[32:33]
	v_mov_b64_e32 v[16:17], v[48:49]
	;; [unrolled: 1-line block ×12, first 2 shown]
	v_mov_b32_e32 v192, v70
	v_mov_b32_e32 v193, v71
	v_mov_b64_e32 v[2:3], v[34:35]
	v_mov_b64_e32 v[4:5], v[36:37]
	;; [unrolled: 1-line block ×9, first 2 shown]
	s_waitcnt vmcnt(24)
	v_mov_b64_e32 v[238:239], v[108:109]
	v_mov_b64_e32 v[90:91], v[28:29]
	;; [unrolled: 1-line block ×11, first 2 shown]
	v_mov_b32_e32 v202, v20
	v_mov_b32_e32 v203, v21
	v_mov_b64_e32 v[34:35], v[184:185]
	v_mov_b64_e32 v[36:37], v[186:187]
	;; [unrolled: 1-line block ×7, first 2 shown]
	v_mov_b32_e32 v56, v108
	v_mov_b32_e32 v57, v109
	v_mov_b64_e32 v[236:237], v[106:107]
	v_mov_b64_e32 v[234:235], v[104:105]
	;; [unrolled: 1-line block ×4, first 2 shown]
	scratch_store_dwordx4 off, v[84:87], s4 ; 16-byte Folded Spill
	s_nop 0
	scratch_store_dwordx4 off, v[88:91], s4 offset:16 ; 16-byte Folded Spill
	scratch_store_dwordx4 off, v[92:95], s4 offset:32 ; 16-byte Folded Spill
	;; [unrolled: 1-line block ×5, first 2 shown]
	s_waitcnt vmcnt(13)
	scratch_store_dwordx4 off, v[108:111], s4 offset:96 ; 16-byte Folded Spill
	s_waitcnt vmcnt(13)
	scratch_store_dwordx4 off, v[112:115], s4 offset:112 ; 16-byte Folded Spill
	v_mov_b32_e32 v164, v178
	v_mov_b32_e32 v165, v179
	scratch_store_dwordx4 off, v[166:169], off offset:2948 ; 16-byte Folded Spill
	s_nop 0
	scratch_store_dwordx4 off, v[170:173], off offset:2964 ; 16-byte Folded Spill
	scratch_store_dwordx4 off, v[174:177], off offset:2980 ; 16-byte Folded Spill
	;; [unrolled: 1-line block ×7, first 2 shown]
	s_waitcnt vmcnt(18)
	v_mov_b32_e32 v204, v132
	v_mov_b32_e32 v205, v133
	v_mov_b64_e32 v[48:49], v[198:199]
	v_mov_b64_e32 v[50:51], v[200:201]
	v_mov_b64_e32 v[52:53], v[202:203]
	v_mov_b64_e32 v[54:55], v[204:205]
	scratch_load_dwordx4 v[182:185], off, off offset:2436 ; 16-byte Folded Reload
	scratch_load_dwordx4 v[186:189], off, off offset:2452 ; 16-byte Folded Reload
	;; [unrolled: 1-line block ×8, first 2 shown]
	v_mov_b32_e32 v152, v76
	v_mov_b32_e32 v153, v77
	;; [unrolled: 1-line block ×15, first 2 shown]
	s_movk_i32 s4, 0x1384
	v_mov_b32_e32 v246, v59
	v_mov_b32_e32 v254, v244
	;; [unrolled: 1-line block ×4, first 2 shown]
	s_waitcnt vmcnt(4)
	v_mov_b32_e32 v166, v196
	v_mov_b32_e32 v167, v197
	scratch_load_dwordx4 v[182:185], off, off offset:2308 ; 16-byte Folded Reload
	scratch_load_dwordx4 v[186:189], off, off offset:2324 ; 16-byte Folded Reload
	;; [unrolled: 1-line block ×8, first 2 shown]
	v_mov_b64_e32 v[150:151], v[152:153]
	v_mov_b64_e32 v[152:153], v[154:155]
	;; [unrolled: 1-line block ×8, first 2 shown]
	s_waitcnt vmcnt(3)
	v_mov_b64_e32 v[100:101], v[198:199]
	scratch_load_dwordx4 v[182:185], off, off offset:2180 ; 16-byte Folded Reload
	scratch_load_dwordx4 v[186:189], off, off offset:2196 ; 16-byte Folded Reload
	;; [unrolled: 1-line block ×8, first 2 shown]
	s_waitcnt vmcnt(0)
	v_mov_b64_e32 v[204:205], v[214:215]
	v_mov_b32_e32 v168, v100
	v_mov_b32_e32 v169, v101
	v_mov_b64_e32 v[206:207], v[216:217]
	v_mov_b64_e32 v[208:209], v[218:219]
	;; [unrolled: 1-line block ×9, first 2 shown]
	v_mov_b32_e32 v176, v228
	v_mov_b32_e32 v177, v229
	v_mov_b64_e32 v[222:223], v[232:233]
	v_mov_b64_e32 v[224:225], v[234:235]
	v_mov_b64_e32 v[226:227], v[236:237]
	v_mov_b64_e32 v[240:241], v[228:229]
	v_mov_b64_e32 v[238:239], v[226:227]
	v_mov_b64_e32 v[236:237], v[224:225]
	v_mov_b64_e32 v[234:235], v[222:223]
	v_mov_b64_e32 v[232:233], v[220:221]
	v_mov_b64_e32 v[230:231], v[218:219]
	v_mov_b64_e32 v[228:229], v[216:217]
	v_mov_b64_e32 v[226:227], v[214:215]
	v_mov_b64_e32 v[224:225], v[212:213]
	v_mov_b64_e32 v[222:223], v[210:211]
	v_mov_b64_e32 v[220:221], v[208:209]
	v_mov_b64_e32 v[218:219], v[206:207]
	v_mov_b64_e32 v[216:217], v[204:205]
	v_mov_b64_e32 v[84:85], v[182:183]
	v_mov_b64_e32 v[100:101], v[198:199]
	v_mov_b64_e32 v[102:103], v[200:201]
	v_mov_b32_e32 v170, v102
	v_mov_b32_e32 v171, v103
	v_mov_b64_e32 v[166:167], v[168:169]
	v_mov_b64_e32 v[86:87], v[184:185]
	;; [unrolled: 1-line block ×13, first 2 shown]
	v_mov_b32_e32 v178, v180
	v_mov_b64_e32 v[196:197], v[14:15]
	v_mov_b64_e32 v[202:203], v[20:21]
	scratch_store_dwordx4 off, v[76:79], s4 ; 16-byte Folded Spill
	s_nop 0
	scratch_store_dwordx4 off, v[80:83], s4 offset:16 ; 16-byte Folded Spill
	scratch_store_dwordx4 off, v[84:87], s4 offset:32 ; 16-byte Folded Spill
	;; [unrolled: 1-line block ×7, first 2 shown]
	scratch_store_dwordx4 off, v[150:153], off offset:4 ; 16-byte Folded Spill
	s_nop 0
	scratch_store_dwordx4 off, v[154:157], off offset:20 ; 16-byte Folded Spill
	scratch_store_dwordx4 off, v[158:161], off offset:36 ; 16-byte Folded Spill
	;; [unrolled: 1-line block ×7, first 2 shown]
	s_movk_i32 s4, 0x1204
	v_mov_b64_e32 v[194:195], v[12:13]
	v_mov_b64_e32 v[192:193], v[10:11]
	;; [unrolled: 1-line block ×9, first 2 shown]
	scratch_load_dwordx4 v[0:3], off, s4    ; 16-byte Folded Reload
	scratch_load_dwordx4 v[4:7], off, s4 offset:16 ; 16-byte Folded Reload
	scratch_load_dwordx4 v[8:11], off, s4 offset:32 ; 16-byte Folded Reload
	;; [unrolled: 1-line block ×7, first 2 shown]
	s_waitcnt vmcnt(0)
	v_mov_b32_e32 v18, v60
	v_mov_b32_e32 v19, v61
	;; [unrolled: 1-line block ×11, first 2 shown]
	scratch_store_dwordx4 off, v[18:21], off offset:3460 ; 16-byte Folded Spill
	s_nop 0
	scratch_store_dwordx4 off, v[22:25], off offset:3476 ; 16-byte Folded Spill
	scratch_store_dwordx4 off, v[26:29], off offset:3492 ; 16-byte Folded Spill
	;; [unrolled: 1-line block ×7, first 2 shown]
	v_mov_b64_e32 v[214:215], v[8:9]
	v_mov_b64_e32 v[212:213], v[6:7]
	;; [unrolled: 1-line block ×5, first 2 shown]
	scratch_load_dwordx4 v[0:3], off, off offset:2948 ; 16-byte Folded Reload
	scratch_load_dwordx4 v[4:7], off, off offset:2964 ; 16-byte Folded Reload
	;; [unrolled: 1-line block ×8, first 2 shown]
	v_mov_b32_e32 v247, v180
	v_mov_b32_e32 v213, v215
	;; [unrolled: 1-line block ×4, first 2 shown]
	s_waitcnt vmcnt(0)
	v_mov_b64_e32 v[30:31], v[12:13]
	v_mov_b32_e32 v210, v30
	v_mov_b32_e32 v209, v31
	scratch_load_dwordx4 v[0:3], off, off offset:2436 ; 16-byte Folded Reload
	scratch_load_dwordx4 v[4:7], off, off offset:2452 ; 16-byte Folded Reload
	;; [unrolled: 1-line block ×8, first 2 shown]
	s_waitcnt vmcnt(3)
	v_mov_b64_e32 v[16:17], v[14:15]
	v_mov_b64_e32 v[14:15], v[12:13]
	;; [unrolled: 1-line block ×8, first 2 shown]
	v_mov_b32_e32 v18, v16
	scratch_store_dwordx4 off, v[4:7], off offset:132 ; 16-byte Folded Spill
	s_nop 0
	scratch_store_dwordx4 off, v[8:11], off offset:148 ; 16-byte Folded Spill
	scratch_store_dwordx4 off, v[12:15], off offset:164 ; 16-byte Folded Spill
	;; [unrolled: 1-line block ×3, first 2 shown]
	s_waitcnt vmcnt(6)
	scratch_store_dwordx4 off, v[20:23], off offset:196 ; 16-byte Folded Spill
	s_waitcnt vmcnt(6)
	scratch_store_dwordx4 off, v[24:27], off offset:212 ; 16-byte Folded Spill
	;; [unrolled: 2-line block ×3, first 2 shown]
	scratch_store_dwordx4 off, v[32:35], off offset:244 ; 16-byte Folded Spill
	scratch_store_dwordx4 off, v[2:5], off offset:388 ; 16-byte Folded Spill
	s_nop 0
	scratch_store_dwordx4 off, v[6:9], off offset:404 ; 16-byte Folded Spill
	scratch_store_dwordx4 off, v[10:13], off offset:420 ; 16-byte Folded Spill
	;; [unrolled: 1-line block ×7, first 2 shown]
	scratch_load_dwordx4 v[132:135], off, off offset:2308 ; 16-byte Folded Reload
	scratch_load_dwordx4 v[136:139], off, off offset:2324 ; 16-byte Folded Reload
	scratch_load_dwordx4 v[140:143], off, off offset:2340 ; 16-byte Folded Reload
	scratch_load_dwordx4 v[144:147], off, off offset:2356 ; 16-byte Folded Reload
	scratch_load_dwordx4 v[148:151], off, off offset:2372 ; 16-byte Folded Reload
	scratch_load_dwordx4 v[152:155], off, off offset:2388 ; 16-byte Folded Reload
	scratch_load_dwordx4 v[156:159], off, off offset:2404 ; 16-byte Folded Reload
	scratch_load_dwordx4 v[160:163], off, off offset:2420 ; 16-byte Folded Reload
	s_waitcnt vmcnt(3)
	v_mov_b32_e32 v16, v148
	scratch_store_dwordx4 off, v[0:3], off offset:1412 ; 16-byte Folded Spill
	s_nop 0
	scratch_store_dwordx4 off, v[4:7], off offset:1428 ; 16-byte Folded Spill
	scratch_store_dwordx4 off, v[8:11], off offset:1444 ; 16-byte Folded Spill
	;; [unrolled: 1-line block ×8, first 2 shown]
	s_nop 0
	scratch_store_dwordx4 off, v[136:139], off offset:532 ; 16-byte Folded Spill
	scratch_store_dwordx4 off, v[140:143], off offset:548 ; 16-byte Folded Spill
	;; [unrolled: 1-line block ×4, first 2 shown]
	s_waitcnt vmcnt(15)
	scratch_store_dwordx4 off, v[152:155], off offset:596 ; 16-byte Folded Spill
	s_waitcnt vmcnt(15)
	scratch_store_dwordx4 off, v[156:159], off offset:612 ; 16-byte Folded Spill
	;; [unrolled: 2-line block ×3, first 2 shown]
	scratch_load_dwordx4 v[0:3], off, off offset:2180 ; 16-byte Folded Reload
	scratch_load_dwordx4 v[4:7], off, off offset:2196 ; 16-byte Folded Reload
	scratch_load_dwordx4 v[8:11], off, off offset:2212 ; 16-byte Folded Reload
	scratch_load_dwordx4 v[12:15], off, off offset:2228 ; 16-byte Folded Reload
	scratch_load_dwordx4 v[16:19], off, off offset:2244 ; 16-byte Folded Reload
	scratch_load_dwordx4 v[20:23], off, off offset:2260 ; 16-byte Folded Reload
	scratch_load_dwordx4 v[24:27], off, off offset:2276 ; 16-byte Folded Reload
	scratch_load_dwordx4 v[28:31], off, off offset:2292 ; 16-byte Folded Reload
	s_waitcnt vmcnt(3)
	v_mov_b64_e32 v[170:171], v[18:19]
	v_mov_b32_e32 v103, v171
	v_mov_b64_e32 v[168:169], v[16:17]
	scratch_store_dwordx4 off, v[0:3], off offset:772 ; 16-byte Folded Spill
	s_nop 0
	scratch_store_dwordx4 off, v[4:7], off offset:788 ; 16-byte Folded Spill
	scratch_store_dwordx4 off, v[8:11], off offset:804 ; 16-byte Folded Spill
	;; [unrolled: 1-line block ×4, first 2 shown]
	s_waitcnt vmcnt(7)
	scratch_store_dwordx4 off, v[20:23], off offset:852 ; 16-byte Folded Spill
	s_waitcnt vmcnt(7)
	scratch_store_dwordx4 off, v[24:27], off offset:868 ; 16-byte Folded Spill
	;; [unrolled: 2-line block ×3, first 2 shown]
	scratch_store_dwordx4 off, v[84:87], off offset:1028 ; 16-byte Folded Spill
	s_nop 0
	scratch_store_dwordx4 off, v[88:91], off offset:1044 ; 16-byte Folded Spill
	scratch_store_dwordx4 off, v[92:95], off offset:1060 ; 16-byte Folded Spill
	;; [unrolled: 1-line block ×7, first 2 shown]
	v_mov_b64_e32 v[102:103], v[198:199]
	v_mov_b64_e32 v[86:87], v[182:183]
	;; [unrolled: 1-line block ×11, first 2 shown]
	v_mov_b32_e32 v20, v106
	scratch_store_dwordx4 off, v[0:3], off offset:644 ; 16-byte Folded Spill
	s_nop 0
	scratch_store_dwordx4 off, v[4:7], off offset:660 ; 16-byte Folded Spill
	scratch_store_dwordx4 off, v[8:11], off offset:676 ; 16-byte Folded Spill
	;; [unrolled: 1-line block ×8, first 2 shown]
	s_nop 0
	scratch_store_dwordx4 off, v[90:93], off offset:1684 ; 16-byte Folded Spill
	scratch_store_dwordx4 off, v[94:97], off offset:1700 ; 16-byte Folded Spill
	;; [unrolled: 1-line block ×7, first 2 shown]
	scratch_load_dwordx4 v[74:77], off, off offset:1540 ; 16-byte Folded Reload
	s_nop 0
	scratch_load_dwordx4 v[78:81], off, off offset:1556 ; 16-byte Folded Reload
	scratch_load_dwordx4 v[82:85], off, off offset:1572 ; 16-byte Folded Reload
	scratch_load_dwordx4 v[86:89], off, off offset:1588 ; 16-byte Folded Reload
	scratch_load_dwordx4 v[90:93], off, off offset:1604 ; 16-byte Folded Reload
	scratch_load_dwordx4 v[94:97], off, off offset:1620 ; 16-byte Folded Reload
	scratch_load_dwordx4 v[98:101], off, off offset:1636 ; 16-byte Folded Reload
	scratch_load_dwordx4 v[102:105], off, off offset:1652 ; 16-byte Folded Reload
	s_waitcnt vmcnt(6)
	v_mov_b64_e32 v[72:73], v[232:233]
	v_mov_b64_e32 v[80:81], v[240:241]
	v_mov_b32_e32 v180, v58
	v_mov_b64_e32 v[74:75], v[234:235]
	v_mov_b64_e32 v[76:77], v[236:237]
	;; [unrolled: 1-line block ×3, first 2 shown]
	v_mov_b32_e32 v235, v81
	v_mov_b32_e32 v179, v57
	;; [unrolled: 1-line block ×12, first 2 shown]
	s_waitcnt vmcnt(2)
	v_mov_b32_e32 v22, v96
	scratch_store_dwordx4 off, v[0:3], off offset:260 ; 16-byte Folded Spill
	s_nop 0
	scratch_store_dwordx4 off, v[4:7], off offset:276 ; 16-byte Folded Spill
	scratch_store_dwordx4 off, v[8:11], off offset:292 ; 16-byte Folded Spill
	;; [unrolled: 1-line block ×7, first 2 shown]
	s_nop 0
	v_mov_b32_e32 v24, v80
	scratch_store_dwordx4 off, v[0:3], off offset:1284 ; 16-byte Folded Spill
	s_nop 0
	scratch_store_dwordx4 off, v[4:7], off offset:1300 ; 16-byte Folded Spill
	scratch_store_dwordx4 off, v[8:11], off offset:1316 ; 16-byte Folded Spill
	;; [unrolled: 1-line block ×7, first 2 shown]
	v_mov_b64_e32 v[0:1], v[32:33]
	v_mov_b32_e32 v16, v48
	v_mov_b64_e32 v[2:3], v[34:35]
	v_mov_b64_e32 v[4:5], v[36:37]
	;; [unrolled: 1-line block ×7, first 2 shown]
	v_mov_b32_e32 v17, v49
	v_mov_b32_e32 v18, v50
	;; [unrolled: 1-line block ×10, first 2 shown]
	scratch_store_dwordx4 off, v[0:3], off offset:1156 ; 16-byte Folded Spill
	s_nop 0
	scratch_store_dwordx4 off, v[4:7], off offset:1172 ; 16-byte Folded Spill
	scratch_store_dwordx4 off, v[8:11], off offset:1188 ; 16-byte Folded Spill
	;; [unrolled: 1-line block ×7, first 2 shown]
.LBB57_43:
	s_or_b64 exec, exec, s[2:3]
	v_cmp_eq_u32_e32 vcc, 8, v254
	s_waitcnt lgkmcnt(0)
	s_barrier
	s_and_saveexec_b64 s[2:3], vcc
	s_cbranch_execz .LBB57_46
; %bb.44:
	ds_write_b32 v255, v214
	scratch_load_dwordx4 v[0:3], off, off offset:4 ; 16-byte Folded Reload
	scratch_load_dwordx4 v[4:7], off, off offset:20 ; 16-byte Folded Reload
	scratch_load_dwordx4 v[8:11], off, off offset:36 ; 16-byte Folded Reload
	scratch_load_dwordx4 v[12:15], off, off offset:52 ; 16-byte Folded Reload
	scratch_load_dwordx4 v[16:19], off, off offset:68 ; 16-byte Folded Reload
	scratch_load_dwordx4 v[20:23], off, off offset:84 ; 16-byte Folded Reload
	scratch_load_dwordx4 v[24:27], off, off offset:100 ; 16-byte Folded Reload
	scratch_load_dwordx4 v[28:31], off, off offset:116 ; 16-byte Folded Reload
	s_waitcnt vmcnt(5)
	ds_write2_b32 v250, v9, v10 offset0:9 offset1:10
	s_waitcnt vmcnt(4)
	ds_write2_b32 v250, v11, v12 offset0:11 offset1:12
	ds_write2_b32 v250, v13, v14 offset0:13 offset1:14
	s_waitcnt vmcnt(3)
	ds_write2_b32 v250, v15, v16 offset0:15 offset1:16
	;; [unrolled: 3-line block ×5, first 2 shown]
	ds_read_b32 v26, v255
	s_waitcnt lgkmcnt(0)
	v_cmp_neq_f32_e32 vcc, 0, v26
	s_and_b64 exec, exec, vcc
	s_cbranch_execz .LBB57_46
; %bb.45:
	v_div_scale_f32 v27, s[4:5], v26, v26, 1.0
	v_rcp_f32_e32 v28, v27
	v_div_scale_f32 v29, vcc, 1.0, v26, 1.0
	v_fma_f32 v30, -v27, v28, 1.0
	v_fmac_f32_e32 v28, v30, v28
	v_mul_f32_e32 v30, v29, v28
	v_fma_f32 v31, -v27, v30, v29
	v_fmac_f32_e32 v30, v31, v28
	v_fma_f32 v27, -v27, v30, v29
	v_div_fmas_f32 v27, v27, v28, v30
	v_div_fixup_f32 v26, v27, v26, 1.0
	ds_write_b32 v255, v26
.LBB57_46:
	s_or_b64 exec, exec, s[2:3]
	s_waitcnt lgkmcnt(0)
	s_barrier
	ds_read_b32 v0, v255
	v_cmp_lt_u32_e32 vcc, 8, v254
	s_waitcnt lgkmcnt(0)
	scratch_store_dword off, v0, off offset:2052 ; 4-byte Folded Spill
	s_and_saveexec_b64 s[2:3], vcc
	s_cbranch_execz .LBB57_48
; %bb.47:
	scratch_load_dword v0, off, off offset:2052 ; 4-byte Folded Reload
	s_movk_i32 s4, 0x1384
	scratch_load_dwordx4 v[2:5], off, s4    ; 16-byte Folded Reload
	scratch_load_dwordx4 v[6:9], off, s4 offset:16 ; 16-byte Folded Reload
	scratch_load_dwordx4 v[10:13], off, s4 offset:32 ; 16-byte Folded Reload
	;; [unrolled: 1-line block ×7, first 2 shown]
	s_movk_i32 s4, 0x1084
	s_waitcnt vmcnt(6)
	v_mov_b64_e32 v[70:71], v[8:9]
	v_mov_b64_e32 v[68:69], v[6:7]
	;; [unrolled: 1-line block ×4, first 2 shown]
	v_mul_f32_e32 v72, v214, v0
	ds_read2_b32 v[0:1], v250 offset0:9 offset1:10
	scratch_load_dwordx4 v[18:21], off, off offset:4 ; 16-byte Folded Reload
	scratch_load_dwordx4 v[22:25], off, off offset:20 ; 16-byte Folded Reload
	;; [unrolled: 1-line block ×8, first 2 shown]
	ds_read2_b32 v[4:5], v250 offset0:11 offset1:12
	ds_read2_b32 v[6:7], v250 offset0:13 offset1:14
	;; [unrolled: 1-line block ×3, first 2 shown]
	v_mov_b32_e32 v152, v64
	v_mov_b32_e32 v153, v65
	;; [unrolled: 1-line block ×27, first 2 shown]
	s_waitcnt vmcnt(5)
	v_mov_b32_e32 v2, v27
	v_mov_b32_e32 v3, v28
	s_waitcnt lgkmcnt(3)
	v_pk_fma_f32 v[26:27], v[72:73], v[0:1], v[2:3] op_sel_hi:[0,1,1] neg_lo:[1,0,0] neg_hi:[1,0,0]
	v_mov_b32_e32 v0, v29
	s_waitcnt vmcnt(4)
	v_mov_b32_e32 v1, v30
	s_waitcnt lgkmcnt(2)
	v_pk_fma_f32 v[28:29], v[72:73], v[4:5], v[0:1] op_sel_hi:[0,1,1] neg_lo:[1,0,0] neg_hi:[1,0,0]
	v_mov_b32_e32 v0, v31
	v_mov_b32_e32 v1, v32
	s_waitcnt lgkmcnt(1)
	v_pk_fma_f32 v[30:31], v[72:73], v[6:7], v[0:1] op_sel_hi:[0,1,1] neg_lo:[1,0,0] neg_hi:[1,0,0]
	v_mov_b32_e32 v0, v33
	s_waitcnt vmcnt(3)
	v_mov_b32_e32 v1, v34
	s_waitcnt lgkmcnt(0)
	v_pk_fma_f32 v[56:57], v[72:73], v[8:9], v[0:1] op_sel_hi:[0,1,1] neg_lo:[1,0,0] neg_hi:[1,0,0]
	ds_read2_b32 v[0:1], v250 offset0:17 offset1:18
	ds_read2_b32 v[4:5], v250 offset0:19 offset1:20
	;; [unrolled: 1-line block ×4, first 2 shown]
	v_mov_b32_e32 v2, v35
	v_mov_b32_e32 v3, v36
	;; [unrolled: 1-line block ×3, first 2 shown]
	s_waitcnt lgkmcnt(3)
	v_pk_fma_f32 v[58:59], v[72:73], v[0:1], v[2:3] op_sel_hi:[0,1,1] neg_lo:[1,0,0] neg_hi:[1,0,0]
	v_mov_b32_e32 v0, v37
	s_waitcnt vmcnt(2)
	v_mov_b32_e32 v1, v38
	ds_read2_b32 v[2:3], v250 offset0:25 offset1:26
	s_waitcnt lgkmcnt(3)
	v_pk_fma_f32 v[60:61], v[72:73], v[4:5], v[0:1] op_sel_hi:[0,1,1] neg_lo:[1,0,0] neg_hi:[1,0,0]
	ds_read2_b32 v[4:5], v250 offset0:27 offset1:28
	v_mov_b32_e32 v0, v39
	v_mov_b32_e32 v1, v40
	s_waitcnt lgkmcnt(3)
	v_pk_fma_f32 v[62:63], v[72:73], v[6:7], v[0:1] op_sel_hi:[0,1,1] neg_lo:[1,0,0] neg_hi:[1,0,0]
	v_mov_b32_e32 v0, v41
	s_waitcnt vmcnt(1)
	v_mov_b32_e32 v1, v42
	s_waitcnt lgkmcnt(2)
	v_pk_fma_f32 v[86:87], v[72:73], v[8:9], v[0:1] op_sel_hi:[0,1,1] neg_lo:[1,0,0] neg_hi:[1,0,0]
	v_mov_b32_e32 v0, v43
	v_mov_b32_e32 v1, v44
	s_waitcnt lgkmcnt(1)
	v_pk_fma_f32 v[88:89], v[72:73], v[2:3], v[0:1] op_sel_hi:[0,1,1] neg_lo:[1,0,0] neg_hi:[1,0,0]
	v_mov_b32_e32 v0, v45
	s_waitcnt vmcnt(0)
	v_mov_b32_e32 v1, v46
	s_waitcnt lgkmcnt(0)
	v_pk_fma_f32 v[246:247], v[72:73], v[4:5], v[0:1] op_sel_hi:[0,1,1] neg_lo:[1,0,0] neg_hi:[1,0,0]
	v_mov_b32_e32 v0, v64
	v_mov_b32_e32 v1, v65
	;; [unrolled: 1-line block ×11, first 2 shown]
	scratch_store_dwordx4 off, v[0:3], off offset:3460 ; 16-byte Folded Spill
	s_nop 0
	scratch_store_dwordx4 off, v[4:7], off offset:3476 ; 16-byte Folded Spill
	scratch_store_dwordx4 off, v[8:11], off offset:3492 ; 16-byte Folded Spill
	;; [unrolled: 1-line block ×7, first 2 shown]
	v_mov_b32_e32 v167, v56
	v_mov_b32_e32 v168, v57
	;; [unrolled: 1-line block ×26, first 2 shown]
	scratch_store_dwordx4 off, v[0:3], s4   ; 16-byte Folded Spill
	s_nop 0
	scratch_store_dwordx4 off, v[4:7], s4 offset:16 ; 16-byte Folded Spill
	scratch_store_dwordx4 off, v[8:11], s4 offset:32 ; 16-byte Folded Spill
	;; [unrolled: 1-line block ×7, first 2 shown]
	s_movk_i32 s4, 0x1284
	v_mov_b32_e32 v12, v29
	scratch_store_dwordx4 off, v[0:3], off offset:2948 ; 16-byte Folded Spill
	s_nop 0
	scratch_store_dwordx4 off, v[4:7], off offset:2964 ; 16-byte Folded Spill
	scratch_store_dwordx4 off, v[8:11], off offset:2980 ; 16-byte Folded Spill
	scratch_store_dwordx4 off, v[12:15], off offset:2996 ; 16-byte Folded Spill
	scratch_store_dwordx4 off, v[16:19], off offset:3012 ; 16-byte Folded Spill
	scratch_store_dwordx4 off, v[20:23], off offset:3028 ; 16-byte Folded Spill
	scratch_store_dwordx4 off, v[24:27], off offset:3044 ; 16-byte Folded Spill
	scratch_store_dwordx4 off, v[28:31], off offset:3060 ; 16-byte Folded Spill
	v_mov_b32_e32 v13, v30
	scratch_store_dwordx4 off, v[0:3], off offset:3332 ; 16-byte Folded Spill
	s_nop 0
	scratch_store_dwordx4 off, v[4:7], off offset:3348 ; 16-byte Folded Spill
	scratch_store_dwordx4 off, v[8:11], off offset:3364 ; 16-byte Folded Spill
	scratch_store_dwordx4 off, v[12:15], off offset:3380 ; 16-byte Folded Spill
	scratch_store_dwordx4 off, v[16:19], off offset:3396 ; 16-byte Folded Spill
	scratch_store_dwordx4 off, v[20:23], off offset:3412 ; 16-byte Folded Spill
	scratch_store_dwordx4 off, v[24:27], off offset:3428 ; 16-byte Folded Spill
	scratch_store_dwordx4 off, v[28:31], off offset:3444 ; 16-byte Folded Spill
	;; [unrolled: 10-line block ×8, first 2 shown]
	v_mov_b32_e32 v20, v61
	v_mov_b32_e32 v21, v62
	v_mov_b32_e32 v161, v26
	v_mov_b32_e32 v162, v27
	v_mov_b32_e32 v163, v28
	v_mov_b32_e32 v164, v29
	v_mov_b32_e32 v165, v30
	v_mov_b32_e32 v166, v31
	scratch_store_dwordx4 off, v[152:155], off offset:1668 ; 16-byte Folded Spill
	s_nop 0
	scratch_store_dwordx4 off, v[156:159], off offset:1684 ; 16-byte Folded Spill
	scratch_store_dwordx4 off, v[160:163], off offset:1700 ; 16-byte Folded Spill
	;; [unrolled: 1-line block ×8, first 2 shown]
	s_nop 0
	scratch_store_dwordx4 off, v[4:7], off offset:2580 ; 16-byte Folded Spill
	scratch_store_dwordx4 off, v[8:11], off offset:2596 ; 16-byte Folded Spill
	scratch_store_dwordx4 off, v[12:15], off offset:2612 ; 16-byte Folded Spill
	scratch_store_dwordx4 off, v[16:19], off offset:2628 ; 16-byte Folded Spill
	scratch_store_dwordx4 off, v[20:23], off offset:2644 ; 16-byte Folded Spill
	scratch_store_dwordx4 off, v[24:27], off offset:2660 ; 16-byte Folded Spill
	scratch_store_dwordx4 off, v[28:31], off offset:2676 ; 16-byte Folded Spill
	v_mov_b32_e32 v152, v61
	v_mov_b32_e32 v153, v62
	;; [unrolled: 1-line block ×25, first 2 shown]
	scratch_store_dwordx4 off, v[132:135], off offset:1540 ; 16-byte Folded Spill
	s_nop 0
	scratch_store_dwordx4 off, v[136:139], off offset:1556 ; 16-byte Folded Spill
	scratch_store_dwordx4 off, v[140:143], off offset:1572 ; 16-byte Folded Spill
	;; [unrolled: 1-line block ×8, first 2 shown]
	s_nop 0
	scratch_store_dwordx4 off, v[4:7], off offset:1940 ; 16-byte Folded Spill
	scratch_store_dwordx4 off, v[8:11], off offset:1956 ; 16-byte Folded Spill
	;; [unrolled: 1-line block ×7, first 2 shown]
	v_mov_b32_e32 v156, v64
	v_mov_b32_e32 v24, v87
	;; [unrolled: 1-line block ×9, first 2 shown]
	scratch_store_dwordx4 off, v[0:3], off offset:900 ; 16-byte Folded Spill
	s_nop 0
	scratch_store_dwordx4 off, v[4:7], off offset:916 ; 16-byte Folded Spill
	scratch_store_dwordx4 off, v[8:11], off offset:932 ; 16-byte Folded Spill
	;; [unrolled: 1-line block ×7, first 2 shown]
	s_nop 0
	v_mov_b32_e32 v25, v88
	scratch_store_dwordx4 off, v[0:3], off offset:1796 ; 16-byte Folded Spill
	s_nop 0
	scratch_store_dwordx4 off, v[4:7], off offset:1812 ; 16-byte Folded Spill
	scratch_store_dwordx4 off, v[8:11], off offset:1828 ; 16-byte Folded Spill
	scratch_store_dwordx4 off, v[12:15], off offset:1844 ; 16-byte Folded Spill
	scratch_store_dwordx4 off, v[16:19], off offset:1860 ; 16-byte Folded Spill
	scratch_store_dwordx4 off, v[20:23], off offset:1876 ; 16-byte Folded Spill
	scratch_store_dwordx4 off, v[24:27], off offset:1892 ; 16-byte Folded Spill
	scratch_store_dwordx4 off, v[28:31], off offset:1908 ; 16-byte Folded Spill
	v_mov_b32_e32 v99, v26
	v_mov_b32_e32 v100, v27
	v_mov_b32_e32 v101, v28
	v_mov_b32_e32 v102, v29
	v_mov_b32_e32 v103, v30
	v_mov_b32_e32 v104, v31
	scratch_store_dwordx4 off, v[90:93], off offset:1156 ; 16-byte Folded Spill
	s_nop 0
	scratch_store_dwordx4 off, v[94:97], off offset:1172 ; 16-byte Folded Spill
	scratch_store_dwordx4 off, v[98:101], off offset:1188 ; 16-byte Folded Spill
	scratch_store_dwordx4 off, v[102:105], off offset:1204 ; 16-byte Folded Spill
	scratch_store_dwordx4 off, v[106:109], off offset:1220 ; 16-byte Folded Spill
	scratch_store_dwordx4 off, v[110:113], off offset:1236 ; 16-byte Folded Spill
	scratch_store_dwordx4 off, v[114:117], off offset:1252 ; 16-byte Folded Spill
	scratch_store_dwordx4 off, v[118:121], off offset:1268 ; 16-byte Folded Spill
	v_mov_b32_e32 v165, v26
	v_mov_b32_e32 v166, v27
	v_mov_b32_e32 v167, v28
	v_mov_b32_e32 v168, v29
	v_mov_b32_e32 v169, v30
	v_mov_b32_e32 v170, v31
	scratch_store_dwordx4 off, v[156:159], off offset:4 ; 16-byte Folded Spill
	s_nop 0
	scratch_store_dwordx4 off, v[160:163], off offset:20 ; 16-byte Folded Spill
	scratch_store_dwordx4 off, v[164:167], off offset:36 ; 16-byte Folded Spill
	scratch_store_dwordx4 off, v[168:171], off offset:52 ; 16-byte Folded Spill
	scratch_store_dwordx4 off, v[172:175], off offset:68 ; 16-byte Folded Spill
	scratch_store_dwordx4 off, v[176:179], off offset:84 ; 16-byte Folded Spill
	scratch_store_dwordx4 off, v[180:183], off offset:100 ; 16-byte Folded Spill
	scratch_store_dwordx4 off, v[184:187], off offset:116 ; 16-byte Folded Spill
	v_mov_b32_e32 v213, v26
	v_mov_b32_e32 v212, v27
	v_mov_b32_e32 v211, v28
	v_mov_b32_e32 v210, v29
	v_mov_b32_e32 v209, v30
	scratch_store_dwordx4 off, v[64:67], s4 ; 16-byte Folded Spill
	s_nop 0
	scratch_store_dwordx4 off, v[68:71], s4 offset:16 ; 16-byte Folded Spill
	scratch_store_dwordx4 off, v[72:75], s4 offset:32 ; 16-byte Folded Spill
	;; [unrolled: 1-line block ×7, first 2 shown]
	s_movk_i32 s4, 0x1204
	scratch_store_dwordx4 off, v[64:67], s4 ; 16-byte Folded Spill
	s_nop 0
	scratch_store_dwordx4 off, v[68:71], s4 offset:16 ; 16-byte Folded Spill
	scratch_store_dwordx4 off, v[72:75], s4 offset:32 ; 16-byte Folded Spill
	;; [unrolled: 1-line block ×7, first 2 shown]
	scratch_store_dwordx4 off, v[0:3], off offset:132 ; 16-byte Folded Spill
	s_nop 0
	scratch_store_dwordx4 off, v[4:7], off offset:148 ; 16-byte Folded Spill
	scratch_store_dwordx4 off, v[8:11], off offset:164 ; 16-byte Folded Spill
	scratch_store_dwordx4 off, v[12:15], off offset:180 ; 16-byte Folded Spill
	scratch_store_dwordx4 off, v[16:19], off offset:196 ; 16-byte Folded Spill
	scratch_store_dwordx4 off, v[20:23], off offset:212 ; 16-byte Folded Spill
	scratch_store_dwordx4 off, v[24:27], off offset:228 ; 16-byte Folded Spill
	scratch_store_dwordx4 off, v[28:31], off offset:244 ; 16-byte Folded Spill
	scratch_store_dwordx4 off, v[0:3], off offset:388 ; 16-byte Folded Spill
	s_nop 0
	scratch_store_dwordx4 off, v[4:7], off offset:404 ; 16-byte Folded Spill
	scratch_store_dwordx4 off, v[8:11], off offset:420 ; 16-byte Folded Spill
	scratch_store_dwordx4 off, v[12:15], off offset:436 ; 16-byte Folded Spill
	scratch_store_dwordx4 off, v[16:19], off offset:452 ; 16-byte Folded Spill
	scratch_store_dwordx4 off, v[20:23], off offset:468 ; 16-byte Folded Spill
	scratch_store_dwordx4 off, v[24:27], off offset:484 ; 16-byte Folded Spill
	scratch_store_dwordx4 off, v[28:31], off offset:500 ; 16-byte Folded Spill
	;; [unrolled: 9-line block ×8, first 2 shown]
	v_mov_b32_e32 v97, v86
	v_mov_b32_e32 v235, v88
	;; [unrolled: 1-line block ×3, first 2 shown]
	scratch_store_dwordx4 off, v[0:3], off offset:1284 ; 16-byte Folded Spill
	s_nop 0
	scratch_store_dwordx4 off, v[4:7], off offset:1300 ; 16-byte Folded Spill
	scratch_store_dwordx4 off, v[8:11], off offset:1316 ; 16-byte Folded Spill
	;; [unrolled: 1-line block ×7, first 2 shown]
.LBB57_48:
	s_or_b64 exec, exec, s[2:3]
	v_cmp_eq_u32_e32 vcc, 9, v254
	s_waitcnt vmcnt(63) expcnt(7) lgkmcnt(15)
	s_barrier
	s_and_saveexec_b64 s[2:3], vcc
	s_cbranch_execz .LBB57_51
; %bb.49:
	ds_write_b32 v255, v213
	scratch_load_dwordx4 v[0:3], off, off offset:4 ; 16-byte Folded Reload
	scratch_load_dwordx4 v[4:7], off, off offset:20 ; 16-byte Folded Reload
	;; [unrolled: 1-line block ×8, first 2 shown]
	s_waitcnt vmcnt(5)
	ds_write2_b32 v250, v10, v11 offset0:10 offset1:11
	s_waitcnt vmcnt(4)
	ds_write2_b32 v250, v12, v13 offset0:12 offset1:13
	ds_write2_b32 v250, v14, v15 offset0:14 offset1:15
	s_waitcnt vmcnt(3)
	ds_write2_b32 v250, v16, v17 offset0:16 offset1:17
	;; [unrolled: 3-line block ×4, first 2 shown]
	ds_write2_b32 v250, v26, v27 offset0:26 offset1:27
	ds_write_b32 v250, v247 offset:112
	ds_read_b32 v26, v255
	s_waitcnt lgkmcnt(0)
	v_cmp_neq_f32_e32 vcc, 0, v26
	s_and_b64 exec, exec, vcc
	s_cbranch_execz .LBB57_51
; %bb.50:
	v_div_scale_f32 v27, s[4:5], v26, v26, 1.0
	s_waitcnt vmcnt(0)
	v_rcp_f32_e32 v28, v27
	v_div_scale_f32 v29, vcc, 1.0, v26, 1.0
	v_fma_f32 v30, -v27, v28, 1.0
	v_fmac_f32_e32 v28, v30, v28
	v_mul_f32_e32 v30, v29, v28
	v_fma_f32 v31, -v27, v30, v29
	v_fmac_f32_e32 v30, v31, v28
	v_fma_f32 v27, -v27, v30, v29
	v_div_fmas_f32 v27, v27, v28, v30
	v_div_fixup_f32 v26, v27, v26, 1.0
	ds_write_b32 v255, v26
.LBB57_51:
	s_or_b64 exec, exec, s[2:3]
	s_waitcnt lgkmcnt(0)
	s_barrier
	ds_read_b32 v84, v255
	v_cmp_lt_u32_e32 vcc, 9, v254
	s_and_saveexec_b64 s[2:3], vcc
	s_cbranch_execz .LBB57_53
; %bb.52:
	ds_read2_b32 v[2:3], v250 offset0:10 offset1:11
	ds_read2_b32 v[4:5], v250 offset0:12 offset1:13
	;; [unrolled: 1-line block ×4, first 2 shown]
	scratch_load_dwordx4 v[10:13], off, off offset:4 ; 16-byte Folded Reload
	scratch_load_dwordx4 v[14:17], off, off offset:20 ; 16-byte Folded Reload
	;; [unrolled: 1-line block ×8, first 2 shown]
	s_waitcnt lgkmcnt(4)
	v_mul_f32_e32 v0, v213, v84
	s_movk_i32 s4, 0x1204
	s_waitcnt vmcnt(7)
	v_mov_b32_e32 v11, v0
	v_mov_b32_e32 v65, v0
	;; [unrolled: 1-line block ×7, first 2 shown]
	s_waitcnt vmcnt(1)
	v_mov_b64_e32 v[12:13], v[20:21]
	s_waitcnt lgkmcnt(3)
	v_pk_fma_f32 v[12:13], v[0:1], v[2:3], v[12:13] op_sel_hi:[0,1,1] neg_lo:[1,0,0] neg_hi:[1,0,0]
	ds_read2_b32 v[2:3], v250 offset0:18 offset1:19
	v_mov_b64_e32 v[14:15], v[22:23]
	v_mov_b64_e32 v[16:17], v[24:25]
	;; [unrolled: 1-line block ×4, first 2 shown]
	s_waitcnt lgkmcnt(3)
	v_pk_fma_f32 v[14:15], v[0:1], v[4:5], v[14:15] op_sel_hi:[0,1,1] neg_lo:[1,0,0] neg_hi:[1,0,0]
	s_waitcnt lgkmcnt(2)
	v_pk_fma_f32 v[16:17], v[0:1], v[6:7], v[16:17] op_sel_hi:[0,1,1] neg_lo:[1,0,0] neg_hi:[1,0,0]
	;; [unrolled: 2-line block ×3, first 2 shown]
	ds_read2_b32 v[4:5], v250 offset0:20 offset1:21
	ds_read2_b32 v[6:7], v250 offset0:22 offset1:23
	;; [unrolled: 1-line block ×3, first 2 shown]
	s_waitcnt lgkmcnt(3)
	v_pk_fma_f32 v[200:201], v[0:1], v[2:3], v[20:21] op_sel_hi:[0,1,1] neg_lo:[1,0,0] neg_hi:[1,0,0]
	ds_read2_b32 v[2:3], v250 offset0:26 offset1:27
	ds_read_b32 v1, v250 offset:112
	scratch_load_dwordx4 v[202:205], off, s4 ; 16-byte Folded Reload
	scratch_load_dwordx4 v[206:209], off, s4 offset:16 ; 16-byte Folded Reload
	scratch_load_dwordx4 v[210:213], off, s4 offset:32 ; 16-byte Folded Reload
	;; [unrolled: 1-line block ×7, first 2 shown]
	v_mov_b64_e32 v[22:23], v[30:31]
	v_mov_b64_e32 v[24:25], v[32:33]
	;; [unrolled: 1-line block ×4, first 2 shown]
	s_waitcnt vmcnt(8) lgkmcnt(0)
	v_pk_fma_f32 v[38:39], v[0:1], v[4:5], v[22:23] op_sel_hi:[0,1,1] neg_lo:[1,0,0] neg_hi:[1,0,0]
	v_pk_fma_f32 v[130:131], v[0:1], v[6:7], v[24:25] op_sel_hi:[0,1,1] neg_lo:[1,0,0] neg_hi:[1,0,0]
	;; [unrolled: 1-line block ×4, first 2 shown]
	s_movk_i32 s4, 0x1084
	v_mov_b32_e32 v72, v148
	v_mov_b32_e32 v73, v149
	;; [unrolled: 1-line block ×6, first 2 shown]
	s_waitcnt vmcnt(1)
	v_mov_b32_e32 v227, v0
	v_mov_b32_e32 v234, v148
	;; [unrolled: 1-line block ×7, first 2 shown]
	v_fma_f32 v180, -v0, v1, v247
	v_mov_b32_e32 v198, v148
	v_mov_b32_e32 v199, v149
	;; [unrolled: 1-line block ×24, first 2 shown]
	v_mov_b64_e32 v[50:51], v[12:13]
	v_mov_b64_e32 v[48:49], v[10:11]
	;; [unrolled: 1-line block ×6, first 2 shown]
	scratch_store_dwordx4 off, v[2:5], s4   ; 16-byte Folded Spill
	s_nop 0
	scratch_store_dwordx4 off, v[6:9], s4 offset:16 ; 16-byte Folded Spill
	scratch_store_dwordx4 off, v[10:13], s4 offset:32 ; 16-byte Folded Spill
	;; [unrolled: 1-line block ×7, first 2 shown]
	v_mov_b32_e32 v142, v50
	v_mov_b32_e32 v143, v51
	;; [unrolled: 1-line block ×27, first 2 shown]
	s_movk_i32 s4, 0x1284
	v_mov_b32_e32 v132, v86
	v_mov_b32_e32 v133, v87
	;; [unrolled: 1-line block ×27, first 2 shown]
	v_mov_b64_e32 v[174:175], v[14:15]
	scratch_store_dwordx4 off, v[2:5], off offset:3332 ; 16-byte Folded Spill
	s_nop 0
	scratch_store_dwordx4 off, v[6:9], off offset:3348 ; 16-byte Folded Spill
	scratch_store_dwordx4 off, v[10:13], off offset:3364 ; 16-byte Folded Spill
	;; [unrolled: 1-line block ×7, first 2 shown]
	v_mov_b32_e32 v18, v86
	v_mov_b32_e32 v19, v87
	;; [unrolled: 1-line block ×22, first 2 shown]
	s_waitcnt vmcnt(16)
	v_mov_b32_e32 v230, v174
	v_mov_b32_e32 v231, v175
	;; [unrolled: 1-line block ×4, first 2 shown]
	scratch_store_dwordx4 off, v[18:21], off offset:3076 ; 16-byte Folded Spill
	s_nop 0
	scratch_store_dwordx4 off, v[22:25], off offset:3092 ; 16-byte Folded Spill
	scratch_store_dwordx4 off, v[26:29], off offset:3108 ; 16-byte Folded Spill
	scratch_store_dwordx4 off, v[30:33], off offset:3124 ; 16-byte Folded Spill
	scratch_store_dwordx4 off, v[34:37], off offset:3140 ; 16-byte Folded Spill
	scratch_store_dwordx4 off, v[38:41], off offset:3156 ; 16-byte Folded Spill
	scratch_store_dwordx4 off, v[42:45], off offset:3172 ; 16-byte Folded Spill
	scratch_store_dwordx4 off, v[46:49], off offset:3188 ; 16-byte Folded Spill
	v_mov_b32_e32 v28, v50
	v_mov_b32_e32 v34, v148
	v_mov_b32_e32 v35, v149
	v_mov_b32_e32 v70, v16
	v_mov_b32_e32 v71, v17
	v_mov_b32_e32 v232, v16
	v_mov_b32_e32 v233, v17
	v_mov_b32_e32 v146, v16
	v_mov_b32_e32 v147, v17
	v_mov_b32_e32 v196, v16
	v_mov_b32_e32 v197, v17
	v_mov_b32_e32 v122, v16
	v_mov_b32_e32 v123, v17
	v_mov_b64_e32 v[176:177], v[14:15]
	scratch_store_dwordx4 off, v[18:21], off offset:2820 ; 16-byte Folded Spill
	s_nop 0
	scratch_store_dwordx4 off, v[22:25], off offset:2836 ; 16-byte Folded Spill
	scratch_store_dwordx4 off, v[26:29], off offset:2852 ; 16-byte Folded Spill
	scratch_store_dwordx4 off, v[30:33], off offset:2868 ; 16-byte Folded Spill
	scratch_store_dwordx4 off, v[34:37], off offset:2884 ; 16-byte Folded Spill
	scratch_store_dwordx4 off, v[38:41], off offset:2900 ; 16-byte Folded Spill
	scratch_store_dwordx4 off, v[42:45], off offset:2916 ; 16-byte Folded Spill
	scratch_store_dwordx4 off, v[46:49], off offset:2932 ; 16-byte Folded Spill
	v_mov_b32_e32 v36, v200
	v_mov_b32_e32 v37, v201
	scratch_store_dwordx4 off, v[18:21], off offset:2692 ; 16-byte Folded Spill
	s_nop 0
	scratch_store_dwordx4 off, v[22:25], off offset:2708 ; 16-byte Folded Spill
	scratch_store_dwordx4 off, v[26:29], off offset:2724 ; 16-byte Folded Spill
	;; [unrolled: 1-line block ×7, first 2 shown]
	v_mov_b64_e32 v[216:217], v[32:33]
	v_mov_b64_e32 v[222:223], v[38:39]
	;; [unrolled: 1-line block ×11, first 2 shown]
	scratch_store_dwordx4 off, v[18:21], off offset:2564 ; 16-byte Folded Spill
	s_nop 0
	scratch_store_dwordx4 off, v[22:25], off offset:2580 ; 16-byte Folded Spill
	scratch_store_dwordx4 off, v[26:29], off offset:2596 ; 16-byte Folded Spill
	;; [unrolled: 1-line block ×7, first 2 shown]
	v_mov_b64_e32 v[52:53], v[12:13]
	v_mov_b64_e32 v[44:45], v[4:5]
	;; [unrolled: 1-line block ×5, first 2 shown]
	v_mov_b32_e32 v28, v52
	v_mov_b32_e32 v29, v53
	;; [unrolled: 1-line block ×8, first 2 shown]
	v_mov_b64_e32 v[54:55], v[56:57]
	v_mov_b64_e32 v[56:57], v[58:59]
	;; [unrolled: 1-line block ×13, first 2 shown]
	v_mov_b32_e32 v128, v222
	v_mov_b32_e32 v129, v223
	;; [unrolled: 1-line block ×4, first 2 shown]
	scratch_store_dwordx4 off, v[18:21], off offset:1924 ; 16-byte Folded Spill
	s_nop 0
	scratch_store_dwordx4 off, v[22:25], off offset:1940 ; 16-byte Folded Spill
	scratch_store_dwordx4 off, v[26:29], off offset:1956 ; 16-byte Folded Spill
	;; [unrolled: 1-line block ×7, first 2 shown]
	v_mov_b64_e32 v[18:19], v[202:203]
	v_mov_b64_e32 v[20:21], v[204:205]
	;; [unrolled: 1-line block ×8, first 2 shown]
	v_mov_b32_e32 v220, v88
	v_mov_b32_e32 v221, v89
	;; [unrolled: 1-line block ×10, first 2 shown]
	v_mov_b64_e32 v[174:175], v[12:13]
	v_mov_b64_e32 v[50:51], v[10:11]
	;; [unrolled: 1-line block ×8, first 2 shown]
	v_mov_b32_e32 v211, v0
	v_mov_b32_e32 v202, v86
	;; [unrolled: 1-line block ×12, first 2 shown]
	v_mov_b64_e32 v[78:79], v[76:77]
	v_mov_b64_e32 v[76:77], v[74:75]
	;; [unrolled: 1-line block ×12, first 2 shown]
	v_mov_b32_e32 v238, v38
	v_mov_b32_e32 v239, v39
	scratch_store_dwordx4 off, v[218:221], off offset:1796 ; 16-byte Folded Spill
	s_nop 0
	scratch_store_dwordx4 off, v[222:225], off offset:1812 ; 16-byte Folded Spill
	scratch_store_dwordx4 off, v[226:229], off offset:1828 ; 16-byte Folded Spill
	;; [unrolled: 1-line block ×8, first 2 shown]
	s_nop 0
	scratch_store_dwordx4 off, v[6:9], off offset:2452 ; 16-byte Folded Spill
	scratch_store_dwordx4 off, v[10:13], off offset:2468 ; 16-byte Folded Spill
	;; [unrolled: 1-line block ×7, first 2 shown]
	v_mov_b64_e32 v[228:229], v[98:99]
	v_mov_b32_e32 v218, v148
	v_mov_b32_e32 v219, v149
	;; [unrolled: 1-line block ×10, first 2 shown]
	v_mov_b64_e32 v[106:107], v[52:53]
	v_mov_b64_e32 v[104:105], v[50:51]
	v_mov_b64_e32 v[102:103], v[48:49]
	v_mov_b64_e32 v[100:101], v[46:47]
	v_mov_b64_e32 v[98:99], v[44:45]
	v_mov_b64_e32 v[96:97], v[42:43]
	v_mov_b64_e32 v[44:45], v[164:165]
	v_mov_b64_e32 v[46:47], v[166:167]
	v_mov_b64_e32 v[48:49], v[168:169]
	v_mov_b64_e32 v[50:51], v[170:171]
	v_mov_b64_e32 v[52:53], v[172:173]
	v_mov_b64_e32 v[54:55], v[174:175]
	v_mov_b32_e32 v162, v106
	v_mov_b32_e32 v163, v107
	;; [unrolled: 1-line block ×11, first 2 shown]
	scratch_store_dwordx4 off, v[202:205], off offset:1156 ; 16-byte Folded Spill
	s_nop 0
	scratch_store_dwordx4 off, v[206:209], off offset:1172 ; 16-byte Folded Spill
	scratch_store_dwordx4 off, v[210:213], off offset:1188 ; 16-byte Folded Spill
	;; [unrolled: 1-line block ×7, first 2 shown]
	v_mov_b64_e32 v[0:1], v[18:19]
	v_mov_b64_e32 v[216:217], v[70:71]
	;; [unrolled: 1-line block ×24, first 2 shown]
	v_mov_b32_e32 v164, v56
	v_mov_b32_e32 v165, v57
	scratch_store_dwordx4 off, v[44:47], off offset:2948 ; 16-byte Folded Spill
	s_nop 0
	scratch_store_dwordx4 off, v[48:51], off offset:2964 ; 16-byte Folded Spill
	scratch_store_dwordx4 off, v[52:55], off offset:2980 ; 16-byte Folded Spill
	;; [unrolled: 1-line block ×7, first 2 shown]
	v_mov_b64_e32 v[18:19], v[36:37]
	scratch_load_dwordx4 v[22:25], off, off offset:2436 ; 16-byte Folded Reload
	scratch_load_dwordx4 v[26:29], off, off offset:2452 ; 16-byte Folded Reload
	;; [unrolled: 1-line block ×8, first 2 shown]
	v_mov_b64_e32 v[68:69], v[14:15]
	v_mov_b64_e32 v[74:75], v[20:21]
	v_mov_b32_e32 v176, v226
	v_mov_b32_e32 v177, v227
	scratch_store_dwordx4 off, v[202:205], off offset:900 ; 16-byte Folded Spill
	s_nop 0
	scratch_store_dwordx4 off, v[206:209], off offset:916 ; 16-byte Folded Spill
	scratch_store_dwordx4 off, v[210:213], off offset:932 ; 16-byte Folded Spill
	;; [unrolled: 1-line block ×7, first 2 shown]
	v_mov_b32_e32 v172, v20
	v_mov_b32_e32 v173, v21
	v_mov_b64_e32 v[66:67], v[12:13]
	v_mov_b64_e32 v[64:65], v[10:11]
	;; [unrolled: 1-line block ×9, first 2 shown]
	scratch_load_dwordx4 v[0:3], off, off offset:1156 ; 16-byte Folded Reload
	scratch_load_dwordx4 v[4:7], off, off offset:1172 ; 16-byte Folded Reload
	;; [unrolled: 1-line block ×8, first 2 shown]
	s_nop 0
	scratch_store_dwordx4 off, v[86:89], s4 ; 16-byte Folded Spill
	s_nop 0
	scratch_store_dwordx4 off, v[90:93], s4 offset:16 ; 16-byte Folded Spill
	scratch_store_dwordx4 off, v[94:97], s4 offset:32 ; 16-byte Folded Spill
	;; [unrolled: 1-line block ×7, first 2 shown]
	s_waitcnt vmcnt(28)
	v_mov_b32_e32 v166, v36
	v_mov_b32_e32 v167, v37
	v_mov_b64_e32 v[150:151], v[152:153]
	v_mov_b64_e32 v[152:153], v[154:155]
	;; [unrolled: 1-line block ×8, first 2 shown]
	s_waitcnt vmcnt(9)
	v_mov_b64_e32 v[240:241], v[26:27]
	v_mov_b64_e32 v[238:239], v[24:25]
	v_mov_b64_e32 v[236:237], v[22:23]
	v_mov_b64_e32 v[234:235], v[20:21]
	v_mov_b64_e32 v[232:233], v[18:19]
	v_mov_b64_e32 v[230:231], v[16:17]
	v_mov_b32_e32 v178, v240
	v_mov_b32_e32 v179, v241
	v_mov_b64_e32 v[166:167], v[168:169]
	s_waitcnt vmcnt(8)
	v_mov_b64_e32 v[18:19], v[96:97]
	v_mov_b64_e32 v[168:169], v[170:171]
	;; [unrolled: 1-line block ×6, first 2 shown]
	v_mov_b32_e32 v178, v180
	v_mov_b64_e32 v[20:21], v[98:99]
	v_mov_b64_e32 v[22:23], v[100:101]
	;; [unrolled: 1-line block ×5, first 2 shown]
	scratch_store_dwordx4 off, v[150:153], off offset:4 ; 16-byte Folded Spill
	s_nop 0
	scratch_store_dwordx4 off, v[154:157], off offset:20 ; 16-byte Folded Spill
	scratch_store_dwordx4 off, v[158:161], off offset:36 ; 16-byte Folded Spill
	;; [unrolled: 1-line block ×7, first 2 shown]
	v_mov_b32_e32 v212, v28
	scratch_store_dwordx4 off, v[18:21], off offset:3460 ; 16-byte Folded Spill
	s_nop 0
	scratch_store_dwordx4 off, v[22:25], off offset:3476 ; 16-byte Folded Spill
	scratch_store_dwordx4 off, v[26:29], off offset:3492 ; 16-byte Folded Spill
	;; [unrolled: 1-line block ×7, first 2 shown]
	v_mov_b64_e32 v[100:101], v[68:69]
	v_mov_b64_e32 v[106:107], v[74:75]
	;; [unrolled: 1-line block ×11, first 2 shown]
	v_mov_b32_e32 v246, v241
	v_mov_b32_e32 v247, v180
	;; [unrolled: 1-line block ×4, first 2 shown]
	scratch_load_dwordx4 v[18:21], off, off offset:2948 ; 16-byte Folded Reload
	scratch_load_dwordx4 v[22:25], off, off offset:2964 ; 16-byte Folded Reload
	;; [unrolled: 1-line block ×8, first 2 shown]
	v_mov_b32_e32 v171, v231
	v_mov_b32_e32 v172, v232
	;; [unrolled: 1-line block ×10, first 2 shown]
	s_waitcnt vmcnt(4)
	v_mov_b32_e32 v210, v30
	v_mov_b32_e32 v209, v31
	scratch_load_dwordx4 v[2:5], off, off offset:2436 ; 16-byte Folded Reload
	scratch_load_dwordx4 v[6:9], off, off offset:2452 ; 16-byte Folded Reload
	;; [unrolled: 1-line block ×8, first 2 shown]
	s_waitcnt vmcnt(3)
	v_mov_b32_e32 v18, v16
	scratch_store_dwordx4 off, v[4:7], off offset:132 ; 16-byte Folded Spill
	s_nop 0
	scratch_store_dwordx4 off, v[8:11], off offset:148 ; 16-byte Folded Spill
	scratch_store_dwordx4 off, v[12:15], off offset:164 ; 16-byte Folded Spill
	;; [unrolled: 1-line block ×3, first 2 shown]
	s_waitcnt vmcnt(6)
	scratch_store_dwordx4 off, v[20:23], off offset:196 ; 16-byte Folded Spill
	s_waitcnt vmcnt(6)
	scratch_store_dwordx4 off, v[24:27], off offset:212 ; 16-byte Folded Spill
	;; [unrolled: 2-line block ×3, first 2 shown]
	scratch_store_dwordx4 off, v[32:35], off offset:244 ; 16-byte Folded Spill
	scratch_store_dwordx4 off, v[2:5], off offset:388 ; 16-byte Folded Spill
	s_nop 0
	scratch_store_dwordx4 off, v[6:9], off offset:404 ; 16-byte Folded Spill
	scratch_store_dwordx4 off, v[10:13], off offset:420 ; 16-byte Folded Spill
	;; [unrolled: 1-line block ×7, first 2 shown]
	v_mov_b32_e32 v16, v148
	scratch_store_dwordx4 off, v[0:3], off offset:1412 ; 16-byte Folded Spill
	s_nop 0
	scratch_store_dwordx4 off, v[4:7], off offset:1428 ; 16-byte Folded Spill
	scratch_store_dwordx4 off, v[8:11], off offset:1444 ; 16-byte Folded Spill
	scratch_store_dwordx4 off, v[12:15], off offset:1460 ; 16-byte Folded Spill
	scratch_store_dwordx4 off, v[16:19], off offset:1476 ; 16-byte Folded Spill
	scratch_store_dwordx4 off, v[20:23], off offset:1492 ; 16-byte Folded Spill
	scratch_store_dwordx4 off, v[24:27], off offset:1508 ; 16-byte Folded Spill
	scratch_store_dwordx4 off, v[28:31], off offset:1524 ; 16-byte Folded Spill
	scratch_store_dwordx4 off, v[132:135], off offset:2308 ; 16-byte Folded Spill
	s_nop 0
	scratch_store_dwordx4 off, v[136:139], off offset:2324 ; 16-byte Folded Spill
	scratch_store_dwordx4 off, v[140:143], off offset:2340 ; 16-byte Folded Spill
	scratch_store_dwordx4 off, v[144:147], off offset:2356 ; 16-byte Folded Spill
	scratch_store_dwordx4 off, v[148:151], off offset:2372 ; 16-byte Folded Spill
	scratch_store_dwordx4 off, v[152:155], off offset:2388 ; 16-byte Folded Spill
	scratch_store_dwordx4 off, v[156:159], off offset:2404 ; 16-byte Folded Spill
	scratch_store_dwordx4 off, v[160:163], off offset:2420 ; 16-byte Folded Spill
	scratch_store_dwordx4 off, v[132:135], off offset:516 ; 16-byte Folded Spill
	s_nop 0
	scratch_store_dwordx4 off, v[136:139], off offset:532 ; 16-byte Folded Spill
	scratch_store_dwordx4 off, v[140:143], off offset:548 ; 16-byte Folded Spill
	scratch_store_dwordx4 off, v[144:147], off offset:564 ; 16-byte Folded Spill
	scratch_store_dwordx4 off, v[148:151], off offset:580 ; 16-byte Folded Spill
	scratch_store_dwordx4 off, v[152:155], off offset:596 ; 16-byte Folded Spill
	scratch_store_dwordx4 off, v[156:159], off offset:612 ; 16-byte Folded Spill
	scratch_store_dwordx4 off, v[160:163], off offset:628 ; 16-byte Folded Spill
	v_mov_b32_e32 v18, v200
	scratch_store_dwordx4 off, v[0:3], off offset:772 ; 16-byte Folded Spill
	s_nop 0
	scratch_store_dwordx4 off, v[4:7], off offset:788 ; 16-byte Folded Spill
	scratch_store_dwordx4 off, v[8:11], off offset:804 ; 16-byte Folded Spill
	scratch_store_dwordx4 off, v[12:15], off offset:820 ; 16-byte Folded Spill
	scratch_store_dwordx4 off, v[16:19], off offset:836 ; 16-byte Folded Spill
	scratch_store_dwordx4 off, v[20:23], off offset:852 ; 16-byte Folded Spill
	scratch_store_dwordx4 off, v[24:27], off offset:868 ; 16-byte Folded Spill
	scratch_store_dwordx4 off, v[28:31], off offset:884 ; 16-byte Folded Spill
	v_mov_b32_e32 v20, v106
	scratch_store_dwordx4 off, v[182:185], off offset:2180 ; 16-byte Folded Spill
	s_nop 0
	scratch_store_dwordx4 off, v[186:189], off offset:2196 ; 16-byte Folded Spill
	scratch_store_dwordx4 off, v[190:193], off offset:2212 ; 16-byte Folded Spill
	scratch_store_dwordx4 off, v[194:197], off offset:2228 ; 16-byte Folded Spill
	scratch_store_dwordx4 off, v[198:201], off offset:2244 ; 16-byte Folded Spill
	scratch_store_dwordx4 off, v[202:205], off offset:2260 ; 16-byte Folded Spill
	scratch_store_dwordx4 off, v[206:209], off offset:2276 ; 16-byte Folded Spill
	scratch_store_dwordx4 off, v[210:213], off offset:2292 ; 16-byte Folded Spill
	scratch_store_dwordx4 off, v[182:185], off offset:1028 ; 16-byte Folded Spill
	s_nop 0
	scratch_store_dwordx4 off, v[186:189], off offset:1044 ; 16-byte Folded Spill
	scratch_store_dwordx4 off, v[190:193], off offset:1060 ; 16-byte Folded Spill
	scratch_store_dwordx4 off, v[194:197], off offset:1076 ; 16-byte Folded Spill
	scratch_store_dwordx4 off, v[198:201], off offset:1092 ; 16-byte Folded Spill
	scratch_store_dwordx4 off, v[202:205], off offset:1108 ; 16-byte Folded Spill
	scratch_store_dwordx4 off, v[206:209], off offset:1124 ; 16-byte Folded Spill
	scratch_store_dwordx4 off, v[210:213], off offset:1140 ; 16-byte Folded Spill
	;; [unrolled: 9-line block ×4, first 2 shown]
	v_mov_b32_e32 v22, v130
	scratch_store_dwordx4 off, v[0:3], off offset:260 ; 16-byte Folded Spill
	s_nop 0
	scratch_store_dwordx4 off, v[4:7], off offset:276 ; 16-byte Folded Spill
	scratch_store_dwordx4 off, v[8:11], off offset:292 ; 16-byte Folded Spill
	;; [unrolled: 1-line block ×8, first 2 shown]
	s_nop 0
	scratch_store_dwordx4 off, v[112:115], off offset:1556 ; 16-byte Folded Spill
	scratch_store_dwordx4 off, v[116:119], off offset:1572 ; 16-byte Folded Spill
	;; [unrolled: 1-line block ×7, first 2 shown]
	scratch_load_dwordx4 v[0:3], off, off offset:900 ; 16-byte Folded Reload
	scratch_load_dwordx4 v[4:7], off, off offset:916 ; 16-byte Folded Reload
	;; [unrolled: 1-line block ×8, first 2 shown]
	v_mov_b32_e32 v245, v107
	v_mov_b32_e32 v97, v131
	s_waitcnt vmcnt(1)
	v_mov_b64_e32 v[80:81], v[24:25]
	v_mov_b32_e32 v235, v81
	v_mov_b64_e32 v[78:79], v[22:23]
	v_mov_b64_e32 v[76:77], v[20:21]
	;; [unrolled: 1-line block ×4, first 2 shown]
	scratch_store_dwordx4 off, v[0:3], off offset:1284 ; 16-byte Folded Spill
	s_nop 0
	scratch_store_dwordx4 off, v[4:7], off offset:1300 ; 16-byte Folded Spill
	scratch_store_dwordx4 off, v[8:11], off offset:1316 ; 16-byte Folded Spill
	;; [unrolled: 1-line block ×6, first 2 shown]
	s_waitcnt vmcnt(7)
	scratch_store_dwordx4 off, v[28:31], off offset:1396 ; 16-byte Folded Spill
.LBB57_53:
	s_or_b64 exec, exec, s[2:3]
	v_cmp_eq_u32_e32 vcc, 10, v254
	s_waitcnt lgkmcnt(0)
	s_barrier
	s_and_saveexec_b64 s[2:3], vcc
	s_cbranch_execz .LBB57_56
; %bb.54:
	ds_write_b32 v255, v212
	scratch_load_dwordx4 v[0:3], off, off offset:4 ; 16-byte Folded Reload
	scratch_load_dwordx4 v[4:7], off, off offset:20 ; 16-byte Folded Reload
	;; [unrolled: 1-line block ×8, first 2 shown]
	s_waitcnt vmcnt(4)
	ds_write2_b32 v250, v11, v12 offset0:11 offset1:12
	ds_write2_b32 v250, v13, v14 offset0:13 offset1:14
	s_waitcnt vmcnt(3)
	ds_write2_b32 v250, v15, v16 offset0:15 offset1:16
	ds_write2_b32 v250, v17, v18 offset0:17 offset1:18
	;; [unrolled: 3-line block ×4, first 2 shown]
	s_waitcnt vmcnt(0)
	ds_write2_b32 v250, v27, v28 offset0:27 offset1:28
	ds_read_b32 v26, v255
	s_waitcnt lgkmcnt(0)
	v_cmp_neq_f32_e32 vcc, 0, v26
	s_and_b64 exec, exec, vcc
	s_cbranch_execz .LBB57_56
; %bb.55:
	v_div_scale_f32 v27, s[4:5], v26, v26, 1.0
	v_rcp_f32_e32 v28, v27
	v_div_scale_f32 v29, vcc, 1.0, v26, 1.0
	v_fma_f32 v30, -v27, v28, 1.0
	v_fmac_f32_e32 v28, v30, v28
	v_mul_f32_e32 v30, v29, v28
	v_fma_f32 v31, -v27, v30, v29
	v_fmac_f32_e32 v30, v31, v28
	v_fma_f32 v27, -v27, v30, v29
	v_div_fmas_f32 v27, v27, v28, v30
	v_div_fixup_f32 v26, v27, v26, 1.0
	ds_write_b32 v255, v26
.LBB57_56:
	s_or_b64 exec, exec, s[2:3]
	s_waitcnt lgkmcnt(0)
	s_barrier
	ds_read_b32 v0, v255
	v_cmp_lt_u32_e32 vcc, 10, v254
	s_waitcnt lgkmcnt(0)
	scratch_store_dword off, v0, off offset:3204 ; 4-byte Folded Spill
	s_and_saveexec_b64 s[2:3], vcc
	s_cbranch_execz .LBB57_58
; %bb.57:
	scratch_load_dword v0, off, off offset:3204 ; 4-byte Folded Reload
	s_movk_i32 s4, 0x1284
	scratch_load_dwordx4 v[2:5], off, s4    ; 16-byte Folded Reload
	scratch_load_dwordx4 v[6:9], off, s4 offset:16 ; 16-byte Folded Reload
	scratch_load_dwordx4 v[10:13], off, s4 offset:32 ; 16-byte Folded Reload
	;; [unrolled: 1-line block ×7, first 2 shown]
	s_movk_i32 s4, 0x1084
	s_waitcnt vmcnt(5)
	v_mov_b64_e32 v[72:73], v[10:11]
	v_mov_b64_e32 v[70:71], v[8:9]
	;; [unrolled: 1-line block ×3, first 2 shown]
	v_mul_f32_e32 v74, v212, v0
	ds_read2_b32 v[0:1], v250 offset0:11 offset1:12
	scratch_load_dwordx4 v[16:19], off, off offset:4 ; 16-byte Folded Reload
	scratch_load_dwordx4 v[20:23], off, off offset:20 ; 16-byte Folded Reload
	;; [unrolled: 1-line block ×8, first 2 shown]
	v_mov_b64_e32 v[66:67], v[4:5]
	v_mov_b64_e32 v[64:65], v[2:3]
	ds_read2_b32 v[4:5], v250 offset0:13 offset1:14
	ds_read2_b32 v[6:7], v250 offset0:15 offset1:16
	;; [unrolled: 1-line block ×3, first 2 shown]
	v_mov_b32_e32 v10, v74
	v_mov_b32_e32 v152, v64
	v_mov_b32_e32 v153, v65
	v_mov_b32_e32 v154, v66
	v_mov_b32_e32 v155, v67
	v_mov_b32_e32 v156, v68
	v_mov_b32_e32 v157, v69
	v_mov_b32_e32 v158, v70
	v_mov_b32_e32 v159, v71
	v_mov_b32_e32 v160, v72
	v_mov_b32_e32 v161, v73
	v_mov_b32_e32 v162, v74
	v_mov_b32_e32 v132, v64
	v_mov_b32_e32 v133, v65
	v_mov_b32_e32 v134, v66
	v_mov_b32_e32 v135, v67
	v_mov_b32_e32 v136, v68
	v_mov_b32_e32 v137, v69
	v_mov_b32_e32 v138, v70
	v_mov_b32_e32 v139, v71
	v_mov_b32_e32 v140, v72
	v_mov_b32_e32 v141, v73
	v_mov_b32_e32 v142, v74
	v_mov_b32_e32 v88, v64
	v_mov_b32_e32 v89, v65
	v_mov_b32_e32 v90, v66
	v_mov_b32_e32 v91, v67
	v_mov_b32_e32 v92, v68
	v_mov_b32_e32 v93, v69
	v_mov_b32_e32 v94, v70
	v_mov_b32_e32 v95, v71
	v_mov_b32_e32 v96, v72
	v_mov_b32_e32 v97, v73
	v_mov_b32_e32 v98, v74
	s_waitcnt vmcnt(5)
	v_mov_b32_e32 v2, v27
	s_waitcnt vmcnt(4)
	v_mov_b32_e32 v3, v28
	s_waitcnt lgkmcnt(3)
	v_pk_fma_f32 v[26:27], v[74:75], v[0:1], v[2:3] op_sel_hi:[0,1,1] neg_lo:[1,0,0] neg_hi:[1,0,0]
	v_mov_b32_e32 v0, v29
	v_mov_b32_e32 v1, v30
	s_waitcnt lgkmcnt(2)
	v_pk_fma_f32 v[28:29], v[74:75], v[4:5], v[0:1] op_sel_hi:[0,1,1] neg_lo:[1,0,0] neg_hi:[1,0,0]
	v_mov_b32_e32 v0, v31
	s_waitcnt vmcnt(3)
	v_mov_b32_e32 v1, v32
	s_waitcnt lgkmcnt(1)
	v_pk_fma_f32 v[30:31], v[74:75], v[6:7], v[0:1] op_sel_hi:[0,1,1] neg_lo:[1,0,0] neg_hi:[1,0,0]
	v_mov_b32_e32 v0, v33
	v_mov_b32_e32 v1, v34
	s_waitcnt lgkmcnt(0)
	v_pk_fma_f32 v[56:57], v[74:75], v[8:9], v[0:1] op_sel_hi:[0,1,1] neg_lo:[1,0,0] neg_hi:[1,0,0]
	ds_read2_b32 v[0:1], v250 offset0:19 offset1:20
	v_mov_b32_e32 v2, v35
	s_waitcnt vmcnt(2)
	v_mov_b32_e32 v3, v36
	ds_read2_b32 v[4:5], v250 offset0:21 offset1:22
	ds_read2_b32 v[6:7], v250 offset0:23 offset1:24
	;; [unrolled: 1-line block ×3, first 2 shown]
	v_mov_b32_e32 v11, v26
	s_waitcnt lgkmcnt(3)
	v_pk_fma_f32 v[58:59], v[74:75], v[0:1], v[2:3] op_sel_hi:[0,1,1] neg_lo:[1,0,0] neg_hi:[1,0,0]
	ds_read2_b32 v[2:3], v250 offset0:27 offset1:28
	v_mov_b32_e32 v0, v37
	v_mov_b32_e32 v1, v38
	s_waitcnt lgkmcnt(3)
	v_pk_fma_f32 v[60:61], v[74:75], v[4:5], v[0:1] op_sel_hi:[0,1,1] neg_lo:[1,0,0] neg_hi:[1,0,0]
	v_mov_b32_e32 v0, v39
	s_waitcnt vmcnt(1)
	v_mov_b32_e32 v1, v40
	s_waitcnt lgkmcnt(2)
	v_pk_fma_f32 v[62:63], v[74:75], v[6:7], v[0:1] op_sel_hi:[0,1,1] neg_lo:[1,0,0] neg_hi:[1,0,0]
	v_mov_b32_e32 v0, v41
	v_mov_b32_e32 v1, v42
	s_waitcnt lgkmcnt(1)
	v_pk_fma_f32 v[86:87], v[74:75], v[8:9], v[0:1] op_sel_hi:[0,1,1] neg_lo:[1,0,0] neg_hi:[1,0,0]
	v_mov_b32_e32 v0, v43
	s_waitcnt vmcnt(0)
	v_mov_b32_e32 v1, v44
	s_waitcnt lgkmcnt(0)
	v_pk_fma_f32 v[246:247], v[74:75], v[2:3], v[0:1] op_sel_hi:[0,1,1] neg_lo:[1,0,0] neg_hi:[1,0,0]
	v_mov_b32_e32 v0, v64
	v_mov_b32_e32 v1, v65
	v_mov_b32_e32 v2, v66
	v_mov_b32_e32 v3, v67
	v_mov_b32_e32 v4, v68
	v_mov_b32_e32 v5, v69
	v_mov_b32_e32 v6, v70
	v_mov_b32_e32 v7, v71
	v_mov_b32_e32 v8, v72
	v_mov_b32_e32 v9, v73
	v_mov_b32_e32 v12, v27
	v_mov_b32_e32 v75, v26
	scratch_store_dwordx4 off, v[0:3], off offset:2948 ; 16-byte Folded Spill
	s_nop 0
	scratch_store_dwordx4 off, v[4:7], off offset:2964 ; 16-byte Folded Spill
	scratch_store_dwordx4 off, v[8:11], off offset:2980 ; 16-byte Folded Spill
	;; [unrolled: 1-line block ×7, first 2 shown]
	v_mov_b32_e32 v169, v56
	v_mov_b32_e32 v170, v57
	;; [unrolled: 1-line block ×20, first 2 shown]
	scratch_store_dwordx4 off, v[0:3], off offset:3332 ; 16-byte Folded Spill
	s_nop 0
	scratch_store_dwordx4 off, v[4:7], off offset:3348 ; 16-byte Folded Spill
	scratch_store_dwordx4 off, v[8:11], off offset:3364 ; 16-byte Folded Spill
	scratch_store_dwordx4 off, v[12:15], off offset:3380 ; 16-byte Folded Spill
	scratch_store_dwordx4 off, v[16:19], off offset:3396 ; 16-byte Folded Spill
	scratch_store_dwordx4 off, v[20:23], off offset:3412 ; 16-byte Folded Spill
	scratch_store_dwordx4 off, v[24:27], off offset:3428 ; 16-byte Folded Spill
	scratch_store_dwordx4 off, v[28:31], off offset:3444 ; 16-byte Folded Spill
	v_mov_b32_e32 v14, v29
	scratch_store_dwordx4 off, v[0:3], off offset:2436 ; 16-byte Folded Spill
	s_nop 0
	scratch_store_dwordx4 off, v[4:7], off offset:2452 ; 16-byte Folded Spill
	scratch_store_dwordx4 off, v[8:11], off offset:2468 ; 16-byte Folded Spill
	scratch_store_dwordx4 off, v[12:15], off offset:2484 ; 16-byte Folded Spill
	scratch_store_dwordx4 off, v[16:19], off offset:2500 ; 16-byte Folded Spill
	scratch_store_dwordx4 off, v[20:23], off offset:2516 ; 16-byte Folded Spill
	scratch_store_dwordx4 off, v[24:27], off offset:2532 ; 16-byte Folded Spill
	scratch_store_dwordx4 off, v[28:31], off offset:2548 ; 16-byte Folded Spill
	v_mov_b32_e32 v15, v30
	;; [unrolled: 10-line block ×7, first 2 shown]
	v_mov_b32_e32 v21, v60
	v_mov_b32_e32 v163, v26
	;; [unrolled: 1-line block ×7, first 2 shown]
	scratch_store_dwordx4 off, v[152:155], off offset:1668 ; 16-byte Folded Spill
	s_nop 0
	scratch_store_dwordx4 off, v[156:159], off offset:1684 ; 16-byte Folded Spill
	scratch_store_dwordx4 off, v[160:163], off offset:1700 ; 16-byte Folded Spill
	;; [unrolled: 1-line block ×8, first 2 shown]
	s_nop 0
	scratch_store_dwordx4 off, v[4:7], off offset:2580 ; 16-byte Folded Spill
	scratch_store_dwordx4 off, v[8:11], off offset:2596 ; 16-byte Folded Spill
	;; [unrolled: 1-line block ×7, first 2 shown]
	v_mov_b32_e32 v152, v59
	v_mov_b32_e32 v153, v60
	;; [unrolled: 1-line block ×25, first 2 shown]
	scratch_store_dwordx4 off, v[132:135], off offset:1540 ; 16-byte Folded Spill
	s_nop 0
	scratch_store_dwordx4 off, v[136:139], off offset:1556 ; 16-byte Folded Spill
	scratch_store_dwordx4 off, v[140:143], off offset:1572 ; 16-byte Folded Spill
	;; [unrolled: 1-line block ×8, first 2 shown]
	s_nop 0
	scratch_store_dwordx4 off, v[4:7], off offset:1940 ; 16-byte Folded Spill
	scratch_store_dwordx4 off, v[8:11], off offset:1956 ; 16-byte Folded Spill
	;; [unrolled: 1-line block ×7, first 2 shown]
	v_mov_b32_e32 v156, v64
	v_mov_b32_e32 v24, v63
	;; [unrolled: 1-line block ×9, first 2 shown]
	scratch_store_dwordx4 off, v[0:3], off offset:900 ; 16-byte Folded Spill
	s_nop 0
	scratch_store_dwordx4 off, v[4:7], off offset:916 ; 16-byte Folded Spill
	scratch_store_dwordx4 off, v[8:11], off offset:932 ; 16-byte Folded Spill
	;; [unrolled: 1-line block ×7, first 2 shown]
	s_nop 0
	v_mov_b32_e32 v25, v86
	scratch_store_dwordx4 off, v[0:3], off offset:1796 ; 16-byte Folded Spill
	s_nop 0
	scratch_store_dwordx4 off, v[4:7], off offset:1812 ; 16-byte Folded Spill
	scratch_store_dwordx4 off, v[8:11], off offset:1828 ; 16-byte Folded Spill
	;; [unrolled: 1-line block ×7, first 2 shown]
	v_mov_b32_e32 v99, v26
	v_mov_b32_e32 v100, v27
	;; [unrolled: 1-line block ×6, first 2 shown]
	scratch_store_dwordx4 off, v[88:91], off offset:1156 ; 16-byte Folded Spill
	s_nop 0
	scratch_store_dwordx4 off, v[92:95], off offset:1172 ; 16-byte Folded Spill
	scratch_store_dwordx4 off, v[96:99], off offset:1188 ; 16-byte Folded Spill
	;; [unrolled: 1-line block ×7, first 2 shown]
	v_mov_b32_e32 v167, v26
	v_mov_b32_e32 v168, v27
	v_mov_b32_e32 v169, v28
	v_mov_b32_e32 v170, v29
	v_mov_b32_e32 v171, v30
	v_mov_b32_e32 v172, v31
	scratch_store_dwordx4 off, v[156:159], off offset:4 ; 16-byte Folded Spill
	s_nop 0
	scratch_store_dwordx4 off, v[160:163], off offset:20 ; 16-byte Folded Spill
	scratch_store_dwordx4 off, v[164:167], off offset:36 ; 16-byte Folded Spill
	scratch_store_dwordx4 off, v[168:171], off offset:52 ; 16-byte Folded Spill
	scratch_store_dwordx4 off, v[172:175], off offset:68 ; 16-byte Folded Spill
	scratch_store_dwordx4 off, v[176:179], off offset:84 ; 16-byte Folded Spill
	scratch_store_dwordx4 off, v[180:183], off offset:100 ; 16-byte Folded Spill
	scratch_store_dwordx4 off, v[184:187], off offset:116 ; 16-byte Folded Spill
	v_mov_b32_e32 v211, v26
	v_mov_b32_e32 v210, v27
	;; [unrolled: 1-line block ×4, first 2 shown]
	scratch_store_dwordx4 off, v[64:67], s4 ; 16-byte Folded Spill
	s_nop 0
	scratch_store_dwordx4 off, v[68:71], s4 offset:16 ; 16-byte Folded Spill
	scratch_store_dwordx4 off, v[72:75], s4 offset:32 ; 16-byte Folded Spill
	;; [unrolled: 1-line block ×7, first 2 shown]
	scratch_store_dwordx4 off, v[64:67], off offset:3460 ; 16-byte Folded Spill
	s_nop 0
	scratch_store_dwordx4 off, v[68:71], off offset:3476 ; 16-byte Folded Spill
	scratch_store_dwordx4 off, v[72:75], off offset:3492 ; 16-byte Folded Spill
	scratch_store_dwordx4 off, v[76:79], off offset:3508 ; 16-byte Folded Spill
	scratch_store_dwordx4 off, v[80:83], off offset:3524 ; 16-byte Folded Spill
	scratch_store_dwordx4 off, v[84:87], off offset:3540 ; 16-byte Folded Spill
	scratch_store_dwordx4 off, v[88:91], off offset:3556 ; 16-byte Folded Spill
	scratch_store_dwordx4 off, v[92:95], off offset:3572 ; 16-byte Folded Spill
	scratch_store_dwordx4 off, v[0:3], off offset:132 ; 16-byte Folded Spill
	s_nop 0
	scratch_store_dwordx4 off, v[4:7], off offset:148 ; 16-byte Folded Spill
	scratch_store_dwordx4 off, v[8:11], off offset:164 ; 16-byte Folded Spill
	scratch_store_dwordx4 off, v[12:15], off offset:180 ; 16-byte Folded Spill
	scratch_store_dwordx4 off, v[16:19], off offset:196 ; 16-byte Folded Spill
	scratch_store_dwordx4 off, v[20:23], off offset:212 ; 16-byte Folded Spill
	scratch_store_dwordx4 off, v[24:27], off offset:228 ; 16-byte Folded Spill
	scratch_store_dwordx4 off, v[28:31], off offset:244 ; 16-byte Folded Spill
	;; [unrolled: 9-line block ×9, first 2 shown]
	v_mov_b32_e32 v235, v86
	v_mov_b32_e32 v180, v87
	scratch_store_dwordx4 off, v[0:3], off offset:1284 ; 16-byte Folded Spill
	s_nop 0
	scratch_store_dwordx4 off, v[4:7], off offset:1300 ; 16-byte Folded Spill
	scratch_store_dwordx4 off, v[8:11], off offset:1316 ; 16-byte Folded Spill
	;; [unrolled: 1-line block ×7, first 2 shown]
.LBB57_58:
	s_or_b64 exec, exec, s[2:3]
	v_cmp_eq_u32_e32 vcc, 11, v254
	s_waitcnt vmcnt(63) expcnt(7) lgkmcnt(15)
	s_barrier
	s_and_saveexec_b64 s[2:3], vcc
	s_cbranch_execz .LBB57_61
; %bb.59:
	ds_write_b32 v255, v211
	scratch_load_dwordx4 v[0:3], off, off offset:4 ; 16-byte Folded Reload
	scratch_load_dwordx4 v[4:7], off, off offset:20 ; 16-byte Folded Reload
	;; [unrolled: 1-line block ×8, first 2 shown]
	s_waitcnt vmcnt(4)
	ds_write2_b32 v250, v12, v13 offset0:12 offset1:13
	ds_write2_b32 v250, v14, v15 offset0:14 offset1:15
	s_waitcnt vmcnt(3)
	ds_write2_b32 v250, v16, v17 offset0:16 offset1:17
	ds_write2_b32 v250, v18, v19 offset0:18 offset1:19
	;; [unrolled: 3-line block ×4, first 2 shown]
	ds_write_b32 v250, v247 offset:112
	ds_read_b32 v26, v255
	s_waitcnt lgkmcnt(0)
	v_cmp_neq_f32_e32 vcc, 0, v26
	s_and_b64 exec, exec, vcc
	s_cbranch_execz .LBB57_61
; %bb.60:
	v_div_scale_f32 v27, s[4:5], v26, v26, 1.0
	s_waitcnt vmcnt(0)
	v_rcp_f32_e32 v28, v27
	v_div_scale_f32 v29, vcc, 1.0, v26, 1.0
	v_fma_f32 v30, -v27, v28, 1.0
	v_fmac_f32_e32 v28, v30, v28
	v_mul_f32_e32 v30, v29, v28
	v_fma_f32 v31, -v27, v30, v29
	v_fmac_f32_e32 v30, v31, v28
	v_fma_f32 v27, -v27, v30, v29
	v_div_fmas_f32 v27, v27, v28, v30
	v_div_fixup_f32 v26, v27, v26, 1.0
	ds_write_b32 v255, v26
.LBB57_61:
	s_or_b64 exec, exec, s[2:3]
	s_waitcnt lgkmcnt(0)
	s_barrier
	ds_read_b32 v0, v255
	v_cmp_lt_u32_e32 vcc, 11, v254
	s_waitcnt lgkmcnt(0)
	scratch_store_dword off, v0, off offset:3588 ; 4-byte Folded Spill
	s_and_saveexec_b64 s[2:3], vcc
	s_cbranch_execz .LBB57_63
; %bb.62:
	ds_read2_b32 v[2:3], v250 offset0:12 offset1:13
	ds_read2_b32 v[4:5], v250 offset0:14 offset1:15
	;; [unrolled: 1-line block ×3, first 2 shown]
	scratch_load_dword v0, off, off offset:3588 ; 4-byte Folded Reload
	ds_read2_b32 v[8:9], v250 offset0:18 offset1:19
	scratch_load_dwordx4 v[10:13], off, off offset:4 ; 16-byte Folded Reload
	scratch_load_dwordx4 v[14:17], off, off offset:20 ; 16-byte Folded Reload
	;; [unrolled: 1-line block ×8, first 2 shown]
	v_mov_b32_e32 v254, v244
	s_movk_i32 s4, 0x1084
	s_waitcnt vmcnt(8)
	v_mul_f32_e32 v0, v211, v0
	s_waitcnt vmcnt(1)
	v_mov_b64_e32 v[14:15], v[22:23]
	v_mov_b64_e32 v[16:17], v[24:25]
	;; [unrolled: 1-line block ×3, first 2 shown]
	s_waitcnt lgkmcnt(3)
	v_pk_fma_f32 v[14:15], v[0:1], v[2:3], v[14:15] op_sel_hi:[0,1,1] neg_lo:[1,0,0] neg_hi:[1,0,0]
	s_waitcnt lgkmcnt(2)
	v_pk_fma_f32 v[16:17], v[0:1], v[4:5], v[16:17] op_sel_hi:[0,1,1] neg_lo:[1,0,0] neg_hi:[1,0,0]
	;; [unrolled: 2-line block ×3, first 2 shown]
	ds_read2_b32 v[2:3], v250 offset0:20 offset1:21
	ds_read2_b32 v[4:5], v250 offset0:22 offset1:23
	;; [unrolled: 1-line block ×4, first 2 shown]
	scratch_load_dwordx4 v[86:89], off, off offset:3460 ; 16-byte Folded Reload
	scratch_load_dwordx4 v[90:93], off, off offset:3476 ; 16-byte Folded Reload
	scratch_load_dwordx4 v[94:97], off, off offset:3492 ; 16-byte Folded Reload
	scratch_load_dwordx4 v[98:101], off, off offset:3508 ; 16-byte Folded Reload
	scratch_load_dwordx4 v[102:105], off, off offset:3524 ; 16-byte Folded Reload
	scratch_load_dwordx4 v[106:109], off, off offset:3540 ; 16-byte Folded Reload
	scratch_load_dwordx4 v[110:113], off, off offset:3556 ; 16-byte Folded Reload
	scratch_load_dwordx4 v[114:117], off, off offset:3572 ; 16-byte Folded Reload
	v_mov_b64_e32 v[20:21], v[28:29]
	v_mov_b64_e32 v[22:23], v[30:31]
	;; [unrolled: 1-line block ×5, first 2 shown]
	v_mov_b32_e32 v13, v0
	s_waitcnt lgkmcnt(4)
	v_pk_fma_f32 v[170:171], v[0:1], v[8:9], v[20:21] op_sel_hi:[0,1,1] neg_lo:[1,0,0] neg_hi:[1,0,0]
	s_waitcnt lgkmcnt(3)
	v_pk_fma_f32 v[50:51], v[0:1], v[2:3], v[22:23] op_sel_hi:[0,1,1] neg_lo:[1,0,0] neg_hi:[1,0,0]
	;; [unrolled: 2-line block ×5, first 2 shown]
	v_mov_b64_e32 v[210:211], v[14:15]
	v_mov_b32_e32 v67, v0
	v_mov_b32_e32 v68, v210
	;; [unrolled: 1-line block ×9, first 2 shown]
	s_waitcnt vmcnt(5)
	v_mov_b32_e32 v97, v0
	v_mov_b32_e32 v143, v0
	;; [unrolled: 1-line block ×30, first 2 shown]
	v_mov_b64_e32 v[208:209], v[12:13]
	v_mov_b64_e32 v[206:207], v[10:11]
	v_mov_b64_e32 v[204:205], v[8:9]
	v_mov_b64_e32 v[202:203], v[6:7]
	v_mov_b64_e32 v[200:201], v[4:5]
	v_mov_b64_e32 v[198:199], v[2:3]
	scratch_store_dwordx4 off, v[2:5], off offset:3332 ; 16-byte Folded Spill
	s_nop 0
	scratch_store_dwordx4 off, v[6:9], off offset:3348 ; 16-byte Folded Spill
	scratch_store_dwordx4 off, v[10:13], off offset:3364 ; 16-byte Folded Spill
	;; [unrolled: 1-line block ×7, first 2 shown]
	v_mov_b32_e32 v18, v86
	v_mov_b32_e32 v19, v87
	;; [unrolled: 1-line block ×23, first 2 shown]
	s_waitcnt vmcnt(10)
	v_mov_b32_e32 v108, v86
	v_mov_b32_e32 v109, v87
	;; [unrolled: 1-line block ×9, first 2 shown]
	s_waitcnt vmcnt(9)
	v_mov_b32_e32 v110, v88
	v_mov_b32_e32 v111, v89
	;; [unrolled: 1-line block ×4, first 2 shown]
	s_waitcnt vmcnt(8)
	v_mov_b32_e32 v114, v92
	v_mov_b32_e32 v115, v93
	;; [unrolled: 1-line block ×25, first 2 shown]
	scratch_store_dwordx4 off, v[18:21], off offset:3076 ; 16-byte Folded Spill
	s_nop 0
	scratch_store_dwordx4 off, v[22:25], off offset:3092 ; 16-byte Folded Spill
	scratch_store_dwordx4 off, v[26:29], off offset:3108 ; 16-byte Folded Spill
	;; [unrolled: 1-line block ×7, first 2 shown]
	v_mov_b32_e32 v34, v148
	v_mov_b32_e32 v35, v149
	;; [unrolled: 1-line block ×4, first 2 shown]
	v_mov_b64_e32 v[234:235], v[16:17]
	v_mov_b32_e32 v146, v16
	v_mov_b32_e32 v147, v17
	;; [unrolled: 1-line block ×6, first 2 shown]
	v_mov_b64_e32 v[232:233], v[14:15]
	v_mov_b64_e32 v[230:231], v[12:13]
	;; [unrolled: 1-line block ×7, first 2 shown]
	scratch_store_dwordx4 off, v[18:21], off offset:2820 ; 16-byte Folded Spill
	s_nop 0
	scratch_store_dwordx4 off, v[22:25], off offset:2836 ; 16-byte Folded Spill
	scratch_store_dwordx4 off, v[26:29], off offset:2852 ; 16-byte Folded Spill
	;; [unrolled: 1-line block ×7, first 2 shown]
	v_mov_b32_e32 v36, v170
	v_mov_b32_e32 v37, v171
	scratch_store_dwordx4 off, v[18:21], off offset:2692 ; 16-byte Folded Spill
	s_nop 0
	scratch_store_dwordx4 off, v[22:25], off offset:2708 ; 16-byte Folded Spill
	scratch_store_dwordx4 off, v[26:29], off offset:2724 ; 16-byte Folded Spill
	;; [unrolled: 1-line block ×7, first 2 shown]
	v_mov_b64_e32 v[38:39], v[50:51]
	v_mov_b64_e32 v[54:55], v[32:33]
	;; [unrolled: 1-line block ×12, first 2 shown]
	scratch_store_dwordx4 off, v[18:21], off offset:2564 ; 16-byte Folded Spill
	s_nop 0
	scratch_store_dwordx4 off, v[22:25], off offset:2580 ; 16-byte Folded Spill
	scratch_store_dwordx4 off, v[26:29], off offset:2596 ; 16-byte Folded Spill
	;; [unrolled: 1-line block ×7, first 2 shown]
	v_mov_b32_e32 v128, v60
	v_mov_b32_e32 v129, v61
	;; [unrolled: 1-line block ×10, first 2 shown]
	v_mov_b64_e32 v[192:193], v[38:39]
	v_mov_b64_e32 v[186:187], v[32:33]
	v_mov_b32_e32 v76, v192
	v_mov_b32_e32 v77, v193
	v_mov_b64_e32 v[184:185], v[30:31]
	v_mov_b64_e32 v[182:183], v[28:29]
	;; [unrolled: 1-line block ×9, first 2 shown]
	scratch_store_dwordx4 off, v[18:21], off offset:1924 ; 16-byte Folded Spill
	s_nop 0
	scratch_store_dwordx4 off, v[22:25], off offset:1940 ; 16-byte Folded Spill
	scratch_store_dwordx4 off, v[26:29], off offset:1956 ; 16-byte Folded Spill
	;; [unrolled: 1-line block ×8, first 2 shown]
	s_nop 0
	scratch_store_dwordx4 off, v[60:63], off offset:916 ; 16-byte Folded Spill
	scratch_store_dwordx4 off, v[64:67], off offset:932 ; 16-byte Folded Spill
	;; [unrolled: 1-line block ×7, first 2 shown]
	ds_read_b32 v1, v250 offset:112
	v_mov_b64_e32 v[36:37], v[188:189]
	v_mov_b64_e32 v[20:21], v[172:173]
	;; [unrolled: 1-line block ×12, first 2 shown]
	v_mov_b32_e32 v192, v40
	v_mov_b32_e32 v193, v41
	v_mov_b64_e32 v[50:51], v[38:39]
	v_mov_b64_e32 v[48:49], v[36:37]
	;; [unrolled: 1-line block ×3, first 2 shown]
	s_waitcnt lgkmcnt(0)
	v_fma_f32 v236, -v0, v1, v247
	v_mov_b32_e32 v183, v0
	v_mov_b32_e32 v186, v16
	;; [unrolled: 1-line block ×3, first 2 shown]
	v_mov_b64_e32 v[44:45], v[32:33]
	v_mov_b64_e32 v[42:43], v[30:31]
	;; [unrolled: 1-line block ×7, first 2 shown]
	scratch_load_dwordx4 v[0:3], off, off offset:900 ; 16-byte Folded Reload
	scratch_load_dwordx4 v[4:7], off, off offset:916 ; 16-byte Folded Reload
	;; [unrolled: 1-line block ×8, first 2 shown]
	v_mov_b32_e32 v174, v88
	v_mov_b32_e32 v175, v89
	;; [unrolled: 1-line block ×33, first 2 shown]
	v_mov_b64_e32 v[80:81], v[82:83]
	v_mov_b32_e32 v65, v67
	v_mov_b32_e32 v54, v86
	;; [unrolled: 1-line block ×4, first 2 shown]
	s_waitcnt vmcnt(1)
	v_mov_b32_e32 v196, v24
	v_mov_b32_e32 v197, v25
	scratch_store_dwordx4 off, v[172:175], off offset:1796 ; 16-byte Folded Spill
	s_nop 0
	scratch_store_dwordx4 off, v[176:179], off offset:1812 ; 16-byte Folded Spill
	scratch_store_dwordx4 off, v[180:183], off offset:1828 ; 16-byte Folded Spill
	;; [unrolled: 1-line block ×8, first 2 shown]
	s_nop 0
	scratch_store_dwordx4 off, v[224:227], off offset:2452 ; 16-byte Folded Spill
	scratch_store_dwordx4 off, v[228:231], off offset:2468 ; 16-byte Folded Spill
	;; [unrolled: 1-line block ×7, first 2 shown]
	v_mov_b64_e32 v[192:193], v[52:53]
	v_mov_b32_e32 v74, v192
	v_mov_b32_e32 v75, v193
	;; [unrolled: 1-line block ×4, first 2 shown]
	v_mov_b64_e32 v[186:187], v[46:47]
	v_mov_b64_e32 v[184:185], v[44:45]
	;; [unrolled: 1-line block ×18, first 2 shown]
	v_mov_b32_e32 v228, v192
	v_mov_b32_e32 v229, v193
	;; [unrolled: 1-line block ×6, first 2 shown]
	v_mov_b64_e32 v[194:195], v[198:199]
	v_mov_b64_e32 v[196:197], v[200:201]
	;; [unrolled: 1-line block ×7, first 2 shown]
	v_mov_b32_e32 v68, v234
	v_mov_b32_e32 v69, v235
	;; [unrolled: 1-line block ×8, first 2 shown]
	scratch_store_dwordx4 off, v[54:57], off offset:1156 ; 16-byte Folded Spill
	s_nop 0
	scratch_store_dwordx4 off, v[58:61], off offset:1172 ; 16-byte Folded Spill
	scratch_store_dwordx4 off, v[62:65], off offset:1188 ; 16-byte Folded Spill
	scratch_store_dwordx4 off, v[66:69], off offset:1204 ; 16-byte Folded Spill
	scratch_store_dwordx4 off, v[70:73], off offset:1220 ; 16-byte Folded Spill
	scratch_store_dwordx4 off, v[74:77], off offset:1236 ; 16-byte Folded Spill
	scratch_store_dwordx4 off, v[78:81], off offset:1252 ; 16-byte Folded Spill
	scratch_store_dwordx4 off, v[82:85], off offset:1268 ; 16-byte Folded Spill
	scratch_store_dwordx4 off, v[194:197], off offset:2948 ; 16-byte Folded Spill
	s_nop 0
	scratch_store_dwordx4 off, v[198:201], off offset:2964 ; 16-byte Folded Spill
	scratch_store_dwordx4 off, v[202:205], off offset:2980 ; 16-byte Folded Spill
	;; [unrolled: 1-line block ×7, first 2 shown]
	v_mov_b64_e32 v[56:57], v[24:25]
	v_mov_b64_e32 v[54:55], v[22:23]
	;; [unrolled: 1-line block ×5, first 2 shown]
	scratch_load_dwordx4 v[0:3], off, off offset:2436 ; 16-byte Folded Reload
	scratch_load_dwordx4 v[4:7], off, off offset:2452 ; 16-byte Folded Reload
	;; [unrolled: 1-line block ×8, first 2 shown]
	s_waitcnt vmcnt(0)
	v_mov_b64_e32 v[16:17], v[32:33]
	scratch_store_dwordx4 off, v[172:175], off offset:1668 ; 16-byte Folded Spill
	s_nop 0
	scratch_store_dwordx4 off, v[176:179], off offset:1684 ; 16-byte Folded Spill
	scratch_store_dwordx4 off, v[180:183], off offset:1700 ; 16-byte Folded Spill
	;; [unrolled: 1-line block ×7, first 2 shown]
	v_mov_b64_e32 v[18:19], v[34:35]
	v_mov_b64_e32 v[20:21], v[36:37]
	;; [unrolled: 1-line block ×8, first 2 shown]
	v_mov_b32_e32 v232, v56
	v_mov_b32_e32 v233, v57
	v_mov_b64_e32 v[40:41], v[50:51]
	v_mov_b64_e32 v[42:43], v[52:53]
	;; [unrolled: 1-line block ×4, first 2 shown]
	scratch_load_dwordx4 v[48:51], off, off offset:1156 ; 16-byte Folded Reload
	scratch_load_dwordx4 v[52:55], off, off offset:1172 ; 16-byte Folded Reload
	;; [unrolled: 1-line block ×8, first 2 shown]
	v_mov_b32_e32 v222, v14
	v_mov_b32_e32 v223, v15
	;; [unrolled: 1-line block ×4, first 2 shown]
	v_mov_b64_e32 v[206:207], v[208:209]
	v_mov_b64_e32 v[36:37], v[30:31]
	;; [unrolled: 1-line block ×17, first 2 shown]
	scratch_store_dwordx4 off, v[86:89], s4 ; 16-byte Folded Spill
	s_nop 0
	scratch_store_dwordx4 off, v[90:93], s4 offset:16 ; 16-byte Folded Spill
	scratch_store_dwordx4 off, v[94:97], s4 offset:32 ; 16-byte Folded Spill
	scratch_store_dwordx4 off, v[98:101], s4 offset:48 ; 16-byte Folded Spill
	scratch_store_dwordx4 off, v[102:105], s4 offset:64 ; 16-byte Folded Spill
	scratch_store_dwordx4 off, v[106:109], s4 offset:80 ; 16-byte Folded Spill
	scratch_store_dwordx4 off, v[110:113], s4 offset:96 ; 16-byte Folded Spill
	scratch_store_dwordx4 off, v[114:117], s4 offset:112 ; 16-byte Folded Spill
	v_mov_b64_e32 v[14:15], v[12:13]
	v_mov_b64_e32 v[12:13], v[10:11]
	;; [unrolled: 1-line block ×7, first 2 shown]
	v_mov_b32_e32 v18, v16
	s_waitcnt vmcnt(8)
	v_mov_b64_e32 v[76:77], v[74:75]
	v_mov_b32_e32 v234, v76
	v_mov_b32_e32 v235, v77
	v_mov_b64_e32 v[222:223], v[224:225]
	v_mov_b64_e32 v[224:225], v[226:227]
	;; [unrolled: 1-line block ×6, first 2 shown]
	v_mov_b32_e32 v234, v236
	scratch_store_dwordx4 off, v[206:209], off offset:4 ; 16-byte Folded Spill
	s_nop 0
	scratch_store_dwordx4 off, v[210:213], off offset:20 ; 16-byte Folded Spill
	scratch_store_dwordx4 off, v[214:217], off offset:36 ; 16-byte Folded Spill
	;; [unrolled: 1-line block ×7, first 2 shown]
	scratch_load_dwordx4 v[172:175], off, off offset:2948 ; 16-byte Folded Reload
	scratch_load_dwordx4 v[176:179], off, off offset:2964 ; 16-byte Folded Reload
	scratch_load_dwordx4 v[180:183], off, off offset:2980 ; 16-byte Folded Reload
	scratch_load_dwordx4 v[184:187], off, off offset:2996 ; 16-byte Folded Reload
	scratch_load_dwordx4 v[188:191], off, off offset:3012 ; 16-byte Folded Reload
	scratch_load_dwordx4 v[192:195], off, off offset:3028 ; 16-byte Folded Reload
	scratch_load_dwordx4 v[196:199], off, off offset:3044 ; 16-byte Folded Reload
	scratch_load_dwordx4 v[200:203], off, off offset:3060 ; 16-byte Folded Reload
	s_nop 0
	scratch_store_dwordx4 off, v[4:7], off offset:132 ; 16-byte Folded Spill
	s_nop 0
	scratch_store_dwordx4 off, v[8:11], off offset:148 ; 16-byte Folded Spill
	scratch_store_dwordx4 off, v[12:15], off offset:164 ; 16-byte Folded Spill
	;; [unrolled: 1-line block ×8, first 2 shown]
	s_nop 0
	scratch_store_dwordx4 off, v[6:9], off offset:404 ; 16-byte Folded Spill
	scratch_store_dwordx4 off, v[10:13], off offset:420 ; 16-byte Folded Spill
	;; [unrolled: 1-line block ×7, first 2 shown]
	v_mov_b32_e32 v16, v148
	scratch_store_dwordx4 off, v[0:3], off offset:1412 ; 16-byte Folded Spill
	s_nop 0
	scratch_store_dwordx4 off, v[4:7], off offset:1428 ; 16-byte Folded Spill
	scratch_store_dwordx4 off, v[8:11], off offset:1444 ; 16-byte Folded Spill
	scratch_store_dwordx4 off, v[12:15], off offset:1460 ; 16-byte Folded Spill
	scratch_store_dwordx4 off, v[16:19], off offset:1476 ; 16-byte Folded Spill
	scratch_store_dwordx4 off, v[20:23], off offset:1492 ; 16-byte Folded Spill
	scratch_store_dwordx4 off, v[24:27], off offset:1508 ; 16-byte Folded Spill
	scratch_store_dwordx4 off, v[28:31], off offset:1524 ; 16-byte Folded Spill
	scratch_store_dwordx4 off, v[132:135], off offset:2308 ; 16-byte Folded Spill
	s_nop 0
	scratch_store_dwordx4 off, v[136:139], off offset:2324 ; 16-byte Folded Spill
	scratch_store_dwordx4 off, v[140:143], off offset:2340 ; 16-byte Folded Spill
	scratch_store_dwordx4 off, v[144:147], off offset:2356 ; 16-byte Folded Spill
	scratch_store_dwordx4 off, v[148:151], off offset:2372 ; 16-byte Folded Spill
	scratch_store_dwordx4 off, v[152:155], off offset:2388 ; 16-byte Folded Spill
	scratch_store_dwordx4 off, v[156:159], off offset:2404 ; 16-byte Folded Spill
	scratch_store_dwordx4 off, v[160:163], off offset:2420 ; 16-byte Folded Spill
	;; [unrolled: 9-line block ×3, first 2 shown]
	v_mov_b32_e32 v18, v170
	scratch_store_dwordx4 off, v[0:3], off offset:772 ; 16-byte Folded Spill
	s_nop 0
	scratch_store_dwordx4 off, v[4:7], off offset:788 ; 16-byte Folded Spill
	scratch_store_dwordx4 off, v[8:11], off offset:804 ; 16-byte Folded Spill
	scratch_store_dwordx4 off, v[12:15], off offset:820 ; 16-byte Folded Spill
	scratch_store_dwordx4 off, v[16:19], off offset:836 ; 16-byte Folded Spill
	scratch_store_dwordx4 off, v[20:23], off offset:852 ; 16-byte Folded Spill
	scratch_store_dwordx4 off, v[24:27], off offset:868 ; 16-byte Folded Spill
	scratch_store_dwordx4 off, v[28:31], off offset:884 ; 16-byte Folded Spill
	scratch_store_dwordx4 off, v[152:155], off offset:2180 ; 16-byte Folded Spill
	s_nop 0
	scratch_store_dwordx4 off, v[156:159], off offset:2196 ; 16-byte Folded Spill
	scratch_store_dwordx4 off, v[160:163], off offset:2212 ; 16-byte Folded Spill
	;; [unrolled: 1-line block ×4, first 2 shown]
	s_waitcnt vmcnt(60)
	scratch_store_dwordx4 off, v[172:175], off offset:2260 ; 16-byte Folded Spill
	s_waitcnt vmcnt(60)
	scratch_store_dwordx4 off, v[176:179], off offset:2276 ; 16-byte Folded Spill
	;; [unrolled: 2-line block ×3, first 2 shown]
	scratch_store_dwordx4 off, v[152:155], off offset:1028 ; 16-byte Folded Spill
	s_nop 0
	scratch_store_dwordx4 off, v[156:159], off offset:1044 ; 16-byte Folded Spill
	scratch_store_dwordx4 off, v[160:163], off offset:1060 ; 16-byte Folded Spill
	;; [unrolled: 1-line block ×7, first 2 shown]
	scratch_load_dwordx4 v[132:135], off, off offset:1668 ; 16-byte Folded Reload
	s_nop 0
	scratch_load_dwordx4 v[136:139], off, off offset:1684 ; 16-byte Folded Reload
	scratch_load_dwordx4 v[140:143], off, off offset:1700 ; 16-byte Folded Reload
	scratch_load_dwordx4 v[144:147], off, off offset:1716 ; 16-byte Folded Reload
	scratch_load_dwordx4 v[148:151], off, off offset:1732 ; 16-byte Folded Reload
	scratch_load_dwordx4 v[152:155], off, off offset:1748 ; 16-byte Folded Reload
	scratch_load_dwordx4 v[156:159], off, off offset:1764 ; 16-byte Folded Reload
	scratch_load_dwordx4 v[160:163], off, off offset:1780 ; 16-byte Folded Reload
	v_mov_b64_e32 v[74:75], v[72:73]
	v_mov_b64_e32 v[72:73], v[70:71]
	;; [unrolled: 1-line block ×13, first 2 shown]
	v_mov_b32_e32 v48, v130
	v_mov_b32_e32 v180, v76
	;; [unrolled: 1-line block ×3, first 2 shown]
	s_waitcnt vmcnt(62)
	v_mov_b64_e32 v[204:205], v[184:185]
	v_mov_b32_e32 v179, v75
	v_mov_b32_e32 v178, v74
	;; [unrolled: 1-line block ×13, first 2 shown]
	s_waitcnt vmcnt(2)
	v_mov_b64_e32 v[102:103], v[148:149]
	v_mov_b64_e32 v[106:107], v[152:153]
	v_mov_b32_e32 v20, v106
	scratch_store_dwordx4 off, v[0:3], off offset:644 ; 16-byte Folded Spill
	s_nop 0
	scratch_store_dwordx4 off, v[4:7], off offset:660 ; 16-byte Folded Spill
	scratch_store_dwordx4 off, v[8:11], off offset:676 ; 16-byte Folded Spill
	scratch_store_dwordx4 off, v[12:15], off offset:692 ; 16-byte Folded Spill
	scratch_store_dwordx4 off, v[16:19], off offset:708 ; 16-byte Folded Spill
	scratch_store_dwordx4 off, v[20:23], off offset:724 ; 16-byte Folded Spill
	scratch_store_dwordx4 off, v[24:27], off offset:740 ; 16-byte Folded Spill
	scratch_store_dwordx4 off, v[28:31], off offset:756 ; 16-byte Folded Spill
	scratch_store_dwordx4 off, v[26:29], off offset:260 ; 16-byte Folded Spill
	s_nop 0
	scratch_store_dwordx4 off, v[30:33], off offset:276 ; 16-byte Folded Spill
	scratch_store_dwordx4 off, v[34:37], off offset:292 ; 16-byte Folded Spill
	scratch_store_dwordx4 off, v[38:41], off offset:308 ; 16-byte Folded Spill
	scratch_store_dwordx4 off, v[42:45], off offset:324 ; 16-byte Folded Spill
	scratch_store_dwordx4 off, v[46:49], off offset:340 ; 16-byte Folded Spill
	scratch_store_dwordx4 off, v[50:53], off offset:356 ; 16-byte Folded Spill
	scratch_store_dwordx4 off, v[54:57], off offset:372 ; 16-byte Folded Spill
	;; [unrolled: 9-line block ×3, first 2 shown]
	v_mov_b32_e32 v245, v107
	v_mov_b64_e32 v[104:105], v[150:151]
	v_mov_b64_e32 v[80:81], v[46:47]
	v_mov_b32_e32 v24, v80
	v_mov_b32_e32 v235, v81
	v_mov_b64_e32 v[78:79], v[44:45]
	v_mov_b64_e32 v[76:77], v[42:43]
	;; [unrolled: 1-line block ×4, first 2 shown]
	scratch_store_dwordx4 off, v[0:3], off offset:1284 ; 16-byte Folded Spill
	s_nop 0
	scratch_store_dwordx4 off, v[4:7], off offset:1300 ; 16-byte Folded Spill
	scratch_store_dwordx4 off, v[8:11], off offset:1316 ; 16-byte Folded Spill
	;; [unrolled: 1-line block ×7, first 2 shown]
	v_mov_b32_e32 v97, v131
.LBB57_63:
	s_or_b64 exec, exec, s[2:3]
	v_cmp_eq_u32_e32 vcc, 12, v254
	s_waitcnt vmcnt(63) expcnt(7) lgkmcnt(15)
	s_barrier
	s_and_saveexec_b64 s[2:3], vcc
	s_cbranch_execz .LBB57_66
; %bb.64:
	ds_write_b32 v255, v210
	scratch_load_dwordx4 v[0:3], off, off offset:4 ; 16-byte Folded Reload
	scratch_load_dwordx4 v[4:7], off, off offset:20 ; 16-byte Folded Reload
	;; [unrolled: 1-line block ×8, first 2 shown]
	s_waitcnt vmcnt(4)
	ds_write2_b32 v250, v13, v14 offset0:13 offset1:14
	s_waitcnt vmcnt(3)
	ds_write2_b32 v250, v15, v16 offset0:15 offset1:16
	ds_write2_b32 v250, v17, v18 offset0:17 offset1:18
	s_waitcnt vmcnt(2)
	ds_write2_b32 v250, v19, v20 offset0:19 offset1:20
	;; [unrolled: 3-line block ×4, first 2 shown]
	ds_read_b32 v26, v255
	s_waitcnt lgkmcnt(0)
	v_cmp_neq_f32_e32 vcc, 0, v26
	s_and_b64 exec, exec, vcc
	s_cbranch_execz .LBB57_66
; %bb.65:
	v_div_scale_f32 v27, s[4:5], v26, v26, 1.0
	v_rcp_f32_e32 v28, v27
	v_div_scale_f32 v29, vcc, 1.0, v26, 1.0
	v_fma_f32 v30, -v27, v28, 1.0
	v_fmac_f32_e32 v28, v30, v28
	v_mul_f32_e32 v30, v29, v28
	v_fma_f32 v31, -v27, v30, v29
	v_fmac_f32_e32 v30, v31, v28
	v_fma_f32 v27, -v27, v30, v29
	v_div_fmas_f32 v27, v27, v28, v30
	v_div_fixup_f32 v26, v27, v26, 1.0
	ds_write_b32 v255, v26
.LBB57_66:
	s_or_b64 exec, exec, s[2:3]
	s_waitcnt lgkmcnt(0)
	s_barrier
	ds_read_b32 v0, v255
	v_cmp_lt_u32_e32 vcc, 12, v254
	s_waitcnt lgkmcnt(0)
	scratch_store_dword off, v0, off offset:3460 ; 4-byte Folded Spill
	s_and_saveexec_b64 s[2:3], vcc
	s_cbranch_execz .LBB57_68
; %bb.67:
	s_movk_i32 s4, 0x1084
	scratch_load_dwordx4 v[0:3], off, s4    ; 16-byte Folded Reload
	scratch_load_dwordx4 v[4:7], off, s4 offset:16 ; 16-byte Folded Reload
	scratch_load_dwordx4 v[8:11], off, s4 offset:32 ; 16-byte Folded Reload
	;; [unrolled: 1-line block ×7, first 2 shown]
	s_waitcnt vmcnt(5)
	v_mov_b64_e32 v[74:75], v[10:11]
	v_mov_b64_e32 v[72:73], v[8:9]
	;; [unrolled: 1-line block ×6, first 2 shown]
	scratch_load_dword v0, off, off offset:3460 ; 4-byte Folded Reload
	v_mov_b32_e32 v10, v74
	v_mov_b32_e32 v11, v75
	;; [unrolled: 1-line block ×38, first 2 shown]
	s_waitcnt vmcnt(0)
	v_mul_f32_e32 v76, v210, v0
	ds_read2_b32 v[0:1], v250 offset0:13 offset1:14
	scratch_load_dwordx4 v[14:17], off, off offset:4 ; 16-byte Folded Reload
	scratch_load_dwordx4 v[18:21], off, off offset:20 ; 16-byte Folded Reload
	scratch_load_dwordx4 v[22:25], off, off offset:36 ; 16-byte Folded Reload
	scratch_load_dwordx4 v[26:29], off, off offset:52 ; 16-byte Folded Reload
	scratch_load_dwordx4 v[30:33], off, off offset:68 ; 16-byte Folded Reload
	scratch_load_dwordx4 v[34:37], off, off offset:84 ; 16-byte Folded Reload
	scratch_load_dwordx4 v[38:41], off, off offset:100 ; 16-byte Folded Reload
	scratch_load_dwordx4 v[42:45], off, off offset:116 ; 16-byte Folded Reload
	ds_read2_b32 v[4:5], v250 offset0:15 offset1:16
	ds_read2_b32 v[6:7], v250 offset0:17 offset1:18
	;; [unrolled: 1-line block ×3, first 2 shown]
	v_mov_b32_e32 v12, v76
	v_mov_b32_e32 v164, v76
	v_mov_b32_e32 v144, v76
	v_mov_b32_e32 v98, v76
	s_waitcnt vmcnt(4)
	v_mov_b32_e32 v2, v27
	v_mov_b32_e32 v3, v28
	s_waitcnt lgkmcnt(3)
	v_pk_fma_f32 v[26:27], v[76:77], v[0:1], v[2:3] op_sel_hi:[0,1,1] neg_lo:[1,0,0] neg_hi:[1,0,0]
	v_mov_b32_e32 v0, v29
	s_waitcnt vmcnt(3)
	v_mov_b32_e32 v1, v30
	s_waitcnt lgkmcnt(2)
	v_pk_fma_f32 v[28:29], v[76:77], v[4:5], v[0:1] op_sel_hi:[0,1,1] neg_lo:[1,0,0] neg_hi:[1,0,0]
	v_mov_b32_e32 v0, v31
	v_mov_b32_e32 v1, v32
	s_waitcnt lgkmcnt(1)
	v_pk_fma_f32 v[30:31], v[76:77], v[6:7], v[0:1] op_sel_hi:[0,1,1] neg_lo:[1,0,0] neg_hi:[1,0,0]
	v_mov_b32_e32 v0, v33
	s_waitcnt vmcnt(2)
	v_mov_b32_e32 v1, v34
	s_waitcnt lgkmcnt(0)
	v_pk_fma_f32 v[56:57], v[76:77], v[8:9], v[0:1] op_sel_hi:[0,1,1] neg_lo:[1,0,0] neg_hi:[1,0,0]
	ds_read2_b32 v[0:1], v250 offset0:21 offset1:22
	ds_read2_b32 v[4:5], v250 offset0:23 offset1:24
	;; [unrolled: 1-line block ×4, first 2 shown]
	v_mov_b32_e32 v2, v35
	v_mov_b32_e32 v3, v36
	;; [unrolled: 1-line block ×3, first 2 shown]
	s_waitcnt lgkmcnt(3)
	v_pk_fma_f32 v[58:59], v[76:77], v[0:1], v[2:3] op_sel_hi:[0,1,1] neg_lo:[1,0,0] neg_hi:[1,0,0]
	v_mov_b32_e32 v0, v37
	s_waitcnt vmcnt(1)
	v_mov_b32_e32 v1, v38
	s_waitcnt lgkmcnt(2)
	v_pk_fma_f32 v[60:61], v[76:77], v[4:5], v[0:1] op_sel_hi:[0,1,1] neg_lo:[1,0,0] neg_hi:[1,0,0]
	v_mov_b32_e32 v0, v39
	v_mov_b32_e32 v1, v40
	s_waitcnt lgkmcnt(1)
	v_pk_fma_f32 v[62:63], v[76:77], v[6:7], v[0:1] op_sel_hi:[0,1,1] neg_lo:[1,0,0] neg_hi:[1,0,0]
	v_mov_b32_e32 v0, v41
	s_waitcnt vmcnt(0)
	v_mov_b32_e32 v1, v42
	s_waitcnt lgkmcnt(0)
	v_pk_fma_f32 v[246:247], v[76:77], v[8:9], v[0:1] op_sel_hi:[0,1,1] neg_lo:[1,0,0] neg_hi:[1,0,0]
	v_mov_b32_e32 v0, v64
	v_mov_b32_e32 v1, v65
	;; [unrolled: 1-line block ×12, first 2 shown]
	scratch_store_dwordx4 off, v[0:3], off offset:2436 ; 16-byte Folded Spill
	s_nop 0
	scratch_store_dwordx4 off, v[4:7], off offset:2452 ; 16-byte Folded Spill
	scratch_store_dwordx4 off, v[8:11], off offset:2468 ; 16-byte Folded Spill
	;; [unrolled: 1-line block ×7, first 2 shown]
	v_mov_b32_e32 v171, v56
	v_mov_b32_e32 v172, v57
	;; [unrolled: 1-line block ×15, first 2 shown]
	scratch_store_dwordx4 off, v[0:3], off offset:3076 ; 16-byte Folded Spill
	s_nop 0
	scratch_store_dwordx4 off, v[4:7], off offset:3092 ; 16-byte Folded Spill
	scratch_store_dwordx4 off, v[8:11], off offset:3108 ; 16-byte Folded Spill
	scratch_store_dwordx4 off, v[12:15], off offset:3124 ; 16-byte Folded Spill
	scratch_store_dwordx4 off, v[16:19], off offset:3140 ; 16-byte Folded Spill
	scratch_store_dwordx4 off, v[20:23], off offset:3156 ; 16-byte Folded Spill
	scratch_store_dwordx4 off, v[24:27], off offset:3172 ; 16-byte Folded Spill
	scratch_store_dwordx4 off, v[28:31], off offset:3188 ; 16-byte Folded Spill
	v_mov_b32_e32 v16, v29
	scratch_store_dwordx4 off, v[0:3], off offset:2308 ; 16-byte Folded Spill
	s_nop 0
	scratch_store_dwordx4 off, v[4:7], off offset:2324 ; 16-byte Folded Spill
	scratch_store_dwordx4 off, v[8:11], off offset:2340 ; 16-byte Folded Spill
	scratch_store_dwordx4 off, v[12:15], off offset:2356 ; 16-byte Folded Spill
	scratch_store_dwordx4 off, v[16:19], off offset:2372 ; 16-byte Folded Spill
	scratch_store_dwordx4 off, v[20:23], off offset:2388 ; 16-byte Folded Spill
	scratch_store_dwordx4 off, v[24:27], off offset:2404 ; 16-byte Folded Spill
	scratch_store_dwordx4 off, v[28:31], off offset:2420 ; 16-byte Folded Spill
	v_mov_b32_e32 v17, v30
	;; [unrolled: 10-line block ×5, first 2 shown]
	v_mov_b32_e32 v21, v58
	v_mov_b32_e32 v165, v26
	;; [unrolled: 1-line block ×7, first 2 shown]
	scratch_store_dwordx4 off, v[152:155], off offset:1668 ; 16-byte Folded Spill
	s_nop 0
	scratch_store_dwordx4 off, v[156:159], off offset:1684 ; 16-byte Folded Spill
	scratch_store_dwordx4 off, v[160:163], off offset:1700 ; 16-byte Folded Spill
	scratch_store_dwordx4 off, v[164:167], off offset:1716 ; 16-byte Folded Spill
	scratch_store_dwordx4 off, v[168:171], off offset:1732 ; 16-byte Folded Spill
	scratch_store_dwordx4 off, v[172:175], off offset:1748 ; 16-byte Folded Spill
	scratch_store_dwordx4 off, v[176:179], off offset:1764 ; 16-byte Folded Spill
	scratch_store_dwordx4 off, v[180:183], off offset:1780 ; 16-byte Folded Spill
	scratch_store_dwordx4 off, v[0:3], off offset:2564 ; 16-byte Folded Spill
	s_nop 0
	scratch_store_dwordx4 off, v[4:7], off offset:2580 ; 16-byte Folded Spill
	scratch_store_dwordx4 off, v[8:11], off offset:2596 ; 16-byte Folded Spill
	;; [unrolled: 1-line block ×7, first 2 shown]
	v_mov_b32_e32 v152, v57
	v_mov_b32_e32 v153, v58
	;; [unrolled: 1-line block ×25, first 2 shown]
	scratch_store_dwordx4 off, v[132:135], off offset:1540 ; 16-byte Folded Spill
	s_nop 0
	scratch_store_dwordx4 off, v[136:139], off offset:1556 ; 16-byte Folded Spill
	scratch_store_dwordx4 off, v[140:143], off offset:1572 ; 16-byte Folded Spill
	;; [unrolled: 1-line block ×8, first 2 shown]
	s_nop 0
	scratch_store_dwordx4 off, v[4:7], off offset:1940 ; 16-byte Folded Spill
	scratch_store_dwordx4 off, v[8:11], off offset:1956 ; 16-byte Folded Spill
	;; [unrolled: 1-line block ×7, first 2 shown]
	v_mov_b32_e32 v156, v64
	v_mov_b32_e32 v24, v61
	;; [unrolled: 1-line block ×9, first 2 shown]
	scratch_store_dwordx4 off, v[0:3], off offset:900 ; 16-byte Folded Spill
	s_nop 0
	scratch_store_dwordx4 off, v[4:7], off offset:916 ; 16-byte Folded Spill
	scratch_store_dwordx4 off, v[8:11], off offset:932 ; 16-byte Folded Spill
	;; [unrolled: 1-line block ×7, first 2 shown]
	s_nop 0
	v_mov_b32_e32 v25, v62
	scratch_store_dwordx4 off, v[0:3], off offset:1796 ; 16-byte Folded Spill
	s_nop 0
	scratch_store_dwordx4 off, v[4:7], off offset:1812 ; 16-byte Folded Spill
	scratch_store_dwordx4 off, v[8:11], off offset:1828 ; 16-byte Folded Spill
	;; [unrolled: 1-line block ×7, first 2 shown]
	v_mov_b32_e32 v99, v26
	v_mov_b32_e32 v100, v27
	v_mov_b32_e32 v101, v28
	v_mov_b32_e32 v102, v29
	v_mov_b32_e32 v103, v30
	v_mov_b32_e32 v104, v31
	scratch_store_dwordx4 off, v[86:89], off offset:1156 ; 16-byte Folded Spill
	s_nop 0
	scratch_store_dwordx4 off, v[90:93], off offset:1172 ; 16-byte Folded Spill
	scratch_store_dwordx4 off, v[94:97], off offset:1188 ; 16-byte Folded Spill
	;; [unrolled: 1-line block ×7, first 2 shown]
	v_mov_b32_e32 v169, v26
	v_mov_b32_e32 v170, v27
	;; [unrolled: 1-line block ×8, first 2 shown]
	scratch_store_dwordx4 off, v[156:159], off offset:4 ; 16-byte Folded Spill
	s_nop 0
	scratch_store_dwordx4 off, v[160:163], off offset:20 ; 16-byte Folded Spill
	scratch_store_dwordx4 off, v[164:167], off offset:36 ; 16-byte Folded Spill
	scratch_store_dwordx4 off, v[168:171], off offset:52 ; 16-byte Folded Spill
	scratch_store_dwordx4 off, v[172:175], off offset:68 ; 16-byte Folded Spill
	scratch_store_dwordx4 off, v[176:179], off offset:84 ; 16-byte Folded Spill
	scratch_store_dwordx4 off, v[180:183], off offset:100 ; 16-byte Folded Spill
	scratch_store_dwordx4 off, v[184:187], off offset:116 ; 16-byte Folded Spill
	scratch_store_dwordx4 off, v[64:67], off offset:3332 ; 16-byte Folded Spill
	s_nop 0
	scratch_store_dwordx4 off, v[68:71], off offset:3348 ; 16-byte Folded Spill
	scratch_store_dwordx4 off, v[72:75], off offset:3364 ; 16-byte Folded Spill
	scratch_store_dwordx4 off, v[76:79], off offset:3380 ; 16-byte Folded Spill
	scratch_store_dwordx4 off, v[80:83], off offset:3396 ; 16-byte Folded Spill
	scratch_store_dwordx4 off, v[84:87], off offset:3412 ; 16-byte Folded Spill
	scratch_store_dwordx4 off, v[88:91], off offset:3428 ; 16-byte Folded Spill
	scratch_store_dwordx4 off, v[92:95], off offset:3444 ; 16-byte Folded Spill
	;; [unrolled: 9-line block ×10, first 2 shown]
	v_mov_b32_e32 v180, v63
	scratch_store_dwordx4 off, v[0:3], off offset:260 ; 16-byte Folded Spill
	s_nop 0
	scratch_store_dwordx4 off, v[4:7], off offset:276 ; 16-byte Folded Spill
	scratch_store_dwordx4 off, v[8:11], off offset:292 ; 16-byte Folded Spill
	;; [unrolled: 1-line block ×8, first 2 shown]
	s_nop 0
	scratch_store_dwordx4 off, v[4:7], off offset:1300 ; 16-byte Folded Spill
	scratch_store_dwordx4 off, v[8:11], off offset:1316 ; 16-byte Folded Spill
	;; [unrolled: 1-line block ×7, first 2 shown]
.LBB57_68:
	s_or_b64 exec, exec, s[2:3]
	v_cmp_eq_u32_e32 vcc, 13, v254
	s_waitcnt vmcnt(63) expcnt(7) lgkmcnt(15)
	s_barrier
	s_and_saveexec_b64 s[2:3], vcc
	s_cbranch_execz .LBB57_71
; %bb.69:
	ds_write_b32 v255, v209
	scratch_load_dwordx4 v[0:3], off, off offset:4 ; 16-byte Folded Reload
	scratch_load_dwordx4 v[4:7], off, off offset:20 ; 16-byte Folded Reload
	;; [unrolled: 1-line block ×8, first 2 shown]
	s_waitcnt vmcnt(4)
	ds_write2_b32 v250, v14, v15 offset0:14 offset1:15
	s_waitcnt vmcnt(3)
	ds_write2_b32 v250, v16, v17 offset0:16 offset1:17
	ds_write2_b32 v250, v18, v19 offset0:18 offset1:19
	s_waitcnt vmcnt(2)
	ds_write2_b32 v250, v20, v21 offset0:20 offset1:21
	;; [unrolled: 3-line block ×3, first 2 shown]
	ds_write2_b32 v250, v26, v27 offset0:26 offset1:27
	ds_write_b32 v250, v247 offset:112
	ds_read_b32 v26, v255
	s_waitcnt lgkmcnt(0)
	v_cmp_neq_f32_e32 vcc, 0, v26
	s_and_b64 exec, exec, vcc
	s_cbranch_execz .LBB57_71
; %bb.70:
	v_div_scale_f32 v27, s[4:5], v26, v26, 1.0
	s_waitcnt vmcnt(0)
	v_rcp_f32_e32 v28, v27
	v_div_scale_f32 v29, vcc, 1.0, v26, 1.0
	v_fma_f32 v30, -v27, v28, 1.0
	v_fmac_f32_e32 v28, v30, v28
	v_mul_f32_e32 v30, v29, v28
	v_fma_f32 v31, -v27, v30, v29
	v_fmac_f32_e32 v30, v31, v28
	v_fma_f32 v27, -v27, v30, v29
	v_div_fmas_f32 v27, v27, v28, v30
	v_div_fixup_f32 v26, v27, v26, 1.0
	ds_write_b32 v255, v26
.LBB57_71:
	s_or_b64 exec, exec, s[2:3]
	s_waitcnt lgkmcnt(0)
	s_barrier
	ds_read_b32 v186, v255
	v_cmp_lt_u32_e32 vcc, 13, v254
	s_and_saveexec_b64 s[2:3], vcc
	s_cbranch_execz .LBB57_73
; %bb.72:
	ds_read2_b32 v[2:3], v250 offset0:14 offset1:15
	ds_read2_b32 v[4:5], v250 offset0:16 offset1:17
	;; [unrolled: 1-line block ×4, first 2 shown]
	scratch_load_dwordx4 v[10:13], off, off offset:4 ; 16-byte Folded Reload
	scratch_load_dwordx4 v[14:17], off, off offset:20 ; 16-byte Folded Reload
	;; [unrolled: 1-line block ×8, first 2 shown]
	s_waitcnt lgkmcnt(4)
	v_mul_f32_e32 v0, v209, v186
	v_mov_b32_e32 v237, v0
	s_waitcnt vmcnt(6)
	v_mov_b32_e32 v15, v0
	v_mov_b32_e32 v145, v0
	;; [unrolled: 1-line block ×3, first 2 shown]
	s_waitcnt vmcnt(1)
	v_mov_b64_e32 v[16:17], v[24:25]
	v_mov_b64_e32 v[18:19], v[26:27]
	;; [unrolled: 1-line block ×4, first 2 shown]
	s_waitcnt lgkmcnt(3)
	v_pk_fma_f32 v[16:17], v[0:1], v[2:3], v[16:17] op_sel_hi:[0,1,1] neg_lo:[1,0,0] neg_hi:[1,0,0]
	s_waitcnt lgkmcnt(2)
	v_pk_fma_f32 v[148:149], v[0:1], v[4:5], v[18:19] op_sel_hi:[0,1,1] neg_lo:[1,0,0] neg_hi:[1,0,0]
	;; [unrolled: 2-line block ×3, first 2 shown]
	ds_read2_b32 v[2:3], v250 offset0:22 offset1:23
	ds_read2_b32 v[4:5], v250 offset0:24 offset1:25
	;; [unrolled: 1-line block ×3, first 2 shown]
	s_waitcnt lgkmcnt(3)
	v_pk_fma_f32 v[120:121], v[0:1], v[8:9], v[22:23] op_sel_hi:[0,1,1] neg_lo:[1,0,0] neg_hi:[1,0,0]
	ds_read_b32 v1, v250 offset:112
	scratch_load_dwordx4 v[86:89], off, off offset:2948 ; 16-byte Folded Reload
	scratch_load_dwordx4 v[90:93], off, off offset:2964 ; 16-byte Folded Reload
	;; [unrolled: 1-line block ×8, first 2 shown]
	v_mov_b64_e32 v[24:25], v[32:33]
	v_mov_b64_e32 v[26:27], v[34:35]
	;; [unrolled: 1-line block ×3, first 2 shown]
	s_waitcnt lgkmcnt(0)
	v_pk_fma_f32 v[52:53], v[0:1], v[2:3], v[24:25] op_sel_hi:[0,1,1] neg_lo:[1,0,0] neg_hi:[1,0,0]
	v_pk_fma_f32 v[216:217], v[0:1], v[4:5], v[26:27] op_sel_hi:[0,1,1] neg_lo:[1,0,0] neg_hi:[1,0,0]
	;; [unrolled: 1-line block ×3, first 2 shown]
	v_mov_b32_e32 v31, v0
	v_mov_b32_e32 v32, v16
	v_mov_b32_e32 v33, v17
	v_fma_f32 v180, -v0, v1, v247
	v_mov_b32_e32 v238, v16
	v_mov_b32_e32 v239, v17
	;; [unrolled: 1-line block ×12, first 2 shown]
	s_waitcnt vmcnt(4)
	v_mov_b32_e32 v99, v0
	s_waitcnt vmcnt(1)
	v_mov_b32_e32 v113, v0
	;; [unrolled: 2-line block ×3, first 2 shown]
	v_mov_b32_e32 v115, v17
	v_mov_b32_e32 v116, v148
	;; [unrolled: 1-line block ×28, first 2 shown]
	scratch_store_dwordx4 off, v[18:21], off offset:3076 ; 16-byte Folded Spill
	s_nop 0
	scratch_store_dwordx4 off, v[22:25], off offset:3092 ; 16-byte Folded Spill
	scratch_store_dwordx4 off, v[26:29], off offset:3108 ; 16-byte Folded Spill
	;; [unrolled: 1-line block ×7, first 2 shown]
	v_mov_b32_e32 v28, v96
	v_mov_b32_e32 v34, v148
	;; [unrolled: 1-line block ×53, first 2 shown]
	scratch_store_dwordx4 off, v[18:21], off offset:2820 ; 16-byte Folded Spill
	s_nop 0
	scratch_store_dwordx4 off, v[22:25], off offset:2836 ; 16-byte Folded Spill
	scratch_store_dwordx4 off, v[26:29], off offset:2852 ; 16-byte Folded Spill
	;; [unrolled: 1-line block ×7, first 2 shown]
	v_mov_b64_e32 v[36:37], v[50:51]
	v_mov_b32_e32 v143, v97
	v_mov_b32_e32 v144, v98
	;; [unrolled: 1-line block ×15, first 2 shown]
	v_mov_b64_e32 v[68:69], v[32:33]
	v_mov_b64_e32 v[72:73], v[36:37]
	;; [unrolled: 1-line block ×10, first 2 shown]
	scratch_store_dwordx4 off, v[18:21], off offset:2692 ; 16-byte Folded Spill
	s_nop 0
	scratch_store_dwordx4 off, v[22:25], off offset:2708 ; 16-byte Folded Spill
	scratch_store_dwordx4 off, v[26:29], off offset:2724 ; 16-byte Folded Spill
	scratch_store_dwordx4 off, v[30:33], off offset:2740 ; 16-byte Folded Spill
	scratch_store_dwordx4 off, v[34:37], off offset:2756 ; 16-byte Folded Spill
	scratch_store_dwordx4 off, v[38:41], off offset:2772 ; 16-byte Folded Spill
	scratch_store_dwordx4 off, v[42:45], off offset:2788 ; 16-byte Folded Spill
	scratch_store_dwordx4 off, v[46:49], off offset:2804 ; 16-byte Folded Spill
	v_mov_b32_e32 v38, v120
	v_mov_b32_e32 v39, v121
	;; [unrolled: 1-line block ×6, first 2 shown]
	scratch_store_dwordx4 off, v[18:21], off offset:2564 ; 16-byte Folded Spill
	s_nop 0
	scratch_store_dwordx4 off, v[22:25], off offset:2580 ; 16-byte Folded Spill
	scratch_store_dwordx4 off, v[26:29], off offset:2596 ; 16-byte Folded Spill
	scratch_store_dwordx4 off, v[30:33], off offset:2612 ; 16-byte Folded Spill
	scratch_store_dwordx4 off, v[34:37], off offset:2628 ; 16-byte Folded Spill
	scratch_store_dwordx4 off, v[38:41], off offset:2644 ; 16-byte Folded Spill
	scratch_store_dwordx4 off, v[42:45], off offset:2660 ; 16-byte Folded Spill
	scratch_store_dwordx4 off, v[46:49], off offset:2676 ; 16-byte Folded Spill
	v_mov_b64_e32 v[40:41], v[52:53]
	v_mov_b64_e32 v[164:165], v[32:33]
	;; [unrolled: 1-line block ×13, first 2 shown]
	scratch_store_dwordx4 off, v[18:21], off offset:1924 ; 16-byte Folded Spill
	s_nop 0
	scratch_store_dwordx4 off, v[22:25], off offset:1940 ; 16-byte Folded Spill
	scratch_store_dwordx4 off, v[26:29], off offset:1956 ; 16-byte Folded Spill
	;; [unrolled: 1-line block ×7, first 2 shown]
	v_mov_b64_e32 v[20:21], v[54:55]
	v_mov_b64_e32 v[22:23], v[56:57]
	;; [unrolled: 1-line block ×22, first 2 shown]
	v_mov_b32_e32 v69, v0
	v_mov_b32_e32 v242, v38
	;; [unrolled: 1-line block ×5, first 2 shown]
	scratch_store_dwordx4 off, v[40:43], off offset:1540 ; 16-byte Folded Spill
	s_nop 0
	scratch_store_dwordx4 off, v[44:47], off offset:1556 ; 16-byte Folded Spill
	scratch_store_dwordx4 off, v[48:51], off offset:1572 ; 16-byte Folded Spill
	;; [unrolled: 1-line block ×8, first 2 shown]
	s_nop 0
	scratch_store_dwordx4 off, v[228:231], off offset:1812 ; 16-byte Folded Spill
	scratch_store_dwordx4 off, v[232:235], off offset:1828 ; 16-byte Folded Spill
	;; [unrolled: 1-line block ×7, first 2 shown]
	scratch_load_dwordx4 v[218:221], off, off offset:1540 ; 16-byte Folded Reload
	s_nop 0
	scratch_load_dwordx4 v[222:225], off, off offset:1556 ; 16-byte Folded Reload
	scratch_load_dwordx4 v[226:229], off, off offset:1572 ; 16-byte Folded Reload
	;; [unrolled: 1-line block ×7, first 2 shown]
	v_mov_b32_e32 v165, v0
	v_mov_b32_e32 v152, v86
	;; [unrolled: 1-line block ×24, first 2 shown]
	v_mov_b64_e32 v[150:151], v[152:153]
	v_mov_b64_e32 v[152:153], v[154:155]
	;; [unrolled: 1-line block ×8, first 2 shown]
	v_mov_b32_e32 v18, v16
	v_mov_b32_e32 v56, v86
	;; [unrolled: 1-line block ×16, first 2 shown]
	scratch_store_dwordx4 off, v[86:89], off offset:3332 ; 16-byte Folded Spill
	s_nop 0
	scratch_store_dwordx4 off, v[90:93], off offset:3348 ; 16-byte Folded Spill
	scratch_store_dwordx4 off, v[94:97], off offset:3364 ; 16-byte Folded Spill
	;; [unrolled: 1-line block ×7, first 2 shown]
	v_mov_b32_e32 v72, v148
	v_mov_b32_e32 v73, v149
	;; [unrolled: 1-line block ×4, first 2 shown]
	s_waitcnt vmcnt(8)
	v_mov_b32_e32 v246, v83
	v_mov_b32_e32 v245, v121
	;; [unrolled: 1-line block ×4, first 2 shown]
	v_mov_b64_e32 v[166:167], v[168:169]
	v_mov_b64_e32 v[168:169], v[170:171]
	;; [unrolled: 1-line block ×6, first 2 shown]
	v_mov_b32_e32 v178, v180
	scratch_store_dwordx4 off, v[150:153], off offset:4 ; 16-byte Folded Spill
	s_nop 0
	scratch_store_dwordx4 off, v[154:157], off offset:20 ; 16-byte Folded Spill
	scratch_store_dwordx4 off, v[158:161], off offset:36 ; 16-byte Folded Spill
	scratch_store_dwordx4 off, v[162:165], off offset:52 ; 16-byte Folded Spill
	scratch_store_dwordx4 off, v[166:169], off offset:68 ; 16-byte Folded Spill
	scratch_store_dwordx4 off, v[170:173], off offset:84 ; 16-byte Folded Spill
	scratch_store_dwordx4 off, v[174:177], off offset:100 ; 16-byte Folded Spill
	scratch_store_dwordx4 off, v[178:181], off offset:116 ; 16-byte Folded Spill
	scratch_store_dwordx4 off, v[4:7], off offset:132 ; 16-byte Folded Spill
	s_nop 0
	scratch_store_dwordx4 off, v[8:11], off offset:148 ; 16-byte Folded Spill
	scratch_store_dwordx4 off, v[12:15], off offset:164 ; 16-byte Folded Spill
	scratch_store_dwordx4 off, v[16:19], off offset:180 ; 16-byte Folded Spill
	scratch_store_dwordx4 off, v[20:23], off offset:196 ; 16-byte Folded Spill
	scratch_store_dwordx4 off, v[24:27], off offset:212 ; 16-byte Folded Spill
	scratch_store_dwordx4 off, v[28:31], off offset:228 ; 16-byte Folded Spill
	scratch_store_dwordx4 off, v[32:35], off offset:244 ; 16-byte Folded Spill
	;; [unrolled: 9-line block ×4, first 2 shown]
	v_mov_b32_e32 v16, v148
	v_mov_b32_e32 v170, v38
	scratch_store_dwordx4 off, v[0:3], off offset:1412 ; 16-byte Folded Spill
	s_nop 0
	scratch_store_dwordx4 off, v[4:7], off offset:1428 ; 16-byte Folded Spill
	scratch_store_dwordx4 off, v[8:11], off offset:1444 ; 16-byte Folded Spill
	scratch_store_dwordx4 off, v[12:15], off offset:1460 ; 16-byte Folded Spill
	scratch_store_dwordx4 off, v[16:19], off offset:1476 ; 16-byte Folded Spill
	scratch_store_dwordx4 off, v[20:23], off offset:1492 ; 16-byte Folded Spill
	scratch_store_dwordx4 off, v[24:27], off offset:1508 ; 16-byte Folded Spill
	scratch_store_dwordx4 off, v[28:31], off offset:1524 ; 16-byte Folded Spill
	scratch_store_dwordx4 off, v[132:135], off offset:2308 ; 16-byte Folded Spill
	s_nop 0
	scratch_store_dwordx4 off, v[136:139], off offset:2324 ; 16-byte Folded Spill
	scratch_store_dwordx4 off, v[140:143], off offset:2340 ; 16-byte Folded Spill
	scratch_store_dwordx4 off, v[144:147], off offset:2356 ; 16-byte Folded Spill
	scratch_store_dwordx4 off, v[148:151], off offset:2372 ; 16-byte Folded Spill
	scratch_store_dwordx4 off, v[152:155], off offset:2388 ; 16-byte Folded Spill
	scratch_store_dwordx4 off, v[156:159], off offset:2404 ; 16-byte Folded Spill
	scratch_store_dwordx4 off, v[160:163], off offset:2420 ; 16-byte Folded Spill
	;; [unrolled: 9-line block ×3, first 2 shown]
	v_mov_b32_e32 v18, v38
	scratch_store_dwordx4 off, v[0:3], off offset:772 ; 16-byte Folded Spill
	s_nop 0
	scratch_store_dwordx4 off, v[4:7], off offset:788 ; 16-byte Folded Spill
	scratch_store_dwordx4 off, v[8:11], off offset:804 ; 16-byte Folded Spill
	;; [unrolled: 1-line block ×7, first 2 shown]
	v_mov_b32_e32 v169, v37
	v_mov_b32_e32 v168, v36
	;; [unrolled: 1-line block ×3, first 2 shown]
	v_mov_b64_e32 v[86:87], v[100:101]
	v_mov_b64_e32 v[88:89], v[102:103]
	;; [unrolled: 1-line block ×8, first 2 shown]
	v_mov_b32_e32 v102, v116
	v_mov_b32_e32 v103, v117
	;; [unrolled: 1-line block ×7, first 2 shown]
	v_mov_b64_e32 v[166:167], v[34:35]
	v_mov_b64_e32 v[164:165], v[32:33]
	;; [unrolled: 1-line block ×8, first 2 shown]
	scratch_store_dwordx4 off, v[152:155], off offset:2180 ; 16-byte Folded Spill
	s_nop 0
	scratch_store_dwordx4 off, v[156:159], off offset:2196 ; 16-byte Folded Spill
	scratch_store_dwordx4 off, v[160:163], off offset:2212 ; 16-byte Folded Spill
	;; [unrolled: 1-line block ×8, first 2 shown]
	s_nop 0
	scratch_store_dwordx4 off, v[24:27], off offset:1044 ; 16-byte Folded Spill
	scratch_store_dwordx4 off, v[28:31], off offset:1060 ; 16-byte Folded Spill
	;; [unrolled: 1-line block ×7, first 2 shown]
	v_mov_b32_e32 v20, v120
	scratch_store_dwordx4 off, v[0:3], off offset:644 ; 16-byte Folded Spill
	s_nop 0
	scratch_store_dwordx4 off, v[4:7], off offset:660 ; 16-byte Folded Spill
	scratch_store_dwordx4 off, v[8:11], off offset:676 ; 16-byte Folded Spill
	;; [unrolled: 1-line block ×7, first 2 shown]
	v_mov_b32_e32 v22, v240
	scratch_store_dwordx4 off, v[86:89], off offset:1668 ; 16-byte Folded Spill
	s_nop 0
	scratch_store_dwordx4 off, v[90:93], off offset:1684 ; 16-byte Folded Spill
	scratch_store_dwordx4 off, v[94:97], off offset:1700 ; 16-byte Folded Spill
	;; [unrolled: 1-line block ×8, first 2 shown]
	s_nop 0
	scratch_store_dwordx4 off, v[4:7], off offset:276 ; 16-byte Folded Spill
	scratch_store_dwordx4 off, v[8:11], off offset:292 ; 16-byte Folded Spill
	scratch_store_dwordx4 off, v[12:15], off offset:308 ; 16-byte Folded Spill
	scratch_store_dwordx4 off, v[16:19], off offset:324 ; 16-byte Folded Spill
	scratch_store_dwordx4 off, v[20:23], off offset:340 ; 16-byte Folded Spill
	scratch_store_dwordx4 off, v[24:27], off offset:356 ; 16-byte Folded Spill
	scratch_store_dwordx4 off, v[28:31], off offset:372 ; 16-byte Folded Spill
	s_nop 0
	v_mov_b32_e32 v24, v216
	scratch_store_dwordx4 off, v[0:3], off offset:1284 ; 16-byte Folded Spill
	s_nop 0
	scratch_store_dwordx4 off, v[4:7], off offset:1300 ; 16-byte Folded Spill
	scratch_store_dwordx4 off, v[8:11], off offset:1316 ; 16-byte Folded Spill
	;; [unrolled: 1-line block ×8, first 2 shown]
	s_nop 0
	scratch_store_dwordx4 off, v[196:199], off offset:916 ; 16-byte Folded Spill
	scratch_store_dwordx4 off, v[200:203], off offset:932 ; 16-byte Folded Spill
	;; [unrolled: 1-line block ×7, first 2 shown]
	v_mov_b64_e32 v[0:1], v[56:57]
	v_mov_b32_e32 v16, v72
	v_mov_b32_e32 v97, v241
	v_mov_b64_e32 v[2:3], v[58:59]
	v_mov_b64_e32 v[4:5], v[60:61]
	;; [unrolled: 1-line block ×7, first 2 shown]
	v_mov_b32_e32 v17, v73
	v_mov_b32_e32 v18, v74
	;; [unrolled: 1-line block ×11, first 2 shown]
	scratch_store_dwordx4 off, v[0:3], off offset:1156 ; 16-byte Folded Spill
	s_nop 0
	scratch_store_dwordx4 off, v[4:7], off offset:1172 ; 16-byte Folded Spill
	scratch_store_dwordx4 off, v[8:11], off offset:1188 ; 16-byte Folded Spill
	;; [unrolled: 1-line block ×7, first 2 shown]
	v_mov_b32_e32 v235, v217
.LBB57_73:
	s_or_b64 exec, exec, s[2:3]
	v_cmp_eq_u32_e32 vcc, 14, v254
	s_waitcnt lgkmcnt(0)
	s_barrier
	s_and_saveexec_b64 s[2:3], vcc
	s_cbranch_execz .LBB57_76
; %bb.74:
	scratch_load_dwordx4 v[0:3], off, off offset:132 ; 16-byte Folded Reload
	scratch_load_dwordx4 v[4:7], off, off offset:148 ; 16-byte Folded Reload
	;; [unrolled: 1-line block ×8, first 2 shown]
	s_waitcnt vmcnt(4)
	ds_write_b32 v255, v14
	scratch_load_dwordx4 v[0:3], off, off offset:4 ; 16-byte Folded Reload
	scratch_load_dwordx4 v[4:7], off, off offset:20 ; 16-byte Folded Reload
	;; [unrolled: 1-line block ×8, first 2 shown]
	s_waitcnt vmcnt(3)
	ds_write2_b32 v250, v15, v16 offset0:15 offset1:16
	ds_write2_b32 v250, v17, v18 offset0:17 offset1:18
	s_waitcnt vmcnt(2)
	ds_write2_b32 v250, v19, v20 offset0:19 offset1:20
	ds_write2_b32 v250, v21, v22 offset0:21 offset1:22
	;; [unrolled: 3-line block ×3, first 2 shown]
	s_waitcnt vmcnt(0)
	ds_write2_b32 v250, v27, v28 offset0:27 offset1:28
	ds_read_b32 v26, v255
	s_waitcnt lgkmcnt(0)
	v_cmp_neq_f32_e32 vcc, 0, v26
	s_and_b64 exec, exec, vcc
	s_cbranch_execz .LBB57_76
; %bb.75:
	v_div_scale_f32 v27, s[4:5], v26, v26, 1.0
	v_rcp_f32_e32 v28, v27
	v_div_scale_f32 v29, vcc, 1.0, v26, 1.0
	v_fma_f32 v30, -v27, v28, 1.0
	v_fmac_f32_e32 v28, v30, v28
	v_mul_f32_e32 v30, v29, v28
	v_fma_f32 v31, -v27, v30, v29
	v_fmac_f32_e32 v30, v31, v28
	v_fma_f32 v27, -v27, v30, v29
	v_div_fmas_f32 v27, v27, v28, v30
	v_div_fixup_f32 v26, v27, v26, 1.0
	ds_write_b32 v255, v26
.LBB57_76:
	s_or_b64 exec, exec, s[2:3]
	s_waitcnt lgkmcnt(0)
	s_barrier
	ds_read_b32 v188, v255
	v_cmp_lt_u32_e32 vcc, 14, v254
	s_and_saveexec_b64 s[2:3], vcc
	s_cbranch_execz .LBB57_78
; %bb.77:
	scratch_load_dwordx4 v[0:3], off, off offset:3332 ; 16-byte Folded Reload
	scratch_load_dwordx4 v[4:7], off, off offset:3348 ; 16-byte Folded Reload
	;; [unrolled: 1-line block ×8, first 2 shown]
	s_waitcnt vmcnt(5)
	v_mov_b64_e32 v[72:73], v[10:11]
	v_mov_b64_e32 v[70:71], v[8:9]
	;; [unrolled: 1-line block ×6, first 2 shown]
	s_waitcnt vmcnt(4)
	v_mov_b64_e32 v[74:75], v[12:13]
	scratch_load_dwordx4 v[0:3], off, off offset:132 ; 16-byte Folded Reload
	scratch_load_dwordx4 v[4:7], off, off offset:148 ; 16-byte Folded Reload
	;; [unrolled: 1-line block ×8, first 2 shown]
	s_waitcnt vmcnt(7)
	ds_read2_b32 v[0:1], v250 offset0:15 offset1:16
	s_waitcnt vmcnt(5)
	v_mov_b32_e32 v10, v72
	v_mov_b32_e32 v11, v73
	;; [unrolled: 1-line block ×44, first 2 shown]
	s_waitcnt vmcnt(4) lgkmcnt(1)
	v_mul_f32_e32 v76, v14, v188
	scratch_load_dwordx4 v[12:15], off, off offset:4 ; 16-byte Folded Reload
	scratch_load_dwordx4 v[16:19], off, off offset:20 ; 16-byte Folded Reload
	;; [unrolled: 1-line block ×8, first 2 shown]
	ds_read2_b32 v[4:5], v250 offset0:17 offset1:18
	ds_read2_b32 v[6:7], v250 offset0:19 offset1:20
	;; [unrolled: 1-line block ×3, first 2 shown]
	s_waitcnt vmcnt(7)
	v_mov_b32_e32 v12, v74
	v_mov_b32_e32 v13, v75
	;; [unrolled: 1-line block ×6, first 2 shown]
	s_waitcnt vmcnt(4)
	v_mov_b32_e32 v2, v27
	s_waitcnt vmcnt(3)
	v_mov_b32_e32 v3, v28
	s_waitcnt lgkmcnt(3)
	v_pk_fma_f32 v[26:27], v[76:77], v[0:1], v[2:3] op_sel_hi:[0,1,1] neg_lo:[1,0,0] neg_hi:[1,0,0]
	v_mov_b32_e32 v0, v29
	v_mov_b32_e32 v1, v30
	s_waitcnt lgkmcnt(2)
	v_pk_fma_f32 v[28:29], v[76:77], v[4:5], v[0:1] op_sel_hi:[0,1,1] neg_lo:[1,0,0] neg_hi:[1,0,0]
	v_mov_b32_e32 v0, v31
	s_waitcnt vmcnt(2)
	v_mov_b32_e32 v1, v32
	s_waitcnt lgkmcnt(1)
	v_pk_fma_f32 v[30:31], v[76:77], v[6:7], v[0:1] op_sel_hi:[0,1,1] neg_lo:[1,0,0] neg_hi:[1,0,0]
	v_mov_b32_e32 v0, v33
	v_mov_b32_e32 v1, v34
	s_waitcnt lgkmcnt(0)
	v_pk_fma_f32 v[56:57], v[76:77], v[8:9], v[0:1] op_sel_hi:[0,1,1] neg_lo:[1,0,0] neg_hi:[1,0,0]
	ds_read2_b32 v[0:1], v250 offset0:23 offset1:24
	ds_read2_b32 v[4:5], v250 offset0:25 offset1:26
	;; [unrolled: 1-line block ×3, first 2 shown]
	v_mov_b32_e32 v2, v35
	s_waitcnt vmcnt(1)
	v_mov_b32_e32 v3, v36
	v_mov_b32_e32 v8, v70
	s_waitcnt lgkmcnt(2)
	v_pk_fma_f32 v[58:59], v[76:77], v[0:1], v[2:3] op_sel_hi:[0,1,1] neg_lo:[1,0,0] neg_hi:[1,0,0]
	v_mov_b32_e32 v0, v37
	v_mov_b32_e32 v1, v38
	s_waitcnt lgkmcnt(1)
	v_pk_fma_f32 v[60:61], v[76:77], v[4:5], v[0:1] op_sel_hi:[0,1,1] neg_lo:[1,0,0] neg_hi:[1,0,0]
	v_mov_b32_e32 v0, v39
	s_waitcnt vmcnt(0)
	v_mov_b32_e32 v1, v40
	s_waitcnt lgkmcnt(0)
	v_pk_fma_f32 v[246:247], v[76:77], v[6:7], v[0:1] op_sel_hi:[0,1,1] neg_lo:[1,0,0] neg_hi:[1,0,0]
	v_mov_b32_e32 v0, v62
	v_mov_b32_e32 v1, v63
	;; [unrolled: 1-line block ×12, first 2 shown]
	scratch_store_dwordx4 off, v[0:3], off offset:2308 ; 16-byte Folded Spill
	s_nop 0
	scratch_store_dwordx4 off, v[4:7], off offset:2324 ; 16-byte Folded Spill
	scratch_store_dwordx4 off, v[8:11], off offset:2340 ; 16-byte Folded Spill
	;; [unrolled: 1-line block ×7, first 2 shown]
	v_mov_b32_e32 v107, v56
	v_mov_b32_e32 v108, v57
	v_mov_b32_e32 v109, v58
	v_mov_b32_e32 v110, v59
	v_mov_b32_e32 v111, v60
	v_mov_b32_e32 v112, v61
	v_mov_b32_e32 v184, v247
	v_mov_b32_e32 v245, v56
	v_mov_b32_e32 v235, v60
	v_mov_b32_e32 v17, v28
	scratch_store_dwordx4 off, v[0:3], off offset:2820 ; 16-byte Folded Spill
	s_nop 0
	scratch_store_dwordx4 off, v[4:7], off offset:2836 ; 16-byte Folded Spill
	scratch_store_dwordx4 off, v[8:11], off offset:2852 ; 16-byte Folded Spill
	scratch_store_dwordx4 off, v[12:15], off offset:2868 ; 16-byte Folded Spill
	scratch_store_dwordx4 off, v[16:19], off offset:2884 ; 16-byte Folded Spill
	scratch_store_dwordx4 off, v[20:23], off offset:2900 ; 16-byte Folded Spill
	scratch_store_dwordx4 off, v[24:27], off offset:2916 ; 16-byte Folded Spill
	scratch_store_dwordx4 off, v[28:31], off offset:2932 ; 16-byte Folded Spill
	v_mov_b32_e32 v18, v29
	scratch_store_dwordx4 off, v[0:3], off offset:2180 ; 16-byte Folded Spill
	s_nop 0
	scratch_store_dwordx4 off, v[4:7], off offset:2196 ; 16-byte Folded Spill
	scratch_store_dwordx4 off, v[8:11], off offset:2212 ; 16-byte Folded Spill
	scratch_store_dwordx4 off, v[12:15], off offset:2228 ; 16-byte Folded Spill
	scratch_store_dwordx4 off, v[16:19], off offset:2244 ; 16-byte Folded Spill
	scratch_store_dwordx4 off, v[20:23], off offset:2260 ; 16-byte Folded Spill
	scratch_store_dwordx4 off, v[24:27], off offset:2276 ; 16-byte Folded Spill
	scratch_store_dwordx4 off, v[28:31], off offset:2292 ; 16-byte Folded Spill
	v_mov_b32_e32 v19, v30
	;; [unrolled: 10-line block ×3, first 2 shown]
	v_mov_b32_e32 v167, v26
	v_mov_b32_e32 v168, v27
	;; [unrolled: 1-line block ×7, first 2 shown]
	scratch_store_dwordx4 off, v[152:155], off offset:1668 ; 16-byte Folded Spill
	s_nop 0
	scratch_store_dwordx4 off, v[156:159], off offset:1684 ; 16-byte Folded Spill
	scratch_store_dwordx4 off, v[160:163], off offset:1700 ; 16-byte Folded Spill
	;; [unrolled: 1-line block ×8, first 2 shown]
	s_nop 0
	scratch_store_dwordx4 off, v[4:7], off offset:2580 ; 16-byte Folded Spill
	scratch_store_dwordx4 off, v[8:11], off offset:2596 ; 16-byte Folded Spill
	;; [unrolled: 1-line block ×7, first 2 shown]
	v_mov_b32_e32 v153, v56
	v_mov_b32_e32 v154, v57
	;; [unrolled: 1-line block ×24, first 2 shown]
	scratch_store_dwordx4 off, v[132:135], off offset:1540 ; 16-byte Folded Spill
	s_nop 0
	scratch_store_dwordx4 off, v[136:139], off offset:1556 ; 16-byte Folded Spill
	scratch_store_dwordx4 off, v[140:143], off offset:1572 ; 16-byte Folded Spill
	;; [unrolled: 1-line block ×8, first 2 shown]
	s_nop 0
	scratch_store_dwordx4 off, v[4:7], off offset:1940 ; 16-byte Folded Spill
	scratch_store_dwordx4 off, v[8:11], off offset:1956 ; 16-byte Folded Spill
	;; [unrolled: 1-line block ×7, first 2 shown]
	v_mov_b32_e32 v156, v62
	v_mov_b32_e32 v24, v59
	v_mov_b32_e32 v157, v63
	v_mov_b32_e32 v158, v64
	v_mov_b32_e32 v159, v65
	v_mov_b32_e32 v160, v66
	v_mov_b32_e32 v161, v67
	v_mov_b32_e32 v162, v68
	v_mov_b32_e32 v163, v69
	scratch_store_dwordx4 off, v[0:3], off offset:900 ; 16-byte Folded Spill
	s_nop 0
	scratch_store_dwordx4 off, v[4:7], off offset:916 ; 16-byte Folded Spill
	scratch_store_dwordx4 off, v[8:11], off offset:932 ; 16-byte Folded Spill
	;; [unrolled: 1-line block ×7, first 2 shown]
	s_nop 0
	v_mov_b32_e32 v25, v60
	scratch_store_dwordx4 off, v[0:3], off offset:1796 ; 16-byte Folded Spill
	s_nop 0
	scratch_store_dwordx4 off, v[4:7], off offset:1812 ; 16-byte Folded Spill
	scratch_store_dwordx4 off, v[8:11], off offset:1828 ; 16-byte Folded Spill
	;; [unrolled: 1-line block ×7, first 2 shown]
	v_mov_b32_e32 v101, v26
	v_mov_b32_e32 v102, v27
	;; [unrolled: 1-line block ×6, first 2 shown]
	scratch_store_dwordx4 off, v[86:89], off offset:1156 ; 16-byte Folded Spill
	s_nop 0
	scratch_store_dwordx4 off, v[90:93], off offset:1172 ; 16-byte Folded Spill
	scratch_store_dwordx4 off, v[94:97], off offset:1188 ; 16-byte Folded Spill
	;; [unrolled: 1-line block ×7, first 2 shown]
	v_mov_b32_e32 v171, v26
	v_mov_b32_e32 v172, v27
	;; [unrolled: 1-line block ×7, first 2 shown]
	scratch_store_dwordx4 off, v[156:159], off offset:4 ; 16-byte Folded Spill
	s_nop 0
	scratch_store_dwordx4 off, v[160:163], off offset:20 ; 16-byte Folded Spill
	scratch_store_dwordx4 off, v[164:167], off offset:36 ; 16-byte Folded Spill
	scratch_store_dwordx4 off, v[168:171], off offset:52 ; 16-byte Folded Spill
	scratch_store_dwordx4 off, v[172:175], off offset:68 ; 16-byte Folded Spill
	scratch_store_dwordx4 off, v[176:179], off offset:84 ; 16-byte Folded Spill
	scratch_store_dwordx4 off, v[180:183], off offset:100 ; 16-byte Folded Spill
	scratch_store_dwordx4 off, v[184:187], off offset:116 ; 16-byte Folded Spill
	scratch_store_dwordx4 off, v[62:65], off offset:3076 ; 16-byte Folded Spill
	s_nop 0
	scratch_store_dwordx4 off, v[66:69], off offset:3092 ; 16-byte Folded Spill
	scratch_store_dwordx4 off, v[70:73], off offset:3108 ; 16-byte Folded Spill
	scratch_store_dwordx4 off, v[74:77], off offset:3124 ; 16-byte Folded Spill
	scratch_store_dwordx4 off, v[78:81], off offset:3140 ; 16-byte Folded Spill
	scratch_store_dwordx4 off, v[82:85], off offset:3156 ; 16-byte Folded Spill
	scratch_store_dwordx4 off, v[86:89], off offset:3172 ; 16-byte Folded Spill
	scratch_store_dwordx4 off, v[90:93], off offset:3188 ; 16-byte Folded Spill
	scratch_store_dwordx4 off, v[62:65], off offset:2436 ; 16-byte Folded Spill
	s_nop 0
	scratch_store_dwordx4 off, v[66:69], off offset:2452 ; 16-byte Folded Spill
	scratch_store_dwordx4 off, v[70:73], off offset:2468 ; 16-byte Folded Spill
	scratch_store_dwordx4 off, v[74:77], off offset:2484 ; 16-byte Folded Spill
	scratch_store_dwordx4 off, v[78:81], off offset:2500 ; 16-byte Folded Spill
	scratch_store_dwordx4 off, v[82:85], off offset:2516 ; 16-byte Folded Spill
	scratch_store_dwordx4 off, v[86:89], off offset:2532 ; 16-byte Folded Spill
	scratch_store_dwordx4 off, v[90:93], off offset:2548 ; 16-byte Folded Spill
	scratch_store_dwordx4 off, v[0:3], off offset:388 ; 16-byte Folded Spill
	s_nop 0
	scratch_store_dwordx4 off, v[4:7], off offset:404 ; 16-byte Folded Spill
	scratch_store_dwordx4 off, v[8:11], off offset:420 ; 16-byte Folded Spill
	scratch_store_dwordx4 off, v[12:15], off offset:436 ; 16-byte Folded Spill
	scratch_store_dwordx4 off, v[16:19], off offset:452 ; 16-byte Folded Spill
	scratch_store_dwordx4 off, v[20:23], off offset:468 ; 16-byte Folded Spill
	scratch_store_dwordx4 off, v[24:27], off offset:484 ; 16-byte Folded Spill
	scratch_store_dwordx4 off, v[28:31], off offset:500 ; 16-byte Folded Spill
	scratch_store_dwordx4 off, v[0:3], off offset:1412 ; 16-byte Folded Spill
	s_nop 0
	scratch_store_dwordx4 off, v[4:7], off offset:1428 ; 16-byte Folded Spill
	scratch_store_dwordx4 off, v[8:11], off offset:1444 ; 16-byte Folded Spill
	scratch_store_dwordx4 off, v[12:15], off offset:1460 ; 16-byte Folded Spill
	scratch_store_dwordx4 off, v[16:19], off offset:1476 ; 16-byte Folded Spill
	scratch_store_dwordx4 off, v[20:23], off offset:1492 ; 16-byte Folded Spill
	scratch_store_dwordx4 off, v[24:27], off offset:1508 ; 16-byte Folded Spill
	scratch_store_dwordx4 off, v[28:31], off offset:1524 ; 16-byte Folded Spill
	scratch_store_dwordx4 off, v[0:3], off offset:516 ; 16-byte Folded Spill
	s_nop 0
	scratch_store_dwordx4 off, v[4:7], off offset:532 ; 16-byte Folded Spill
	scratch_store_dwordx4 off, v[8:11], off offset:548 ; 16-byte Folded Spill
	scratch_store_dwordx4 off, v[12:15], off offset:564 ; 16-byte Folded Spill
	scratch_store_dwordx4 off, v[16:19], off offset:580 ; 16-byte Folded Spill
	scratch_store_dwordx4 off, v[20:23], off offset:596 ; 16-byte Folded Spill
	scratch_store_dwordx4 off, v[24:27], off offset:612 ; 16-byte Folded Spill
	scratch_store_dwordx4 off, v[28:31], off offset:628 ; 16-byte Folded Spill
	scratch_store_dwordx4 off, v[0:3], off offset:772 ; 16-byte Folded Spill
	s_nop 0
	scratch_store_dwordx4 off, v[4:7], off offset:788 ; 16-byte Folded Spill
	scratch_store_dwordx4 off, v[8:11], off offset:804 ; 16-byte Folded Spill
	scratch_store_dwordx4 off, v[12:15], off offset:820 ; 16-byte Folded Spill
	scratch_store_dwordx4 off, v[16:19], off offset:836 ; 16-byte Folded Spill
	scratch_store_dwordx4 off, v[20:23], off offset:852 ; 16-byte Folded Spill
	scratch_store_dwordx4 off, v[24:27], off offset:868 ; 16-byte Folded Spill
	scratch_store_dwordx4 off, v[28:31], off offset:884 ; 16-byte Folded Spill
	scratch_store_dwordx4 off, v[0:3], off offset:1028 ; 16-byte Folded Spill
	s_nop 0
	scratch_store_dwordx4 off, v[4:7], off offset:1044 ; 16-byte Folded Spill
	scratch_store_dwordx4 off, v[8:11], off offset:1060 ; 16-byte Folded Spill
	scratch_store_dwordx4 off, v[12:15], off offset:1076 ; 16-byte Folded Spill
	scratch_store_dwordx4 off, v[16:19], off offset:1092 ; 16-byte Folded Spill
	scratch_store_dwordx4 off, v[20:23], off offset:1108 ; 16-byte Folded Spill
	scratch_store_dwordx4 off, v[24:27], off offset:1124 ; 16-byte Folded Spill
	scratch_store_dwordx4 off, v[28:31], off offset:1140 ; 16-byte Folded Spill
	scratch_store_dwordx4 off, v[0:3], off offset:644 ; 16-byte Folded Spill
	s_nop 0
	scratch_store_dwordx4 off, v[4:7], off offset:660 ; 16-byte Folded Spill
	scratch_store_dwordx4 off, v[8:11], off offset:676 ; 16-byte Folded Spill
	scratch_store_dwordx4 off, v[12:15], off offset:692 ; 16-byte Folded Spill
	scratch_store_dwordx4 off, v[16:19], off offset:708 ; 16-byte Folded Spill
	scratch_store_dwordx4 off, v[20:23], off offset:724 ; 16-byte Folded Spill
	scratch_store_dwordx4 off, v[24:27], off offset:740 ; 16-byte Folded Spill
	scratch_store_dwordx4 off, v[28:31], off offset:756 ; 16-byte Folded Spill
	v_mov_b32_e32 v180, v61
	scratch_store_dwordx4 off, v[0:3], off offset:260 ; 16-byte Folded Spill
	s_nop 0
	scratch_store_dwordx4 off, v[4:7], off offset:276 ; 16-byte Folded Spill
	scratch_store_dwordx4 off, v[8:11], off offset:292 ; 16-byte Folded Spill
	;; [unrolled: 1-line block ×8, first 2 shown]
	s_nop 0
	scratch_store_dwordx4 off, v[4:7], off offset:1300 ; 16-byte Folded Spill
	scratch_store_dwordx4 off, v[8:11], off offset:1316 ; 16-byte Folded Spill
	scratch_store_dwordx4 off, v[12:15], off offset:1332 ; 16-byte Folded Spill
	scratch_store_dwordx4 off, v[16:19], off offset:1348 ; 16-byte Folded Spill
	scratch_store_dwordx4 off, v[20:23], off offset:1364 ; 16-byte Folded Spill
	scratch_store_dwordx4 off, v[24:27], off offset:1380 ; 16-byte Folded Spill
	scratch_store_dwordx4 off, v[28:31], off offset:1396 ; 16-byte Folded Spill
.LBB57_78:
	s_or_b64 exec, exec, s[2:3]
	v_cmp_eq_u32_e32 vcc, 15, v254
	s_waitcnt lgkmcnt(0)
	s_barrier
	s_and_saveexec_b64 s[2:3], vcc
	s_cbranch_execz .LBB57_81
; %bb.79:
	scratch_load_dwordx4 v[0:3], off, off offset:388 ; 16-byte Folded Reload
	scratch_load_dwordx4 v[4:7], off, off offset:404 ; 16-byte Folded Reload
	;; [unrolled: 1-line block ×8, first 2 shown]
	s_waitcnt vmcnt(4)
	ds_write_b32 v255, v15
	scratch_load_dwordx4 v[0:3], off, off offset:4 ; 16-byte Folded Reload
	scratch_load_dwordx4 v[4:7], off, off offset:20 ; 16-byte Folded Reload
	;; [unrolled: 1-line block ×8, first 2 shown]
	s_waitcnt vmcnt(3)
	ds_write2_b32 v250, v16, v17 offset0:16 offset1:17
	ds_write2_b32 v250, v18, v19 offset0:18 offset1:19
	s_waitcnt vmcnt(2)
	ds_write2_b32 v250, v20, v21 offset0:20 offset1:21
	ds_write2_b32 v250, v22, v23 offset0:22 offset1:23
	;; [unrolled: 3-line block ×3, first 2 shown]
	ds_write_b32 v250, v247 offset:112
	ds_read_b32 v26, v255
	s_waitcnt lgkmcnt(0)
	v_cmp_neq_f32_e32 vcc, 0, v26
	s_and_b64 exec, exec, vcc
	s_cbranch_execz .LBB57_81
; %bb.80:
	v_div_scale_f32 v27, s[4:5], v26, v26, 1.0
	s_waitcnt vmcnt(0)
	v_rcp_f32_e32 v28, v27
	v_div_scale_f32 v29, vcc, 1.0, v26, 1.0
	v_fma_f32 v30, -v27, v28, 1.0
	v_fmac_f32_e32 v28, v30, v28
	v_mul_f32_e32 v30, v29, v28
	v_fma_f32 v31, -v27, v30, v29
	v_fmac_f32_e32 v30, v31, v28
	v_fma_f32 v27, -v27, v30, v29
	v_div_fmas_f32 v27, v27, v28, v30
	v_div_fixup_f32 v26, v27, v26, 1.0
	ds_write_b32 v255, v26
.LBB57_81:
	s_or_b64 exec, exec, s[2:3]
	s_waitcnt lgkmcnt(0)
	s_barrier
	ds_read_b32 v181, v255
	v_cmp_lt_u32_e32 vcc, 15, v254
	s_and_saveexec_b64 s[2:3], vcc
	s_cbranch_execz .LBB57_83
; %bb.82:
	ds_read2_b32 v[2:3], v250 offset0:16 offset1:17
	ds_read2_b32 v[4:5], v250 offset0:18 offset1:19
	scratch_load_dwordx4 v[6:9], off, off offset:388 ; 16-byte Folded Reload
	scratch_load_dwordx4 v[10:13], off, off offset:404 ; 16-byte Folded Reload
	scratch_load_dwordx4 v[14:17], off, off offset:420 ; 16-byte Folded Reload
	scratch_load_dwordx4 v[18:21], off, off offset:436 ; 16-byte Folded Reload
	scratch_load_dwordx4 v[22:25], off, off offset:452 ; 16-byte Folded Reload
	scratch_load_dwordx4 v[26:29], off, off offset:468 ; 16-byte Folded Reload
	scratch_load_dwordx4 v[30:33], off, off offset:484 ; 16-byte Folded Reload
	scratch_load_dwordx4 v[34:37], off, off offset:500 ; 16-byte Folded Reload
	s_waitcnt vmcnt(7)
	ds_read2_b32 v[6:7], v250 offset0:20 offset1:21
	ds_read2_b32 v[8:9], v250 offset0:22 offset1:23
	s_waitcnt vmcnt(4) lgkmcnt(4)
	v_mul_f32_e32 v16, v21, v181
	scratch_load_dwordx4 v[18:21], off, off offset:4 ; 16-byte Folded Reload
	scratch_load_dwordx4 v[22:25], off, off offset:20 ; 16-byte Folded Reload
	;; [unrolled: 1-line block ×8, first 2 shown]
	v_mov_b32_e32 v233, v16
	v_mov_b32_e32 v147, v16
	;; [unrolled: 1-line block ×8, first 2 shown]
	s_waitcnt vmcnt(1)
	v_mov_b64_e32 v[18:19], v[34:35]
	v_mov_b64_e32 v[20:21], v[36:37]
	;; [unrolled: 1-line block ×4, first 2 shown]
	s_waitcnt lgkmcnt(3)
	v_pk_fma_f32 v[148:149], v[16:17], v[2:3], v[18:19] op_sel_hi:[0,1,1] neg_lo:[1,0,0] neg_hi:[1,0,0]
	s_waitcnt lgkmcnt(2)
	v_pk_fma_f32 v[50:51], v[16:17], v[4:5], v[20:21] op_sel_hi:[0,1,1] neg_lo:[1,0,0] neg_hi:[1,0,0]
	ds_read2_b32 v[2:3], v250 offset0:24 offset1:25
	ds_read2_b32 v[4:5], v250 offset0:26 offset1:27
	s_waitcnt lgkmcnt(3)
	v_pk_fma_f32 v[106:107], v[16:17], v[6:7], v[22:23] op_sel_hi:[0,1,1] neg_lo:[1,0,0] neg_hi:[1,0,0]
	s_waitcnt lgkmcnt(2)
	v_pk_fma_f32 v[130:131], v[16:17], v[8:9], v[24:25] op_sel_hi:[0,1,1] neg_lo:[1,0,0] neg_hi:[1,0,0]
	ds_read_b32 v17, v250 offset:112
	v_mov_b64_e32 v[26:27], v[42:43]
	v_mov_b64_e32 v[28:29], v[44:45]
	v_mov_b32_e32 v168, v148
	v_mov_b32_e32 v169, v149
	s_waitcnt lgkmcnt(0)
	v_pk_fma_f32 v[216:217], v[16:17], v[2:3], v[26:27] op_sel_hi:[0,1,1] neg_lo:[1,0,0] neg_hi:[1,0,0]
	v_pk_fma_f32 v[82:83], v[16:17], v[4:5], v[28:29] op_sel_hi:[0,1,1] neg_lo:[1,0,0] neg_hi:[1,0,0]
	scratch_load_dwordx4 v[18:21], off, off offset:2436 ; 16-byte Folded Reload
	scratch_load_dwordx4 v[22:25], off, off offset:2452 ; 16-byte Folded Reload
	;; [unrolled: 1-line block ×8, first 2 shown]
	s_waitcnt vmcnt(4)
	v_mov_b32_e32 v33, v16
	s_waitcnt vmcnt(3)
	v_mov_b32_e32 v34, v148
	v_mov_b32_e32 v35, v149
	v_fma_f32 v180, -v16, v17, v247
	v_mov_b32_e32 v16, v148
	v_mov_b32_e32 v17, v149
	;; [unrolled: 1-line block ×30, first 2 shown]
	v_mov_b64_e32 v[228:229], v[28:29]
	v_mov_b32_e32 v232, v32
	v_mov_b64_e32 v[226:227], v[26:27]
	v_mov_b64_e32 v[224:225], v[24:25]
	;; [unrolled: 1-line block ×5, first 2 shown]
	v_mov_b32_e32 v231, v31
	v_mov_b32_e32 v230, v30
	scratch_store_dwordx4 off, v[18:21], off offset:2820 ; 16-byte Folded Spill
	s_nop 0
	scratch_store_dwordx4 off, v[22:25], off offset:2836 ; 16-byte Folded Spill
	scratch_store_dwordx4 off, v[26:29], off offset:2852 ; 16-byte Folded Spill
	;; [unrolled: 1-line block ×4, first 2 shown]
	s_waitcnt vmcnt(7)
	scratch_store_dwordx4 off, v[38:41], off offset:2900 ; 16-byte Folded Spill
	s_waitcnt vmcnt(7)
	scratch_store_dwordx4 off, v[42:45], off offset:2916 ; 16-byte Folded Spill
	;; [unrolled: 2-line block ×3, first 2 shown]
	v_mov_b64_e32 v[36:37], v[50:51]
	v_mov_b32_e32 v0, v218
	v_mov_b32_e32 v1, v219
	;; [unrolled: 1-line block ×71, first 2 shown]
	v_mov_b64_e32 v[56:57], v[32:33]
	v_mov_b64_e32 v[48:49], v[24:25]
	;; [unrolled: 1-line block ×10, first 2 shown]
	scratch_store_dwordx4 off, v[18:21], off offset:2692 ; 16-byte Folded Spill
	s_nop 0
	scratch_store_dwordx4 off, v[22:25], off offset:2708 ; 16-byte Folded Spill
	scratch_store_dwordx4 off, v[26:29], off offset:2724 ; 16-byte Folded Spill
	;; [unrolled: 1-line block ×7, first 2 shown]
	v_mov_b32_e32 v38, v106
	v_mov_b32_e32 v39, v107
	;; [unrolled: 1-line block ×36, first 2 shown]
	scratch_store_dwordx4 off, v[18:21], off offset:2564 ; 16-byte Folded Spill
	s_nop 0
	scratch_store_dwordx4 off, v[22:25], off offset:2580 ; 16-byte Folded Spill
	scratch_store_dwordx4 off, v[26:29], off offset:2596 ; 16-byte Folded Spill
	;; [unrolled: 1-line block ×7, first 2 shown]
	v_mov_b32_e32 v40, v130
	v_mov_b32_e32 v41, v131
	scratch_store_dwordx4 off, v[18:21], off offset:1924 ; 16-byte Folded Spill
	s_nop 0
	scratch_store_dwordx4 off, v[22:25], off offset:1940 ; 16-byte Folded Spill
	scratch_store_dwordx4 off, v[26:29], off offset:1956 ; 16-byte Folded Spill
	;; [unrolled: 1-line block ×7, first 2 shown]
	v_mov_b32_e32 v20, v106
	v_mov_b32_e32 v21, v107
	;; [unrolled: 1-line block ×6, first 2 shown]
	v_mov_b64_e32 v[30:31], v[42:43]
	v_mov_b64_e32 v[32:33], v[44:45]
	;; [unrolled: 1-line block ×10, first 2 shown]
	v_mov_b32_e32 v18, v48
	v_mov_b32_e32 v19, v49
	scratch_store_dwordx4 off, v[0:3], off offset:1796 ; 16-byte Folded Spill
	s_nop 0
	scratch_store_dwordx4 off, v[4:7], off offset:1812 ; 16-byte Folded Spill
	scratch_store_dwordx4 off, v[8:11], off offset:1828 ; 16-byte Folded Spill
	;; [unrolled: 1-line block ×7, first 2 shown]
	v_mov_b32_e32 v170, v48
	v_mov_b32_e32 v171, v49
	v_mov_b64_e32 v[0:1], v[152:153]
	v_mov_b64_e32 v[16:17], v[168:169]
	;; [unrolled: 1-line block ×14, first 2 shown]
	v_mov_b32_e32 v28, v180
	v_mov_b32_e32 v56, v218
	;; [unrolled: 1-line block ×7, first 2 shown]
	scratch_store_dwordx4 off, v[218:221], off offset:3076 ; 16-byte Folded Spill
	s_nop 0
	scratch_store_dwordx4 off, v[222:225], off offset:3092 ; 16-byte Folded Spill
	scratch_store_dwordx4 off, v[226:229], off offset:3108 ; 16-byte Folded Spill
	;; [unrolled: 1-line block ×7, first 2 shown]
	v_mov_b64_e32 v[170:171], v[48:49]
	v_mov_b64_e32 v[168:169], v[46:47]
	v_mov_b32_e32 v247, v180
	v_mov_b32_e32 v74, v48
	;; [unrolled: 1-line block ×4, first 2 shown]
	scratch_store_dwordx4 off, v[0:3], off offset:4 ; 16-byte Folded Spill
	s_nop 0
	scratch_store_dwordx4 off, v[4:7], off offset:20 ; 16-byte Folded Spill
	scratch_store_dwordx4 off, v[8:11], off offset:36 ; 16-byte Folded Spill
	;; [unrolled: 1-line block ×7, first 2 shown]
	v_mov_b32_e32 v16, v148
	scratch_store_dwordx4 off, v[0:3], off offset:1412 ; 16-byte Folded Spill
	s_nop 0
	scratch_store_dwordx4 off, v[4:7], off offset:1428 ; 16-byte Folded Spill
	scratch_store_dwordx4 off, v[8:11], off offset:1444 ; 16-byte Folded Spill
	scratch_store_dwordx4 off, v[12:15], off offset:1460 ; 16-byte Folded Spill
	scratch_store_dwordx4 off, v[16:19], off offset:1476 ; 16-byte Folded Spill
	scratch_store_dwordx4 off, v[20:23], off offset:1492 ; 16-byte Folded Spill
	scratch_store_dwordx4 off, v[24:27], off offset:1508 ; 16-byte Folded Spill
	scratch_store_dwordx4 off, v[28:31], off offset:1524 ; 16-byte Folded Spill
	scratch_store_dwordx4 off, v[132:135], off offset:2308 ; 16-byte Folded Spill
	s_nop 0
	scratch_store_dwordx4 off, v[136:139], off offset:2324 ; 16-byte Folded Spill
	scratch_store_dwordx4 off, v[140:143], off offset:2340 ; 16-byte Folded Spill
	scratch_store_dwordx4 off, v[144:147], off offset:2356 ; 16-byte Folded Spill
	scratch_store_dwordx4 off, v[148:151], off offset:2372 ; 16-byte Folded Spill
	scratch_store_dwordx4 off, v[152:155], off offset:2388 ; 16-byte Folded Spill
	scratch_store_dwordx4 off, v[156:159], off offset:2404 ; 16-byte Folded Spill
	scratch_store_dwordx4 off, v[160:163], off offset:2420 ; 16-byte Folded Spill
	;; [unrolled: 9-line block ×3, first 2 shown]
	v_mov_b32_e32 v18, v170
	v_mov_b64_e32 v[166:167], v[44:45]
	v_mov_b64_e32 v[164:165], v[42:43]
	;; [unrolled: 1-line block ×8, first 2 shown]
	scratch_store_dwordx4 off, v[0:3], off offset:772 ; 16-byte Folded Spill
	s_nop 0
	scratch_store_dwordx4 off, v[4:7], off offset:788 ; 16-byte Folded Spill
	scratch_store_dwordx4 off, v[8:11], off offset:804 ; 16-byte Folded Spill
	scratch_store_dwordx4 off, v[12:15], off offset:820 ; 16-byte Folded Spill
	scratch_store_dwordx4 off, v[16:19], off offset:836 ; 16-byte Folded Spill
	scratch_store_dwordx4 off, v[20:23], off offset:852 ; 16-byte Folded Spill
	scratch_store_dwordx4 off, v[24:27], off offset:868 ; 16-byte Folded Spill
	scratch_store_dwordx4 off, v[28:31], off offset:884 ; 16-byte Folded Spill
	scratch_store_dwordx4 off, v[152:155], off offset:2180 ; 16-byte Folded Spill
	s_nop 0
	scratch_store_dwordx4 off, v[156:159], off offset:2196 ; 16-byte Folded Spill
	scratch_store_dwordx4 off, v[160:163], off offset:2212 ; 16-byte Folded Spill
	scratch_store_dwordx4 off, v[164:167], off offset:2228 ; 16-byte Folded Spill
	scratch_store_dwordx4 off, v[168:171], off offset:2244 ; 16-byte Folded Spill
	scratch_store_dwordx4 off, v[172:175], off offset:2260 ; 16-byte Folded Spill
	scratch_store_dwordx4 off, v[176:179], off offset:2276 ; 16-byte Folded Spill
	scratch_store_dwordx4 off, v[180:183], off offset:2292 ; 16-byte Folded Spill
	;; [unrolled: 9-line block ×3, first 2 shown]
	v_mov_b32_e32 v20, v106
	scratch_store_dwordx4 off, v[0:3], off offset:644 ; 16-byte Folded Spill
	s_nop 0
	scratch_store_dwordx4 off, v[4:7], off offset:660 ; 16-byte Folded Spill
	scratch_store_dwordx4 off, v[8:11], off offset:676 ; 16-byte Folded Spill
	;; [unrolled: 1-line block ×8, first 2 shown]
	s_nop 0
	scratch_store_dwordx4 off, v[90:93], off offset:1684 ; 16-byte Folded Spill
	scratch_store_dwordx4 off, v[94:97], off offset:1700 ; 16-byte Folded Spill
	scratch_store_dwordx4 off, v[98:101], off offset:1716 ; 16-byte Folded Spill
	scratch_store_dwordx4 off, v[102:105], off offset:1732 ; 16-byte Folded Spill
	scratch_store_dwordx4 off, v[106:109], off offset:1748 ; 16-byte Folded Spill
	scratch_store_dwordx4 off, v[110:113], off offset:1764 ; 16-byte Folded Spill
	scratch_store_dwordx4 off, v[114:117], off offset:1780 ; 16-byte Folded Spill
	v_mov_b32_e32 v22, v130
	v_mov_b32_e32 v180, v82
	scratch_store_dwordx4 off, v[0:3], off offset:260 ; 16-byte Folded Spill
	s_nop 0
	scratch_store_dwordx4 off, v[4:7], off offset:276 ; 16-byte Folded Spill
	scratch_store_dwordx4 off, v[8:11], off offset:292 ; 16-byte Folded Spill
	;; [unrolled: 1-line block ×8, first 2 shown]
	s_nop 0
	scratch_store_dwordx4 off, v[112:115], off offset:1556 ; 16-byte Folded Spill
	scratch_store_dwordx4 off, v[116:119], off offset:1572 ; 16-byte Folded Spill
	;; [unrolled: 1-line block ×7, first 2 shown]
	v_mov_b32_e32 v24, v216
	v_mov_b32_e32 v245, v107
	scratch_store_dwordx4 off, v[0:3], off offset:1284 ; 16-byte Folded Spill
	s_nop 0
	scratch_store_dwordx4 off, v[4:7], off offset:1300 ; 16-byte Folded Spill
	scratch_store_dwordx4 off, v[8:11], off offset:1316 ; 16-byte Folded Spill
	;; [unrolled: 1-line block ×8, first 2 shown]
	s_nop 0
	scratch_store_dwordx4 off, v[196:199], off offset:916 ; 16-byte Folded Spill
	scratch_store_dwordx4 off, v[200:203], off offset:932 ; 16-byte Folded Spill
	;; [unrolled: 1-line block ×7, first 2 shown]
	v_mov_b64_e32 v[0:1], v[56:57]
	v_mov_b32_e32 v16, v72
	v_mov_b64_e32 v[2:3], v[58:59]
	v_mov_b64_e32 v[4:5], v[60:61]
	v_mov_b64_e32 v[6:7], v[62:63]
	v_mov_b64_e32 v[8:9], v[64:65]
	v_mov_b64_e32 v[10:11], v[66:67]
	v_mov_b32_e32 v97, v131
	v_mov_b64_e32 v[12:13], v[68:69]
	v_mov_b64_e32 v[14:15], v[70:71]
	v_mov_b32_e32 v17, v73
	v_mov_b32_e32 v18, v74
	;; [unrolled: 1-line block ×10, first 2 shown]
	scratch_store_dwordx4 off, v[0:3], off offset:1156 ; 16-byte Folded Spill
	s_nop 0
	scratch_store_dwordx4 off, v[4:7], off offset:1172 ; 16-byte Folded Spill
	scratch_store_dwordx4 off, v[8:11], off offset:1188 ; 16-byte Folded Spill
	;; [unrolled: 1-line block ×7, first 2 shown]
	v_mov_b32_e32 v235, v217
.LBB57_83:
	s_or_b64 exec, exec, s[2:3]
	v_cmp_eq_u32_e32 vcc, 16, v254
	s_waitcnt lgkmcnt(0)
	s_barrier
	s_and_saveexec_b64 s[2:3], vcc
	s_cbranch_execz .LBB57_86
; %bb.84:
	scratch_load_dwordx4 v[0:3], off, off offset:1412 ; 16-byte Folded Reload
	scratch_load_dwordx4 v[4:7], off, off offset:1428 ; 16-byte Folded Reload
	;; [unrolled: 1-line block ×8, first 2 shown]
	s_waitcnt vmcnt(3)
	ds_write_b32 v255, v16
	scratch_load_dwordx4 v[0:3], off, off offset:4 ; 16-byte Folded Reload
	scratch_load_dwordx4 v[4:7], off, off offset:20 ; 16-byte Folded Reload
	;; [unrolled: 1-line block ×8, first 2 shown]
	s_waitcnt vmcnt(3)
	ds_write2_b32 v250, v17, v18 offset0:17 offset1:18
	s_waitcnt vmcnt(2)
	ds_write2_b32 v250, v19, v20 offset0:19 offset1:20
	ds_write2_b32 v250, v21, v22 offset0:21 offset1:22
	s_waitcnt vmcnt(1)
	ds_write2_b32 v250, v23, v24 offset0:23 offset1:24
	;; [unrolled: 3-line block ×3, first 2 shown]
	ds_read_b32 v26, v255
	s_waitcnt lgkmcnt(0)
	v_cmp_neq_f32_e32 vcc, 0, v26
	s_and_b64 exec, exec, vcc
	s_cbranch_execz .LBB57_86
; %bb.85:
	v_div_scale_f32 v27, s[4:5], v26, v26, 1.0
	v_rcp_f32_e32 v28, v27
	v_div_scale_f32 v29, vcc, 1.0, v26, 1.0
	v_fma_f32 v30, -v27, v28, 1.0
	v_fmac_f32_e32 v28, v30, v28
	v_mul_f32_e32 v30, v29, v28
	v_fma_f32 v31, -v27, v30, v29
	v_fmac_f32_e32 v30, v31, v28
	v_fma_f32 v27, -v27, v30, v29
	v_div_fmas_f32 v27, v27, v28, v30
	v_div_fixup_f32 v26, v27, v26, 1.0
	ds_write_b32 v255, v26
.LBB57_86:
	s_or_b64 exec, exec, s[2:3]
	s_waitcnt lgkmcnt(0)
	s_barrier
	ds_read_b32 v182, v255
	v_cmp_lt_u32_e32 vcc, 16, v254
	s_mov_b64 s[2:3], exec
	s_and_b64 s[4:5], s[2:3], vcc
	v_mov_b32_e32 v187, v250
	s_mov_b64 exec, s[4:5]
	s_cbranch_execz .LBB57_88
; %bb.87:
	scratch_load_dwordx4 v[0:3], off, off offset:3076 ; 16-byte Folded Reload
	scratch_load_dwordx4 v[4:7], off, off offset:3092 ; 16-byte Folded Reload
	;; [unrolled: 1-line block ×8, first 2 shown]
	s_waitcnt vmcnt(4)
	v_mov_b64_e32 v[76:77], v[14:15]
	v_mov_b64_e32 v[74:75], v[12:13]
	;; [unrolled: 1-line block ×8, first 2 shown]
	scratch_load_dwordx4 v[0:3], off, off offset:1412 ; 16-byte Folded Reload
	scratch_load_dwordx4 v[4:7], off, off offset:1428 ; 16-byte Folded Reload
	;; [unrolled: 1-line block ×8, first 2 shown]
	s_waitcnt vmcnt(7)
	ds_read2_b32 v[0:1], v250 offset0:17 offset1:18
	v_mov_b32_e32 v152, v62
	v_mov_b32_e32 v153, v63
	;; [unrolled: 1-line block ×64, first 2 shown]
	s_waitcnt vmcnt(3) lgkmcnt(1)
	v_mul_f32_e32 v78, v16, v182
	scratch_load_dwordx4 v[10:13], off, off offset:4 ; 16-byte Folded Reload
	scratch_load_dwordx4 v[14:17], off, off offset:20 ; 16-byte Folded Reload
	;; [unrolled: 1-line block ×8, first 2 shown]
	ds_read2_b32 v[4:5], v250 offset0:19 offset1:20
	ds_read2_b32 v[6:7], v250 offset0:21 offset1:22
	;; [unrolled: 1-line block ×3, first 2 shown]
	s_waitcnt vmcnt(7)
	v_mov_b32_e32 v10, v72
	v_mov_b32_e32 v11, v73
	;; [unrolled: 1-line block ×4, first 2 shown]
	s_waitcnt vmcnt(6)
	v_mov_b32_e32 v14, v76
	v_mov_b32_e32 v15, v77
	;; [unrolled: 1-line block ×7, first 2 shown]
	s_waitcnt vmcnt(3)
	v_mov_b32_e32 v2, v27
	v_mov_b32_e32 v3, v28
	s_waitcnt lgkmcnt(3)
	v_pk_fma_f32 v[26:27], v[78:79], v[0:1], v[2:3] op_sel_hi:[0,1,1] neg_lo:[1,0,0] neg_hi:[1,0,0]
	v_mov_b32_e32 v0, v29
	s_waitcnt vmcnt(2)
	v_mov_b32_e32 v1, v30
	ds_read2_b32 v[2:3], v250 offset0:25 offset1:26
	s_waitcnt lgkmcnt(3)
	v_pk_fma_f32 v[28:29], v[78:79], v[4:5], v[0:1] op_sel_hi:[0,1,1] neg_lo:[1,0,0] neg_hi:[1,0,0]
	ds_read2_b32 v[4:5], v250 offset0:27 offset1:28
	v_mov_b32_e32 v0, v31
	v_mov_b32_e32 v1, v32
	s_waitcnt lgkmcnt(3)
	v_pk_fma_f32 v[30:31], v[78:79], v[6:7], v[0:1] op_sel_hi:[0,1,1] neg_lo:[1,0,0] neg_hi:[1,0,0]
	v_mov_b32_e32 v0, v33
	s_waitcnt vmcnt(1)
	v_mov_b32_e32 v1, v34
	s_waitcnt lgkmcnt(2)
	v_pk_fma_f32 v[56:57], v[78:79], v[8:9], v[0:1] op_sel_hi:[0,1,1] neg_lo:[1,0,0] neg_hi:[1,0,0]
	v_mov_b32_e32 v0, v35
	v_mov_b32_e32 v1, v36
	s_waitcnt lgkmcnt(1)
	v_pk_fma_f32 v[58:59], v[78:79], v[2:3], v[0:1] op_sel_hi:[0,1,1] neg_lo:[1,0,0] neg_hi:[1,0,0]
	v_mov_b32_e32 v0, v37
	s_waitcnt vmcnt(0)
	v_mov_b32_e32 v1, v38
	s_waitcnt lgkmcnt(0)
	v_pk_fma_f32 v[60:61], v[78:79], v[4:5], v[0:1] op_sel_hi:[0,1,1] neg_lo:[1,0,0] neg_hi:[1,0,0]
	v_mov_b32_e32 v0, v62
	v_mov_b32_e32 v1, v63
	;; [unrolled: 1-line block ×13, first 2 shown]
	scratch_store_dwordx4 off, v[0:3], off offset:2180 ; 16-byte Folded Spill
	s_nop 0
	scratch_store_dwordx4 off, v[4:7], off offset:2196 ; 16-byte Folded Spill
	scratch_store_dwordx4 off, v[8:11], off offset:2212 ; 16-byte Folded Spill
	scratch_store_dwordx4 off, v[12:15], off offset:2228 ; 16-byte Folded Spill
	scratch_store_dwordx4 off, v[16:19], off offset:2244 ; 16-byte Folded Spill
	scratch_store_dwordx4 off, v[20:23], off offset:2260 ; 16-byte Folded Spill
	scratch_store_dwordx4 off, v[24:27], off offset:2276 ; 16-byte Folded Spill
	scratch_store_dwordx4 off, v[28:31], off offset:2292 ; 16-byte Folded Spill
	v_mov_b32_e32 v109, v56
	v_mov_b32_e32 v110, v57
	;; [unrolled: 1-line block ×11, first 2 shown]
	scratch_store_dwordx4 off, v[0:3], off offset:2692 ; 16-byte Folded Spill
	s_nop 0
	scratch_store_dwordx4 off, v[4:7], off offset:2708 ; 16-byte Folded Spill
	scratch_store_dwordx4 off, v[8:11], off offset:2724 ; 16-byte Folded Spill
	scratch_store_dwordx4 off, v[12:15], off offset:2740 ; 16-byte Folded Spill
	scratch_store_dwordx4 off, v[16:19], off offset:2756 ; 16-byte Folded Spill
	scratch_store_dwordx4 off, v[20:23], off offset:2772 ; 16-byte Folded Spill
	scratch_store_dwordx4 off, v[24:27], off offset:2788 ; 16-byte Folded Spill
	scratch_store_dwordx4 off, v[28:31], off offset:2804 ; 16-byte Folded Spill
	v_mov_b32_e32 v169, v26
	v_mov_b32_e32 v170, v27
	;; [unrolled: 1-line block ×6, first 2 shown]
	scratch_store_dwordx4 off, v[152:155], off offset:1668 ; 16-byte Folded Spill
	s_nop 0
	scratch_store_dwordx4 off, v[156:159], off offset:1684 ; 16-byte Folded Spill
	scratch_store_dwordx4 off, v[160:163], off offset:1700 ; 16-byte Folded Spill
	;; [unrolled: 1-line block ×8, first 2 shown]
	s_nop 0
	scratch_store_dwordx4 off, v[4:7], off offset:2580 ; 16-byte Folded Spill
	scratch_store_dwordx4 off, v[8:11], off offset:2596 ; 16-byte Folded Spill
	;; [unrolled: 1-line block ×7, first 2 shown]
	v_mov_b32_e32 v23, v56
	v_mov_b32_e32 v180, v59
	;; [unrolled: 1-line block ×9, first 2 shown]
	scratch_store_dwordx4 off, v[132:135], off offset:1540 ; 16-byte Folded Spill
	s_nop 0
	scratch_store_dwordx4 off, v[136:139], off offset:1556 ; 16-byte Folded Spill
	scratch_store_dwordx4 off, v[140:143], off offset:1572 ; 16-byte Folded Spill
	;; [unrolled: 1-line block ×8, first 2 shown]
	s_nop 0
	scratch_store_dwordx4 off, v[4:7], off offset:1940 ; 16-byte Folded Spill
	scratch_store_dwordx4 off, v[8:11], off offset:1956 ; 16-byte Folded Spill
	;; [unrolled: 1-line block ×7, first 2 shown]
	s_nop 0
	v_mov_b32_e32 v24, v57
	scratch_store_dwordx4 off, v[0:3], off offset:900 ; 16-byte Folded Spill
	s_nop 0
	scratch_store_dwordx4 off, v[4:7], off offset:916 ; 16-byte Folded Spill
	scratch_store_dwordx4 off, v[8:11], off offset:932 ; 16-byte Folded Spill
	;; [unrolled: 1-line block ×7, first 2 shown]
	s_nop 0
	v_mov_b32_e32 v25, v58
	scratch_store_dwordx4 off, v[0:3], off offset:1796 ; 16-byte Folded Spill
	s_nop 0
	scratch_store_dwordx4 off, v[4:7], off offset:1812 ; 16-byte Folded Spill
	scratch_store_dwordx4 off, v[8:11], off offset:1828 ; 16-byte Folded Spill
	;; [unrolled: 1-line block ×7, first 2 shown]
	v_mov_b32_e32 v103, v26
	v_mov_b32_e32 v104, v27
	v_mov_b32_e32 v105, v28
	v_mov_b32_e32 v106, v29
	v_mov_b32_e32 v107, v30
	v_mov_b32_e32 v108, v31
	scratch_store_dwordx4 off, v[86:89], off offset:1156 ; 16-byte Folded Spill
	s_nop 0
	scratch_store_dwordx4 off, v[90:93], off offset:1172 ; 16-byte Folded Spill
	scratch_store_dwordx4 off, v[94:97], off offset:1188 ; 16-byte Folded Spill
	;; [unrolled: 1-line block ×7, first 2 shown]
	v_mov_b32_e32 v241, v26
	v_mov_b32_e32 v242, v27
	;; [unrolled: 1-line block ×6, first 2 shown]
	scratch_store_dwordx4 off, v[224:227], off offset:4 ; 16-byte Folded Spill
	s_nop 0
	scratch_store_dwordx4 off, v[228:231], off offset:20 ; 16-byte Folded Spill
	scratch_store_dwordx4 off, v[232:235], off offset:36 ; 16-byte Folded Spill
	;; [unrolled: 1-line block ×7, first 2 shown]
	v_mov_b64_e32 v[246:247], v[60:61]
	v_mov_b32_e32 v250, v187
	v_mov_b32_e32 v97, v56
	;; [unrolled: 1-line block ×3, first 2 shown]
	scratch_store_dwordx4 off, v[62:65], off offset:2820 ; 16-byte Folded Spill
	s_nop 0
	scratch_store_dwordx4 off, v[66:69], off offset:2836 ; 16-byte Folded Spill
	scratch_store_dwordx4 off, v[70:73], off offset:2852 ; 16-byte Folded Spill
	scratch_store_dwordx4 off, v[74:77], off offset:2868 ; 16-byte Folded Spill
	scratch_store_dwordx4 off, v[78:81], off offset:2884 ; 16-byte Folded Spill
	scratch_store_dwordx4 off, v[82:85], off offset:2900 ; 16-byte Folded Spill
	scratch_store_dwordx4 off, v[86:89], off offset:2916 ; 16-byte Folded Spill
	scratch_store_dwordx4 off, v[90:93], off offset:2932 ; 16-byte Folded Spill
	scratch_store_dwordx4 off, v[62:65], off offset:2308 ; 16-byte Folded Spill
	s_nop 0
	scratch_store_dwordx4 off, v[66:69], off offset:2324 ; 16-byte Folded Spill
	scratch_store_dwordx4 off, v[70:73], off offset:2340 ; 16-byte Folded Spill
	scratch_store_dwordx4 off, v[74:77], off offset:2356 ; 16-byte Folded Spill
	scratch_store_dwordx4 off, v[78:81], off offset:2372 ; 16-byte Folded Spill
	scratch_store_dwordx4 off, v[82:85], off offset:2388 ; 16-byte Folded Spill
	scratch_store_dwordx4 off, v[86:89], off offset:2404 ; 16-byte Folded Spill
	scratch_store_dwordx4 off, v[90:93], off offset:2420 ; 16-byte Folded Spill
	;; [unrolled: 9-line block ×8, first 2 shown]
.LBB57_88:
	s_or_b64 exec, exec, s[2:3]
	v_cmp_eq_u32_e32 vcc, 17, v254
	s_waitcnt lgkmcnt(0)
	s_barrier
	s_and_saveexec_b64 s[2:3], vcc
	s_cbranch_execz .LBB57_91
; %bb.89:
	scratch_load_dwordx4 v[0:3], off, off offset:516 ; 16-byte Folded Reload
	scratch_load_dwordx4 v[4:7], off, off offset:532 ; 16-byte Folded Reload
	;; [unrolled: 1-line block ×8, first 2 shown]
	s_waitcnt vmcnt(3)
	ds_write_b32 v255, v17
	scratch_load_dwordx4 v[0:3], off, off offset:4 ; 16-byte Folded Reload
	scratch_load_dwordx4 v[4:7], off, off offset:20 ; 16-byte Folded Reload
	;; [unrolled: 1-line block ×8, first 2 shown]
	s_waitcnt vmcnt(3)
	ds_write2_b32 v250, v18, v19 offset0:18 offset1:19
	s_waitcnt vmcnt(2)
	ds_write2_b32 v250, v20, v21 offset0:20 offset1:21
	ds_write2_b32 v250, v22, v23 offset0:22 offset1:23
	s_waitcnt vmcnt(1)
	ds_write2_b32 v250, v24, v25 offset0:24 offset1:25
	ds_write2_b32 v250, v26, v27 offset0:26 offset1:27
	ds_write_b32 v250, v247 offset:112
	ds_read_b32 v26, v255
	s_waitcnt lgkmcnt(0)
	v_cmp_neq_f32_e32 vcc, 0, v26
	s_and_b64 exec, exec, vcc
	s_cbranch_execz .LBB57_91
; %bb.90:
	v_div_scale_f32 v27, s[4:5], v26, v26, 1.0
	s_waitcnt vmcnt(0)
	v_rcp_f32_e32 v28, v27
	v_div_scale_f32 v29, vcc, 1.0, v26, 1.0
	v_fma_f32 v30, -v27, v28, 1.0
	v_fmac_f32_e32 v28, v30, v28
	v_mul_f32_e32 v30, v29, v28
	v_fma_f32 v31, -v27, v30, v29
	v_fmac_f32_e32 v30, v31, v28
	v_fma_f32 v27, -v27, v30, v29
	v_div_fmas_f32 v27, v27, v28, v30
	v_div_fixup_f32 v26, v27, v26, 1.0
	ds_write_b32 v255, v26
.LBB57_91:
	s_or_b64 exec, exec, s[2:3]
	s_waitcnt lgkmcnt(0)
	s_barrier
	ds_read_b32 v183, v255
	v_cmp_lt_u32_e32 vcc, 17, v254
	s_and_saveexec_b64 s[2:3], vcc
	s_cbranch_execz .LBB57_93
; %bb.92:
	scratch_load_dwordx4 v[0:3], off, off offset:516 ; 16-byte Folded Reload
	scratch_load_dwordx4 v[4:7], off, off offset:532 ; 16-byte Folded Reload
	;; [unrolled: 1-line block ×8, first 2 shown]
	s_waitcnt vmcnt(7)
	ds_read2_b32 v[2:3], v250 offset0:18 offset1:19
	s_waitcnt vmcnt(3) lgkmcnt(1)
	v_mul_f32_e32 v0, v17, v183
	scratch_load_dwordx4 v[4:7], off, off offset:4 ; 16-byte Folded Reload
	scratch_load_dwordx4 v[8:11], off, off offset:20 ; 16-byte Folded Reload
	scratch_load_dwordx4 v[12:15], off, off offset:36 ; 16-byte Folded Reload
	scratch_load_dwordx4 v[16:19], off, off offset:52 ; 16-byte Folded Reload
	scratch_load_dwordx4 v[20:23], off, off offset:68 ; 16-byte Folded Reload
	scratch_load_dwordx4 v[24:27], off, off offset:84 ; 16-byte Folded Reload
	scratch_load_dwordx4 v[28:31], off, off offset:100 ; 16-byte Folded Reload
	scratch_load_dwordx4 v[32:35], off, off offset:116 ; 16-byte Folded Reload
	s_waitcnt vmcnt(7)
	ds_read2_b32 v[6:7], v250 offset0:20 offset1:21
	s_waitcnt vmcnt(6)
	ds_read2_b32 v[8:9], v250 offset0:22 offset1:23
	ds_read2_b32 v[10:11], v250 offset0:24 offset1:25
	scratch_load_dwordx4 v[132:135], off, off offset:2308 ; 16-byte Folded Reload
	scratch_load_dwordx4 v[136:139], off, off offset:2324 ; 16-byte Folded Reload
	;; [unrolled: 1-line block ×8, first 2 shown]
	s_waitcnt vmcnt(3)
	v_mov_b32_e32 v149, v0
	v_mov_b32_e32 v169, v0
	;; [unrolled: 1-line block ×11, first 2 shown]
	v_mov_b64_e32 v[18:19], v[22:23]
	v_mov_b64_e32 v[20:21], v[24:25]
	v_mov_b32_e32 v4, v18
	v_mov_b32_e32 v5, v19
	v_mov_b64_e32 v[22:23], v[26:27]
	s_waitcnt lgkmcnt(3)
	v_pk_fma_f32 v[170:171], v[0:1], v[2:3], v[4:5] op_sel_hi:[0,1,1] neg_lo:[1,0,0] neg_hi:[1,0,0]
	v_mov_b32_e32 v2, v20
	v_mov_b32_e32 v3, v21
	v_mov_b64_e32 v[24:25], v[28:29]
	v_mov_b64_e32 v[26:27], v[30:31]
	s_waitcnt lgkmcnt(2)
	v_pk_fma_f32 v[106:107], v[0:1], v[6:7], v[2:3] op_sel_hi:[0,1,1] neg_lo:[1,0,0] neg_hi:[1,0,0]
	v_mov_b32_e32 v2, v22
	v_mov_b32_e32 v3, v23
	s_waitcnt lgkmcnt(1)
	v_pk_fma_f32 v[130:131], v[0:1], v[8:9], v[2:3] op_sel_hi:[0,1,1] neg_lo:[1,0,0] neg_hi:[1,0,0]
	v_mov_b32_e32 v2, v24
	v_mov_b32_e32 v3, v25
	;; [unrolled: 1-line block ×20, first 2 shown]
	scratch_store_dwordx4 off, v[12:15], off offset:2692 ; 16-byte Folded Spill
	s_nop 0
	scratch_store_dwordx4 off, v[16:19], off offset:2708 ; 16-byte Folded Spill
	scratch_store_dwordx4 off, v[20:23], off offset:2724 ; 16-byte Folded Spill
	;; [unrolled: 1-line block ×7, first 2 shown]
	v_mov_b32_e32 v32, v106
	v_mov_b32_e32 v33, v107
	s_waitcnt lgkmcnt(0)
	v_pk_fma_f32 v[216:217], v[0:1], v[10:11], v[2:3] op_sel_hi:[0,1,1] neg_lo:[1,0,0] neg_hi:[1,0,0]
	v_mov_b32_e32 v6, v138
	v_mov_b32_e32 v7, v139
	v_mov_b32_e32 v8, v140
	v_mov_b32_e32 v9, v141
	v_mov_b32_e32 v10, v142
	v_mov_b32_e32 v11, v143
	s_waitcnt vmcnt(10)
	v_mov_b32_e32 v152, v132
	v_mov_b32_e32 v153, v133
	v_mov_b32_e32 v154, v134
	v_mov_b32_e32 v155, v135
	s_waitcnt vmcnt(9)
	v_mov_b32_e32 v156, v136
	v_mov_b32_e32 v157, v137
	v_mov_b32_e32 v158, v138
	v_mov_b32_e32 v159, v139
	;; [unrolled: 5-line block ×3, first 2 shown]
	v_mov_b32_e32 v224, v132
	v_mov_b32_e32 v225, v133
	;; [unrolled: 1-line block ×21, first 2 shown]
	scratch_store_dwordx4 off, v[12:15], off offset:2564 ; 16-byte Folded Spill
	s_nop 0
	scratch_store_dwordx4 off, v[16:19], off offset:2580 ; 16-byte Folded Spill
	scratch_store_dwordx4 off, v[20:23], off offset:2596 ; 16-byte Folded Spill
	;; [unrolled: 1-line block ×7, first 2 shown]
	v_mov_b32_e32 v34, v130
	v_mov_b32_e32 v35, v131
	;; [unrolled: 1-line block ×42, first 2 shown]
	scratch_store_dwordx4 off, v[12:15], off offset:1924 ; 16-byte Folded Spill
	s_nop 0
	scratch_store_dwordx4 off, v[16:19], off offset:1940 ; 16-byte Folded Spill
	scratch_store_dwordx4 off, v[20:23], off offset:1956 ; 16-byte Folded Spill
	;; [unrolled: 1-line block ×7, first 2 shown]
	ds_read2_b32 v[2:3], v250 offset0:26 offset1:27
	v_mov_b32_e32 v17, v0
	v_mov_b32_e32 v12, v144
	;; [unrolled: 1-line block ×4, first 2 shown]
	s_waitcnt lgkmcnt(0)
	v_pk_fma_f32 v[82:83], v[0:1], v[2:3], v[4:5] op_sel_hi:[0,1,1] neg_lo:[1,0,0] neg_hi:[1,0,0]
	ds_read_b32 v1, v250 offset:112
	v_mov_b32_e32 v2, v134
	v_mov_b32_e32 v3, v135
	;; [unrolled: 1-line block ×4, first 2 shown]
	s_waitcnt lgkmcnt(0)
	v_fma_f32 v252, -v0, v1, v247
	v_mov_b32_e32 v0, v132
	v_mov_b32_e32 v1, v133
	;; [unrolled: 1-line block ×30, first 2 shown]
	scratch_store_dwordx4 off, v[0:3], off offset:1796 ; 16-byte Folded Spill
	s_nop 0
	scratch_store_dwordx4 off, v[4:7], off offset:1812 ; 16-byte Folded Spill
	scratch_store_dwordx4 off, v[8:11], off offset:1828 ; 16-byte Folded Spill
	;; [unrolled: 1-line block ×7, first 2 shown]
	v_mov_b32_e32 v205, v145
	v_mov_b32_e32 v206, v146
	;; [unrolled: 1-line block ×22, first 2 shown]
	scratch_store_dwordx4 off, v[224:227], off offset:4 ; 16-byte Folded Spill
	s_nop 0
	scratch_store_dwordx4 off, v[228:231], off offset:20 ; 16-byte Folded Spill
	scratch_store_dwordx4 off, v[232:235], off offset:36 ; 16-byte Folded Spill
	;; [unrolled: 1-line block ×8, first 2 shown]
	s_nop 0
	scratch_store_dwordx4 off, v[136:139], off offset:2836 ; 16-byte Folded Spill
	scratch_store_dwordx4 off, v[140:143], off offset:2852 ; 16-byte Folded Spill
	;; [unrolled: 1-line block ×7, first 2 shown]
	v_mov_b32_e32 v104, v170
	v_mov_b32_e32 v105, v171
	;; [unrolled: 1-line block ×19, first 2 shown]
	scratch_store_dwordx4 off, v[0:3], off offset:772 ; 16-byte Folded Spill
	s_nop 0
	scratch_store_dwordx4 off, v[4:7], off offset:788 ; 16-byte Folded Spill
	scratch_store_dwordx4 off, v[8:11], off offset:804 ; 16-byte Folded Spill
	scratch_store_dwordx4 off, v[12:15], off offset:820 ; 16-byte Folded Spill
	scratch_store_dwordx4 off, v[16:19], off offset:836 ; 16-byte Folded Spill
	scratch_store_dwordx4 off, v[20:23], off offset:852 ; 16-byte Folded Spill
	scratch_store_dwordx4 off, v[24:27], off offset:868 ; 16-byte Folded Spill
	scratch_store_dwordx4 off, v[28:31], off offset:884 ; 16-byte Folded Spill
	scratch_store_dwordx4 off, v[152:155], off offset:2180 ; 16-byte Folded Spill
	s_nop 0
	scratch_store_dwordx4 off, v[156:159], off offset:2196 ; 16-byte Folded Spill
	scratch_store_dwordx4 off, v[160:163], off offset:2212 ; 16-byte Folded Spill
	scratch_store_dwordx4 off, v[164:167], off offset:2228 ; 16-byte Folded Spill
	scratch_store_dwordx4 off, v[168:171], off offset:2244 ; 16-byte Folded Spill
	scratch_store_dwordx4 off, v[172:175], off offset:2260 ; 16-byte Folded Spill
	scratch_store_dwordx4 off, v[176:179], off offset:2276 ; 16-byte Folded Spill
	scratch_store_dwordx4 off, v[180:183], off offset:2292 ; 16-byte Folded Spill
	;; [unrolled: 9-line block ×7, first 2 shown]
	v_mov_b32_e32 v81, v217
	v_mov_b32_e32 v247, v252
	;; [unrolled: 1-line block ×5, first 2 shown]
	scratch_store_dwordx4 off, v[0:3], off offset:1284 ; 16-byte Folded Spill
	s_nop 0
	scratch_store_dwordx4 off, v[4:7], off offset:1300 ; 16-byte Folded Spill
	scratch_store_dwordx4 off, v[8:11], off offset:1316 ; 16-byte Folded Spill
	;; [unrolled: 1-line block ×8, first 2 shown]
	s_nop 0
	scratch_store_dwordx4 off, v[196:199], off offset:916 ; 16-byte Folded Spill
	scratch_store_dwordx4 off, v[200:203], off offset:932 ; 16-byte Folded Spill
	;; [unrolled: 1-line block ×7, first 2 shown]
	v_mov_b64_e32 v[0:1], v[56:57]
	v_mov_b32_e32 v16, v72
	v_mov_b64_e32 v[2:3], v[58:59]
	v_mov_b64_e32 v[4:5], v[60:61]
	;; [unrolled: 1-line block ×5, first 2 shown]
	v_mov_b32_e32 v97, v131
	v_mov_b64_e32 v[12:13], v[68:69]
	v_mov_b64_e32 v[14:15], v[70:71]
	v_mov_b32_e32 v17, v73
	v_mov_b32_e32 v18, v74
	;; [unrolled: 1-line block ×10, first 2 shown]
	scratch_store_dwordx4 off, v[0:3], off offset:1156 ; 16-byte Folded Spill
	s_nop 0
	scratch_store_dwordx4 off, v[4:7], off offset:1172 ; 16-byte Folded Spill
	scratch_store_dwordx4 off, v[8:11], off offset:1188 ; 16-byte Folded Spill
	;; [unrolled: 1-line block ×7, first 2 shown]
	v_mov_b32_e32 v235, v217
.LBB57_93:
	s_or_b64 exec, exec, s[2:3]
	v_cmp_eq_u32_e32 vcc, 18, v254
	s_waitcnt lgkmcnt(0)
	s_barrier
	s_and_saveexec_b64 s[2:3], vcc
	s_cbranch_execz .LBB57_96
; %bb.94:
	scratch_load_dwordx4 v[0:3], off, off offset:772 ; 16-byte Folded Reload
	scratch_load_dwordx4 v[4:7], off, off offset:788 ; 16-byte Folded Reload
	;; [unrolled: 1-line block ×8, first 2 shown]
	s_waitcnt vmcnt(3)
	ds_write_b32 v255, v18
	scratch_load_dwordx4 v[0:3], off, off offset:4 ; 16-byte Folded Reload
	scratch_load_dwordx4 v[4:7], off, off offset:20 ; 16-byte Folded Reload
	;; [unrolled: 1-line block ×8, first 2 shown]
	s_waitcnt vmcnt(2)
	ds_write2_b32 v250, v19, v20 offset0:19 offset1:20
	ds_write2_b32 v250, v21, v22 offset0:21 offset1:22
	s_waitcnt vmcnt(1)
	ds_write2_b32 v250, v23, v24 offset0:23 offset1:24
	ds_write2_b32 v250, v25, v26 offset0:25 offset1:26
	s_waitcnt vmcnt(0)
	ds_write2_b32 v250, v27, v28 offset0:27 offset1:28
	ds_read_b32 v26, v255
	s_waitcnt lgkmcnt(0)
	v_cmp_neq_f32_e32 vcc, 0, v26
	s_and_b64 exec, exec, vcc
	s_cbranch_execz .LBB57_96
; %bb.95:
	v_div_scale_f32 v27, s[4:5], v26, v26, 1.0
	v_rcp_f32_e32 v28, v27
	v_div_scale_f32 v29, vcc, 1.0, v26, 1.0
	v_fma_f32 v30, -v27, v28, 1.0
	v_fmac_f32_e32 v28, v30, v28
	v_mul_f32_e32 v30, v29, v28
	v_fma_f32 v31, -v27, v30, v29
	v_fmac_f32_e32 v30, v31, v28
	v_fma_f32 v27, -v27, v30, v29
	v_div_fmas_f32 v27, v27, v28, v30
	v_div_fixup_f32 v26, v27, v26, 1.0
	ds_write_b32 v255, v26
.LBB57_96:
	s_or_b64 exec, exec, s[2:3]
	s_waitcnt lgkmcnt(0)
	s_barrier
	ds_read_b32 v184, v255
	v_cmp_lt_u32_e32 vcc, 18, v254
	s_and_saveexec_b64 s[2:3], vcc
	s_cbranch_execz .LBB57_98
; %bb.97:
	scratch_load_dwordx4 v[0:3], off, off offset:2820 ; 16-byte Folded Reload
	scratch_load_dwordx4 v[4:7], off, off offset:2836 ; 16-byte Folded Reload
	;; [unrolled: 1-line block ×8, first 2 shown]
	s_waitcnt vmcnt(4)
	v_mov_b64_e32 v[74:75], v[14:15]
	v_mov_b64_e32 v[72:73], v[12:13]
	;; [unrolled: 1-line block ×8, first 2 shown]
	s_waitcnt vmcnt(3)
	v_mov_b64_e32 v[76:77], v[16:17]
	scratch_load_dwordx4 v[0:3], off, off offset:772 ; 16-byte Folded Reload
	scratch_load_dwordx4 v[4:7], off, off offset:788 ; 16-byte Folded Reload
	scratch_load_dwordx4 v[8:11], off, off offset:804 ; 16-byte Folded Reload
	scratch_load_dwordx4 v[12:15], off, off offset:820 ; 16-byte Folded Reload
	scratch_load_dwordx4 v[16:19], off, off offset:836 ; 16-byte Folded Reload
	scratch_load_dwordx4 v[20:23], off, off offset:852 ; 16-byte Folded Reload
	scratch_load_dwordx4 v[24:27], off, off offset:868 ; 16-byte Folded Reload
	scratch_load_dwordx4 v[28:31], off, off offset:884 ; 16-byte Folded Reload
	s_waitcnt vmcnt(7)
	ds_read2_b32 v[0:1], v250 offset0:19 offset1:20
	v_mov_b32_e32 v152, v60
	v_mov_b32_e32 v153, v61
	;; [unrolled: 1-line block ×72, first 2 shown]
	s_waitcnt vmcnt(3) lgkmcnt(1)
	v_mul_f32_e32 v78, v18, v184
	scratch_load_dwordx4 v[8:11], off, off offset:4 ; 16-byte Folded Reload
	scratch_load_dwordx4 v[12:15], off, off offset:20 ; 16-byte Folded Reload
	;; [unrolled: 1-line block ×8, first 2 shown]
	ds_read2_b32 v[4:5], v250 offset0:21 offset1:22
	ds_read2_b32 v[6:7], v250 offset0:23 offset1:24
	s_waitcnt vmcnt(7)
	ds_read2_b32 v[8:9], v250 offset0:25 offset1:26
	v_mov_b32_e32 v170, v78
	v_mov_b32_e32 v10, v70
	;; [unrolled: 1-line block ×3, first 2 shown]
	s_waitcnt vmcnt(6)
	v_mov_b32_e32 v12, v72
	v_mov_b32_e32 v13, v73
	;; [unrolled: 1-line block ×4, first 2 shown]
	s_waitcnt vmcnt(5)
	v_mov_b32_e32 v16, v76
	v_mov_b32_e32 v17, v77
	;; [unrolled: 1-line block ×6, first 2 shown]
	s_waitcnt vmcnt(3)
	v_mov_b32_e32 v2, v27
	s_waitcnt vmcnt(2)
	v_mov_b32_e32 v3, v28
	s_waitcnt lgkmcnt(3)
	v_pk_fma_f32 v[26:27], v[78:79], v[0:1], v[2:3] op_sel_hi:[0,1,1] neg_lo:[1,0,0] neg_hi:[1,0,0]
	ds_read2_b32 v[2:3], v250 offset0:27 offset1:28
	v_mov_b32_e32 v1, v30
	v_mov_b32_e32 v0, v29
	s_waitcnt lgkmcnt(3)
	v_pk_fma_f32 v[28:29], v[78:79], v[4:5], v[0:1] op_sel_hi:[0,1,1] neg_lo:[1,0,0] neg_hi:[1,0,0]
	s_waitcnt vmcnt(1)
	v_mov_b32_e32 v1, v32
	v_mov_b32_e32 v0, v31
	s_waitcnt lgkmcnt(2)
	v_pk_fma_f32 v[30:31], v[78:79], v[6:7], v[0:1] op_sel_hi:[0,1,1] neg_lo:[1,0,0] neg_hi:[1,0,0]
	v_mov_b32_e32 v1, v34
	v_mov_b32_e32 v0, v33
	s_waitcnt lgkmcnt(1)
	v_pk_fma_f32 v[56:57], v[78:79], v[8:9], v[0:1] op_sel_hi:[0,1,1] neg_lo:[1,0,0] neg_hi:[1,0,0]
	s_waitcnt vmcnt(0)
	v_mov_b32_e32 v1, v36
	v_mov_b32_e32 v0, v35
	s_waitcnt lgkmcnt(0)
	v_pk_fma_f32 v[58:59], v[78:79], v[2:3], v[0:1] op_sel_hi:[0,1,1] neg_lo:[1,0,0] neg_hi:[1,0,0]
	v_mov_b32_e32 v171, v26
	v_mov_b32_e32 v172, v27
	;; [unrolled: 1-line block ×16, first 2 shown]
	scratch_store_dwordx4 off, v[152:155], off offset:1668 ; 16-byte Folded Spill
	s_nop 0
	scratch_store_dwordx4 off, v[156:159], off offset:1684 ; 16-byte Folded Spill
	scratch_store_dwordx4 off, v[160:163], off offset:1700 ; 16-byte Folded Spill
	;; [unrolled: 1-line block ×8, first 2 shown]
	s_nop 0
	scratch_store_dwordx4 off, v[4:7], off offset:2580 ; 16-byte Folded Spill
	scratch_store_dwordx4 off, v[8:11], off offset:2596 ; 16-byte Folded Spill
	;; [unrolled: 1-line block ×7, first 2 shown]
	v_mov_b32_e32 v111, v56
	v_mov_b32_e32 v112, v57
	;; [unrolled: 1-line block ×13, first 2 shown]
	scratch_store_dwordx4 off, v[132:135], off offset:1540 ; 16-byte Folded Spill
	s_nop 0
	scratch_store_dwordx4 off, v[136:139], off offset:1556 ; 16-byte Folded Spill
	scratch_store_dwordx4 off, v[140:143], off offset:1572 ; 16-byte Folded Spill
	;; [unrolled: 1-line block ×8, first 2 shown]
	s_nop 0
	scratch_store_dwordx4 off, v[4:7], off offset:1940 ; 16-byte Folded Spill
	scratch_store_dwordx4 off, v[8:11], off offset:1956 ; 16-byte Folded Spill
	;; [unrolled: 1-line block ×7, first 2 shown]
	s_nop 0
	v_mov_b32_e32 v24, v31
	scratch_store_dwordx4 off, v[0:3], off offset:900 ; 16-byte Folded Spill
	s_nop 0
	scratch_store_dwordx4 off, v[4:7], off offset:916 ; 16-byte Folded Spill
	scratch_store_dwordx4 off, v[8:11], off offset:932 ; 16-byte Folded Spill
	scratch_store_dwordx4 off, v[12:15], off offset:948 ; 16-byte Folded Spill
	scratch_store_dwordx4 off, v[16:19], off offset:964 ; 16-byte Folded Spill
	scratch_store_dwordx4 off, v[20:23], off offset:980 ; 16-byte Folded Spill
	scratch_store_dwordx4 off, v[24:27], off offset:996 ; 16-byte Folded Spill
	scratch_store_dwordx4 off, v[28:31], off offset:1012 ; 16-byte Folded Spill
	s_nop 0
	v_mov_b32_e32 v25, v56
	scratch_store_dwordx4 off, v[0:3], off offset:1796 ; 16-byte Folded Spill
	s_nop 0
	scratch_store_dwordx4 off, v[4:7], off offset:1812 ; 16-byte Folded Spill
	scratch_store_dwordx4 off, v[8:11], off offset:1828 ; 16-byte Folded Spill
	;; [unrolled: 1-line block ×7, first 2 shown]
	v_mov_b32_e32 v105, v26
	v_mov_b32_e32 v106, v27
	;; [unrolled: 1-line block ×6, first 2 shown]
	scratch_store_dwordx4 off, v[86:89], off offset:1156 ; 16-byte Folded Spill
	s_nop 0
	scratch_store_dwordx4 off, v[90:93], off offset:1172 ; 16-byte Folded Spill
	scratch_store_dwordx4 off, v[94:97], off offset:1188 ; 16-byte Folded Spill
	scratch_store_dwordx4 off, v[98:101], off offset:1204 ; 16-byte Folded Spill
	scratch_store_dwordx4 off, v[102:105], off offset:1220 ; 16-byte Folded Spill
	scratch_store_dwordx4 off, v[106:109], off offset:1236 ; 16-byte Folded Spill
	scratch_store_dwordx4 off, v[110:113], off offset:1252 ; 16-byte Folded Spill
	scratch_store_dwordx4 off, v[114:117], off offset:1268 ; 16-byte Folded Spill
	v_mov_b32_e32 v243, v26
	v_mov_b32_e32 v244, v27
	;; [unrolled: 1-line block ×6, first 2 shown]
	scratch_store_dwordx4 off, v[224:227], off offset:4 ; 16-byte Folded Spill
	s_nop 0
	scratch_store_dwordx4 off, v[228:231], off offset:20 ; 16-byte Folded Spill
	scratch_store_dwordx4 off, v[232:235], off offset:36 ; 16-byte Folded Spill
	;; [unrolled: 1-line block ×7, first 2 shown]
	v_mov_b64_e32 v[246:247], v[58:59]
	v_mov_b32_e32 v250, v187
	v_mov_b32_e32 v235, v56
	scratch_store_dwordx4 off, v[60:63], off offset:2692 ; 16-byte Folded Spill
	s_nop 0
	scratch_store_dwordx4 off, v[64:67], off offset:2708 ; 16-byte Folded Spill
	scratch_store_dwordx4 off, v[68:71], off offset:2724 ; 16-byte Folded Spill
	scratch_store_dwordx4 off, v[72:75], off offset:2740 ; 16-byte Folded Spill
	scratch_store_dwordx4 off, v[76:79], off offset:2756 ; 16-byte Folded Spill
	scratch_store_dwordx4 off, v[80:83], off offset:2772 ; 16-byte Folded Spill
	scratch_store_dwordx4 off, v[84:87], off offset:2788 ; 16-byte Folded Spill
	scratch_store_dwordx4 off, v[88:91], off offset:2804 ; 16-byte Folded Spill
	scratch_store_dwordx4 off, v[60:63], off offset:2180 ; 16-byte Folded Spill
	s_nop 0
	scratch_store_dwordx4 off, v[64:67], off offset:2196 ; 16-byte Folded Spill
	scratch_store_dwordx4 off, v[68:71], off offset:2212 ; 16-byte Folded Spill
	scratch_store_dwordx4 off, v[72:75], off offset:2228 ; 16-byte Folded Spill
	scratch_store_dwordx4 off, v[76:79], off offset:2244 ; 16-byte Folded Spill
	scratch_store_dwordx4 off, v[80:83], off offset:2260 ; 16-byte Folded Spill
	scratch_store_dwordx4 off, v[84:87], off offset:2276 ; 16-byte Folded Spill
	scratch_store_dwordx4 off, v[88:91], off offset:2292 ; 16-byte Folded Spill
	;; [unrolled: 9-line block ×5, first 2 shown]
	v_mov_b32_e32 v97, v30
	scratch_store_dwordx4 off, v[0:3], off offset:1284 ; 16-byte Folded Spill
	s_nop 0
	scratch_store_dwordx4 off, v[4:7], off offset:1300 ; 16-byte Folded Spill
	scratch_store_dwordx4 off, v[8:11], off offset:1316 ; 16-byte Folded Spill
	;; [unrolled: 1-line block ×7, first 2 shown]
.LBB57_98:
	s_or_b64 exec, exec, s[2:3]
	v_cmp_eq_u32_e32 vcc, 19, v254
	s_waitcnt lgkmcnt(0)
	s_barrier
	s_and_saveexec_b64 s[2:3], vcc
	s_cbranch_execz .LBB57_101
; %bb.99:
	scratch_load_dwordx4 v[0:3], off, off offset:1028 ; 16-byte Folded Reload
	scratch_load_dwordx4 v[4:7], off, off offset:1044 ; 16-byte Folded Reload
	;; [unrolled: 1-line block ×8, first 2 shown]
	s_waitcnt vmcnt(3)
	ds_write_b32 v255, v19
	scratch_load_dwordx4 v[0:3], off, off offset:4 ; 16-byte Folded Reload
	scratch_load_dwordx4 v[4:7], off, off offset:20 ; 16-byte Folded Reload
	;; [unrolled: 1-line block ×8, first 2 shown]
	s_waitcnt vmcnt(2)
	ds_write2_b32 v250, v20, v21 offset0:20 offset1:21
	ds_write2_b32 v250, v22, v23 offset0:22 offset1:23
	s_waitcnt vmcnt(1)
	ds_write2_b32 v250, v24, v25 offset0:24 offset1:25
	ds_write2_b32 v250, v26, v27 offset0:26 offset1:27
	ds_write_b32 v250, v247 offset:112
	ds_read_b32 v26, v255
	s_waitcnt lgkmcnt(0)
	v_cmp_neq_f32_e32 vcc, 0, v26
	s_and_b64 exec, exec, vcc
	s_cbranch_execz .LBB57_101
; %bb.100:
	v_div_scale_f32 v27, s[4:5], v26, v26, 1.0
	s_waitcnt vmcnt(0)
	v_rcp_f32_e32 v28, v27
	v_div_scale_f32 v29, vcc, 1.0, v26, 1.0
	v_fma_f32 v30, -v27, v28, 1.0
	v_fmac_f32_e32 v28, v30, v28
	v_mul_f32_e32 v30, v29, v28
	v_fma_f32 v31, -v27, v30, v29
	v_fmac_f32_e32 v30, v31, v28
	v_fma_f32 v27, -v27, v30, v29
	v_div_fmas_f32 v27, v27, v28, v30
	v_div_fixup_f32 v26, v27, v26, 1.0
	ds_write_b32 v255, v26
.LBB57_101:
	s_or_b64 exec, exec, s[2:3]
	s_waitcnt lgkmcnt(0)
	s_barrier
	ds_read_b32 v189, v255
	v_cmp_lt_u32_e32 vcc, 19, v254
	s_and_saveexec_b64 s[2:3], vcc
	s_cbranch_execz .LBB57_103
; %bb.102:
	scratch_load_dwordx4 v[0:3], off, off offset:1028 ; 16-byte Folded Reload
	scratch_load_dwordx4 v[4:7], off, off offset:1044 ; 16-byte Folded Reload
	;; [unrolled: 1-line block ×8, first 2 shown]
	s_waitcnt vmcnt(7)
	ds_read2_b32 v[2:3], v250 offset0:20 offset1:21
	s_waitcnt vmcnt(3) lgkmcnt(1)
	v_mul_f32_e32 v0, v19, v189
	scratch_load_dwordx4 v[4:7], off, off offset:4 ; 16-byte Folded Reload
	scratch_load_dwordx4 v[8:11], off, off offset:20 ; 16-byte Folded Reload
	;; [unrolled: 1-line block ×8, first 2 shown]
	s_waitcnt vmcnt(7)
	ds_read2_b32 v[6:7], v250 offset0:22 offset1:23
	s_waitcnt vmcnt(6)
	ds_read2_b32 v[8:9], v250 offset0:24 offset1:25
	ds_read2_b32 v[10:11], v250 offset0:26 offset1:27
	v_mov_b32_e32 v179, v0
	v_mov_b32_e32 v139, v0
	;; [unrolled: 1-line block ×6, first 2 shown]
	s_waitcnt vmcnt(1)
	v_mov_b64_e32 v[20:21], v[24:25]
	v_mov_b64_e32 v[22:23], v[26:27]
	v_mov_b32_e32 v4, v20
	v_mov_b32_e32 v5, v21
	v_mov_b64_e32 v[24:25], v[28:29]
	s_waitcnt lgkmcnt(3)
	v_pk_fma_f32 v[140:141], v[0:1], v[2:3], v[4:5] op_sel_hi:[0,1,1] neg_lo:[1,0,0] neg_hi:[1,0,0]
	v_mov_b32_e32 v2, v22
	v_mov_b32_e32 v3, v23
	v_mov_b64_e32 v[26:27], v[30:31]
	s_waitcnt lgkmcnt(2)
	v_pk_fma_f32 v[118:119], v[0:1], v[6:7], v[2:3] op_sel_hi:[0,1,1] neg_lo:[1,0,0] neg_hi:[1,0,0]
	v_mov_b32_e32 v2, v24
	v_mov_b32_e32 v3, v25
	s_waitcnt lgkmcnt(1)
	v_pk_fma_f32 v[80:81], v[0:1], v[8:9], v[2:3] op_sel_hi:[0,1,1] neg_lo:[1,0,0] neg_hi:[1,0,0]
	v_mov_b32_e32 v2, v26
	v_mov_b32_e32 v3, v27
	s_waitcnt lgkmcnt(0)
	v_pk_fma_f32 v[218:219], v[0:1], v[10:11], v[2:3] op_sel_hi:[0,1,1] neg_lo:[1,0,0] neg_hi:[1,0,0]
	ds_read_b32 v1, v250 offset:112
	scratch_load_dwordx4 v[2:5], off, off offset:2180 ; 16-byte Folded Reload
	scratch_load_dwordx4 v[6:9], off, off offset:2196 ; 16-byte Folded Reload
	scratch_load_dwordx4 v[10:13], off, off offset:2212 ; 16-byte Folded Reload
	scratch_load_dwordx4 v[14:17], off, off offset:2228 ; 16-byte Folded Reload
	scratch_load_dwordx4 v[18:21], off, off offset:2244 ; 16-byte Folded Reload
	scratch_load_dwordx4 v[22:25], off, off offset:2260 ; 16-byte Folded Reload
	scratch_load_dwordx4 v[26:29], off, off offset:2276 ; 16-byte Folded Reload
	scratch_load_dwordx4 v[30:33], off, off offset:2292 ; 16-byte Folded Reload
	s_waitcnt vmcnt(3)
	v_mov_b32_e32 v21, v0
	s_waitcnt vmcnt(2)
	v_mov_b32_e32 v22, v140
	v_mov_b32_e32 v23, v141
	s_waitcnt lgkmcnt(0)
	v_fma_f32 v252, -v0, v1, v247
	v_mov_b32_e32 v244, v140
	v_mov_b32_e32 v245, v141
	;; [unrolled: 1-line block ×20, first 2 shown]
	v_mov_b64_e32 v[174:175], v[16:17]
	v_mov_b32_e32 v178, v20
	v_mov_b64_e32 v[172:173], v[14:15]
	v_mov_b64_e32 v[170:171], v[12:13]
	;; [unrolled: 1-line block ×7, first 2 shown]
	v_mov_b32_e32 v177, v19
	v_mov_b32_e32 v176, v18
	scratch_store_dwordx4 off, v[2:5], off offset:2564 ; 16-byte Folded Spill
	s_nop 0
	scratch_store_dwordx4 off, v[6:9], off offset:2580 ; 16-byte Folded Spill
	scratch_store_dwordx4 off, v[10:13], off offset:2596 ; 16-byte Folded Spill
	scratch_store_dwordx4 off, v[14:17], off offset:2612 ; 16-byte Folded Spill
	scratch_store_dwordx4 off, v[18:21], off offset:2628 ; 16-byte Folded Spill
	scratch_store_dwordx4 off, v[22:25], off offset:2644 ; 16-byte Folded Spill
	s_waitcnt vmcnt(7)
	scratch_store_dwordx4 off, v[26:29], off offset:2660 ; 16-byte Folded Spill
	s_waitcnt vmcnt(7)
	scratch_store_dwordx4 off, v[30:33], off offset:2676 ; 16-byte Folded Spill
	v_mov_b32_e32 v24, v118
	v_mov_b32_e32 v25, v119
	;; [unrolled: 1-line block ×52, first 2 shown]
	scratch_store_dwordx4 off, v[2:5], off offset:1924 ; 16-byte Folded Spill
	s_nop 0
	scratch_store_dwordx4 off, v[6:9], off offset:1940 ; 16-byte Folded Spill
	scratch_store_dwordx4 off, v[10:13], off offset:1956 ; 16-byte Folded Spill
	;; [unrolled: 1-line block ×7, first 2 shown]
	v_mov_b32_e32 v19, v0
	v_mov_b32_e32 v0, v160
	;; [unrolled: 1-line block ×52, first 2 shown]
	scratch_store_dwordx4 off, v[0:3], off offset:1796 ; 16-byte Folded Spill
	s_nop 0
	scratch_store_dwordx4 off, v[4:7], off offset:1812 ; 16-byte Folded Spill
	scratch_store_dwordx4 off, v[8:11], off offset:1828 ; 16-byte Folded Spill
	;; [unrolled: 1-line block ×7, first 2 shown]
	s_nop 0
	v_mov_b32_e32 v27, v252
	scratch_store_dwordx4 off, v[224:227], off offset:4 ; 16-byte Folded Spill
	s_nop 0
	scratch_store_dwordx4 off, v[228:231], off offset:20 ; 16-byte Folded Spill
	scratch_store_dwordx4 off, v[232:235], off offset:36 ; 16-byte Folded Spill
	;; [unrolled: 1-line block ×7, first 2 shown]
	v_mov_b32_e32 v192, v160
	v_mov_b32_e32 v193, v161
	v_mov_b32_e32 v194, v162
	v_mov_b32_e32 v195, v163
	v_mov_b32_e32 v196, v164
	v_mov_b32_e32 v197, v165
	v_mov_b32_e32 v198, v166
	v_mov_b32_e32 v199, v167
	v_mov_b32_e32 v200, v168
	v_mov_b32_e32 v201, v169
	v_mov_b32_e32 v202, v170
	v_mov_b32_e32 v203, v171
	v_mov_b32_e32 v204, v172
	v_mov_b32_e32 v205, v173
	v_mov_b32_e32 v206, v174
	v_mov_b32_e32 v207, v175
	v_mov_b32_e32 v208, v176
	v_mov_b32_e32 v209, v177
	v_mov_b32_e32 v210, v178
	v_mov_b32_e32 v250, v187
	scratch_store_dwordx4 off, v[160:163], off offset:2692 ; 16-byte Folded Spill
	s_nop 0
	scratch_store_dwordx4 off, v[164:167], off offset:2708 ; 16-byte Folded Spill
	scratch_store_dwordx4 off, v[168:171], off offset:2724 ; 16-byte Folded Spill
	;; [unrolled: 1-line block ×7, first 2 shown]
	v_mov_b32_e32 v246, v219
	v_mov_b32_e32 v180, v218
	scratch_store_dwordx4 off, v[0:3], off offset:644 ; 16-byte Folded Spill
	s_nop 0
	scratch_store_dwordx4 off, v[4:7], off offset:660 ; 16-byte Folded Spill
	scratch_store_dwordx4 off, v[8:11], off offset:676 ; 16-byte Folded Spill
	scratch_store_dwordx4 off, v[12:15], off offset:692 ; 16-byte Folded Spill
	scratch_store_dwordx4 off, v[16:19], off offset:708 ; 16-byte Folded Spill
	scratch_store_dwordx4 off, v[20:23], off offset:724 ; 16-byte Folded Spill
	scratch_store_dwordx4 off, v[24:27], off offset:740 ; 16-byte Folded Spill
	scratch_store_dwordx4 off, v[28:31], off offset:756 ; 16-byte Folded Spill
	scratch_store_dwordx4 off, v[120:123], off offset:1668 ; 16-byte Folded Spill
	s_nop 0
	scratch_store_dwordx4 off, v[124:127], off offset:1684 ; 16-byte Folded Spill
	scratch_store_dwordx4 off, v[128:131], off offset:1700 ; 16-byte Folded Spill
	scratch_store_dwordx4 off, v[132:135], off offset:1716 ; 16-byte Folded Spill
	scratch_store_dwordx4 off, v[136:139], off offset:1732 ; 16-byte Folded Spill
	scratch_store_dwordx4 off, v[140:143], off offset:1748 ; 16-byte Folded Spill
	scratch_store_dwordx4 off, v[144:147], off offset:1764 ; 16-byte Folded Spill
	scratch_store_dwordx4 off, v[148:151], off offset:1780 ; 16-byte Folded Spill
	scratch_store_dwordx4 off, v[0:3], off offset:260 ; 16-byte Folded Spill
	s_nop 0
	scratch_store_dwordx4 off, v[4:7], off offset:276 ; 16-byte Folded Spill
	scratch_store_dwordx4 off, v[8:11], off offset:292 ; 16-byte Folded Spill
	scratch_store_dwordx4 off, v[12:15], off offset:308 ; 16-byte Folded Spill
	scratch_store_dwordx4 off, v[16:19], off offset:324 ; 16-byte Folded Spill
	scratch_store_dwordx4 off, v[20:23], off offset:340 ; 16-byte Folded Spill
	scratch_store_dwordx4 off, v[24:27], off offset:356 ; 16-byte Folded Spill
	scratch_store_dwordx4 off, v[28:31], off offset:372 ; 16-byte Folded Spill
	scratch_store_dwordx4 off, v[96:99], off offset:1540 ; 16-byte Folded Spill
	s_nop 0
	scratch_store_dwordx4 off, v[100:103], off offset:1556 ; 16-byte Folded Spill
	scratch_store_dwordx4 off, v[104:107], off offset:1572 ; 16-byte Folded Spill
	scratch_store_dwordx4 off, v[108:111], off offset:1588 ; 16-byte Folded Spill
	scratch_store_dwordx4 off, v[112:115], off offset:1604 ; 16-byte Folded Spill
	scratch_store_dwordx4 off, v[116:119], off offset:1620 ; 16-byte Folded Spill
	scratch_store_dwordx4 off, v[120:123], off offset:1636 ; 16-byte Folded Spill
	scratch_store_dwordx4 off, v[124:127], off offset:1652 ; 16-byte Folded Spill
	scratch_store_dwordx4 off, v[0:3], off offset:1284 ; 16-byte Folded Spill
	s_nop 0
	scratch_store_dwordx4 off, v[4:7], off offset:1300 ; 16-byte Folded Spill
	scratch_store_dwordx4 off, v[8:11], off offset:1316 ; 16-byte Folded Spill
	scratch_store_dwordx4 off, v[12:15], off offset:1332 ; 16-byte Folded Spill
	scratch_store_dwordx4 off, v[16:19], off offset:1348 ; 16-byte Folded Spill
	scratch_store_dwordx4 off, v[20:23], off offset:1364 ; 16-byte Folded Spill
	scratch_store_dwordx4 off, v[24:27], off offset:1380 ; 16-byte Folded Spill
	scratch_store_dwordx4 off, v[28:31], off offset:1396 ; 16-byte Folded Spill
	scratch_store_dwordx4 off, v[56:59], off offset:900 ; 16-byte Folded Spill
	s_nop 0
	scratch_store_dwordx4 off, v[60:63], off offset:916 ; 16-byte Folded Spill
	scratch_store_dwordx4 off, v[64:67], off offset:932 ; 16-byte Folded Spill
	scratch_store_dwordx4 off, v[68:71], off offset:948 ; 16-byte Folded Spill
	scratch_store_dwordx4 off, v[72:75], off offset:964 ; 16-byte Folded Spill
	scratch_store_dwordx4 off, v[76:79], off offset:980 ; 16-byte Folded Spill
	scratch_store_dwordx4 off, v[80:83], off offset:996 ; 16-byte Folded Spill
	scratch_store_dwordx4 off, v[84:87], off offset:1012 ; 16-byte Folded Spill
	v_mov_b64_e32 v[0:1], v[192:193]
	v_mov_b32_e32 v16, v208
	v_mov_b32_e32 v247, v252
	v_mov_b64_e32 v[2:3], v[194:195]
	v_mov_b64_e32 v[4:5], v[196:197]
	;; [unrolled: 1-line block ×4, first 2 shown]
	v_mov_b32_e32 v97, v119
	v_mov_b64_e32 v[10:11], v[202:203]
	v_mov_b64_e32 v[12:13], v[204:205]
	;; [unrolled: 1-line block ×3, first 2 shown]
	v_mov_b32_e32 v17, v209
	v_mov_b32_e32 v18, v210
	;; [unrolled: 1-line block ×10, first 2 shown]
	scratch_store_dwordx4 off, v[0:3], off offset:1156 ; 16-byte Folded Spill
	s_nop 0
	scratch_store_dwordx4 off, v[4:7], off offset:1172 ; 16-byte Folded Spill
	scratch_store_dwordx4 off, v[8:11], off offset:1188 ; 16-byte Folded Spill
	;; [unrolled: 1-line block ×7, first 2 shown]
	v_mov_b32_e32 v235, v81
.LBB57_103:
	s_or_b64 exec, exec, s[2:3]
	v_cmp_eq_u32_e32 vcc, 20, v254
	s_waitcnt lgkmcnt(0)
	s_barrier
	s_and_saveexec_b64 s[2:3], vcc
	s_cbranch_execz .LBB57_106
; %bb.104:
	scratch_load_dwordx4 v[0:3], off, off offset:644 ; 16-byte Folded Reload
	scratch_load_dwordx4 v[4:7], off, off offset:660 ; 16-byte Folded Reload
	;; [unrolled: 1-line block ×8, first 2 shown]
	s_waitcnt vmcnt(2)
	ds_write_b32 v255, v20
	scratch_load_dwordx4 v[0:3], off, off offset:4 ; 16-byte Folded Reload
	scratch_load_dwordx4 v[4:7], off, off offset:20 ; 16-byte Folded Reload
	;; [unrolled: 1-line block ×8, first 2 shown]
	s_waitcnt vmcnt(2)
	ds_write2_b32 v250, v21, v22 offset0:21 offset1:22
	s_waitcnt vmcnt(1)
	ds_write2_b32 v250, v23, v24 offset0:23 offset1:24
	ds_write2_b32 v250, v25, v26 offset0:25 offset1:26
	s_waitcnt vmcnt(0)
	ds_write2_b32 v250, v27, v28 offset0:27 offset1:28
	ds_read_b32 v26, v255
	s_waitcnt lgkmcnt(0)
	v_cmp_neq_f32_e32 vcc, 0, v26
	s_and_b64 exec, exec, vcc
	s_cbranch_execz .LBB57_106
; %bb.105:
	v_div_scale_f32 v27, s[4:5], v26, v26, 1.0
	v_rcp_f32_e32 v28, v27
	v_div_scale_f32 v29, vcc, 1.0, v26, 1.0
	v_fma_f32 v30, -v27, v28, 1.0
	v_fmac_f32_e32 v28, v30, v28
	v_mul_f32_e32 v30, v29, v28
	v_fma_f32 v31, -v27, v30, v29
	v_fmac_f32_e32 v30, v31, v28
	v_fma_f32 v27, -v27, v30, v29
	v_div_fmas_f32 v27, v27, v28, v30
	v_div_fixup_f32 v26, v27, v26, 1.0
	ds_write_b32 v255, v26
.LBB57_106:
	s_or_b64 exec, exec, s[2:3]
	s_waitcnt lgkmcnt(0)
	s_barrier
	ds_read_b32 v164, v255
	v_cmp_lt_u32_e32 vcc, 20, v254
	s_and_saveexec_b64 s[2:3], vcc
	s_cbranch_execz .LBB57_108
; %bb.107:
	scratch_load_dwordx4 v[0:3], off, off offset:2692 ; 16-byte Folded Reload
	scratch_load_dwordx4 v[4:7], off, off offset:2708 ; 16-byte Folded Reload
	;; [unrolled: 1-line block ×8, first 2 shown]
	s_waitcnt vmcnt(4)
	v_mov_b64_e32 v[72:73], v[14:15]
	s_waitcnt vmcnt(3)
	v_mov_b64_e32 v[76:77], v[18:19]
	v_mov_b64_e32 v[70:71], v[12:13]
	;; [unrolled: 1-line block ×9, first 2 shown]
	scratch_load_dwordx4 v[0:3], off, off offset:644 ; 16-byte Folded Reload
	scratch_load_dwordx4 v[4:7], off, off offset:660 ; 16-byte Folded Reload
	;; [unrolled: 1-line block ×8, first 2 shown]
	s_waitcnt vmcnt(7)
	ds_read2_b32 v[0:1], v250 offset0:21 offset1:22
	v_mov_b32_e32 v132, v58
	v_mov_b32_e32 v133, v59
	;; [unrolled: 1-line block ×60, first 2 shown]
	s_waitcnt vmcnt(2) lgkmcnt(1)
	v_mul_f32_e32 v78, v20, v164
	scratch_load_dwordx4 v[6:9], off, off offset:4 ; 16-byte Folded Reload
	scratch_load_dwordx4 v[10:13], off, off offset:20 ; 16-byte Folded Reload
	;; [unrolled: 1-line block ×8, first 2 shown]
	ds_read2_b32 v[4:5], v250 offset0:23 offset1:24
	s_waitcnt vmcnt(7)
	ds_read2_b32 v[6:7], v250 offset0:25 offset1:26
	ds_read2_b32 v[8:9], v250 offset0:27 offset1:28
	v_mov_b32_e32 v152, v78
	s_waitcnt vmcnt(6)
	v_mov_b32_e32 v10, v68
	v_mov_b32_e32 v11, v69
	v_mov_b32_e32 v12, v70
	v_mov_b32_e32 v13, v71
	s_waitcnt vmcnt(5)
	v_mov_b32_e32 v14, v72
	v_mov_b32_e32 v15, v73
	v_mov_b32_e32 v16, v74
	;; [unrolled: 5-line block ×3, first 2 shown]
	v_mov_b32_e32 v106, v78
	v_mov_b32_e32 v244, v78
	s_waitcnt vmcnt(2)
	v_mov_b32_e32 v3, v28
	v_mov_b32_e32 v2, v27
	s_waitcnt lgkmcnt(3)
	v_pk_fma_f32 v[26:27], v[78:79], v[0:1], v[2:3] op_sel_hi:[0,1,1] neg_lo:[1,0,0] neg_hi:[1,0,0]
	s_waitcnt vmcnt(1)
	v_mov_b32_e32 v1, v30
	v_mov_b32_e32 v0, v29
	s_waitcnt lgkmcnt(2)
	v_pk_fma_f32 v[28:29], v[78:79], v[4:5], v[0:1] op_sel_hi:[0,1,1] neg_lo:[1,0,0] neg_hi:[1,0,0]
	v_mov_b32_e32 v1, v32
	v_mov_b32_e32 v0, v31
	s_waitcnt lgkmcnt(1)
	v_pk_fma_f32 v[30:31], v[78:79], v[6:7], v[0:1] op_sel_hi:[0,1,1] neg_lo:[1,0,0] neg_hi:[1,0,0]
	s_waitcnt vmcnt(0)
	v_mov_b32_e32 v1, v34
	v_mov_b32_e32 v0, v33
	s_waitcnt lgkmcnt(0)
	v_pk_fma_f32 v[56:57], v[78:79], v[8:9], v[0:1] op_sel_hi:[0,1,1] neg_lo:[1,0,0] neg_hi:[1,0,0]
	v_mov_b32_e32 v153, v26
	v_mov_b32_e32 v154, v27
	;; [unrolled: 1-line block ×16, first 2 shown]
	scratch_store_dwordx4 off, v[132:135], off offset:1540 ; 16-byte Folded Spill
	s_nop 0
	scratch_store_dwordx4 off, v[136:139], off offset:1556 ; 16-byte Folded Spill
	scratch_store_dwordx4 off, v[140:143], off offset:1572 ; 16-byte Folded Spill
	scratch_store_dwordx4 off, v[144:147], off offset:1588 ; 16-byte Folded Spill
	scratch_store_dwordx4 off, v[148:151], off offset:1604 ; 16-byte Folded Spill
	scratch_store_dwordx4 off, v[152:155], off offset:1620 ; 16-byte Folded Spill
	scratch_store_dwordx4 off, v[156:159], off offset:1636 ; 16-byte Folded Spill
	scratch_store_dwordx4 off, v[160:163], off offset:1652 ; 16-byte Folded Spill
	scratch_store_dwordx4 off, v[0:3], off offset:1924 ; 16-byte Folded Spill
	s_nop 0
	scratch_store_dwordx4 off, v[4:7], off offset:1940 ; 16-byte Folded Spill
	scratch_store_dwordx4 off, v[8:11], off offset:1956 ; 16-byte Folded Spill
	;; [unrolled: 1-line block ×7, first 2 shown]
	v_mov_b32_e32 v251, v56
	v_mov_b32_e32 v252, v57
	;; [unrolled: 1-line block ×3, first 2 shown]
	scratch_store_dwordx4 off, v[0:3], off offset:900 ; 16-byte Folded Spill
	s_nop 0
	scratch_store_dwordx4 off, v[4:7], off offset:916 ; 16-byte Folded Spill
	scratch_store_dwordx4 off, v[8:11], off offset:932 ; 16-byte Folded Spill
	;; [unrolled: 1-line block ×7, first 2 shown]
	s_nop 0
	v_mov_b32_e32 v25, v30
	scratch_store_dwordx4 off, v[0:3], off offset:1796 ; 16-byte Folded Spill
	s_nop 0
	scratch_store_dwordx4 off, v[4:7], off offset:1812 ; 16-byte Folded Spill
	scratch_store_dwordx4 off, v[8:11], off offset:1828 ; 16-byte Folded Spill
	;; [unrolled: 1-line block ×7, first 2 shown]
	v_mov_b32_e32 v107, v26
	v_mov_b32_e32 v108, v27
	;; [unrolled: 1-line block ×6, first 2 shown]
	scratch_store_dwordx4 off, v[86:89], off offset:1156 ; 16-byte Folded Spill
	s_nop 0
	scratch_store_dwordx4 off, v[90:93], off offset:1172 ; 16-byte Folded Spill
	scratch_store_dwordx4 off, v[94:97], off offset:1188 ; 16-byte Folded Spill
	;; [unrolled: 1-line block ×7, first 2 shown]
	v_mov_b32_e32 v245, v26
	v_mov_b32_e32 v246, v27
	;; [unrolled: 1-line block ×6, first 2 shown]
	scratch_store_dwordx4 off, v[224:227], off offset:4 ; 16-byte Folded Spill
	s_nop 0
	scratch_store_dwordx4 off, v[228:231], off offset:20 ; 16-byte Folded Spill
	scratch_store_dwordx4 off, v[232:235], off offset:36 ; 16-byte Folded Spill
	;; [unrolled: 1-line block ×7, first 2 shown]
	v_mov_b64_e32 v[246:247], v[56:57]
	v_mov_b32_e32 v250, v187
	scratch_store_dwordx4 off, v[58:61], off offset:2564 ; 16-byte Folded Spill
	s_nop 0
	scratch_store_dwordx4 off, v[62:65], off offset:2580 ; 16-byte Folded Spill
	scratch_store_dwordx4 off, v[66:69], off offset:2596 ; 16-byte Folded Spill
	scratch_store_dwordx4 off, v[70:73], off offset:2612 ; 16-byte Folded Spill
	scratch_store_dwordx4 off, v[74:77], off offset:2628 ; 16-byte Folded Spill
	scratch_store_dwordx4 off, v[78:81], off offset:2644 ; 16-byte Folded Spill
	scratch_store_dwordx4 off, v[82:85], off offset:2660 ; 16-byte Folded Spill
	scratch_store_dwordx4 off, v[86:89], off offset:2676 ; 16-byte Folded Spill
	scratch_store_dwordx4 off, v[58:61], off offset:1668 ; 16-byte Folded Spill
	s_nop 0
	scratch_store_dwordx4 off, v[62:65], off offset:1684 ; 16-byte Folded Spill
	scratch_store_dwordx4 off, v[66:69], off offset:1700 ; 16-byte Folded Spill
	scratch_store_dwordx4 off, v[70:73], off offset:1716 ; 16-byte Folded Spill
	scratch_store_dwordx4 off, v[74:77], off offset:1732 ; 16-byte Folded Spill
	scratch_store_dwordx4 off, v[78:81], off offset:1748 ; 16-byte Folded Spill
	scratch_store_dwordx4 off, v[82:85], off offset:1764 ; 16-byte Folded Spill
	scratch_store_dwordx4 off, v[86:89], off offset:1780 ; 16-byte Folded Spill
	;; [unrolled: 9-line block ×3, first 2 shown]
	v_mov_b32_e32 v97, v28
	scratch_store_dwordx4 off, v[0:3], off offset:1284 ; 16-byte Folded Spill
	s_nop 0
	scratch_store_dwordx4 off, v[4:7], off offset:1300 ; 16-byte Folded Spill
	scratch_store_dwordx4 off, v[8:11], off offset:1316 ; 16-byte Folded Spill
	;; [unrolled: 1-line block ×7, first 2 shown]
	v_mov_b32_e32 v235, v30
	v_mov_b32_e32 v180, v31
.LBB57_108:
	s_or_b64 exec, exec, s[2:3]
	v_cmp_eq_u32_e32 vcc, 21, v254
	s_waitcnt lgkmcnt(0)
	s_barrier
	s_and_saveexec_b64 s[2:3], vcc
	s_cbranch_execz .LBB57_111
; %bb.109:
	ds_write_b32 v255, v245
	scratch_load_dwordx4 v[0:3], off, off offset:4 ; 16-byte Folded Reload
	scratch_load_dwordx4 v[4:7], off, off offset:20 ; 16-byte Folded Reload
	;; [unrolled: 1-line block ×8, first 2 shown]
	s_waitcnt vmcnt(2)
	ds_write2_b32 v250, v22, v23 offset0:22 offset1:23
	s_waitcnt vmcnt(1)
	ds_write2_b32 v250, v24, v25 offset0:24 offset1:25
	ds_write2_b32 v250, v26, v27 offset0:26 offset1:27
	ds_write_b32 v250, v247 offset:112
	ds_read_b32 v26, v255
	s_waitcnt lgkmcnt(0)
	v_cmp_neq_f32_e32 vcc, 0, v26
	s_and_b64 exec, exec, vcc
	s_cbranch_execz .LBB57_111
; %bb.110:
	v_div_scale_f32 v27, s[4:5], v26, v26, 1.0
	s_waitcnt vmcnt(0)
	v_rcp_f32_e32 v28, v27
	v_div_scale_f32 v29, vcc, 1.0, v26, 1.0
	v_fma_f32 v30, -v27, v28, 1.0
	v_fmac_f32_e32 v28, v30, v28
	v_mul_f32_e32 v30, v29, v28
	v_fma_f32 v31, -v27, v30, v29
	v_fmac_f32_e32 v30, v31, v28
	v_fma_f32 v27, -v27, v30, v29
	v_div_fmas_f32 v27, v27, v28, v30
	v_div_fixup_f32 v26, v27, v26, 1.0
	ds_write_b32 v255, v26
.LBB57_111:
	s_or_b64 exec, exec, s[2:3]
	s_waitcnt lgkmcnt(0)
	s_barrier
	ds_read_b32 v96, v255
	v_cmp_lt_u32_e32 vcc, 21, v254
	s_and_saveexec_b64 s[2:3], vcc
	s_cbranch_execz .LBB57_113
; %bb.112:
	ds_read2_b32 v[0:1], v250 offset0:22 offset1:23
	scratch_load_dwordx4 v[28:31], off, off offset:4 ; 16-byte Folded Reload
	scratch_load_dwordx4 v[32:35], off, off offset:20 ; 16-byte Folded Reload
	;; [unrolled: 1-line block ×8, first 2 shown]
	ds_read2_b32 v[4:5], v250 offset0:24 offset1:25
	ds_read2_b32 v[6:7], v250 offset0:26 offset1:27
	ds_read_b32 v8, v250 offset:112
	s_waitcnt lgkmcnt(4)
	v_mul_f32_e32 v26, v245, v96
	v_mov_b32_e32 v23, v26
	v_mov_b32_e32 v153, v26
	s_waitcnt lgkmcnt(0)
	v_fma_f32 v252, -v26, v8, v247
	s_waitcnt vmcnt(1)
	v_mov_b64_e32 v[28:29], v[50:51]
	v_mov_b64_e32 v[30:31], v[52:53]
	v_mov_b32_e32 v2, v28
	v_mov_b32_e32 v3, v29
	v_mov_b64_e32 v[32:33], v[54:55]
	v_pk_fma_f32 v[154:155], v[26:27], v[0:1], v[2:3] op_sel_hi:[0,1,1] neg_lo:[1,0,0] neg_hi:[1,0,0]
	v_mov_b32_e32 v0, v30
	v_mov_b32_e32 v1, v31
	v_pk_fma_f32 v[214:215], v[26:27], v[4:5], v[0:1] op_sel_hi:[0,1,1] neg_lo:[1,0,0] neg_hi:[1,0,0]
	v_mov_b32_e32 v0, v32
	v_mov_b32_e32 v1, v33
	v_pk_fma_f32 v[124:125], v[26:27], v[6:7], v[0:1] op_sel_hi:[0,1,1] neg_lo:[1,0,0] neg_hi:[1,0,0]
	v_mov_b32_e32 v0, v84
	scratch_load_dwordx4 v[64:67], off, off offset:1668 ; 16-byte Folded Reload
	scratch_load_dwordx4 v[68:71], off, off offset:1684 ; 16-byte Folded Reload
	;; [unrolled: 1-line block ×8, first 2 shown]
	v_mov_b32_e32 v24, v154
	v_mov_b32_e32 v25, v155
	s_waitcnt vmcnt(2)
	v_mov_b32_e32 v85, v26
	v_mov_b32_e32 v120, v154
	v_mov_b32_e32 v121, v155
	v_mov_b32_e32 v122, v214
	v_mov_b32_e32 v123, v215
	v_mov_b32_e32 v246, v154
	v_mov_b32_e32 v247, v155
	v_mov_b32_e32 v248, v214
	v_mov_b32_e32 v249, v215
	v_mov_b32_e32 v212, v154
	v_mov_b32_e32 v213, v155
	v_mov_b32_e32 v2, v64
	v_mov_b32_e32 v3, v65
	v_mov_b32_e32 v4, v66
	v_mov_b32_e32 v5, v67
	v_mov_b32_e32 v6, v68
	v_mov_b32_e32 v7, v69
	v_mov_b32_e32 v8, v70
	v_mov_b32_e32 v9, v71
	v_mov_b32_e32 v10, v72
	v_mov_b32_e32 v11, v73
	v_mov_b32_e32 v12, v74
	v_mov_b32_e32 v13, v75
	v_mov_b32_e32 v14, v76
	v_mov_b32_e32 v15, v77
	v_mov_b32_e32 v16, v78
	v_mov_b32_e32 v17, v79
	v_mov_b32_e32 v18, v80
	v_mov_b32_e32 v19, v81
	v_mov_b32_e32 v20, v82
	v_mov_b32_e32 v21, v83
	v_mov_b32_e32 v22, v84
	scratch_store_dwordx4 off, v[2:5], off offset:1924 ; 16-byte Folded Spill
	s_nop 0
	scratch_store_dwordx4 off, v[6:9], off offset:1940 ; 16-byte Folded Spill
	scratch_store_dwordx4 off, v[10:13], off offset:1956 ; 16-byte Folded Spill
	;; [unrolled: 1-line block ×7, first 2 shown]
	v_mov_b32_e32 v98, v64
	v_mov_b32_e32 v99, v65
	;; [unrolled: 1-line block ×73, first 2 shown]
	scratch_store_dwordx4 off, v[98:101], off offset:1796 ; 16-byte Folded Spill
	s_nop 0
	scratch_store_dwordx4 off, v[102:105], off offset:1812 ; 16-byte Folded Spill
	scratch_store_dwordx4 off, v[106:109], off offset:1828 ; 16-byte Folded Spill
	scratch_store_dwordx4 off, v[110:113], off offset:1844 ; 16-byte Folded Spill
	scratch_store_dwordx4 off, v[114:117], off offset:1860 ; 16-byte Folded Spill
	scratch_store_dwordx4 off, v[118:121], off offset:1876 ; 16-byte Folded Spill
	scratch_store_dwordx4 off, v[122:125], off offset:1892 ; 16-byte Folded Spill
	scratch_store_dwordx4 off, v[126:129], off offset:1908 ; 16-byte Folded Spill
	v_mov_b32_e32 v245, v26
	v_mov_b32_e32 v199, v73
	;; [unrolled: 1-line block ×18, first 2 shown]
	scratch_store_dwordx4 off, v[224:227], off offset:4 ; 16-byte Folded Spill
	s_nop 0
	scratch_store_dwordx4 off, v[228:231], off offset:20 ; 16-byte Folded Spill
	scratch_store_dwordx4 off, v[232:235], off offset:36 ; 16-byte Folded Spill
	;; [unrolled: 1-line block ×8, first 2 shown]
	s_nop 0
	scratch_store_dwordx4 off, v[68:71], off offset:2580 ; 16-byte Folded Spill
	scratch_store_dwordx4 off, v[72:75], off offset:2596 ; 16-byte Folded Spill
	;; [unrolled: 1-line block ×5, first 2 shown]
	s_waitcnt vmcnt(31)
	scratch_store_dwordx4 off, v[88:91], off offset:2660 ; 16-byte Folded Spill
	s_waitcnt vmcnt(31)
	scratch_store_dwordx4 off, v[92:95], off offset:2676 ; 16-byte Folded Spill
	v_mov_b32_e32 v84, v0
	scratch_store_dwordx4 off, v[0:3], off offset:260 ; 16-byte Folded Spill
	s_nop 0
	scratch_store_dwordx4 off, v[4:7], off offset:276 ; 16-byte Folded Spill
	scratch_store_dwordx4 off, v[8:11], off offset:292 ; 16-byte Folded Spill
	scratch_store_dwordx4 off, v[12:15], off offset:308 ; 16-byte Folded Spill
	scratch_store_dwordx4 off, v[16:19], off offset:324 ; 16-byte Folded Spill
	scratch_store_dwordx4 off, v[20:23], off offset:340 ; 16-byte Folded Spill
	scratch_store_dwordx4 off, v[24:27], off offset:356 ; 16-byte Folded Spill
	scratch_store_dwordx4 off, v[28:31], off offset:372 ; 16-byte Folded Spill
	scratch_store_dwordx4 off, v[132:135], off offset:1540 ; 16-byte Folded Spill
	s_nop 0
	scratch_store_dwordx4 off, v[136:139], off offset:1556 ; 16-byte Folded Spill
	scratch_store_dwordx4 off, v[140:143], off offset:1572 ; 16-byte Folded Spill
	;; [unrolled: 1-line block ×7, first 2 shown]
	v_mov_b32_e32 v24, v214
	v_mov_b32_e32 v250, v187
	;; [unrolled: 1-line block ×4, first 2 shown]
	scratch_store_dwordx4 off, v[0:3], off offset:1284 ; 16-byte Folded Spill
	s_nop 0
	scratch_store_dwordx4 off, v[4:7], off offset:1300 ; 16-byte Folded Spill
	scratch_store_dwordx4 off, v[8:11], off offset:1316 ; 16-byte Folded Spill
	;; [unrolled: 1-line block ×8, first 2 shown]
	s_nop 0
	scratch_store_dwordx4 off, v[194:197], off offset:916 ; 16-byte Folded Spill
	scratch_store_dwordx4 off, v[198:201], off offset:932 ; 16-byte Folded Spill
	;; [unrolled: 1-line block ×7, first 2 shown]
	v_mov_b64_e32 v[0:1], v[98:99]
	v_mov_b32_e32 v16, v114
	v_mov_b64_e32 v[2:3], v[100:101]
	v_mov_b64_e32 v[4:5], v[102:103]
	v_mov_b32_e32 v247, v252
	v_mov_b64_e32 v[6:7], v[104:105]
	;; [unrolled: 3-line block ×3, first 2 shown]
	v_mov_b64_e32 v[12:13], v[110:111]
	v_mov_b64_e32 v[14:15], v[112:113]
	v_mov_b32_e32 v17, v115
	v_mov_b32_e32 v18, v116
	;; [unrolled: 1-line block ×10, first 2 shown]
	scratch_store_dwordx4 off, v[0:3], off offset:1156 ; 16-byte Folded Spill
	s_nop 0
	scratch_store_dwordx4 off, v[4:7], off offset:1172 ; 16-byte Folded Spill
	scratch_store_dwordx4 off, v[8:11], off offset:1188 ; 16-byte Folded Spill
	scratch_store_dwordx4 off, v[12:15], off offset:1204 ; 16-byte Folded Spill
	scratch_store_dwordx4 off, v[16:19], off offset:1220 ; 16-byte Folded Spill
	scratch_store_dwordx4 off, v[20:23], off offset:1236 ; 16-byte Folded Spill
	scratch_store_dwordx4 off, v[24:27], off offset:1252 ; 16-byte Folded Spill
	scratch_store_dwordx4 off, v[28:31], off offset:1268 ; 16-byte Folded Spill
	v_mov_b32_e32 v235, v215
.LBB57_113:
	s_or_b64 exec, exec, s[2:3]
	v_cmp_eq_u32_e32 vcc, 22, v254
	s_waitcnt lgkmcnt(0)
	s_barrier
	s_and_saveexec_b64 s[2:3], vcc
	s_cbranch_execz .LBB57_116
; %bb.114:
	scratch_load_dwordx4 v[0:3], off, off offset:260 ; 16-byte Folded Reload
	scratch_load_dwordx4 v[4:7], off, off offset:276 ; 16-byte Folded Reload
	;; [unrolled: 1-line block ×8, first 2 shown]
	s_waitcnt vmcnt(2)
	ds_write_b32 v255, v22
	scratch_load_dwordx4 v[0:3], off, off offset:4 ; 16-byte Folded Reload
	scratch_load_dwordx4 v[4:7], off, off offset:20 ; 16-byte Folded Reload
	;; [unrolled: 1-line block ×8, first 2 shown]
	s_waitcnt vmcnt(1)
	ds_write2_b32 v250, v23, v24 offset0:23 offset1:24
	ds_write2_b32 v250, v25, v26 offset0:25 offset1:26
	s_waitcnt vmcnt(0)
	ds_write2_b32 v250, v27, v28 offset0:27 offset1:28
	ds_read_b32 v26, v255
	s_waitcnt lgkmcnt(0)
	v_cmp_neq_f32_e32 vcc, 0, v26
	s_and_b64 exec, exec, vcc
	s_cbranch_execz .LBB57_116
; %bb.115:
	v_div_scale_f32 v27, s[4:5], v26, v26, 1.0
	v_rcp_f32_e32 v28, v27
	v_div_scale_f32 v29, vcc, 1.0, v26, 1.0
	v_fma_f32 v30, -v27, v28, 1.0
	v_fmac_f32_e32 v28, v30, v28
	v_mul_f32_e32 v30, v29, v28
	v_fma_f32 v31, -v27, v30, v29
	v_fmac_f32_e32 v30, v31, v28
	v_fma_f32 v27, -v27, v30, v29
	v_div_fmas_f32 v27, v27, v28, v30
	v_div_fixup_f32 v26, v27, v26, 1.0
	ds_write_b32 v255, v26
.LBB57_116:
	s_or_b64 exec, exec, s[2:3]
	s_waitcnt lgkmcnt(0)
	s_barrier
	ds_read_b32 v88, v255
	v_cmp_lt_u32_e32 vcc, 22, v254
	s_and_saveexec_b64 s[2:3], vcc
	s_cbranch_execz .LBB57_118
; %bb.117:
	scratch_load_dwordx4 v[132:135], off, off offset:2564 ; 16-byte Folded Reload
	scratch_load_dwordx4 v[136:139], off, off offset:2580 ; 16-byte Folded Reload
	;; [unrolled: 1-line block ×16, first 2 shown]
	s_waitcnt vmcnt(7)
	ds_read2_b32 v[0:1], v250 offset0:23 offset1:24
	v_mov_b32_e32 v224, v132
	v_mov_b32_e32 v36, v136
	;; [unrolled: 1-line block ×13, first 2 shown]
	s_waitcnt vmcnt(2) lgkmcnt(1)
	v_mul_f32_e32 v154, v22, v88
	scratch_load_dwordx4 v[4:7], off, off offset:4 ; 16-byte Folded Reload
	scratch_load_dwordx4 v[8:11], off, off offset:20 ; 16-byte Folded Reload
	;; [unrolled: 1-line block ×8, first 2 shown]
	s_waitcnt vmcnt(7)
	ds_read2_b32 v[4:5], v250 offset0:25 offset1:26
	ds_read2_b32 v[6:7], v250 offset0:27 offset1:28
	s_waitcnt vmcnt(6)
	v_mov_b32_e32 v8, v140
	v_mov_b32_e32 v9, v141
	v_mov_b32_e32 v10, v142
	v_mov_b32_e32 v11, v143
	s_waitcnt vmcnt(5)
	v_mov_b32_e32 v12, v144
	v_mov_b32_e32 v13, v145
	v_mov_b32_e32 v14, v146
	v_mov_b32_e32 v15, v147
	;; [unrolled: 5-line block ×3, first 2 shown]
	s_waitcnt vmcnt(3)
	v_mov_b32_e32 v20, v152
	v_mov_b32_e32 v21, v153
	;; [unrolled: 1-line block ×3, first 2 shown]
	s_waitcnt vmcnt(0)
	v_mov_b32_e32 v33, v133
	v_mov_b32_e32 v34, v134
	;; [unrolled: 1-line block ×34, first 2 shown]
	s_waitcnt lgkmcnt(2)
	v_pk_fma_f32 v[26:27], v[154:155], v[0:1], v[2:3] op_sel_hi:[0,1,1] neg_lo:[1,0,0] neg_hi:[1,0,0]
	v_mov_b32_e32 v1, v30
	v_mov_b32_e32 v0, v29
	s_waitcnt lgkmcnt(1)
	v_pk_fma_f32 v[28:29], v[154:155], v[4:5], v[0:1] op_sel_hi:[0,1,1] neg_lo:[1,0,0] neg_hi:[1,0,0]
	v_mov_b32_e32 v1, v32
	v_mov_b32_e32 v0, v31
	;; [unrolled: 4-line block ×3, first 2 shown]
	v_mov_b32_e32 v2, v134
	v_mov_b32_e32 v3, v135
	;; [unrolled: 1-line block ×9, first 2 shown]
	scratch_store_dwordx4 off, v[0:3], off offset:900 ; 16-byte Folded Spill
	s_nop 0
	scratch_store_dwordx4 off, v[4:7], off offset:916 ; 16-byte Folded Spill
	scratch_store_dwordx4 off, v[8:11], off offset:932 ; 16-byte Folded Spill
	scratch_store_dwordx4 off, v[12:15], off offset:948 ; 16-byte Folded Spill
	scratch_store_dwordx4 off, v[16:19], off offset:964 ; 16-byte Folded Spill
	scratch_store_dwordx4 off, v[20:23], off offset:980 ; 16-byte Folded Spill
	scratch_store_dwordx4 off, v[24:27], off offset:996 ; 16-byte Folded Spill
	scratch_store_dwordx4 off, v[28:31], off offset:1012 ; 16-byte Folded Spill
	v_mov_b32_e32 v32, v132
	v_mov_b32_e32 v25, v28
	scratch_store_dwordx4 off, v[0:3], off offset:1796 ; 16-byte Folded Spill
	s_nop 0
	scratch_store_dwordx4 off, v[4:7], off offset:1812 ; 16-byte Folded Spill
	scratch_store_dwordx4 off, v[8:11], off offset:1828 ; 16-byte Folded Spill
	scratch_store_dwordx4 off, v[12:15], off offset:1844 ; 16-byte Folded Spill
	scratch_store_dwordx4 off, v[16:19], off offset:1860 ; 16-byte Folded Spill
	scratch_store_dwordx4 off, v[20:23], off offset:1876 ; 16-byte Folded Spill
	scratch_store_dwordx4 off, v[24:27], off offset:1892 ; 16-byte Folded Spill
	scratch_store_dwordx4 off, v[28:31], off offset:1908 ; 16-byte Folded Spill
	v_mov_b32_e32 v55, v26
	v_mov_b32_e32 v56, v27
	;; [unrolled: 1-line block ×10, first 2 shown]
	scratch_store_dwordx4 off, v[32:35], off offset:1156 ; 16-byte Folded Spill
	s_nop 0
	scratch_store_dwordx4 off, v[36:39], off offset:1172 ; 16-byte Folded Spill
	scratch_store_dwordx4 off, v[40:43], off offset:1188 ; 16-byte Folded Spill
	;; [unrolled: 1-line block ×8, first 2 shown]
	s_nop 0
	scratch_store_dwordx4 off, v[228:231], off offset:20 ; 16-byte Folded Spill
	scratch_store_dwordx4 off, v[232:235], off offset:36 ; 16-byte Folded Spill
	;; [unrolled: 1-line block ×7, first 2 shown]
	v_mov_b64_e32 v[246:247], v[30:31]
	scratch_store_dwordx4 off, v[132:135], off offset:1924 ; 16-byte Folded Spill
	s_nop 0
	scratch_store_dwordx4 off, v[136:139], off offset:1940 ; 16-byte Folded Spill
	scratch_store_dwordx4 off, v[140:143], off offset:1956 ; 16-byte Folded Spill
	scratch_store_dwordx4 off, v[144:147], off offset:1972 ; 16-byte Folded Spill
	scratch_store_dwordx4 off, v[148:151], off offset:1988 ; 16-byte Folded Spill
	scratch_store_dwordx4 off, v[152:155], off offset:2004 ; 16-byte Folded Spill
	scratch_store_dwordx4 off, v[156:159], off offset:2020 ; 16-byte Folded Spill
	scratch_store_dwordx4 off, v[160:163], off offset:2036 ; 16-byte Folded Spill
	scratch_store_dwordx4 off, v[132:135], off offset:1540 ; 16-byte Folded Spill
	s_nop 0
	scratch_store_dwordx4 off, v[136:139], off offset:1556 ; 16-byte Folded Spill
	scratch_store_dwordx4 off, v[140:143], off offset:1572 ; 16-byte Folded Spill
	;; [unrolled: 1-line block ×7, first 2 shown]
	v_mov_b32_e32 v97, v26
	scratch_store_dwordx4 off, v[0:3], off offset:1284 ; 16-byte Folded Spill
	s_nop 0
	scratch_store_dwordx4 off, v[4:7], off offset:1300 ; 16-byte Folded Spill
	scratch_store_dwordx4 off, v[8:11], off offset:1316 ; 16-byte Folded Spill
	;; [unrolled: 1-line block ×7, first 2 shown]
	v_mov_b32_e32 v250, v187
	v_mov_b32_e32 v235, v28
	v_mov_b32_e32 v180, v29
.LBB57_118:
	s_or_b64 exec, exec, s[2:3]
	v_cmp_eq_u32_e32 vcc, 23, v254
	s_waitcnt lgkmcnt(0)
	s_barrier
	s_and_saveexec_b64 s[2:3], vcc
	s_cbranch_execz .LBB57_121
; %bb.119:
	ds_write_b32 v255, v97
	scratch_load_dwordx4 v[0:3], off, off offset:4 ; 16-byte Folded Reload
	scratch_load_dwordx4 v[4:7], off, off offset:20 ; 16-byte Folded Reload
	;; [unrolled: 1-line block ×8, first 2 shown]
	s_waitcnt vmcnt(1)
	ds_write2_b32 v250, v24, v25 offset0:24 offset1:25
	ds_write2_b32 v250, v26, v27 offset0:26 offset1:27
	ds_write_b32 v250, v247 offset:112
	ds_read_b32 v26, v255
	s_waitcnt lgkmcnt(0)
	v_cmp_neq_f32_e32 vcc, 0, v26
	s_and_b64 exec, exec, vcc
	s_cbranch_execz .LBB57_121
; %bb.120:
	v_div_scale_f32 v27, s[4:5], v26, v26, 1.0
	s_waitcnt vmcnt(0)
	v_rcp_f32_e32 v28, v27
	v_div_scale_f32 v29, vcc, 1.0, v26, 1.0
	v_fma_f32 v30, -v27, v28, 1.0
	v_fmac_f32_e32 v28, v30, v28
	v_mul_f32_e32 v30, v29, v28
	v_fma_f32 v31, -v27, v30, v29
	v_fmac_f32_e32 v30, v31, v28
	v_fma_f32 v27, -v27, v30, v29
	v_div_fmas_f32 v27, v27, v28, v30
	v_div_fixup_f32 v26, v27, v26, 1.0
	ds_write_b32 v255, v26
.LBB57_121:
	s_or_b64 exec, exec, s[2:3]
	s_waitcnt lgkmcnt(0)
	s_barrier
	ds_read_b32 v65, v255
	v_cmp_lt_u32_e32 vcc, 23, v254
	s_and_saveexec_b64 s[2:3], vcc
	s_cbranch_execz .LBB57_123
; %bb.122:
	ds_read2_b32 v[0:1], v250 offset0:24 offset1:25
	scratch_load_dwordx4 v[28:31], off, off offset:4 ; 16-byte Folded Reload
	scratch_load_dwordx4 v[32:35], off, off offset:20 ; 16-byte Folded Reload
	;; [unrolled: 1-line block ×8, first 2 shown]
	ds_read2_b32 v[4:5], v250 offset0:26 offset1:27
	ds_read_b32 v6, v250 offset:112
	scratch_load_dwordx4 v[98:101], off, off offset:1540 ; 16-byte Folded Reload
	scratch_load_dwordx4 v[102:105], off, off offset:1556 ; 16-byte Folded Reload
	;; [unrolled: 1-line block ×8, first 2 shown]
	s_waitcnt lgkmcnt(3)
	v_mul_f32_e32 v26, v97, v65
	v_mov_b32_e32 v23, v26
	s_waitcnt vmcnt(2)
	v_mov_b32_e32 v121, v26
	s_waitcnt lgkmcnt(0)
	v_fma_f32 v64, -v26, v6, v247
	v_mov_b32_e32 v155, v26
	v_mov_b32_e32 v250, v187
	;; [unrolled: 1-line block ×6, first 2 shown]
	v_mov_b64_e32 v[28:29], v[52:53]
	v_mov_b64_e32 v[30:31], v[54:55]
	v_mov_b32_e32 v2, v28
	v_mov_b32_e32 v3, v29
	v_pk_fma_f32 v[156:157], v[26:27], v[0:1], v[2:3] op_sel_hi:[0,1,1] neg_lo:[1,0,0] neg_hi:[1,0,0]
	v_mov_b32_e32 v0, v30
	v_mov_b32_e32 v1, v31
	v_pk_fma_f32 v[216:217], v[26:27], v[4:5], v[0:1] op_sel_hi:[0,1,1] neg_lo:[1,0,0] neg_hi:[1,0,0]
	v_mov_b32_e32 v0, v98
	v_mov_b32_e32 v1, v99
	;; [unrolled: 1-line block ×22, first 2 shown]
	scratch_store_dwordx4 off, v[0:3], off offset:1796 ; 16-byte Folded Spill
	s_nop 0
	scratch_store_dwordx4 off, v[4:7], off offset:1812 ; 16-byte Folded Spill
	scratch_store_dwordx4 off, v[8:11], off offset:1828 ; 16-byte Folded Spill
	;; [unrolled: 1-line block ×7, first 2 shown]
	v_mov_b32_e32 v133, v99
	v_mov_b32_e32 v134, v100
	;; [unrolled: 1-line block ×76, first 2 shown]
	scratch_store_dwordx4 off, v[36:39], off offset:4 ; 16-byte Folded Spill
	s_nop 0
	scratch_store_dwordx4 off, v[40:43], off offset:20 ; 16-byte Folded Spill
	scratch_store_dwordx4 off, v[44:47], off offset:36 ; 16-byte Folded Spill
	;; [unrolled: 1-line block ×8, first 2 shown]
	s_nop 0
	scratch_store_dwordx4 off, v[102:105], off offset:1940 ; 16-byte Folded Spill
	scratch_store_dwordx4 off, v[106:109], off offset:1956 ; 16-byte Folded Spill
	;; [unrolled: 1-line block ×5, first 2 shown]
	s_waitcnt vmcnt(23)
	scratch_store_dwordx4 off, v[122:125], off offset:2020 ; 16-byte Folded Spill
	s_waitcnt vmcnt(23)
	scratch_store_dwordx4 off, v[126:129], off offset:2036 ; 16-byte Folded Spill
	scratch_store_dwordx4 off, v[0:3], off offset:1284 ; 16-byte Folded Spill
	s_nop 0
	scratch_store_dwordx4 off, v[4:7], off offset:1300 ; 16-byte Folded Spill
	scratch_store_dwordx4 off, v[8:11], off offset:1316 ; 16-byte Folded Spill
	;; [unrolled: 1-line block ×8, first 2 shown]
	s_nop 0
	scratch_store_dwordx4 off, v[136:139], off offset:916 ; 16-byte Folded Spill
	scratch_store_dwordx4 off, v[140:143], off offset:932 ; 16-byte Folded Spill
	scratch_store_dwordx4 off, v[144:147], off offset:948 ; 16-byte Folded Spill
	scratch_store_dwordx4 off, v[148:151], off offset:964 ; 16-byte Folded Spill
	scratch_store_dwordx4 off, v[152:155], off offset:980 ; 16-byte Folded Spill
	scratch_store_dwordx4 off, v[156:159], off offset:996 ; 16-byte Folded Spill
	scratch_store_dwordx4 off, v[160:163], off offset:1012 ; 16-byte Folded Spill
	v_mov_b64_e32 v[0:1], v[190:191]
	v_mov_b32_e32 v16, v206
	v_mov_b32_e32 v246, v217
	v_mov_b64_e32 v[2:3], v[192:193]
	v_mov_b64_e32 v[4:5], v[194:195]
	;; [unrolled: 1-line block ×7, first 2 shown]
	v_mov_b32_e32 v17, v207
	v_mov_b32_e32 v18, v208
	;; [unrolled: 1-line block ×11, first 2 shown]
	scratch_store_dwordx4 off, v[0:3], off offset:1156 ; 16-byte Folded Spill
	s_nop 0
	scratch_store_dwordx4 off, v[4:7], off offset:1172 ; 16-byte Folded Spill
	scratch_store_dwordx4 off, v[8:11], off offset:1188 ; 16-byte Folded Spill
	scratch_store_dwordx4 off, v[12:15], off offset:1204 ; 16-byte Folded Spill
	scratch_store_dwordx4 off, v[16:19], off offset:1220 ; 16-byte Folded Spill
	scratch_store_dwordx4 off, v[20:23], off offset:1236 ; 16-byte Folded Spill
	scratch_store_dwordx4 off, v[24:27], off offset:1252 ; 16-byte Folded Spill
	scratch_store_dwordx4 off, v[28:31], off offset:1268 ; 16-byte Folded Spill
	v_mov_b32_e32 v247, v64
	v_mov_b32_e32 v235, v157
.LBB57_123:
	s_or_b64 exec, exec, s[2:3]
	s_waitcnt lgkmcnt(0)
	s_barrier
	v_cmp_eq_u32_e32 vcc, 24, v254
	s_mov_b64 s[2:3], exec
	scratch_load_dwordx4 v[130:133], off, off offset:4 ; 16-byte Folded Reload
	scratch_load_dwordx4 v[134:137], off, off offset:20 ; 16-byte Folded Reload
	;; [unrolled: 1-line block ×8, first 2 shown]
	s_and_b64 s[4:5], s[2:3], vcc
	s_mov_b64 exec, s[4:5]
	s_cbranch_execz .LBB57_126
; %bb.124:
	scratch_load_dwordx4 v[0:3], off, off offset:1284 ; 16-byte Folded Reload
	scratch_load_dwordx4 v[4:7], off, off offset:1300 ; 16-byte Folded Reload
	scratch_load_dwordx4 v[8:11], off, off offset:1316 ; 16-byte Folded Reload
	scratch_load_dwordx4 v[12:15], off, off offset:1332 ; 16-byte Folded Reload
	scratch_load_dwordx4 v[16:19], off, off offset:1348 ; 16-byte Folded Reload
	scratch_load_dwordx4 v[20:23], off, off offset:1364 ; 16-byte Folded Reload
	scratch_load_dwordx4 v[24:27], off, off offset:1380 ; 16-byte Folded Reload
	scratch_load_dwordx4 v[28:31], off, off offset:1396 ; 16-byte Folded Reload
	s_waitcnt vmcnt(1)
	ds_write_b32 v255, v24
	ds_write2_b32 v250, v155, v156 offset0:25 offset1:26
	ds_write2_b32 v250, v157, v158 offset0:27 offset1:28
	ds_read_b32 v26, v255
	s_waitcnt lgkmcnt(0)
	v_cmp_neq_f32_e32 vcc, 0, v26
	s_and_b64 exec, exec, vcc
	s_cbranch_execz .LBB57_126
; %bb.125:
	v_div_scale_f32 v27, s[4:5], v26, v26, 1.0
	s_waitcnt vmcnt(0)
	v_rcp_f32_e32 v28, v27
	v_div_scale_f32 v29, vcc, 1.0, v26, 1.0
	v_fma_f32 v30, -v27, v28, 1.0
	v_fmac_f32_e32 v28, v30, v28
	v_mul_f32_e32 v30, v29, v28
	v_fma_f32 v31, -v27, v30, v29
	v_fmac_f32_e32 v30, v31, v28
	v_fma_f32 v27, -v27, v30, v29
	v_div_fmas_f32 v27, v27, v28, v30
	v_div_fixup_f32 v26, v27, v26, 1.0
	ds_write_b32 v255, v26
.LBB57_126:
	s_or_b64 exec, exec, s[2:3]
	s_waitcnt lgkmcnt(0)
	s_barrier
	ds_read_b32 v58, v255
	v_cmp_lt_u32_e32 vcc, 24, v254
	s_and_saveexec_b64 s[2:3], vcc
	s_cbranch_execz .LBB57_128
; %bb.127:
	ds_read2_b32 v[0:1], v250 offset0:25 offset1:26
	scratch_load_dwordx4 v[98:101], off, off offset:1284 ; 16-byte Folded Reload
	scratch_load_dwordx4 v[102:105], off, off offset:1300 ; 16-byte Folded Reload
	;; [unrolled: 1-line block ×16, first 2 shown]
	s_movk_i32 s4, 0x1688
	s_waitcnt vmcnt(9) lgkmcnt(1)
	v_mul_f32_e32 v54, v122, v58
	s_waitcnt vmcnt(1)
	v_mov_b32_e32 v26, v54
	v_mov_b32_e32 v248, v54
	s_waitcnt vmcnt(0)
	v_mov_b64_e32 v[44:45], v[16:17]
	v_mov_b64_e32 v[42:43], v[14:15]
	v_mov_b64_e32 v[40:41], v[12:13]
	v_mov_b64_e32 v[38:39], v[10:11]
	v_mov_b64_e32 v[36:37], v[8:9]
	v_mov_b64_e32 v[34:35], v[6:7]
	v_mov_b64_e32 v[32:33], v[4:5]
	v_mov_b64_e32 v[30:31], v[2:3]
	ds_read2_b32 v[4:5], v250 offset0:27 offset1:28
	v_mov_b32_e32 v3, v156
	v_mov_b32_e32 v2, v155
	s_waitcnt lgkmcnt(1)
	v_pk_fma_f32 v[60:61], v[54:55], v[0:1], v[2:3] op_sel_hi:[0,1,1] neg_lo:[1,0,0] neg_hi:[1,0,0]
	v_mov_b32_e32 v1, v158
	v_mov_b32_e32 v0, v157
	v_mov_b64_e32 v[52:53], v[24:25]
	s_waitcnt lgkmcnt(0)
	v_pk_fma_f32 v[0:1], v[54:55], v[4:5], v[0:1] op_sel_hi:[0,1,1] neg_lo:[1,0,0] neg_hi:[1,0,0]
	v_mov_b32_e32 v2, v30
	v_mov_b32_e32 v3, v31
	;; [unrolled: 1-line block ×18, first 2 shown]
	v_mov_b64_e32 v[50:51], v[22:23]
	v_mov_b64_e32 v[48:49], v[20:21]
	;; [unrolled: 1-line block ×3, first 2 shown]
	scratch_store_dwordx4 off, v[2:5], off offset:1156 ; 16-byte Folded Spill
	s_nop 0
	scratch_store_dwordx4 off, v[6:9], off offset:1172 ; 16-byte Folded Spill
	scratch_store_dwordx4 off, v[10:13], off offset:1188 ; 16-byte Folded Spill
	scratch_store_dwordx4 off, v[14:17], off offset:1204 ; 16-byte Folded Spill
	scratch_store_dwordx4 off, v[18:21], off offset:1220 ; 16-byte Folded Spill
	scratch_store_dwordx4 off, v[22:25], off offset:1236 ; 16-byte Folded Spill
	scratch_store_dwordx4 off, v[26:29], off offset:1252 ; 16-byte Folded Spill
	scratch_store_dwordx4 off, v[30:33], off offset:1268 ; 16-byte Folded Spill
	v_mov_b32_e32 v55, v60
	v_mov_b32_e32 v228, v34
	;; [unrolled: 1-line block ×29, first 2 shown]
	v_mov_b64_e32 v[130:131], v[224:225]
	scratch_store_dwordx4 off, v[30:33], off offset:1796 ; 16-byte Folded Spill
	s_nop 0
	scratch_store_dwordx4 off, v[34:37], off offset:1812 ; 16-byte Folded Spill
	scratch_store_dwordx4 off, v[38:41], off offset:1828 ; 16-byte Folded Spill
	;; [unrolled: 1-line block ×8, first 2 shown]
	s_nop 0
	scratch_store_dwordx4 off, v[34:37], off offset:916 ; 16-byte Folded Spill
	scratch_store_dwordx4 off, v[38:41], off offset:932 ; 16-byte Folded Spill
	scratch_store_dwordx4 off, v[42:45], off offset:948 ; 16-byte Folded Spill
	scratch_store_dwordx4 off, v[46:49], off offset:964 ; 16-byte Folded Spill
	scratch_store_dwordx4 off, v[50:53], off offset:980 ; 16-byte Folded Spill
	scratch_store_dwordx4 off, v[54:57], off offset:996 ; 16-byte Folded Spill
	scratch_store_dwordx4 off, v[58:61], off offset:1012 ; 16-byte Folded Spill
	v_mov_b64_e32 v[132:133], v[226:227]
	v_mov_b64_e32 v[134:135], v[228:229]
	;; [unrolled: 1-line block ×15, first 2 shown]
	scratch_load_dword v255, off, s4        ; 4-byte Folded Reload
	s_movk_i32 s4, 0x1684
	scratch_load_dword v254, off, s4        ; 4-byte Folded Reload
	v_mov_b64_e32 v[246:247], v[0:1]
	v_mov_b32_e32 v250, v187
	v_mov_b32_e32 v235, v60
	v_mov_b32_e32 v180, v61
.LBB57_128:
	s_or_b64 exec, exec, s[2:3]
	s_waitcnt vmcnt(0)
	v_cmp_eq_u32_e32 vcc, 25, v254
	s_waitcnt lgkmcnt(0)
	s_barrier
	s_and_saveexec_b64 s[2:3], vcc
	s_cbranch_execz .LBB57_131
; %bb.129:
	ds_write_b32 v255, v235
	ds_write2_b32 v250, v156, v157 offset0:26 offset1:27
	ds_write_b32 v250, v247 offset:112
	ds_read_b32 v26, v255
	s_waitcnt lgkmcnt(0)
	v_cmp_neq_f32_e32 vcc, 0, v26
	s_and_b64 exec, exec, vcc
	s_cbranch_execz .LBB57_131
; %bb.130:
	v_div_scale_f32 v27, s[4:5], v26, v26, 1.0
	v_rcp_f32_e32 v28, v27
	v_div_scale_f32 v29, vcc, 1.0, v26, 1.0
	v_fma_f32 v30, -v27, v28, 1.0
	v_fmac_f32_e32 v28, v30, v28
	v_mul_f32_e32 v30, v29, v28
	v_fma_f32 v31, -v27, v30, v29
	v_fmac_f32_e32 v30, v31, v28
	v_fma_f32 v27, -v27, v30, v29
	v_div_fmas_f32 v27, v27, v28, v30
	v_div_fixup_f32 v26, v27, v26, 1.0
	ds_write_b32 v255, v26
.LBB57_131:
	s_or_b64 exec, exec, s[2:3]
	s_waitcnt lgkmcnt(0)
	s_barrier
	ds_read_b32 v33, v255
	v_cmp_lt_u32_e32 vcc, 25, v254
	s_and_saveexec_b64 s[2:3], vcc
	s_cbranch_execz .LBB57_133
; %bb.132:
	ds_read2_b32 v[0:1], v250 offset0:26 offset1:27
	ds_read_b32 v3, v250 offset:112
	scratch_load_dwordx4 v[190:193], off, off offset:900 ; 16-byte Folded Reload
	scratch_load_dwordx4 v[194:197], off, off offset:916 ; 16-byte Folded Reload
	;; [unrolled: 1-line block ×8, first 2 shown]
	s_waitcnt lgkmcnt(2)
	v_mul_f32_e32 v2, v235, v33
	v_mov_b32_e32 v4, v156
	v_mov_b32_e32 v5, v157
	s_waitcnt lgkmcnt(0)
	v_pk_fma_f32 v[124:125], v[2:3], v[0:1], v[4:5] op_sel_hi:[0,1,1] neg_lo:[1,0,0] neg_hi:[1,0,0]
	s_waitcnt vmcnt(1)
	v_mov_b32_e32 v215, v2
	v_mov_b32_e32 v123, v2
	;; [unrolled: 1-line block ×5, first 2 shown]
	v_fma_f32 v32, -v2, v3, v247
	v_mov_b32_e32 v29, v2
	v_mov_b32_e32 v250, v187
	;; [unrolled: 1-line block ×53, first 2 shown]
	scratch_store_dwordx4 off, v[190:193], off offset:1796 ; 16-byte Folded Spill
	s_nop 0
	scratch_store_dwordx4 off, v[194:197], off offset:1812 ; 16-byte Folded Spill
	scratch_store_dwordx4 off, v[198:201], off offset:1828 ; 16-byte Folded Spill
	;; [unrolled: 1-line block ×6, first 2 shown]
	s_waitcnt vmcnt(7)
	scratch_store_dwordx4 off, v[218:221], off offset:1908 ; 16-byte Folded Spill
	scratch_store_dwordx4 off, v[98:101], off offset:1156 ; 16-byte Folded Spill
	s_nop 0
	scratch_store_dwordx4 off, v[102:105], off offset:1172 ; 16-byte Folded Spill
	scratch_store_dwordx4 off, v[106:109], off offset:1188 ; 16-byte Folded Spill
	scratch_store_dwordx4 off, v[110:113], off offset:1204 ; 16-byte Folded Spill
	scratch_store_dwordx4 off, v[114:117], off offset:1220 ; 16-byte Folded Spill
	scratch_store_dwordx4 off, v[118:121], off offset:1236 ; 16-byte Folded Spill
	scratch_store_dwordx4 off, v[122:125], off offset:1252 ; 16-byte Folded Spill
	scratch_store_dwordx4 off, v[126:129], off offset:1268 ; 16-byte Folded Spill
	v_mov_b64_e32 v[160:161], v[34:35]
	v_mov_b64_e32 v[158:159], v[32:33]
	v_mov_b64_e32 v[156:157], v[30:31]
	v_mov_b64_e32 v[154:155], v[28:29]
	v_mov_b64_e32 v[152:153], v[26:27]
	v_mov_b64_e32 v[150:151], v[24:25]
	v_mov_b64_e32 v[148:149], v[22:23]
	v_mov_b64_e32 v[146:147], v[20:21]
	v_mov_b64_e32 v[144:145], v[18:19]
	v_mov_b64_e32 v[142:143], v[16:17]
	v_mov_b64_e32 v[140:141], v[14:15]
	v_mov_b64_e32 v[138:139], v[12:13]
	v_mov_b64_e32 v[136:137], v[10:11]
	v_mov_b64_e32 v[134:135], v[8:9]
	v_mov_b64_e32 v[132:133], v[6:7]
	v_mov_b64_e32 v[130:131], v[4:5]
	v_mov_b32_e32 v246, v125
.LBB57_133:
	s_or_b64 exec, exec, s[2:3]
	v_cmp_eq_u32_e32 vcc, 26, v254
	s_waitcnt lgkmcnt(0)
	s_barrier
	s_and_saveexec_b64 s[2:3], vcc
	s_cbranch_execz .LBB57_136
; %bb.134:
	ds_write_b32 v255, v180
	ds_write2_b32 v250, v157, v158 offset0:27 offset1:28
	ds_read_b32 v26, v255
	s_waitcnt lgkmcnt(0)
	v_cmp_neq_f32_e32 vcc, 0, v26
	s_and_b64 exec, exec, vcc
	s_cbranch_execz .LBB57_136
; %bb.135:
	v_div_scale_f32 v27, s[4:5], v26, v26, 1.0
	v_rcp_f32_e32 v28, v27
	v_div_scale_f32 v29, vcc, 1.0, v26, 1.0
	v_fma_f32 v30, -v27, v28, 1.0
	v_fmac_f32_e32 v28, v30, v28
	v_mul_f32_e32 v30, v29, v28
	v_fma_f32 v31, -v27, v30, v29
	v_fmac_f32_e32 v30, v31, v28
	v_fma_f32 v27, -v27, v30, v29
	v_div_fmas_f32 v27, v27, v28, v30
	v_div_fixup_f32 v26, v27, v26, 1.0
	ds_write_b32 v255, v26
.LBB57_136:
	s_or_b64 exec, exec, s[2:3]
	s_waitcnt lgkmcnt(0)
	s_barrier
	ds_read_b32 v29, v255
	v_cmp_lt_u32_e32 vcc, 26, v254
	s_and_saveexec_b64 s[2:3], vcc
	s_cbranch_execz .LBB57_138
; %bb.137:
	ds_read2_b32 v[30:31], v250 offset0:27 offset1:28
	scratch_load_dwordx4 v[98:101], off, off offset:1796 ; 16-byte Folded Reload
	scratch_load_dwordx4 v[102:105], off, off offset:1812 ; 16-byte Folded Reload
	scratch_load_dwordx4 v[106:109], off, off offset:1828 ; 16-byte Folded Reload
	scratch_load_dwordx4 v[110:113], off, off offset:1844 ; 16-byte Folded Reload
	scratch_load_dwordx4 v[114:117], off, off offset:1860 ; 16-byte Folded Reload
	scratch_load_dwordx4 v[118:121], off, off offset:1876 ; 16-byte Folded Reload
	scratch_load_dwordx4 v[122:125], off, off offset:1892 ; 16-byte Folded Reload
	scratch_load_dwordx4 v[126:129], off, off offset:1908 ; 16-byte Folded Reload
	s_waitcnt vmcnt(1) lgkmcnt(1)
	v_mul_f32_e32 v124, v180, v29
	v_mov_b32_e32 v35, v158
	v_mov_b32_e32 v34, v157
	;; [unrolled: 1-line block ×3, first 2 shown]
	s_waitcnt lgkmcnt(0)
	v_pk_fma_f32 v[30:31], v[124:125], v[30:31], v[34:35] op_sel_hi:[0,1,1] neg_lo:[1,0,0] neg_hi:[1,0,0]
	v_mov_b32_e32 v125, v30
	s_waitcnt vmcnt(0)
	v_mov_b32_e32 v126, v31
	v_mov_b64_e32 v[160:161], v[128:129]
	v_mov_b64_e32 v[158:159], v[126:127]
	;; [unrolled: 1-line block ×17, first 2 shown]
	scratch_store_dwordx4 off, v[98:101], off offset:1156 ; 16-byte Folded Spill
	s_nop 0
	scratch_store_dwordx4 off, v[102:105], off offset:1172 ; 16-byte Folded Spill
	scratch_store_dwordx4 off, v[106:109], off offset:1188 ; 16-byte Folded Spill
	;; [unrolled: 1-line block ×7, first 2 shown]
.LBB57_138:
	s_or_b64 exec, exec, s[2:3]
	v_cmp_eq_u32_e32 vcc, 27, v254
	s_waitcnt lgkmcnt(0)
	s_barrier
	s_and_saveexec_b64 s[2:3], vcc
	s_cbranch_execz .LBB57_141
; %bb.139:
	ds_write_b32 v255, v246
	ds_write_b32 v250, v247 offset:112
	ds_read_b32 v0, v255
	s_waitcnt lgkmcnt(0)
	v_cmp_neq_f32_e32 vcc, 0, v0
	s_and_b64 exec, exec, vcc
	s_cbranch_execz .LBB57_141
; %bb.140:
	v_div_scale_f32 v1, s[4:5], v0, v0, 1.0
	v_rcp_f32_e32 v2, v1
	v_div_scale_f32 v3, vcc, 1.0, v0, 1.0
	v_fma_f32 v4, -v1, v2, 1.0
	v_fmac_f32_e32 v2, v4, v2
	v_mul_f32_e32 v4, v3, v2
	v_fma_f32 v5, -v1, v4, v3
	v_fmac_f32_e32 v4, v5, v2
	v_fma_f32 v1, -v1, v4, v3
	v_div_fmas_f32 v1, v1, v2, v4
	v_div_fixup_f32 v0, v1, v0, 1.0
	ds_write_b32 v255, v0
.LBB57_141:
	s_or_b64 exec, exec, s[2:3]
	s_waitcnt lgkmcnt(0)
	s_barrier
	ds_read_b32 v2, v255
	v_cmp_lt_u32_e32 vcc, 27, v254
	s_and_saveexec_b64 s[2:3], vcc
	s_cbranch_execz .LBB57_143
; %bb.142:
	ds_read_b32 v0, v250 offset:112
	scratch_load_dwordx4 v[98:101], off, off offset:1156 ; 16-byte Folded Reload
	scratch_load_dwordx4 v[102:105], off, off offset:1172 ; 16-byte Folded Reload
	;; [unrolled: 1-line block ×8, first 2 shown]
	s_waitcnt vmcnt(1) lgkmcnt(1)
	v_mul_f32_e32 v125, v246, v2
	s_waitcnt vmcnt(0) lgkmcnt(0)
	v_fma_f32 v126, -v125, v0, v247
	v_mov_b32_e32 v247, v126
	v_mov_b64_e32 v[160:161], v[128:129]
	v_mov_b64_e32 v[158:159], v[126:127]
	;; [unrolled: 1-line block ×16, first 2 shown]
.LBB57_143:
	s_or_b64 exec, exec, s[2:3]
	v_cmp_eq_u32_e32 vcc, 28, v254
	s_waitcnt lgkmcnt(0)
	s_barrier
	s_and_saveexec_b64 s[2:3], vcc
	s_cbranch_execz .LBB57_146
; %bb.144:
	v_cmp_neq_f32_e32 vcc, 0, v247
	ds_write_b32 v255, v247
	s_and_b64 exec, exec, vcc
	s_cbranch_execz .LBB57_146
; %bb.145:
	v_div_scale_f32 v0, s[4:5], v247, v247, 1.0
	v_rcp_f32_e32 v1, v0
	v_div_scale_f32 v3, vcc, 1.0, v247, 1.0
	v_fma_f32 v4, -v0, v1, 1.0
	v_fmac_f32_e32 v1, v4, v1
	v_mul_f32_e32 v4, v3, v1
	v_fma_f32 v5, -v0, v4, v3
	v_fmac_f32_e32 v4, v5, v1
	v_fma_f32 v0, -v0, v4, v3
	v_div_fmas_f32 v0, v0, v1, v4
	v_div_fixup_f32 v0, v0, v247, 1.0
	ds_write_b32 v255, v0
.LBB57_146:
	s_or_b64 exec, exec, s[2:3]
	s_waitcnt lgkmcnt(0)
	s_barrier
	ds_read_b32 v3, v255
	s_waitcnt lgkmcnt(0)
	s_barrier
	s_and_saveexec_b64 s[2:3], s[0:1]
	s_cbranch_execz .LBB57_149
; %bb.147:
	s_movk_i32 s0, 0x17f4
	scratch_load_dword v0, off, s0          ; 4-byte Folded Reload
	s_movk_i32 s0, 0x17f8
	scratch_load_dword v1, off, s0          ; 4-byte Folded Reload
	s_waitcnt vmcnt(1)
	v_cmp_eq_f32_e32 vcc, 0, v0
	s_nop 1
	v_cndmask_b32_e64 v0, 0, 1, vcc
	s_waitcnt vmcnt(0)
	v_cmp_neq_f32_e64 s[0:1], 0, v1
	scratch_load_dword v1, off, off offset:3716 ; 4-byte Folded Reload
	s_or_b64 vcc, s[0:1], vcc
	v_cndmask_b32_e32 v0, 2, v0, vcc
	v_cmp_eq_u32_e64 s[0:1], 0, v0
	s_waitcnt vmcnt(0)
	v_cmp_eq_f32_e32 vcc, 0, v1
	scratch_load_dword v1, off, off offset:3844 ; 4-byte Folded Reload
	s_and_b64 s[0:1], vcc, s[0:1]
	v_cndmask_b32_e64 v0, v0, 3, s[0:1]
	v_cmp_eq_u32_e64 s[0:1], 0, v0
	s_waitcnt vmcnt(0)
	v_cmp_eq_f32_e32 vcc, 0, v1
	scratch_load_dword v1, off, off offset:3972 ; 4-byte Folded Reload
	s_and_b64 s[0:1], vcc, s[0:1]
	v_cndmask_b32_e64 v0, v0, 4, s[0:1]
	v_cmp_eq_u32_e64 s[0:1], 0, v0
	s_waitcnt vmcnt(0)
	v_cmp_eq_f32_e32 vcc, 0, v1
	s_and_b64 s[0:1], vcc, s[0:1]
	v_cndmask_b32_e64 v0, v0, 5, s[0:1]
	s_movk_i32 s0, 0x1004
	scratch_load_dword v1, off, s0          ; 4-byte Folded Reload
	v_cmp_eq_u32_e64 s[0:1], 0, v0
	s_waitcnt vmcnt(0)
	v_cmp_eq_f32_e32 vcc, 0, v1
	s_and_b64 s[0:1], vcc, s[0:1]
	v_cndmask_b32_e64 v0, v0, 6, s[0:1]
	s_movk_i32 s0, 0x1104
	scratch_load_dword v1, off, s0          ; 4-byte Folded Reload
	v_cmp_eq_u32_e64 s[0:1], 0, v0
	s_waitcnt vmcnt(0)
	v_cmp_eq_f32_e32 vcc, 0, v1
	scratch_load_dword v1, off, off offset:2052 ; 4-byte Folded Reload
	s_and_b64 s[0:1], vcc, s[0:1]
	v_cndmask_b32_e64 v0, v0, 7, s[0:1]
	v_cmp_eq_f32_e32 vcc, 0, v253
	v_cmp_eq_u32_e64 s[0:1], 0, v0
	s_and_b64 s[0:1], vcc, s[0:1]
	s_waitcnt vmcnt(0)
	v_cmp_eq_f32_e32 vcc, 0, v1
	v_cndmask_b32_e64 v0, v0, 8, s[0:1]
	v_cmp_eq_u32_e64 s[0:1], 0, v0
	s_and_b64 s[0:1], vcc, s[0:1]
	v_mov_b32_e32 v1, s7
	v_cndmask_b32_e64 v4, v0, 9, s[0:1]
	s_movk_i32 s0, 0x17fc
	v_mov_b32_e32 v0, s6
	scratch_load_dwordx2 v[6:7], off, s0    ; 8-byte Folded Reload
	v_cmp_eq_f32_e32 vcc, 0, v84
	v_cmp_eq_u32_e64 s[0:1], 0, v4
	s_and_b64 s[0:1], vcc, s[0:1]
	s_waitcnt vmcnt(0)
	v_lshl_add_u64 v[0:1], v[6:7], 2, v[0:1]
	scratch_load_dword v6, off, off offset:3204 ; 4-byte Folded Reload
	v_cndmask_b32_e64 v4, v4, 10, s[0:1]
	v_cmp_eq_u32_e64 s[0:1], 0, v4
	global_load_dword v5, v[0:1], off
	s_waitcnt vmcnt(1)
	v_cmp_eq_f32_e32 vcc, 0, v6
	scratch_load_dword v6, off, off offset:3588 ; 4-byte Folded Reload
	s_and_b64 s[0:1], vcc, s[0:1]
	v_cndmask_b32_e64 v4, v4, 11, s[0:1]
	v_cmp_eq_u32_e64 s[0:1], 0, v4
	s_waitcnt vmcnt(0)
	v_cmp_eq_f32_e32 vcc, 0, v6
	scratch_load_dword v6, off, off offset:3460 ; 4-byte Folded Reload
	s_and_b64 s[0:1], vcc, s[0:1]
	v_cndmask_b32_e64 v4, v4, 12, s[0:1]
	v_cmp_eq_u32_e64 s[0:1], 0, v4
	s_waitcnt vmcnt(0)
	v_cmp_eq_f32_e32 vcc, 0, v6
	s_and_b64 s[0:1], vcc, s[0:1]
	v_cndmask_b32_e64 v4, v4, 13, s[0:1]
	v_cmp_eq_f32_e32 vcc, 0, v186
	v_cmp_eq_u32_e64 s[0:1], 0, v4
	s_and_b64 s[0:1], vcc, s[0:1]
	v_cmp_eq_f32_e32 vcc, 0, v188
	v_cndmask_b32_e64 v4, v4, 14, s[0:1]
	v_cmp_eq_u32_e64 s[0:1], 0, v4
	s_and_b64 s[0:1], vcc, s[0:1]
	v_cmp_eq_f32_e32 vcc, 0, v181
	v_cndmask_b32_e64 v4, v4, 15, s[0:1]
	;; [unrolled: 4-line block ×15, first 2 shown]
	v_cmp_eq_u32_e64 s[0:1], 0, v2
	s_and_b64 s[0:1], vcc, s[0:1]
	v_cmp_eq_u32_e32 vcc, 0, v5
	v_cndmask_b32_e64 v2, v2, 29, s[0:1]
	v_cmp_ne_u32_e64 s[0:1], 0, v2
	s_and_b64 s[0:1], vcc, s[0:1]
	s_and_b64 exec, exec, s[0:1]
	s_cbranch_execz .LBB57_149
; %bb.148:
	v_add_u32_e32 v2, s9, v2
	global_store_dword v[0:1], v2, off
.LBB57_149:
	s_or_b64 exec, exec, s[2:3]
	s_movk_i32 s0, 0x170c
	v_mul_f32_e32 v0, v247, v3
	scratch_load_dwordx2 v[2:3], off, s0    ; 8-byte Folded Reload
	s_movk_i32 s0, 0x17ec
	v_cmp_lt_u32_e32 vcc, 28, v254
	s_waitcnt vmcnt(0)
	global_store_dword v[2:3], v130, off
	scratch_load_dwordx2 v[2:3], off, s0    ; 8-byte Folded Reload
	s_movk_i32 s0, 0x1714
	v_cndmask_b32_e32 v0, v158, v0, vcc
	s_waitcnt vmcnt(0)
	global_store_dword v[2:3], v131, off
	scratch_load_dwordx2 v[2:3], off, s0    ; 8-byte Folded Reload
	s_movk_i32 s0, 0x171c
	s_waitcnt vmcnt(0)
	global_store_dword v[2:3], v132, off
	scratch_load_dwordx2 v[2:3], off, s0    ; 8-byte Folded Reload
	s_movk_i32 s0, 0x1724
	;; [unrolled: 4-line block ×26, first 2 shown]
	s_waitcnt vmcnt(0)
	global_store_dword v[2:3], v157, off
	scratch_load_dwordx2 v[2:3], off, s0    ; 8-byte Folded Reload
	s_waitcnt vmcnt(0)
	global_store_dword v[2:3], v0, off
.LBB57_150:
	s_endpgm
	.section	.rodata,"a",@progbits
	.p2align	6, 0x0
	.amdhsa_kernel _ZN9rocsolver6v33100L23getf2_npvt_small_kernelILi29EfiiPfEEvT1_T3_lS3_lPT2_S3_S3_
		.amdhsa_group_segment_fixed_size 0
		.amdhsa_private_segment_fixed_size 6148
		.amdhsa_kernarg_size 312
		.amdhsa_user_sgpr_count 2
		.amdhsa_user_sgpr_dispatch_ptr 0
		.amdhsa_user_sgpr_queue_ptr 0
		.amdhsa_user_sgpr_kernarg_segment_ptr 1
		.amdhsa_user_sgpr_dispatch_id 0
		.amdhsa_user_sgpr_kernarg_preload_length 0
		.amdhsa_user_sgpr_kernarg_preload_offset 0
		.amdhsa_user_sgpr_private_segment_size 0
		.amdhsa_uses_dynamic_stack 0
		.amdhsa_enable_private_segment 1
		.amdhsa_system_sgpr_workgroup_id_x 1
		.amdhsa_system_sgpr_workgroup_id_y 1
		.amdhsa_system_sgpr_workgroup_id_z 0
		.amdhsa_system_sgpr_workgroup_info 0
		.amdhsa_system_vgpr_workitem_id 1
		.amdhsa_next_free_vgpr 256
		.amdhsa_next_free_sgpr 16
		.amdhsa_accum_offset 256
		.amdhsa_reserve_vcc 1
		.amdhsa_float_round_mode_32 0
		.amdhsa_float_round_mode_16_64 0
		.amdhsa_float_denorm_mode_32 3
		.amdhsa_float_denorm_mode_16_64 3
		.amdhsa_dx10_clamp 1
		.amdhsa_ieee_mode 1
		.amdhsa_fp16_overflow 0
		.amdhsa_tg_split 0
		.amdhsa_exception_fp_ieee_invalid_op 0
		.amdhsa_exception_fp_denorm_src 0
		.amdhsa_exception_fp_ieee_div_zero 0
		.amdhsa_exception_fp_ieee_overflow 0
		.amdhsa_exception_fp_ieee_underflow 0
		.amdhsa_exception_fp_ieee_inexact 0
		.amdhsa_exception_int_div_zero 0
	.end_amdhsa_kernel
	.section	.text._ZN9rocsolver6v33100L23getf2_npvt_small_kernelILi29EfiiPfEEvT1_T3_lS3_lPT2_S3_S3_,"axG",@progbits,_ZN9rocsolver6v33100L23getf2_npvt_small_kernelILi29EfiiPfEEvT1_T3_lS3_lPT2_S3_S3_,comdat
.Lfunc_end57:
	.size	_ZN9rocsolver6v33100L23getf2_npvt_small_kernelILi29EfiiPfEEvT1_T3_lS3_lPT2_S3_S3_, .Lfunc_end57-_ZN9rocsolver6v33100L23getf2_npvt_small_kernelILi29EfiiPfEEvT1_T3_lS3_lPT2_S3_S3_
                                        ; -- End function
	.set _ZN9rocsolver6v33100L23getf2_npvt_small_kernelILi29EfiiPfEEvT1_T3_lS3_lPT2_S3_S3_.num_vgpr, 256
	.set _ZN9rocsolver6v33100L23getf2_npvt_small_kernelILi29EfiiPfEEvT1_T3_lS3_lPT2_S3_S3_.num_agpr, 0
	.set _ZN9rocsolver6v33100L23getf2_npvt_small_kernelILi29EfiiPfEEvT1_T3_lS3_lPT2_S3_S3_.numbered_sgpr, 16
	.set _ZN9rocsolver6v33100L23getf2_npvt_small_kernelILi29EfiiPfEEvT1_T3_lS3_lPT2_S3_S3_.num_named_barrier, 0
	.set _ZN9rocsolver6v33100L23getf2_npvt_small_kernelILi29EfiiPfEEvT1_T3_lS3_lPT2_S3_S3_.private_seg_size, 6148
	.set _ZN9rocsolver6v33100L23getf2_npvt_small_kernelILi29EfiiPfEEvT1_T3_lS3_lPT2_S3_S3_.uses_vcc, 1
	.set _ZN9rocsolver6v33100L23getf2_npvt_small_kernelILi29EfiiPfEEvT1_T3_lS3_lPT2_S3_S3_.uses_flat_scratch, 0
	.set _ZN9rocsolver6v33100L23getf2_npvt_small_kernelILi29EfiiPfEEvT1_T3_lS3_lPT2_S3_S3_.has_dyn_sized_stack, 0
	.set _ZN9rocsolver6v33100L23getf2_npvt_small_kernelILi29EfiiPfEEvT1_T3_lS3_lPT2_S3_S3_.has_recursion, 0
	.set _ZN9rocsolver6v33100L23getf2_npvt_small_kernelILi29EfiiPfEEvT1_T3_lS3_lPT2_S3_S3_.has_indirect_call, 0
	.section	.AMDGPU.csdata,"",@progbits
; Kernel info:
; codeLenInByte = 101120
; TotalNumSgprs: 22
; NumVgprs: 256
; NumAgprs: 0
; TotalNumVgprs: 256
; ScratchSize: 6148
; MemoryBound: 0
; FloatMode: 240
; IeeeMode: 1
; LDSByteSize: 0 bytes/workgroup (compile time only)
; SGPRBlocks: 2
; VGPRBlocks: 31
; NumSGPRsForWavesPerEU: 22
; NumVGPRsForWavesPerEU: 256
; AccumOffset: 256
; Occupancy: 2
; WaveLimiterHint : 0
; COMPUTE_PGM_RSRC2:SCRATCH_EN: 1
; COMPUTE_PGM_RSRC2:USER_SGPR: 2
; COMPUTE_PGM_RSRC2:TRAP_HANDLER: 0
; COMPUTE_PGM_RSRC2:TGID_X_EN: 1
; COMPUTE_PGM_RSRC2:TGID_Y_EN: 1
; COMPUTE_PGM_RSRC2:TGID_Z_EN: 0
; COMPUTE_PGM_RSRC2:TIDIG_COMP_CNT: 1
; COMPUTE_PGM_RSRC3_GFX90A:ACCUM_OFFSET: 63
; COMPUTE_PGM_RSRC3_GFX90A:TG_SPLIT: 0
	.section	.text._ZN9rocsolver6v33100L18getf2_small_kernelILi30EfiiPfEEvT1_T3_lS3_lPS3_llPT2_S3_S3_S5_l,"axG",@progbits,_ZN9rocsolver6v33100L18getf2_small_kernelILi30EfiiPfEEvT1_T3_lS3_lPS3_llPT2_S3_S3_S5_l,comdat
	.globl	_ZN9rocsolver6v33100L18getf2_small_kernelILi30EfiiPfEEvT1_T3_lS3_lPS3_llPT2_S3_S3_S5_l ; -- Begin function _ZN9rocsolver6v33100L18getf2_small_kernelILi30EfiiPfEEvT1_T3_lS3_lPS3_llPT2_S3_S3_S5_l
	.p2align	8
	.type	_ZN9rocsolver6v33100L18getf2_small_kernelILi30EfiiPfEEvT1_T3_lS3_lPS3_llPT2_S3_S3_S5_l,@function
_ZN9rocsolver6v33100L18getf2_small_kernelILi30EfiiPfEEvT1_T3_lS3_lPS3_llPT2_S3_S3_S5_l: ; @_ZN9rocsolver6v33100L18getf2_small_kernelILi30EfiiPfEEvT1_T3_lS3_lPS3_llPT2_S3_S3_S5_l
; %bb.0:
	s_load_dword s2, s[0:1], 0x6c
	s_load_dwordx2 s[14:15], s[0:1], 0x48
	v_bfe_u32 v4, v0, 10, 10
	s_waitcnt lgkmcnt(0)
	s_lshr_b32 s2, s2, 16
	s_mul_i32 s3, s3, s2
	v_add_u32_e32 v6, s3, v4
	v_cmp_gt_i32_e32 vcc, s14, v6
	s_and_saveexec_b64 s[2:3], vcc
	s_cbranch_execz .LBB58_513
; %bb.1:
	s_load_dwordx4 s[4:7], s[0:1], 0x50
	v_ashrrev_i32_e32 v7, 31, v6
	v_mov_b64_e32 v[2:3], 0
	s_movk_i32 s2, 0x1498
	scratch_store_dwordx2 off, v[2:3], s2   ; 8-byte Folded Spill
	s_waitcnt lgkmcnt(0)
	s_cmp_eq_u64 s[4:5], 0
	s_cselect_b64 s[16:17], -1, 0
	s_and_b64 vcc, exec, s[16:17]
	s_cbranch_vccnz .LBB58_3
; %bb.2:
	v_mul_lo_u32 v1, s7, v6
	v_mul_lo_u32 v5, s6, v7
	v_mad_u64_u32 v[2:3], s[2:3], s6, v6, 0
	v_add3_u32 v3, v3, v5, v1
	v_lshl_add_u64 v[2:3], v[2:3], 2, s[4:5]
	s_movk_i32 s2, 0x1498
	s_nop 1
	scratch_store_dwordx2 off, v[2:3], s2   ; 8-byte Folded Spill
.LBB58_3:
	s_load_dwordx4 s[24:27], s[0:1], 0x8
	s_load_dwordx8 s[4:11], s[0:1], 0x20
	s_load_dword s12, s[0:1], 0x18
	s_load_dword s22, s[0:1], 0x0
	s_movk_i32 s2, 0x17a0
	scratch_store_dwordx2 off, v[6:7], s2   ; 8-byte Folded Spill
	s_waitcnt lgkmcnt(0)
	v_mul_lo_u32 v1, s5, v6
	v_mul_lo_u32 v5, s4, v7
	v_mad_u64_u32 v[6:7], s[2:3], s4, v6, 0
	v_add3_u32 v7, v7, v5, v1
	v_and_b32_e32 v1, 0x3ff, v0
	s_max_i32 s2, s22, 30
	s_add_i32 s14, s12, s12
	v_mul_lo_u32 v48, s2, v4
	v_add_u32_e32 v4, s14, v1
	v_add_u32_e32 v8, s12, v4
	v_mov_b32_e32 v2, s24
	v_mov_b32_e32 v3, s25
	v_add_u32_e32 v10, s12, v8
	v_lshl_add_u64 v[2:3], v[6:7], 2, v[2:3]
	v_add_u32_e32 v12, s12, v10
	v_lshl_add_u64 v[50:51], s[26:27], 2, v[2:3]
	v_lshlrev_b32_e32 v2, 2, v1
	v_mov_b32_e32 v3, 0
	v_add_u32_e32 v14, s12, v12
	v_lshl_add_u64 v[6:7], v[50:51], 0, v[2:3]
	s_ashr_i32 s13, s12, 31
	v_ashrrev_i32_e32 v5, 31, v4
	v_add_u32_e32 v16, s12, v14
	global_load_dword v78, v[6:7], off
	v_ashrrev_i32_e32 v9, 31, v8
	v_lshl_add_u64 v[4:5], v[4:5], 2, v[50:51]
	v_ashrrev_i32_e32 v11, 31, v10
	v_lshl_add_u64 v[6:7], s[12:13], 2, v[6:7]
	v_ashrrev_i32_e32 v13, 31, v12
	v_ashrrev_i32_e32 v15, 31, v14
	;; [unrolled: 1-line block ×3, first 2 shown]
	v_lshl_add_u64 v[8:9], v[8:9], 2, v[50:51]
	v_lshl_add_u64 v[10:11], v[10:11], 2, v[50:51]
	;; [unrolled: 1-line block ×5, first 2 shown]
	global_load_dword v61, v[6:7], off
	global_load_dword v64, v[4:5], off
	;; [unrolled: 1-line block ×7, first 2 shown]
	v_add_u32_e32 v4, s12, v16
	v_add_u32_e32 v6, s12, v4
	;; [unrolled: 1-line block ×13, first 2 shown]
	v_ashrrev_i32_e32 v29, 31, v28
	v_lshl_add_u64 v[30:31], v[28:29], 2, v[50:51]
	v_add_u32_e32 v28, s12, v28
	v_ashrrev_i32_e32 v29, 31, v28
	v_lshl_add_u64 v[32:33], v[28:29], 2, v[50:51]
	v_add_u32_e32 v28, s12, v28
	;; [unrolled: 3-line block ×8, first 2 shown]
	v_ashrrev_i32_e32 v29, 31, v28
	v_lshl_add_u64 v[46:47], v[28:29], 2, v[50:51]
	global_load_dword v29, v[46:47], off
	v_lshl_add_u32 v254, v48, 2, 0
	v_add_u32_e32 v2, v254, v2
	s_load_dwordx2 s[4:5], s[0:1], 0x40
	v_ashrrev_i32_e32 v5, 31, v4
	v_ashrrev_i32_e32 v23, 31, v22
	s_movk_i32 s0, 0x17a8
	v_lshl_add_u64 v[4:5], v[4:5], 2, v[50:51]
	v_ashrrev_i32_e32 v7, 31, v6
	v_ashrrev_i32_e32 v9, 31, v8
	;; [unrolled: 1-line block ×8, first 2 shown]
	v_lshl_add_u64 v[22:23], v[22:23], 2, v[50:51]
	v_ashrrev_i32_e32 v25, 31, v24
	v_ashrrev_i32_e32 v27, 31, v26
	scratch_store_dwordx2 off, v[50:51], s0 ; 8-byte Folded Spill
	v_lshl_add_u64 v[6:7], v[6:7], 2, v[50:51]
	v_lshl_add_u64 v[8:9], v[8:9], 2, v[50:51]
	;; [unrolled: 1-line block ×7, first 2 shown]
	s_waitcnt vmcnt(9)
	ds_write_b32 v2, v78
	v_lshl_add_u64 v[20:21], v[20:21], 2, v[50:51]
	v_lshl_add_u64 v[24:25], v[24:25], 2, v[50:51]
	;; [unrolled: 1-line block ×3, first 2 shown]
	s_cmp_lt_i32 s22, 2
                                        ; kill: killed $vgpr36_vgpr37
                                        ; kill: killed $vgpr38_vgpr39
                                        ; kill: killed $vgpr40_vgpr41
	s_waitcnt vmcnt(1)
	scratch_store_dwordx2 off, v[28:29], off offset:264 ; 8-byte Folded Spill
	v_add_u32_e32 v28, s12, v28
	v_ashrrev_i32_e32 v29, 31, v28
	v_lshl_add_u64 v[28:29], v[28:29], 2, v[50:51]
	global_load_dword v58, v[4:5], off
	global_load_dword v57, v[6:7], off
	;; [unrolled: 1-line block ×15, first 2 shown]
                                        ; kill: killed $vgpr22_vgpr23
                                        ; kill: killed $vgpr4_vgpr5
                                        ; kill: killed $vgpr24_vgpr25
                                        ; kill: killed $vgpr6_vgpr7
                                        ; kill: killed $vgpr26_vgpr27
                                        ; kill: killed $vgpr8_vgpr9
                                        ; kill: killed $vgpr30_vgpr31
                                        ; kill: killed $vgpr10_vgpr11
                                        ; kill: killed $vgpr32_vgpr33
                                        ; kill: killed $vgpr12_vgpr13
                                        ; kill: killed $vgpr34_vgpr35
                                        ; kill: killed $vgpr14_vgpr15
                                        ; kill: killed $vgpr16_vgpr17
                                        ; kill: killed $vgpr18_vgpr19
                                        ; kill: killed $vgpr20_vgpr21
	global_load_dword v23, v[36:37], off
	s_nop 0
	scratch_store_dwordx4 off, v[0:3], off offset:272 ; 16-byte Folded Spill
	s_nop 0
	scratch_store_dwordx4 off, v[4:7], off offset:288 ; 16-byte Folded Spill
	scratch_store_dwordx4 off, v[8:11], off offset:304 ; 16-byte Folded Spill
	;; [unrolled: 1-line block ×4, first 2 shown]
	s_waitcnt vmcnt(5)
	scratch_store_dwordx4 off, v[20:23], off offset:352 ; 16-byte Folded Spill
	scratch_store_dwordx4 off, v[24:27], off offset:368 ; 16-byte Folded Spill
	;; [unrolled: 1-line block ×3, first 2 shown]
	v_lshlrev_b32_e32 v0, 2, v48
	global_load_dword v66, v[38:39], off
	global_load_dword v67, v[40:41], off
	;; [unrolled: 1-line block ×5, first 2 shown]
	s_waitcnt lgkmcnt(0)
	s_barrier
	ds_read_b32 v2, v254
	scratch_store_dword off, v0, off offset:3348 ; 4-byte Folded Spill
	s_cbranch_scc1 .LBB58_6
; %bb.4:
	scratch_load_dword v0, off, off offset:3348 ; 4-byte Folded Reload
	v_mov_b32_e32 v3, 0
	s_mov_b32 s0, 1
	s_waitcnt vmcnt(0)
	v_add3_u32 v4, v0, 0, 4
.LBB58_5:                               ; =>This Inner Loop Header: Depth=1
	ds_read_b32 v5, v4
	v_mov_b32_e32 v6, s0
	s_add_i32 s0, s0, 1
	v_add_u32_e32 v4, 4, v4
	s_cmp_eq_u32 s22, s0
	s_waitcnt lgkmcnt(0)
	v_cmp_lt_f32_e64 vcc, |v2|, |v5|
	s_nop 1
	v_cndmask_b32_e32 v2, v2, v5, vcc
	v_cndmask_b32_e32 v3, v3, v6, vcc
	s_cbranch_scc0 .LBB58_5
.LBB58_6:
	v_cmp_ne_u32_e32 vcc, v1, v3
                                        ; implicit-def: $vgpr0
                                        ; kill: killed $vgpr0
	s_and_saveexec_b64 s[0:1], vcc
	s_xor_b64 s[0:1], exec, s[0:1]
	s_cbranch_execz .LBB58_12
; %bb.7:
	v_cmp_eq_u32_e32 vcc, 0, v1
	s_and_saveexec_b64 s[2:3], vcc
	s_cbranch_execz .LBB58_11
; %bb.8:
	v_cmp_ne_u32_e32 vcc, 0, v3
	s_xor_b64 s[18:19], s[16:17], -1
	s_and_b64 s[20:21], s[18:19], vcc
	s_and_saveexec_b64 s[18:19], s[20:21]
	s_cbranch_execz .LBB58_10
; %bb.9:
	s_movk_i32 s20, 0x1498
	scratch_load_dwordx2 v[8:9], off, s20   ; 8-byte Folded Reload
	v_ashrrev_i32_e32 v5, 31, v3
	v_mov_b32_e32 v4, v3
	s_waitcnt vmcnt(0)
	v_lshl_add_u64 v[4:5], v[4:5], 2, v[8:9]
	global_load_dword v1, v[4:5], off
	global_load_dword v6, v[8:9], off
	s_waitcnt vmcnt(1)
	global_store_dword v[8:9], v1, off
	s_waitcnt vmcnt(1)
	global_store_dword v[4:5], v6, off
.LBB58_10:
	s_or_b64 exec, exec, s[18:19]
	v_mov_b32_e32 v1, v3
.LBB58_11:
	s_or_b64 exec, exec, s[2:3]
	scratch_store_dword off, v1, off offset:4 ; 4-byte Folded Spill
                                        ; implicit-def: $vgpr1
.LBB58_12:
	s_or_saveexec_b64 s[0:1], s[0:1]
	scratch_load_dword v0, off, off offset:4 ; 4-byte Folded Reload
	s_waitcnt vmcnt(0)
	scratch_store_dword off, v0, off offset:2704 ; 4-byte Folded Spill
	s_xor_b64 exec, exec, s[0:1]
	s_cbranch_execz .LBB58_14
; %bb.13:
	ds_write2_b32 v254, v61, v64 offset0:1 offset1:2
	ds_write2_b32 v254, v65, v62 offset0:3 offset1:4
	;; [unrolled: 1-line block ×11, first 2 shown]
	scratch_load_dwordx4 v[4:7], off, off offset:272 ; 16-byte Folded Reload
	scratch_load_dwordx4 v[8:11], off, off offset:288 ; 16-byte Folded Reload
	;; [unrolled: 1-line block ×8, first 2 shown]
	v_mov_b32_e32 v0, 0
	s_waitcnt vmcnt(2)
	ds_write2_b32 v254, v27, v66 offset0:23 offset1:24
	ds_write2_b32 v254, v67, v76 offset0:25 offset1:26
	scratch_load_dwordx2 v[4:5], off, off offset:264 ; 8-byte Folded Reload
	s_waitcnt vmcnt(0)
	ds_write2_b32 v254, v69, v5 offset0:27 offset1:28
	ds_write_b32 v254, v253 offset:116
	scratch_store_dword off, v1, off offset:2704 ; 4-byte Folded Spill
	scratch_store_dword off, v0, off offset:4 ; 4-byte Folded Spill
.LBB58_14:
	s_or_b64 exec, exec, s[0:1]
	s_waitcnt lgkmcnt(0)
	s_barrier
	scratch_load_dword v0, off, off offset:4 ; 4-byte Folded Reload
	v_cmp_eq_f32_e64 s[0:1], 0, v2
	s_waitcnt vmcnt(0)
	v_cmp_gt_i32_e32 vcc, 1, v0
	s_and_saveexec_b64 s[2:3], vcc
	s_xor_b64 s[2:3], exec, s[2:3]
; %bb.15:
                                        ; implicit-def: $vgpr2
; %bb.16:
	s_andn2_saveexec_b64 s[2:3], s[2:3]
	s_cbranch_execz .LBB58_18
; %bb.17:
	v_mov_b32_e32 v12, v57
	v_mov_b32_e32 v13, v56
	;; [unrolled: 1-line block ×11, first 2 shown]
	scratch_load_dwordx4 v[26:29], off, off offset:272 ; 16-byte Folded Reload
	scratch_load_dwordx4 v[30:33], off, off offset:288 ; 16-byte Folded Reload
	;; [unrolled: 1-line block ×8, first 2 shown]
	scratch_load_dwordx2 v[30:31], off, off offset:264 ; 8-byte Folded Reload
	v_div_scale_f32 v1, s[18:19], v2, v2, 1.0
	v_rcp_f32_e32 v3, v1
	v_mov_b32_e32 v4, v61
	v_mov_b32_e32 v5, v64
	;; [unrolled: 1-line block ×3, first 2 shown]
	s_waitcnt vmcnt(0)
	v_fma_f32 v30, -v1, v3, 1.0
	v_fmac_f32_e32 v3, v30, v3
	v_div_scale_f32 v30, vcc, 1.0, v2, 1.0
	v_mov_b32_e32 v7, v62
	v_mov_b32_e32 v8, v63
	;; [unrolled: 1-line block ×14, first 2 shown]
	v_mul_f32_e32 v31, v30, v3
	v_fma_f32 v32, -v1, v31, v30
	v_fmac_f32_e32 v31, v32, v3
	v_fma_f32 v1, -v1, v31, v30
	v_div_fmas_f32 v1, v1, v3, v31
	v_div_fixup_f32 v1, v1, v2, 1.0
	v_cndmask_b32_e64 v1, v1, v2, s[0:1]
	ds_read2_b32 v[2:3], v254 offset0:1 offset1:2
	ds_read2_b32 v[30:31], v254 offset0:3 offset1:4
	;; [unrolled: 1-line block ×4, first 2 shown]
	v_mul_f32_e32 v78, v78, v1
	s_waitcnt lgkmcnt(3)
	v_pk_fma_f32 v[2:3], v[78:79], v[2:3], v[4:5] op_sel_hi:[0,1,1] neg_lo:[1,0,0] neg_hi:[1,0,0]
	s_waitcnt lgkmcnt(2)
	v_pk_fma_f32 v[4:5], v[78:79], v[30:31], v[6:7] op_sel_hi:[0,1,1] neg_lo:[1,0,0] neg_hi:[1,0,0]
	;; [unrolled: 2-line block ×3, first 2 shown]
	ds_read2_b32 v[8:9], v254 offset0:9 offset1:10
	ds_read2_b32 v[30:31], v254 offset0:11 offset1:12
	ds_read2_b32 v[34:35], v254 offset0:13 offset1:14
	s_waitcnt lgkmcnt(3)
	v_pk_fma_f32 v[10:11], v[78:79], v[36:37], v[10:11] op_sel_hi:[0,1,1] neg_lo:[1,0,0] neg_hi:[1,0,0]
	ds_read2_b32 v[36:37], v254 offset0:15 offset1:16
	s_waitcnt lgkmcnt(3)
	v_pk_fma_f32 v[8:9], v[78:79], v[8:9], v[12:13] op_sel_hi:[0,1,1] neg_lo:[1,0,0] neg_hi:[1,0,0]
	s_waitcnt lgkmcnt(2)
	v_pk_fma_f32 v[12:13], v[78:79], v[30:31], v[14:15] op_sel_hi:[0,1,1] neg_lo:[1,0,0] neg_hi:[1,0,0]
	;; [unrolled: 2-line block ×3, first 2 shown]
	ds_read2_b32 v[16:17], v254 offset0:17 offset1:18
	s_waitcnt lgkmcnt(1)
	v_pk_fma_f32 v[18:19], v[78:79], v[36:37], v[18:19] op_sel_hi:[0,1,1] neg_lo:[1,0,0] neg_hi:[1,0,0]
	ds_read2_b32 v[30:31], v254 offset0:19 offset1:20
	ds_read2_b32 v[34:35], v254 offset0:21 offset1:22
	ds_read2_b32 v[36:37], v254 offset0:23 offset1:24
	v_mov_b32_e32 v61, v2
	v_mov_b32_e32 v64, v3
	s_waitcnt lgkmcnt(3)
	v_pk_fma_f32 v[16:17], v[78:79], v[16:17], v[20:21] op_sel_hi:[0,1,1] neg_lo:[1,0,0] neg_hi:[1,0,0]
	ds_read_b32 v1, v254 offset:116
	ds_read2_b32 v[20:21], v254 offset0:25 offset1:26
	ds_read2_b32 v[38:39], v254 offset0:27 offset1:28
	s_waitcnt lgkmcnt(5)
	v_pk_fma_f32 v[22:23], v[78:79], v[30:31], v[22:23] op_sel_hi:[0,1,1] neg_lo:[1,0,0] neg_hi:[1,0,0]
	s_waitcnt lgkmcnt(3)
	v_pk_fma_f32 v[26:27], v[78:79], v[36:37], v[26:27] op_sel_hi:[0,1,1] neg_lo:[1,0,0] neg_hi:[1,0,0]
	v_pk_fma_f32 v[24:25], v[78:79], v[34:35], v[24:25] op_sel_hi:[0,1,1] neg_lo:[1,0,0] neg_hi:[1,0,0]
	s_waitcnt lgkmcnt(1)
	v_pk_fma_f32 v[20:21], v[78:79], v[20:21], v[28:29] op_sel_hi:[0,1,1] neg_lo:[1,0,0] neg_hi:[1,0,0]
	v_mov_b32_e32 v54, v23
	v_mov_b32_e32 v23, v26
	v_fma_f32 v253, -v78, v1, v253
	v_mov_b32_e32 v65, v4
	v_mov_b32_e32 v62, v5
	;; [unrolled: 1-line block ×19, first 2 shown]
	scratch_store_dwordx4 off, v[0:3], off offset:272 ; 16-byte Folded Spill
	s_nop 0
	scratch_store_dwordx4 off, v[4:7], off offset:288 ; 16-byte Folded Spill
	scratch_store_dwordx4 off, v[8:11], off offset:304 ; 16-byte Folded Spill
	;; [unrolled: 1-line block ×7, first 2 shown]
	s_waitcnt lgkmcnt(0)
	v_pk_fma_f32 v[40:41], v[78:79], v[38:39], v[40:41] op_sel_hi:[0,1,1] neg_lo:[1,0,0] neg_hi:[1,0,0]
	v_mov_b32_e32 v1, v41
	v_mov_b32_e32 v69, v40
	;; [unrolled: 1-line block ×5, first 2 shown]
	scratch_store_dwordx2 off, v[0:1], off offset:264 ; 8-byte Folded Spill
.LBB58_18:
	s_or_b64 exec, exec, s[2:3]
	s_barrier
	scratch_load_dword v0, off, off offset:4 ; 4-byte Folded Reload
	s_mov_b32 s2, 2
	s_cmp_lt_i32 s22, 3
	v_mov_b32_e32 v2, 1
	s_waitcnt vmcnt(0)
	v_lshl_add_u32 v1, v0, 2, v254
	ds_write_b32 v1, v61
	s_waitcnt lgkmcnt(0)
	s_barrier
	ds_read_b32 v255, v254 offset:4
	s_cbranch_scc1 .LBB58_21
; %bb.19:
	scratch_load_dword v0, off, off offset:3348 ; 4-byte Folded Reload
	v_mov_b32_e32 v2, 1
	s_waitcnt vmcnt(0)
	v_add3_u32 v1, v0, 0, 8
.LBB58_20:                              ; =>This Inner Loop Header: Depth=1
	ds_read_b32 v3, v1
	v_mov_b32_e32 v4, s2
	s_add_i32 s2, s2, 1
	v_add_u32_e32 v1, 4, v1
	s_cmp_lg_u32 s22, s2
	s_waitcnt lgkmcnt(0)
	v_cmp_lt_f32_e64 vcc, |v255|, |v3|
	s_nop 1
	v_cndmask_b32_e32 v255, v255, v3, vcc
	v_cndmask_b32_e32 v2, v2, v4, vcc
	s_cbranch_scc1 .LBB58_20
.LBB58_21:
	s_movk_i32 s2, 0x1018
	scratch_store_dwordx4 off, v[224:227], s2 ; 16-byte Folded Spill
	s_nop 0
	scratch_store_dwordx4 off, v[228:231], s2 offset:16 ; 16-byte Folded Spill
	scratch_store_dwordx4 off, v[232:235], s2 offset:32 ; 16-byte Folded Spill
	;; [unrolled: 1-line block ×6, first 2 shown]
	s_waitcnt lgkmcnt(0)
	scratch_store_dwordx4 off, v[252:255], s2 offset:112 ; 16-byte Folded Spill
	scratch_load_dword v0, off, off offset:4 ; 4-byte Folded Reload
	s_waitcnt vmcnt(0)
	v_cmp_ne_u32_e32 vcc, v0, v2
	s_and_saveexec_b64 s[2:3], vcc
	s_xor_b64 s[2:3], exec, s[2:3]
	s_cbranch_execz .LBB58_27
; %bb.22:
	scratch_load_dword v0, off, off offset:4 ; 4-byte Folded Reload
	s_waitcnt vmcnt(0)
	v_cmp_eq_u32_e32 vcc, 1, v0
	s_and_saveexec_b64 s[18:19], vcc
	s_cbranch_execz .LBB58_26
; %bb.23:
	v_cmp_ne_u32_e32 vcc, 1, v2
	s_xor_b64 s[20:21], s[16:17], -1
	s_and_b64 s[24:25], s[20:21], vcc
	s_and_saveexec_b64 s[20:21], s[24:25]
	s_cbranch_execz .LBB58_25
; %bb.24:
	s_movk_i32 s23, 0x1498
	scratch_load_dwordx2 v[6:7], off, s23   ; 8-byte Folded Reload
	v_ashrrev_i32_e32 v3, 31, v2
	s_waitcnt vmcnt(0)
	v_lshl_add_u64 v[4:5], v[2:3], 2, v[6:7]
	global_load_dword v1, v[4:5], off
	global_load_dword v3, v[6:7], off offset:4
	s_waitcnt vmcnt(1)
	global_store_dword v[6:7], v1, off offset:4
	s_waitcnt vmcnt(1)
	global_store_dword v[4:5], v3, off
.LBB58_25:
	s_or_b64 exec, exec, s[20:21]
	v_mov_b32_e32 v0, v2
	scratch_store_dword off, v0, off offset:2704 ; 4-byte Folded Spill
	scratch_store_dword off, v0, off offset:4 ; 4-byte Folded Spill
.LBB58_26:
	s_or_b64 exec, exec, s[18:19]
.LBB58_27:
	s_or_saveexec_b64 s[2:3], s[2:3]
	scratch_load_dwordx4 v[102:105], off, off offset:272 ; 16-byte Folded Reload
	scratch_load_dwordx4 v[106:109], off, off offset:288 ; 16-byte Folded Reload
	;; [unrolled: 1-line block ×8, first 2 shown]
	s_movk_i32 s18, 0x1018
	scratch_load_dwordx2 v[0:1], off, off offset:264 ; 8-byte Folded Reload
	v_mov_b32_e32 v79, v61
	v_mov_b32_e32 v80, v64
	v_mov_b32_e32 v227, v65
	v_mov_b32_e32 v81, v65
	v_mov_b32_e32 v228, v62
	v_mov_b32_e32 v82, v62
	v_mov_b32_e32 v5, v63
	v_mov_b32_e32 v83, v63
	v_mov_b32_e32 v230, v60
	v_mov_b32_e32 v84, v60
	v_mov_b32_e32 v231, v59
	v_mov_b32_e32 v85, v59
	v_mov_b32_e32 v232, v58
	v_mov_b32_e32 v86, v58
	v_mov_b32_e32 v233, v57
	v_mov_b32_e32 v87, v57
	v_mov_b32_e32 v44, v56
	v_mov_b32_e32 v88, v56
	v_mov_b32_e32 v11, v53
	v_mov_b32_e32 v89, v53
	v_mov_b32_e32 v12, v52
	v_mov_b32_e32 v90, v52
	v_mov_b32_e32 v13, v51
	v_mov_b32_e32 v91, v51
	v_mov_b32_e32 v238, v50
	v_mov_b32_e32 v92, v50
	v_mov_b32_e32 v221, v49
	v_mov_b32_e32 v93, v49
	v_mov_b32_e32 v240, v46
	v_mov_b32_e32 v94, v46
	v_mov_b32_e32 v161, v47
	v_mov_b32_e32 v95, v47
	v_mov_b32_e32 v96, v140
	v_mov_b32_e32 v31, v225
	v_mov_b32_e32 v97, v225
	v_mov_b32_e32 v98, v54
	v_mov_b32_e32 v99, v55
	v_mov_b32_e32 v100, v74
	s_waitcnt vmcnt(8)
	v_mov_b32_e32 v102, v66
	v_mov_b32_e32 v103, v67
	;; [unrolled: 1-line block ×4, first 2 shown]
	s_waitcnt vmcnt(3)
	v_mov_b32_e32 v101, v125
	scratch_load_dwordx4 v[108:111], off, s18 ; 16-byte Folded Reload
	scratch_load_dwordx4 v[112:115], off, s18 offset:16 ; 16-byte Folded Reload
	scratch_load_dwordx4 v[116:119], off, s18 offset:32 ; 16-byte Folded Reload
	scratch_load_dwordx4 v[120:123], off, s18 offset:48 ; 16-byte Folded Reload
	scratch_load_dwordx4 v[124:127], off, s18 offset:64 ; 16-byte Folded Reload
	scratch_load_dwordx4 v[128:131], off, s18 offset:80 ; 16-byte Folded Reload
	scratch_load_dwordx4 v[132:135], off, s18 offset:96 ; 16-byte Folded Reload
	scratch_load_dwordx4 v[136:139], off, s18 offset:112 ; 16-byte Folded Reload
	s_waitcnt vmcnt(8)
	v_mov_b32_e32 v106, v1
	s_waitcnt vmcnt(0)
	v_mov_b32_e32 v107, v137
	s_xor_b64 exec, exec, s[2:3]
	s_cbranch_execz .LBB58_29
; %bb.28:
	ds_write2_b32 v254, v64, v227 offset0:2 offset1:3
	ds_write2_b32 v254, v228, v5 offset0:4 offset1:5
	ds_write2_b32 v254, v230, v231 offset0:6 offset1:7
	ds_write2_b32 v254, v232, v233 offset0:8 offset1:9
	ds_write2_b32 v254, v44, v11 offset0:10 offset1:11
	ds_write2_b32 v254, v12, v13 offset0:12 offset1:13
	ds_write2_b32 v254, v238, v221 offset0:14 offset1:15
	ds_write2_b32 v254, v240, v161 offset0:16 offset1:17
	ds_write2_b32 v254, v140, v31 offset0:18 offset1:19
	ds_write2_b32 v254, v54, v55 offset0:20 offset1:21
	scratch_load_dwordx4 v[108:111], off, off offset:272 ; 16-byte Folded Reload
	scratch_load_dwordx4 v[112:115], off, off offset:288 ; 16-byte Folded Reload
	;; [unrolled: 1-line block ×8, first 2 shown]
	s_waitcnt vmcnt(2)
	ds_write2_b32 v254, v74, v131 offset0:22 offset1:23
	ds_write2_b32 v254, v66, v67 offset0:24 offset1:25
	;; [unrolled: 1-line block ×3, first 2 shown]
	scratch_load_dwordx4 v[108:111], off, s18 ; 16-byte Folded Reload
	scratch_load_dwordx4 v[112:115], off, s18 offset:16 ; 16-byte Folded Reload
	scratch_load_dwordx4 v[116:119], off, s18 offset:32 ; 16-byte Folded Reload
	;; [unrolled: 1-line block ×7, first 2 shown]
	scratch_load_dwordx2 v[0:1], off, off offset:264 ; 8-byte Folded Reload
	s_waitcnt vmcnt(0)
	v_mov_b32_e32 v0, 1
	scratch_store_dword off, v0, off offset:4 ; 4-byte Folded Spill
	ds_write2_b32 v254, v1, v137 offset0:28 offset1:29
.LBB58_29:
	s_or_b64 exec, exec, s[2:3]
	v_mov_b32_e32 v4, v228
	v_mov_b64_e32 v[124:125], v[104:105]
	v_mov_b32_e32 v0, v78
	v_mov_b32_e32 v1, v61
	;; [unrolled: 1-line block ×7, first 2 shown]
	v_mov_b64_e32 v[122:123], v[102:103]
	v_mov_b64_e32 v[120:121], v[100:101]
	;; [unrolled: 1-line block ×7, first 2 shown]
	v_mov_b32_e32 v34, v78
	v_mov_b32_e32 v35, v61
	v_mov_b32_e32 v36, v64
	v_mov_b32_e32 v37, v227
	v_mov_b32_e32 v38, v18
	v_mov_b32_e32 v39, v5
	v_mov_b64_e32 v[110:111], v[90:91]
	v_mov_b64_e32 v[108:109], v[88:89]
	;; [unrolled: 1-line block ×8, first 2 shown]
	v_mov_b32_e32 v42, v232
	v_mov_b32_e32 v60, v78
	;; [unrolled: 1-line block ×6, first 2 shown]
	v_mov_b64_e32 v[94:95], v[38:39]
	v_mov_b64_e32 v[92:93], v[36:37]
	v_mov_b64_e32 v[90:91], v[34:35]
	v_mov_b32_e32 v34, v98
	v_mov_b32_e32 v41, v97
	;; [unrolled: 1-line block ×18, first 2 shown]
	scratch_store_dwordx4 off, v[42:45], off offset:1040 ; 16-byte Folded Spill
	s_nop 0
	scratch_store_dwordx4 off, v[46:49], off offset:1056 ; 16-byte Folded Spill
	scratch_store_dwordx4 off, v[50:53], off offset:1072 ; 16-byte Folded Spill
	scratch_store_dwordx4 off, v[54:57], off offset:1088 ; 16-byte Folded Spill
	scratch_store_dwordx4 off, v[58:61], off offset:1104 ; 16-byte Folded Spill
	scratch_store_dwordx4 off, v[62:65], off offset:1120 ; 16-byte Folded Spill
	scratch_store_dwordx4 off, v[66:69], off offset:1136 ; 16-byte Folded Spill
	scratch_store_dwordx4 off, v[70:73], off offset:1152 ; 16-byte Folded Spill
	scratch_store_dwordx4 off, v[42:45], off offset:784 ; 16-byte Folded Spill
	s_nop 0
	scratch_store_dwordx4 off, v[46:49], off offset:800 ; 16-byte Folded Spill
	scratch_store_dwordx4 off, v[50:53], off offset:816 ; 16-byte Folded Spill
	scratch_store_dwordx4 off, v[54:57], off offset:832 ; 16-byte Folded Spill
	scratch_store_dwordx4 off, v[58:61], off offset:848 ; 16-byte Folded Spill
	scratch_store_dwordx4 off, v[62:65], off offset:864 ; 16-byte Folded Spill
	scratch_store_dwordx4 off, v[66:69], off offset:880 ; 16-byte Folded Spill
	scratch_store_dwordx4 off, v[70:73], off offset:896 ; 16-byte Folded Spill
	;; [unrolled: 9-line block ×3, first 2 shown]
	v_mov_b64_e32 v[188:189], v[112:113]
	v_mov_b64_e32 v[174:175], v[98:99]
	v_mov_b32_e32 v10, v4
	v_mov_b32_e32 v65, v11
	;; [unrolled: 1-line block ×7, first 2 shown]
	v_mov_b64_e32 v[186:187], v[110:111]
	v_mov_b64_e32 v[184:185], v[108:109]
	;; [unrolled: 1-line block ×7, first 2 shown]
	v_mov_b32_e32 v26, v230
	v_mov_b64_e32 v[198:199], v[122:123]
	v_mov_b64_e32 v[196:197], v[120:121]
	;; [unrolled: 1-line block ×7, first 2 shown]
	v_mov_b32_e32 v17, v3
	v_mov_b32_e32 v16, v2
	;; [unrolled: 1-line block ×7, first 2 shown]
	v_mov_b64_e32 v[48:49], v[226:227]
	v_mov_b32_e32 v172, v26
	v_mov_b32_e32 v9, v3
	;; [unrolled: 1-line block ×27, first 2 shown]
	s_movk_i32 s2, 0x1418
	v_mov_b32_e32 v209, v49
	v_mov_b32_e32 v211, v5
	;; [unrolled: 1-line block ×12, first 2 shown]
	v_mov_b64_e32 v[28:29], v[60:61]
	v_mov_b32_e32 v50, v62
	v_mov_b32_e32 v55, v29
	v_mov_b32_e32 v56, v64
	v_mov_b32_e32 v51, v63
	v_mov_b32_e32 v52, v64
	v_mov_b32_e32 v60, v230
	scratch_store_dwordx4 off, v[50:53], off offset:656 ; 16-byte Folded Spill
	s_nop 0
	scratch_store_dwordx4 off, v[54:57], off offset:672 ; 16-byte Folded Spill
	scratch_store_dwordx4 off, v[58:61], off offset:688 ; 16-byte Folded Spill
	;; [unrolled: 1-line block ×7, first 2 shown]
	v_mov_b64_e32 v[106:107], v[42:43]
	v_mov_b32_e32 v64, v44
	v_mov_b32_e32 v61, v97
	;; [unrolled: 1-line block ×4, first 2 shown]
	v_mov_b64_e32 v[104:105], v[40:41]
	v_mov_b64_e32 v[102:103], v[38:39]
	;; [unrolled: 1-line block ×4, first 2 shown]
	v_mov_b32_e32 v34, v174
	v_mov_b32_e32 v15, v29
	;; [unrolled: 1-line block ×4, first 2 shown]
	v_mov_b64_e32 v[12:13], v[28:29]
	v_mov_b32_e32 v43, v107
	v_mov_b32_e32 v145, v29
	;; [unrolled: 1-line block ×16, first 2 shown]
	s_movk_i32 s18, 0x1398
	v_mov_b32_e32 v130, v86
	v_mov_b64_e32 v[118:119], v[64:65]
	v_mov_b32_e32 v120, v74
	v_mov_b32_e32 v129, v85
	;; [unrolled: 1-line block ×9, first 2 shown]
	v_mov_b64_e32 v[116:117], v[62:63]
	v_mov_b64_e32 v[114:115], v[60:61]
	v_mov_b64_e32 v[112:113], v[58:59]
	v_mov_b64_e32 v[110:111], v[56:57]
	v_mov_b64_e32 v[108:109], v[54:55]
	v_mov_b64_e32 v[54:55], v[174:175]
	v_mov_b64_e32 v[70:71], v[190:191]
	v_mov_b32_e32 v16, v52
	v_mov_b64_e32 v[56:57], v[176:177]
	v_mov_b64_e32 v[58:59], v[178:179]
	;; [unrolled: 1-line block ×13, first 2 shown]
	v_mov_b32_e32 v155, v119
	scratch_store_dwordx4 off, v[6:9], off offset:3220 ; 16-byte Folded Spill
	s_nop 0
	scratch_store_dwordx4 off, v[10:13], off offset:3236 ; 16-byte Folded Spill
	scratch_store_dwordx4 off, v[14:17], off offset:3252 ; 16-byte Folded Spill
	;; [unrolled: 1-line block ×7, first 2 shown]
	v_mov_b64_e32 v[190:191], v[104:105]
	v_mov_b64_e32 v[188:189], v[102:103]
	;; [unrolled: 1-line block ×4, first 2 shown]
	v_mov_b32_e32 v235, v119
	scratch_store_dwordx4 off, v[90:93], off offset:2320 ; 16-byte Folded Spill
	s_nop 0
	scratch_store_dwordx4 off, v[94:97], off offset:2336 ; 16-byte Folded Spill
	scratch_store_dwordx4 off, v[98:101], off offset:2352 ; 16-byte Folded Spill
	;; [unrolled: 1-line block ×7, first 2 shown]
	v_mov_b32_e32 v182, v130
	v_mov_b32_e32 v174, v122
	;; [unrolled: 1-line block ×20, first 2 shown]
	v_mov_b64_e32 v[82:83], v[202:203]
	v_mov_b32_e32 v152, v130
	v_mov_b32_e32 v232, v130
	;; [unrolled: 1-line block ×3, first 2 shown]
	v_mov_b64_e32 v[172:173], v[154:155]
	v_mov_b32_e32 v226, v52
	v_mov_b64_e32 v[170:171], v[152:153]
	v_mov_b64_e32 v[168:169], v[150:151]
	;; [unrolled: 1-line block ×6, first 2 shown]
	v_mov_b32_e32 v207, v13
	v_mov_b32_e32 v210, v10
	;; [unrolled: 1-line block ×6, first 2 shown]
	scratch_store_dwordx4 off, v[84:87], s2 ; 16-byte Folded Spill
	s_nop 0
	scratch_store_dwordx4 off, v[88:91], s2 offset:16 ; 16-byte Folded Spill
	scratch_store_dwordx4 off, v[92:95], s2 offset:32 ; 16-byte Folded Spill
	;; [unrolled: 1-line block ×7, first 2 shown]
	v_mov_b32_e32 v217, v119
	v_mov_b32_e32 v102, v240
	;; [unrolled: 1-line block ×3, first 2 shown]
	scratch_store_dwordx4 off, v[184:187], off offset:3092 ; 16-byte Folded Spill
	s_nop 0
	scratch_store_dwordx4 off, v[188:191], off offset:3108 ; 16-byte Folded Spill
	scratch_store_dwordx4 off, v[192:195], off offset:3124 ; 16-byte Folded Spill
	;; [unrolled: 1-line block ×8, first 2 shown]
	s_nop 0
	scratch_store_dwordx4 off, v[112:115], off offset:1440 ; 16-byte Folded Spill
	scratch_store_dwordx4 off, v[116:119], off offset:1456 ; 16-byte Folded Spill
	;; [unrolled: 1-line block ×7, first 2 shown]
	v_mov_b64_e32 v[176:177], v[224:225]
	v_mov_b32_e32 v188, v236
	v_mov_b64_e32 v[178:179], v[226:227]
	v_mov_b64_e32 v[180:181], v[228:229]
	;; [unrolled: 1-line block ×5, first 2 shown]
	v_mov_b32_e32 v190, v238
	v_mov_b32_e32 v224, v54
	;; [unrolled: 1-line block ×6, first 2 shown]
	v_mov_b64_e32 v[108:109], v[4:5]
	v_mov_b64_e32 v[106:107], v[2:3]
	v_mov_b64_e32 v[104:105], v[0:1]
	v_mov_b32_e32 v130, v52
	v_mov_b32_e32 v204, v26
	;; [unrolled: 1-line block ×4, first 2 shown]
	v_mov_b64_e32 v[50:51], v[28:29]
	v_mov_b64_e32 v[28:29], v[82:83]
	v_mov_b32_e32 v123, v51
	v_mov_b64_e32 v[32:33], v[50:51]
	v_mov_b32_e32 v125, v49
	v_mov_b32_e32 v124, v130
	;; [unrolled: 1-line block ×3, first 2 shown]
	v_mov_b64_e32 v[144:145], v[206:207]
	v_mov_b64_e32 v[146:147], v[208:209]
	;; [unrolled: 1-line block ×8, first 2 shown]
	v_mov_b32_e32 v230, v138
	v_mov_b32_e32 v233, v193
	v_mov_b64_e32 v[86:87], v[224:225]
	scratch_store_dwordx4 off, v[144:147], off offset:2064 ; 16-byte Folded Spill
	s_nop 0
	scratch_store_dwordx4 off, v[148:151], off offset:2080 ; 16-byte Folded Spill
	scratch_store_dwordx4 off, v[152:155], off offset:2096 ; 16-byte Folded Spill
	;; [unrolled: 1-line block ×7, first 2 shown]
	v_mov_b64_e32 v[88:89], v[226:227]
	v_mov_b64_e32 v[90:91], v[228:229]
	;; [unrolled: 1-line block ×7, first 2 shown]
	scratch_load_dwordx4 v[222:225], off, off offset:2320 ; 16-byte Folded Reload
	scratch_load_dwordx4 v[226:229], off, off offset:2336 ; 16-byte Folded Reload
	;; [unrolled: 1-line block ×8, first 2 shown]
	v_mov_b32_e32 v149, v109
	v_mov_b64_e32 v[110:111], v[4:5]
	v_mov_b64_e32 v[202:203], v[24:25]
	;; [unrolled: 1-line block ×9, first 2 shown]
	v_mov_b32_e32 v148, v10
	v_mov_b32_e32 v156, v26
	;; [unrolled: 1-line block ×3, first 2 shown]
	v_mov_b64_e32 v[0:1], v[54:55]
	v_mov_b64_e32 v[16:17], v[70:71]
	v_mov_b32_e32 v144, v54
	v_mov_b64_e32 v[2:3], v[56:57]
	v_mov_b64_e32 v[4:5], v[58:59]
	;; [unrolled: 1-line block ×12, first 2 shown]
	v_mov_b32_e32 v158, v190
	v_mov_b32_e32 v145, v51
	;; [unrolled: 1-line block ×8, first 2 shown]
	s_waitcnt vmcnt(6)
	v_mov_b32_e32 v151, v229
	scratch_load_dwordx4 v[222:225], off, s2 ; 16-byte Folded Reload
	scratch_load_dwordx4 v[226:229], off, s2 offset:16 ; 16-byte Folded Reload
	scratch_load_dwordx4 v[230:233], off, s2 offset:32 ; 16-byte Folded Reload
	;; [unrolled: 1-line block ×7, first 2 shown]
	s_waitcnt vmcnt(5)
	v_mov_b32_e32 v152, v230
	scratch_load_dwordx4 v[222:225], off, off offset:3092 ; 16-byte Folded Reload
	scratch_load_dwordx4 v[226:229], off, off offset:3108 ; 16-byte Folded Reload
	;; [unrolled: 1-line block ×8, first 2 shown]
	s_waitcnt vmcnt(5)
	v_mov_b32_e32 v153, v231
	scratch_load_dwordx4 v[222:225], off, off offset:1424 ; 16-byte Folded Reload
	scratch_load_dwordx4 v[226:229], off, off offset:1440 ; 16-byte Folded Reload
	;; [unrolled: 1-line block ×8, first 2 shown]
	s_nop 0
	scratch_store_dwordx4 off, v[86:89], off offset:2448 ; 16-byte Folded Spill
	s_nop 0
	scratch_store_dwordx4 off, v[90:93], off offset:2464 ; 16-byte Folded Spill
	scratch_store_dwordx4 off, v[94:97], off offset:2480 ; 16-byte Folded Spill
	;; [unrolled: 1-line block ×7, first 2 shown]
	scratch_load_dwordx4 v[54:57], off, off offset:3220 ; 16-byte Folded Reload
	scratch_load_dwordx4 v[58:61], off, off offset:3236 ; 16-byte Folded Reload
	;; [unrolled: 1-line block ×8, first 2 shown]
	s_waitcnt vmcnt(19)
	v_mov_b64_e32 v[238:239], v[160:161]
	v_mov_b64_e32 v[88:89], v[48:49]
	;; [unrolled: 1-line block ×3, first 2 shown]
	v_mov_b32_e32 v102, v128
	v_mov_b32_e32 v103, v129
	;; [unrolled: 1-line block ×6, first 2 shown]
	v_mov_b64_e32 v[96:97], v[106:107]
	v_mov_b32_e32 v155, v233
	v_mov_b64_e32 v[236:237], v[158:159]
	v_mov_b64_e32 v[234:235], v[156:157]
	;; [unrolled: 1-line block ×8, first 2 shown]
	scratch_store_dwordx4 off, v[132:135], off offset:3864 ; 16-byte Folded Spill
	s_nop 0
	scratch_store_dwordx4 off, v[136:139], off offset:3880 ; 16-byte Folded Spill
	scratch_store_dwordx4 off, v[140:143], off offset:3896 ; 16-byte Folded Spill
	;; [unrolled: 1-line block ×7, first 2 shown]
	s_waitcnt vmcnt(14)
	v_mov_b32_e32 v126, v58
	scratch_load_dwordx4 v[46:49], off, off offset:2320 ; 16-byte Folded Reload
	scratch_load_dwordx4 v[50:53], off, off offset:2336 ; 16-byte Folded Reload
	;; [unrolled: 1-line block ×8, first 2 shown]
	v_mov_b64_e32 v[98:99], v[108:109]
	v_mov_b64_e32 v[100:101], v[110:111]
	;; [unrolled: 1-line block ×3, first 2 shown]
	v_mov_b32_e32 v127, v101
	v_mov_b32_e32 v134, v204
	v_mov_b32_e32 v135, v157
	v_mov_b32_e32 v136, v190
	v_mov_b32_e32 v139, v239
	v_mov_b32_e32 v109, v31
	v_mov_b64_e32 v[174:175], v[238:239]
	v_mov_b32_e32 v95, v101
	v_mov_b32_e32 v128, v138
	v_mov_b64_e32 v[144:145], v[162:163]
	v_mov_b64_e32 v[146:147], v[164:165]
	s_waitcnt vmcnt(6)
	v_mov_b64_e32 v[116:117], v[52:53]
	v_mov_b64_e32 v[114:115], v[50:51]
	;; [unrolled: 1-line block ×4, first 2 shown]
	scratch_load_dwordx4 v[46:49], off, s2  ; 16-byte Folded Reload
	scratch_load_dwordx4 v[50:53], off, s2 offset:16 ; 16-byte Folded Reload
	scratch_load_dwordx4 v[54:57], off, s2 offset:32 ; 16-byte Folded Reload
	;; [unrolled: 1-line block ×7, first 2 shown]
	v_mov_b32_e32 v129, v117
	v_mov_b64_e32 v[148:149], v[166:167]
	v_mov_b64_e32 v[150:151], v[168:169]
	;; [unrolled: 1-line block ×3, first 2 shown]
	s_movk_i32 s2, 0x1318
	v_mov_b64_e32 v[154:155], v[172:173]
	v_mov_b64_e32 v[158:159], v[222:223]
	;; [unrolled: 1-line block ×9, first 2 shown]
	s_waitcnt vmcnt(5)
	v_mov_b32_e32 v130, v54
	scratch_load_dwordx4 v[46:49], off, off offset:3092 ; 16-byte Folded Reload
	scratch_load_dwordx4 v[50:53], off, off offset:3108 ; 16-byte Folded Reload
	scratch_load_dwordx4 v[54:57], off, off offset:3124 ; 16-byte Folded Reload
	scratch_load_dwordx4 v[58:61], off, off offset:3140 ; 16-byte Folded Reload
	scratch_load_dwordx4 v[62:65], off, off offset:3156 ; 16-byte Folded Reload
	scratch_load_dwordx4 v[66:69], off, off offset:3172 ; 16-byte Folded Reload
	scratch_load_dwordx4 v[70:73], off, off offset:3188 ; 16-byte Folded Reload
	scratch_load_dwordx4 v[74:77], off, off offset:3204 ; 16-byte Folded Reload
	s_waitcnt vmcnt(5)
	v_mov_b32_e32 v131, v55
	scratch_store_dwordx4 off, v[34:37], off offset:2964 ; 16-byte Folded Spill
	s_nop 0
	scratch_store_dwordx4 off, v[38:41], off offset:2980 ; 16-byte Folded Spill
	scratch_store_dwordx4 off, v[42:45], off offset:2996 ; 16-byte Folded Spill
	scratch_store_dwordx4 off, v[46:49], off offset:3012 ; 16-byte Folded Spill
	scratch_store_dwordx4 off, v[50:53], off offset:3028 ; 16-byte Folded Spill
	scratch_store_dwordx4 off, v[54:57], off offset:3044 ; 16-byte Folded Spill
	s_waitcnt vmcnt(10)
	scratch_store_dwordx4 off, v[58:61], off offset:3060 ; 16-byte Folded Spill
	s_waitcnt vmcnt(10)
	scratch_store_dwordx4 off, v[62:65], off offset:3076 ; 16-byte Folded Spill
	scratch_load_dwordx4 v[46:49], off, off offset:1424 ; 16-byte Folded Reload
	s_nop 0
	scratch_load_dwordx4 v[50:53], off, off offset:1440 ; 16-byte Folded Reload
	scratch_load_dwordx4 v[54:57], off, off offset:1456 ; 16-byte Folded Reload
	;; [unrolled: 1-line block ×7, first 2 shown]
	v_mov_b32_e32 v132, v44
	s_waitcnt vmcnt(5)
	v_mov_b32_e32 v133, v57
	scratch_load_dwordx4 v[46:49], off, off offset:2064 ; 16-byte Folded Reload
	scratch_load_dwordx4 v[50:53], off, off offset:2080 ; 16-byte Folded Reload
	;; [unrolled: 1-line block ×8, first 2 shown]
	s_waitcnt vmcnt(4)
	v_mov_b32_e32 v137, v61
	scratch_load_dwordx4 v[54:57], off, off offset:2448 ; 16-byte Folded Reload
	scratch_load_dwordx4 v[58:61], off, off offset:2464 ; 16-byte Folded Reload
	;; [unrolled: 1-line block ×8, first 2 shown]
	s_waitcnt vmcnt(6)
	v_mov_b64_e32 v[60:61], v[14:15]
	v_mov_b64_e32 v[52:53], v[6:7]
	;; [unrolled: 1-line block ×5, first 2 shown]
	s_waitcnt vmcnt(2)
	v_mov_b64_e32 v[74:75], v[28:29]
	v_mov_b64_e32 v[58:59], v[12:13]
	;; [unrolled: 1-line block ×4, first 2 shown]
	v_mov_b32_e32 v0, v102
	v_mov_b32_e32 v1, v103
	;; [unrolled: 1-line block ×3, first 2 shown]
	s_waitcnt vmcnt(0)
	v_mov_b64_e32 v[78:79], v[110:111]
	v_mov_b64_e32 v[80:81], v[112:113]
	;; [unrolled: 1-line block ×4, first 2 shown]
	v_mov_b32_e32 v103, v157
	v_mov_b32_e32 v102, v204
	;; [unrolled: 1-line block ×3, first 2 shown]
	v_mov_b64_e32 v[72:73], v[26:27]
	v_mov_b64_e32 v[70:71], v[24:25]
	;; [unrolled: 1-line block ×7, first 2 shown]
	scratch_store_dwordx4 off, v[122:125], off offset:136 ; 16-byte Folded Spill
	s_nop 0
	scratch_store_dwordx4 off, v[126:129], off offset:152 ; 16-byte Folded Spill
	scratch_store_dwordx4 off, v[130:133], off offset:168 ; 16-byte Folded Spill
	;; [unrolled: 1-line block ×8, first 2 shown]
	s_nop 0
	scratch_store_dwordx4 off, v[26:29], off offset:2592 ; 16-byte Folded Spill
	scratch_store_dwordx4 off, v[30:33], off offset:2608 ; 16-byte Folded Spill
	;; [unrolled: 1-line block ×7, first 2 shown]
	v_mov_b32_e32 v41, v109
	v_mov_b32_e32 v91, v23
	scratch_store_dwordx4 off, v[0:3], s2   ; 16-byte Folded Spill
	s_nop 0
	scratch_store_dwordx4 off, v[4:7], s2 offset:16 ; 16-byte Folded Spill
	scratch_store_dwordx4 off, v[8:11], s2 offset:32 ; 16-byte Folded Spill
	;; [unrolled: 1-line block ×7, first 2 shown]
	scratch_load_dwordx4 v[206:209], off, off offset:3220 ; 16-byte Folded Reload
	scratch_load_dwordx4 v[210:213], off, off offset:3236 ; 16-byte Folded Reload
	;; [unrolled: 1-line block ×8, first 2 shown]
	v_mov_b64_e32 v[14:15], v[96:97]
	s_movk_i32 s2, 0x1418
	v_mov_b64_e32 v[16:17], v[98:99]
	v_mov_b64_e32 v[18:19], v[100:101]
	v_mov_b32_e32 v97, v117
	v_mov_b32_e32 v22, v46
	v_mov_b32_e32 v27, v19
	v_mov_b32_e32 v100, v44
	v_mov_b32_e32 v24, v2
	v_mov_b32_e32 v42, v30
	s_waitcnt vmcnt(6)
	v_mov_b32_e32 v94, v210
	scratch_load_dwordx4 v[206:209], off, off offset:3864 ; 16-byte Folded Reload
	scratch_load_dwordx4 v[210:213], off, off offset:3880 ; 16-byte Folded Reload
	;; [unrolled: 1-line block ×8, first 2 shown]
	s_waitcnt vmcnt(6)
	v_mov_b32_e32 v96, v212
	scratch_load_dwordx4 v[206:209], off, s2 ; 16-byte Folded Reload
	scratch_load_dwordx4 v[210:213], off, s2 offset:16 ; 16-byte Folded Reload
	scratch_load_dwordx4 v[214:217], off, s2 offset:32 ; 16-byte Folded Reload
	;; [unrolled: 1-line block ×7, first 2 shown]
	s_movk_i32 s2, 0xf98
	s_waitcnt vmcnt(5)
	v_mov_b32_e32 v32, v206
	v_mov_b32_e32 v33, v207
	;; [unrolled: 1-line block ×9, first 2 shown]
	scratch_load_dwordx4 v[206:209], off, off offset:3092 ; 16-byte Folded Reload
	scratch_load_dwordx4 v[210:213], off, off offset:3108 ; 16-byte Folded Reload
	;; [unrolled: 1-line block ×8, first 2 shown]
	v_mov_b32_e32 v98, v40
	s_waitcnt vmcnt(5)
	v_mov_b64_e32 v[110:111], v[206:207]
	v_mov_b64_e32 v[112:113], v[208:209]
	;; [unrolled: 1-line block ×5, first 2 shown]
	scratch_load_dwordx4 v[206:209], off, off offset:1424 ; 16-byte Folded Reload
	scratch_load_dwordx4 v[210:213], off, off offset:1440 ; 16-byte Folded Reload
	;; [unrolled: 1-line block ×8, first 2 shown]
	s_nop 0
	scratch_store_dwordx4 off, v[144:147], s2 ; 16-byte Folded Spill
	s_nop 0
	scratch_store_dwordx4 off, v[148:151], s2 offset:16 ; 16-byte Folded Spill
	scratch_store_dwordx4 off, v[152:155], s2 offset:32 ; 16-byte Folded Spill
	;; [unrolled: 1-line block ×7, first 2 shown]
	scratch_load_dwordx4 v[122:125], off, off offset:2064 ; 16-byte Folded Reload
	s_nop 0
	scratch_load_dwordx4 v[126:129], off, off offset:2080 ; 16-byte Folded Reload
	scratch_load_dwordx4 v[130:133], off, off offset:2096 ; 16-byte Folded Reload
	;; [unrolled: 1-line block ×7, first 2 shown]
	s_waitcnt vmcnt(18)
	v_mov_b32_e32 v226, v204
	v_mov_b32_e32 v212, v190
	s_movk_i32 s2, 0x15a0
	v_mov_b32_e32 v211, v189
	v_mov_b32_e32 v210, v188
	;; [unrolled: 1-line block ×7, first 2 shown]
	v_mov_b64_e32 v[224:225], v[202:203]
	v_mov_b64_e32 v[222:223], v[200:201]
	s_waitcnt vmcnt(4)
	v_mov_b32_e32 v105, v137
	scratch_load_dwordx4 v[122:125], off, off offset:2448 ; 16-byte Folded Reload
	scratch_load_dwordx4 v[126:129], off, off offset:2464 ; 16-byte Folded Reload
	;; [unrolled: 1-line block ×8, first 2 shown]
	v_mov_b64_e32 v[220:221], v[198:199]
	v_mov_b64_e32 v[218:219], v[196:197]
	;; [unrolled: 1-line block ×10, first 2 shown]
	scratch_store_dwordx4 off, v[158:161], s2 ; 16-byte Folded Spill
	s_nop 0
	scratch_store_dwordx4 off, v[162:165], s2 offset:16 ; 16-byte Folded Spill
	scratch_store_dwordx4 off, v[166:169], s2 offset:32 ; 16-byte Folded Spill
	;; [unrolled: 1-line block ×7, first 2 shown]
	s_movk_i32 s2, 0x1118
	s_waitcnt vmcnt(11)
	v_mov_b32_e32 v106, v138
	scratch_load_dwordx4 v[122:125], off, off offset:136 ; 16-byte Folded Reload
	scratch_load_dwordx4 v[126:129], off, off offset:152 ; 16-byte Folded Reload
	;; [unrolled: 1-line block ×8, first 2 shown]
	s_waitcnt vmcnt(4)
	v_mov_b64_e32 v[136:137], v[60:61]
	v_mov_b64_e32 v[134:135], v[58:59]
	;; [unrolled: 1-line block ×10, first 2 shown]
	s_waitcnt vmcnt(0)
	v_mov_b64_e32 v[150:151], v[28:29]
	v_mov_b32_e32 v108, v140
	v_mov_b64_e32 v[148:149], v[72:73]
	v_mov_b64_e32 v[146:147], v[70:71]
	;; [unrolled: 1-line block ×6, first 2 shown]
	scratch_store_dwordx4 off, v[46:49], s2 ; 16-byte Folded Spill
	s_nop 0
	scratch_store_dwordx4 off, v[50:53], s2 offset:16 ; 16-byte Folded Spill
	scratch_store_dwordx4 off, v[54:57], s2 offset:32 ; 16-byte Folded Spill
	;; [unrolled: 1-line block ×7, first 2 shown]
	scratch_load_dwordx4 v[166:169], off, off offset:3220 ; 16-byte Folded Reload
	scratch_load_dwordx4 v[170:173], off, off offset:3236 ; 16-byte Folded Reload
	;; [unrolled: 1-line block ×8, first 2 shown]
	s_movk_i32 s2, 0x1198
	s_waitcnt vmcnt(0)
	v_mov_b64_e32 v[188:189], v[198:199]
	v_mov_b64_e32 v[190:191], v[200:201]
	;; [unrolled: 1-line block ×6, first 2 shown]
	v_mov_b32_e32 v200, v210
	v_mov_b32_e32 v201, v211
	;; [unrolled: 1-line block ×5, first 2 shown]
	scratch_load_dwordx4 v[152:155], off, off offset:3864 ; 16-byte Folded Reload
	scratch_load_dwordx4 v[156:159], off, off offset:3880 ; 16-byte Folded Reload
	;; [unrolled: 1-line block ×8, first 2 shown]
	s_waitcnt vmcnt(6)
	v_mov_b32_e32 v0, v152
	v_mov_b32_e32 v1, v153
	;; [unrolled: 1-line block ×7, first 2 shown]
	s_waitcnt vmcnt(5)
	v_mov_b64_e32 v[160:161], v[84:85]
	v_mov_b64_e32 v[158:159], v[82:83]
	;; [unrolled: 1-line block ×4, first 2 shown]
	scratch_load_dwordx4 v[50:53], off, off offset:2964 ; 16-byte Folded Reload
	scratch_load_dwordx4 v[54:57], off, off offset:2980 ; 16-byte Folded Reload
	;; [unrolled: 1-line block ×8, first 2 shown]
	v_mov_b32_e32 v160, v40
	v_mov_b32_e32 v159, v39
	v_mov_b32_e32 v158, v38
	v_mov_b32_e32 v157, v37
	v_mov_b32_e32 v156, v36
	v_mov_b32_e32 v155, v35
	v_mov_b32_e32 v154, v34
	v_mov_b32_e32 v153, v33
	v_mov_b32_e32 v152, v32
	v_mov_b32_e32 v28, v6
	v_mov_b32_e32 v34, v226
	v_mov_b32_e32 v29, v161
	v_mov_b32_e32 v30, v160
	v_mov_b32_e32 v36, v212
	s_waitcnt vmcnt(5)
	v_mov_b32_e32 v32, v60
	scratch_load_dwordx4 v[50:53], off, off offset:1424 ; 16-byte Folded Reload
	scratch_load_dwordx4 v[54:57], off, off offset:1440 ; 16-byte Folded Reload
	;; [unrolled: 1-line block ×8, first 2 shown]
	s_nop 0
	scratch_store_dwordx4 off, v[214:217], s2 ; 16-byte Folded Spill
	s_nop 0
	scratch_store_dwordx4 off, v[218:221], s2 offset:16 ; 16-byte Folded Spill
	scratch_store_dwordx4 off, v[222:225], s2 offset:32 ; 16-byte Folded Spill
	;; [unrolled: 1-line block ×7, first 2 shown]
	s_movk_i32 s2, 0xf98
	v_mov_b32_e32 v219, v19
	v_mov_b32_e32 v221, v161
	;; [unrolled: 1-line block ×5, first 2 shown]
	s_waitcnt vmcnt(13)
	v_mov_b64_e32 v[0:1], v[50:51]
	v_mov_b64_e32 v[2:3], v[52:53]
	;; [unrolled: 1-line block ×6, first 2 shown]
	scratch_load_dwordx4 v[50:53], off, s2  ; 16-byte Folded Reload
	scratch_load_dwordx4 v[54:57], off, s2 offset:16 ; 16-byte Folded Reload
	scratch_load_dwordx4 v[58:61], off, s2 offset:32 ; 16-byte Folded Reload
	;; [unrolled: 1-line block ×7, first 2 shown]
	s_movk_i32 s2, 0x15a0
	v_mov_b32_e32 v33, v11
	v_mov_b64_e32 v[0:1], v[188:189]
	v_mov_b64_e32 v[2:3], v[190:191]
	;; [unrolled: 1-line block ×6, first 2 shown]
	s_waitcnt vmcnt(4)
	v_mov_b64_e32 v[12:13], v[62:63]
	scratch_load_dwordx4 v[50:53], off, off offset:2064 ; 16-byte Folded Reload
	scratch_load_dwordx4 v[54:57], off, off offset:2080 ; 16-byte Folded Reload
	;; [unrolled: 1-line block ×8, first 2 shown]
	v_mov_b32_e32 v35, v13
	v_mov_b32_e32 v227, v13
	s_waitcnt vmcnt(4)
	v_mov_b32_e32 v37, v65
	scratch_load_dwordx4 v[54:57], off, off offset:2448 ; 16-byte Folded Reload
	scratch_load_dwordx4 v[58:61], off, off offset:2464 ; 16-byte Folded Reload
	;; [unrolled: 1-line block ×8, first 2 shown]
	s_waitcnt vmcnt(3)
	v_mov_b32_e32 v38, v70
	scratch_load_dwordx4 v[50:53], off, s2  ; 16-byte Folded Reload
	scratch_load_dwordx4 v[54:57], off, s2 offset:16 ; 16-byte Folded Reload
	scratch_load_dwordx4 v[58:61], off, s2 offset:32 ; 16-byte Folded Reload
	;; [unrolled: 1-line block ×7, first 2 shown]
	s_movk_i32 s2, 0x1318
	s_waitcnt vmcnt(3)
	v_mov_b32_e32 v39, v67
	scratch_load_dwordx4 v[50:53], off, off offset:136 ; 16-byte Folded Reload
	scratch_load_dwordx4 v[54:57], off, off offset:152 ; 16-byte Folded Reload
	;; [unrolled: 1-line block ×8, first 2 shown]
	s_waitcnt vmcnt(2)
	v_mov_b32_e32 v72, v68
	v_mov_b32_e32 v71, v67
	;; [unrolled: 1-line block ×3, first 2 shown]
	v_mov_b64_e32 v[68:69], v[64:65]
	v_mov_b32_e32 v40, v72
	v_mov_b64_e32 v[66:67], v[62:63]
	v_mov_b64_e32 v[64:65], v[60:61]
	;; [unrolled: 1-line block ×7, first 2 shown]
	scratch_store_dwordx4 off, v[22:25], off offset:2836 ; 16-byte Folded Spill
	s_nop 0
	scratch_store_dwordx4 off, v[26:29], off offset:2852 ; 16-byte Folded Spill
	scratch_store_dwordx4 off, v[30:33], off offset:2868 ; 16-byte Folded Spill
	;; [unrolled: 1-line block ×7, first 2 shown]
	scratch_load_dwordx4 v[50:53], off, off offset:272 ; 16-byte Folded Reload
	s_nop 0
	scratch_load_dwordx4 v[54:57], off, off offset:288 ; 16-byte Folded Reload
	scratch_load_dwordx4 v[58:61], off, off offset:304 ; 16-byte Folded Reload
	;; [unrolled: 1-line block ×7, first 2 shown]
	v_mov_b32_e32 v235, v45
	v_mov_b32_e32 v217, v49
	s_waitcnt vmcnt(2)
	v_mov_b32_e32 v211, v73
	scratch_load_dwordx4 v[58:61], off, off offset:2576 ; 16-byte Folded Reload
	scratch_load_dwordx4 v[62:65], off, off offset:2592 ; 16-byte Folded Reload
	;; [unrolled: 1-line block ×8, first 2 shown]
	s_waitcnt vmcnt(0)
	v_mov_b64_e32 v[86:87], v[18:19]
	v_mov_b64_e32 v[84:85], v[16:17]
	v_mov_b64_e32 v[82:83], v[14:15]
	v_mov_b32_e32 v215, v59
	scratch_load_dwordx4 v[50:53], off, s2  ; 16-byte Folded Reload
	scratch_load_dwordx4 v[54:57], off, s2 offset:16 ; 16-byte Folded Reload
	scratch_load_dwordx4 v[58:61], off, s2 offset:32 ; 16-byte Folded Reload
	;; [unrolled: 1-line block ×7, first 2 shown]
	s_movk_i32 s2, 0x1198
	s_waitcnt vmcnt(7)
	v_mov_b32_e32 v216, v52
	scratch_load_dwordx4 v[50:53], off, off offset:3220 ; 16-byte Folded Reload
	scratch_load_dwordx4 v[54:57], off, off offset:3236 ; 16-byte Folded Reload
	;; [unrolled: 1-line block ×8, first 2 shown]
	s_nop 0
	scratch_store_dwordx4 off, v[82:85], off offset:3352 ; 16-byte Folded Spill
	s_nop 0
	scratch_store_dwordx4 off, v[86:89], off offset:3368 ; 16-byte Folded Spill
	scratch_store_dwordx4 off, v[90:93], off offset:3384 ; 16-byte Folded Spill
	;; [unrolled: 1-line block ×7, first 2 shown]
	scratch_load_dwordx4 v[14:17], off, off offset:3864 ; 16-byte Folded Reload
	scratch_load_dwordx4 v[18:21], off, off offset:3880 ; 16-byte Folded Reload
	;; [unrolled: 1-line block ×16, first 2 shown]
	s_waitcnt vmcnt(15)
	v_mov_b32_e32 v12, v200
	v_mov_b32_e32 v13, v201
	;; [unrolled: 1-line block ×10, first 2 shown]
	scratch_load_dwordx4 v[22:25], off, off offset:1424 ; 16-byte Folded Reload
	scratch_load_dwordx4 v[26:29], off, off offset:1440 ; 16-byte Folded Reload
	;; [unrolled: 1-line block ×8, first 2 shown]
	s_waitcnt vmcnt(13)
	v_mov_b32_e32 v224, v162
	v_mov_b32_e32 v233, v109
	;; [unrolled: 1-line block ×4, first 2 shown]
	s_waitcnt vmcnt(5)
	v_mov_b32_e32 v225, v33
	scratch_load_dwordx4 v[22:25], off, s2  ; 16-byte Folded Reload
	scratch_load_dwordx4 v[26:29], off, s2 offset:16 ; 16-byte Folded Reload
	scratch_load_dwordx4 v[30:33], off, s2 offset:32 ; 16-byte Folded Reload
	;; [unrolled: 1-line block ×7, first 2 shown]
	scratch_load_dwordx4 v[174:177], off, off offset:2064 ; 16-byte Folded Reload
	scratch_load_dwordx4 v[178:181], off, off offset:2080 ; 16-byte Folded Reload
	;; [unrolled: 1-line block ×16, first 2 shown]
	s_movk_i32 s2, 0x15a0
	s_waitcnt vmcnt(20)
	v_mov_b32_e32 v226, v34
	s_waitcnt vmcnt(12)
	v_mov_b32_e32 v229, v189
	;; [unrolled: 2-line block ×3, first 2 shown]
	scratch_load_dwordx4 v[152:155], off, s2 ; 16-byte Folded Reload
	scratch_load_dwordx4 v[156:159], off, s2 offset:16 ; 16-byte Folded Reload
	scratch_load_dwordx4 v[160:163], off, s2 offset:32 ; 16-byte Folded Reload
	scratch_load_dwordx4 v[164:167], off, s2 offset:48 ; 16-byte Folded Reload
	scratch_load_dwordx4 v[168:171], off, s2 offset:64 ; 16-byte Folded Reload
	scratch_load_dwordx4 v[172:175], off, s2 offset:80 ; 16-byte Folded Reload
	scratch_load_dwordx4 v[176:179], off, s2 offset:96 ; 16-byte Folded Reload
	scratch_load_dwordx4 v[180:183], off, s2 offset:112 ; 16-byte Folded Reload
	s_movk_i32 s2, 0x1318
	s_waitcnt vmcnt(3)
	v_mov_b32_e32 v231, v169
	scratch_load_dwordx4 v[156:159], off, off offset:136 ; 16-byte Folded Reload
	scratch_load_dwordx4 v[160:163], off, off offset:152 ; 16-byte Folded Reload
	scratch_load_dwordx4 v[164:167], off, off offset:168 ; 16-byte Folded Reload
	scratch_load_dwordx4 v[168:171], off, off offset:184 ; 16-byte Folded Reload
	scratch_load_dwordx4 v[172:175], off, off offset:200 ; 16-byte Folded Reload
	scratch_load_dwordx4 v[176:179], off, off offset:216 ; 16-byte Folded Reload
	scratch_load_dwordx4 v[180:183], off, off offset:232 ; 16-byte Folded Reload
	scratch_load_dwordx4 v[184:187], off, off offset:248 ; 16-byte Folded Reload
	s_waitcnt vmcnt(2)
	v_mov_b64_e32 v[178:179], v[108:109]
	v_mov_b64_e32 v[176:177], v[106:107]
	;; [unrolled: 1-line block ×17, first 2 shown]
	v_mov_b32_e32 v232, v174
	v_mov_b64_e32 v[174:175], v[104:105]
	v_mov_b64_e32 v[172:173], v[102:103]
	;; [unrolled: 1-line block ×8, first 2 shown]
	scratch_load_dwordx4 v[88:91], off, off offset:2836 ; 16-byte Folded Reload
	scratch_load_dwordx4 v[92:95], off, off offset:2852 ; 16-byte Folded Reload
	;; [unrolled: 1-line block ×8, first 2 shown]
	s_waitcnt vmcnt(2)
	v_mov_b32_e32 v234, v108
	scratch_store_dwordx4 off, v[214:217], off offset:3736 ; 16-byte Folded Spill
	s_nop 0
	scratch_store_dwordx4 off, v[218:221], off offset:3752 ; 16-byte Folded Spill
	scratch_store_dwordx4 off, v[222:225], off offset:3768 ; 16-byte Folded Spill
	scratch_store_dwordx4 off, v[226:229], off offset:3784 ; 16-byte Folded Spill
	scratch_store_dwordx4 off, v[230:233], off offset:3800 ; 16-byte Folded Spill
	scratch_store_dwordx4 off, v[234:237], off offset:3816 ; 16-byte Folded Spill
	scratch_store_dwordx4 off, v[238:241], off offset:3832 ; 16-byte Folded Spill
	scratch_store_dwordx4 off, v[242:245], off offset:3848 ; 16-byte Folded Spill
	scratch_load_dwordx4 v[88:91], off, off offset:2576 ; 16-byte Folded Reload
	scratch_load_dwordx4 v[92:95], off, off offset:2592 ; 16-byte Folded Reload
	;; [unrolled: 1-line block ×8, first 2 shown]
	scratch_load_dwordx4 v[28:31], off, s2  ; 16-byte Folded Reload
	scratch_load_dwordx4 v[32:35], off, s2 offset:16 ; 16-byte Folded Reload
	scratch_load_dwordx4 v[36:39], off, s2 offset:32 ; 16-byte Folded Reload
	;; [unrolled: 1-line block ×7, first 2 shown]
	s_movk_i32 s2, 0x1118
	scratch_load_dwordx4 v[98:101], off, s2 ; 16-byte Folded Reload
	scratch_load_dwordx4 v[102:105], off, s2 offset:16 ; 16-byte Folded Reload
	scratch_load_dwordx4 v[106:109], off, s2 offset:32 ; 16-byte Folded Reload
	;; [unrolled: 1-line block ×7, first 2 shown]
	s_waitcnt vmcnt(23)
	v_mov_b32_e32 v88, v130
	s_movk_i32 s2, 0x1418
	s_waitcnt vmcnt(2)
	v_mov_b32_e32 v120, v82
	v_mov_b32_e32 v103, v87
	;; [unrolled: 1-line block ×12, first 2 shown]
	v_mov_b64_e32 v[100:101], v[62:63]
	v_mov_b64_e32 v[98:99], v[60:61]
	scratch_load_dwordx4 v[66:69], off, off offset:2320 ; 16-byte Folded Reload
	scratch_load_dwordx4 v[70:73], off, off offset:2336 ; 16-byte Folded Reload
	;; [unrolled: 1-line block ×8, first 2 shown]
	scratch_load_dwordx4 v[32:35], off, s2  ; 16-byte Folded Reload
	scratch_load_dwordx4 v[36:39], off, s2 offset:16 ; 16-byte Folded Reload
	scratch_load_dwordx4 v[40:43], off, s2 offset:32 ; 16-byte Folded Reload
	;; [unrolled: 1-line block ×7, first 2 shown]
	s_movk_i32 s2, 0x1198
	s_waitcnt vmcnt(14)
	v_mov_b32_e32 v105, v73
	s_waitcnt vmcnt(5)
	v_mov_b32_e32 v76, v40
	v_mov_b32_e32 v75, v39
	;; [unrolled: 1-line block ×9, first 2 shown]
	scratch_load_dwordx4 v[32:35], off, off offset:3092 ; 16-byte Folded Reload
	scratch_load_dwordx4 v[36:39], off, off offset:3108 ; 16-byte Folded Reload
	;; [unrolled: 1-line block ×8, first 2 shown]
	v_mov_b32_e32 v106, v76
	s_waitcnt vmcnt(5)
	v_mov_b64_e32 v[18:19], v[32:33]
	v_mov_b64_e32 v[20:21], v[34:35]
	;; [unrolled: 1-line block ×5, first 2 shown]
	scratch_load_dwordx4 v[32:35], off, off offset:2964 ; 16-byte Folded Reload
	scratch_load_dwordx4 v[36:39], off, off offset:2980 ; 16-byte Folded Reload
	;; [unrolled: 1-line block ×8, first 2 shown]
	v_mov_b32_e32 v107, v27
	s_waitcnt vmcnt(0)
	v_mov_b32_e32 v66, v42
	v_mov_b32_e32 v63, v39
	;; [unrolled: 1-line block ×11, first 2 shown]
	scratch_load_dwordx4 v[32:35], off, off offset:1424 ; 16-byte Folded Reload
	scratch_load_dwordx4 v[36:39], off, off offset:1440 ; 16-byte Folded Reload
	;; [unrolled: 1-line block ×8, first 2 shown]
	v_mov_b32_e32 v108, v66
	s_waitcnt vmcnt(5)
	v_mov_b32_e32 v109, v43
	scratch_load_dwordx4 v[32:35], off, s2  ; 16-byte Folded Reload
	scratch_load_dwordx4 v[36:39], off, s2 offset:16 ; 16-byte Folded Reload
	scratch_load_dwordx4 v[40:43], off, s2 offset:32 ; 16-byte Folded Reload
	;; [unrolled: 1-line block ×7, first 2 shown]
	s_movk_i32 s2, 0xf98
	s_waitcnt vmcnt(4)
	v_mov_b32_e32 v110, v44
	scratch_load_dwordx4 v[34:37], off, s2  ; 16-byte Folded Reload
	scratch_load_dwordx4 v[38:41], off, s2 offset:16 ; 16-byte Folded Reload
	scratch_load_dwordx4 v[42:45], off, s2 offset:32 ; 16-byte Folded Reload
	;; [unrolled: 1-line block ×7, first 2 shown]
	s_movk_i32 s2, 0x1398
	scratch_store_dwordx4 off, v[0:3], s2   ; 16-byte Folded Spill
	s_nop 0
	scratch_store_dwordx4 off, v[4:7], s2 offset:16 ; 16-byte Folded Spill
	scratch_store_dwordx4 off, v[8:11], s2 offset:32 ; 16-byte Folded Spill
	scratch_store_dwordx4 off, v[12:15], s2 offset:48 ; 16-byte Folded Spill
	scratch_store_dwordx4 off, v[16:19], s2 offset:64 ; 16-byte Folded Spill
	scratch_store_dwordx4 off, v[20:23], s2 offset:80 ; 16-byte Folded Spill
	scratch_store_dwordx4 off, v[24:27], s2 offset:96 ; 16-byte Folded Spill
	scratch_store_dwordx4 off, v[28:31], s2 offset:112 ; 16-byte Folded Spill
	s_movk_i32 s2, 0x15a0
	v_mov_b32_e32 v88, v30
	s_waitcnt vmcnt(12)
	v_mov_b32_e32 v111, v47
	scratch_load_dwordx4 v[32:35], off, off offset:2448 ; 16-byte Folded Reload
	scratch_load_dwordx4 v[36:39], off, off offset:2464 ; 16-byte Folded Reload
	;; [unrolled: 1-line block ×8, first 2 shown]
	v_mov_b32_e32 v87, v29
	v_mov_b32_e32 v86, v28
	s_waitcnt vmcnt(3)
	v_mov_b32_e32 v16, v48
	v_mov_b32_e32 v114, v48
	scratch_load_dwordx4 v[32:35], off, s2  ; 16-byte Folded Reload
	scratch_load_dwordx4 v[36:39], off, s2 offset:16 ; 16-byte Folded Reload
	scratch_load_dwordx4 v[40:43], off, s2 offset:32 ; 16-byte Folded Reload
	;; [unrolled: 1-line block ×7, first 2 shown]
	s_movk_i32 s2, 0x1118
	s_waitcnt vmcnt(3)
	v_mov_b64_e32 v[236:237], v[48:49]
	scratch_load_dwordx4 v[34:37], off, off offset:136 ; 16-byte Folded Reload
	scratch_load_dwordx4 v[38:41], off, off offset:152 ; 16-byte Folded Reload
	;; [unrolled: 1-line block ×8, first 2 shown]
	s_nop 0
	scratch_store_dwordx4 off, v[160:163], off offset:528 ; 16-byte Folded Spill
	s_nop 0
	scratch_store_dwordx4 off, v[164:167], off offset:544 ; 16-byte Folded Spill
	scratch_store_dwordx4 off, v[168:171], off offset:560 ; 16-byte Folded Spill
	;; [unrolled: 1-line block ×7, first 2 shown]
	v_mov_b32_e32 v174, v66
	v_mov_b32_e32 v180, v16
	;; [unrolled: 1-line block ×9, first 2 shown]
	s_waitcnt vmcnt(11)
	v_mov_b32_e32 v116, v52
	scratch_load_dwordx4 v[34:37], off, off offset:2836 ; 16-byte Folded Reload
	scratch_load_dwordx4 v[38:41], off, off offset:2852 ; 16-byte Folded Reload
	;; [unrolled: 1-line block ×8, first 2 shown]
	s_waitcnt vmcnt(2)
	v_mov_b32_e32 v118, v54
	scratch_load_dwordx4 v[32:35], off, off offset:3736 ; 16-byte Folded Reload
	scratch_load_dwordx4 v[36:39], off, off offset:3752 ; 16-byte Folded Reload
	;; [unrolled: 1-line block ×8, first 2 shown]
	s_nop 0
	scratch_store_dwordx4 off, v[130:133], off offset:8 ; 16-byte Folded Spill
	s_nop 0
	scratch_store_dwordx4 off, v[134:137], off offset:24 ; 16-byte Folded Spill
	scratch_store_dwordx4 off, v[138:141], off offset:40 ; 16-byte Folded Spill
	;; [unrolled: 1-line block ×7, first 2 shown]
	s_waitcnt vmcnt(15)
	v_mov_b64_e32 v[32:33], v[26:27]
	v_mov_b32_e32 v154, v76
	v_mov_b32_e32 v153, v75
	;; [unrolled: 1-line block ×9, first 2 shown]
	v_mov_b64_e32 v[30:31], v[24:25]
	v_mov_b64_e32 v[28:29], v[22:23]
	v_mov_b64_e32 v[26:27], v[20:21]
	v_mov_b64_e32 v[24:25], v[18:19]
	v_mov_b32_e32 v173, v33
	s_waitcnt vmcnt(10)
	v_mov_b32_e32 v119, v53
	scratch_load_dwordx4 v[34:37], off, off offset:2576 ; 16-byte Folded Reload
	scratch_load_dwordx4 v[38:41], off, off offset:2592 ; 16-byte Folded Reload
	;; [unrolled: 1-line block ×8, first 2 shown]
	s_waitcnt vmcnt(7)
	v_mov_b32_e32 v189, v35
	scratch_load_dwordx4 v[34:37], off, s2  ; 16-byte Folded Reload
	scratch_load_dwordx4 v[38:41], off, s2 offset:16 ; 16-byte Folded Reload
	scratch_load_dwordx4 v[42:45], off, s2 offset:32 ; 16-byte Folded Reload
	;; [unrolled: 1-line block ×7, first 2 shown]
	s_movk_i32 s2, 0x1198
	s_waitcnt vmcnt(7)
	v_mov_b32_e32 v191, v37
	scratch_load_dwordx4 v[34:37], off, off offset:3220 ; 16-byte Folded Reload
	scratch_load_dwordx4 v[38:41], off, off offset:3236 ; 16-byte Folded Reload
	scratch_load_dwordx4 v[42:45], off, off offset:3252 ; 16-byte Folded Reload
	scratch_load_dwordx4 v[46:49], off, off offset:3268 ; 16-byte Folded Reload
	scratch_load_dwordx4 v[50:53], off, off offset:3284 ; 16-byte Folded Reload
	scratch_load_dwordx4 v[54:57], off, off offset:3300 ; 16-byte Folded Reload
	scratch_load_dwordx4 v[58:61], off, off offset:3316 ; 16-byte Folded Reload
	scratch_load_dwordx4 v[62:65], off, off offset:3332 ; 16-byte Folded Reload
	s_waitcnt vmcnt(6)
	v_mov_b32_e32 v192, v38
	scratch_load_dwordx4 v[34:37], off, off offset:3352 ; 16-byte Folded Reload
	scratch_load_dwordx4 v[38:41], off, off offset:3368 ; 16-byte Folded Reload
	scratch_load_dwordx4 v[42:45], off, off offset:3384 ; 16-byte Folded Reload
	scratch_load_dwordx4 v[46:49], off, off offset:3400 ; 16-byte Folded Reload
	scratch_load_dwordx4 v[50:53], off, off offset:3416 ; 16-byte Folded Reload
	scratch_load_dwordx4 v[54:57], off, off offset:3432 ; 16-byte Folded Reload
	scratch_load_dwordx4 v[58:61], off, off offset:3448 ; 16-byte Folded Reload
	scratch_load_dwordx4 v[62:65], off, off offset:3464 ; 16-byte Folded Reload
	;; [unrolled: 10-line block ×4, first 2 shown]
	scratch_load_dwordx4 v[44:47], off, off offset:1424 ; 16-byte Folded Reload
	scratch_load_dwordx4 v[48:51], off, off offset:1440 ; 16-byte Folded Reload
	;; [unrolled: 1-line block ×8, first 2 shown]
	v_mov_b32_e32 v164, v188
	v_mov_b32_e32 v165, v189
	;; [unrolled: 1-line block ×7, first 2 shown]
	s_waitcnt vmcnt(14)
	v_mov_b32_e32 v171, v41
	s_waitcnt vmcnt(5)
	v_mov_b32_e32 v175, v55
	scratch_load_dwordx4 v[44:47], off, s2  ; 16-byte Folded Reload
	scratch_load_dwordx4 v[48:51], off, s2 offset:16 ; 16-byte Folded Reload
	scratch_load_dwordx4 v[52:55], off, s2 offset:32 ; 16-byte Folded Reload
	scratch_load_dwordx4 v[56:59], off, s2 offset:48 ; 16-byte Folded Reload
	scratch_load_dwordx4 v[60:63], off, s2 offset:64 ; 16-byte Folded Reload
	scratch_load_dwordx4 v[64:67], off, s2 offset:80 ; 16-byte Folded Reload
	scratch_load_dwordx4 v[68:71], off, s2 offset:96 ; 16-byte Folded Reload
	scratch_load_dwordx4 v[72:75], off, s2 offset:112 ; 16-byte Folded Reload
	s_movk_i32 s2, 0xf98
	s_waitcnt vmcnt(4)
	v_mov_b32_e32 v176, v56
	scratch_load_dwordx4 v[44:47], off, s2  ; 16-byte Folded Reload
	scratch_load_dwordx4 v[48:51], off, s2 offset:16 ; 16-byte Folded Reload
	scratch_load_dwordx4 v[52:55], off, s2 offset:32 ; 16-byte Folded Reload
	scratch_load_dwordx4 v[56:59], off, s2 offset:48 ; 16-byte Folded Reload
	scratch_load_dwordx4 v[60:63], off, s2 offset:64 ; 16-byte Folded Reload
	scratch_load_dwordx4 v[64:67], off, s2 offset:80 ; 16-byte Folded Reload
	scratch_load_dwordx4 v[68:71], off, s2 offset:96 ; 16-byte Folded Reload
	scratch_load_dwordx4 v[72:75], off, s2 offset:112 ; 16-byte Folded Reload
	s_movk_i32 s2, 0x1398
	;; [unrolled: 11-line block ×3, first 2 shown]
	s_waitcnt vmcnt(4)
	v_mov_b32_e32 v178, v58
	scratch_load_dwordx4 v[44:47], off, off offset:2064 ; 16-byte Folded Reload
	scratch_load_dwordx4 v[48:51], off, off offset:2080 ; 16-byte Folded Reload
	;; [unrolled: 1-line block ×8, first 2 shown]
	s_waitcnt vmcnt(4)
	v_mov_b32_e32 v179, v59
	scratch_load_dwordx4 v[44:47], off, off offset:136 ; 16-byte Folded Reload
	scratch_load_dwordx4 v[48:51], off, off offset:152 ; 16-byte Folded Reload
	;; [unrolled: 1-line block ×16, first 2 shown]
	s_waitcnt vmcnt(11)
	v_mov_b32_e32 v182, v62
	s_waitcnt vmcnt(3)
	v_mov_b32_e32 v183, v19
	scratch_load_dwordx4 v[0:3], off, off offset:2836 ; 16-byte Folded Reload
	scratch_load_dwordx4 v[4:7], off, off offset:2852 ; 16-byte Folded Reload
	;; [unrolled: 1-line block ×16, first 2 shown]
	v_mov_b64_e32 v[62:63], v[164:165]
	v_mov_b64_e32 v[64:65], v[166:167]
	;; [unrolled: 1-line block ×8, first 2 shown]
	s_waitcnt vmcnt(2)
	v_mov_b32_e32 v211, v237
	v_mov_b32_e32 v172, v154
	v_mov_b64_e32 v[122:123], v[188:189]
	v_mov_b32_e32 v184, v20
	scratch_load_dwordx4 v[0:3], off, off offset:1040 ; 16-byte Folded Reload
	scratch_load_dwordx4 v[4:7], off, off offset:1056 ; 16-byte Folded Reload
	;; [unrolled: 1-line block ×8, first 2 shown]
	v_mov_b64_e32 v[124:125], v[190:191]
	v_mov_b64_e32 v[126:127], v[192:193]
	;; [unrolled: 1-line block ×9, first 2 shown]
	v_mov_b32_e32 v185, v143
	v_mov_b64_e32 v[78:79], v[180:181]
	v_mov_b64_e32 v[80:81], v[182:183]
	;; [unrolled: 1-line block ×5, first 2 shown]
	v_mov_b32_e32 v196, v88
	v_mov_b32_e32 v195, v87
	;; [unrolled: 1-line block ×5, first 2 shown]
	s_waitcnt vmcnt(1)
	v_mov_b32_e32 v219, v25
	scratch_load_dwordx4 v[0:3], off, off offset:784 ; 16-byte Folded Reload
	scratch_load_dwordx4 v[4:7], off, off offset:800 ; 16-byte Folded Reload
	;; [unrolled: 1-line block ×8, first 2 shown]
	v_mov_b32_e32 v161, v219
	v_mov_b32_e32 v245, v219
	s_waitcnt vmcnt(1)
	v_mov_b32_e32 v163, v27
	scratch_load_dwordx4 v[0:3], off, off offset:912 ; 16-byte Folded Reload
	scratch_load_dwordx4 v[4:7], off, off offset:928 ; 16-byte Folded Reload
	;; [unrolled: 1-line block ×8, first 2 shown]
	s_nop 0
	scratch_store_dwordx4 off, v[98:101], off offset:400 ; 16-byte Folded Spill
	s_nop 0
	scratch_store_dwordx4 off, v[102:105], off offset:416 ; 16-byte Folded Spill
	scratch_store_dwordx4 off, v[106:109], off offset:432 ; 16-byte Folded Spill
	scratch_store_dwordx4 off, v[110:113], off offset:448 ; 16-byte Folded Spill
	scratch_store_dwordx4 off, v[114:117], off offset:464 ; 16-byte Folded Spill
	scratch_store_dwordx4 off, v[118:121], off offset:480 ; 16-byte Folded Spill
	scratch_store_dwordx4 off, v[122:125], off offset:496 ; 16-byte Folded Spill
	scratch_store_dwordx4 off, v[126:129], off offset:512 ; 16-byte Folded Spill
	s_waitcnt vmcnt(9)
	v_mov_b32_e32 v188, v24
	scratch_load_dwordx4 v[0:3], off, off offset:8 ; 16-byte Folded Reload
	scratch_load_dwordx4 v[4:7], off, off offset:24 ; 16-byte Folded Reload
	;; [unrolled: 1-line block ×16, first 2 shown]
	v_mov_b32_e32 v160, v188
	v_mov_b32_e32 v218, v188
	s_waitcnt vmcnt(7)
	v_mov_b32_e32 v164, v0
	scratch_load_dwordx4 v[0:3], off, off offset:2576 ; 16-byte Folded Reload
	scratch_load_dwordx4 v[4:7], off, off offset:2592 ; 16-byte Folded Reload
	;; [unrolled: 1-line block ×8, first 2 shown]
	s_waitcnt vmcnt(7)
	v_mov_b32_e32 v165, v1
	scratch_load_dwordx4 v[0:3], off, s2    ; 16-byte Folded Reload
	scratch_load_dwordx4 v[4:7], off, s2 offset:16 ; 16-byte Folded Reload
	scratch_load_dwordx4 v[8:11], off, s2 offset:32 ; 16-byte Folded Reload
	;; [unrolled: 1-line block ×7, first 2 shown]
	s_movk_i32 s2, 0x1198
	s_waitcnt vmcnt(7)
	v_mov_b64_e32 v[46:47], v[2:3]
	v_mov_b64_e32 v[44:45], v[0:1]
	scratch_load_dwordx4 v[0:3], off, off offset:3220 ; 16-byte Folded Reload
	scratch_load_dwordx4 v[4:7], off, off offset:3236 ; 16-byte Folded Reload
	;; [unrolled: 1-line block ×8, first 2 shown]
	v_mov_b32_e32 v167, v47
	v_mov_b32_e32 v197, v47
	s_waitcnt vmcnt(6)
	v_mov_b32_e32 v168, v4
	scratch_load_dwordx4 v[0:3], off, off offset:3352 ; 16-byte Folded Reload
	scratch_load_dwordx4 v[4:7], off, off offset:3368 ; 16-byte Folded Reload
	scratch_load_dwordx4 v[8:11], off, off offset:3384 ; 16-byte Folded Reload
	scratch_load_dwordx4 v[12:15], off, off offset:3400 ; 16-byte Folded Reload
	scratch_load_dwordx4 v[16:19], off, off offset:3416 ; 16-byte Folded Reload
	scratch_load_dwordx4 v[20:23], off, off offset:3432 ; 16-byte Folded Reload
	scratch_load_dwordx4 v[24:27], off, off offset:3448 ; 16-byte Folded Reload
	scratch_load_dwordx4 v[28:31], off, off offset:3464 ; 16-byte Folded Reload
	s_waitcnt vmcnt(6)
	v_mov_b32_e32 v169, v5
	scratch_load_dwordx4 v[0:3], off, off offset:3864 ; 16-byte Folded Reload
	scratch_load_dwordx4 v[4:7], off, off offset:3880 ; 16-byte Folded Reload
	scratch_load_dwordx4 v[8:11], off, off offset:3896 ; 16-byte Folded Reload
	scratch_load_dwordx4 v[12:15], off, off offset:3912 ; 16-byte Folded Reload
	scratch_load_dwordx4 v[16:19], off, off offset:3928 ; 16-byte Folded Reload
	scratch_load_dwordx4 v[20:23], off, off offset:3944 ; 16-byte Folded Reload
	scratch_load_dwordx4 v[24:27], off, off offset:3960 ; 16-byte Folded Reload
	scratch_load_dwordx4 v[28:31], off, off offset:3976 ; 16-byte Folded Reload
	;; [unrolled: 10-line block ×5, first 2 shown]
	s_waitcnt vmcnt(5)
	v_mov_b32_e32 v175, v11
	scratch_load_dwordx4 v[0:3], off, s2    ; 16-byte Folded Reload
	scratch_load_dwordx4 v[4:7], off, s2 offset:16 ; 16-byte Folded Reload
	scratch_load_dwordx4 v[8:11], off, s2 offset:32 ; 16-byte Folded Reload
	;; [unrolled: 1-line block ×7, first 2 shown]
	s_movk_i32 s2, 0xf98
	s_waitcnt vmcnt(4)
	v_mov_b32_e32 v46, v12
	v_mov_b32_e32 v176, v12
	scratch_load_dwordx4 v[0:3], off, s2    ; 16-byte Folded Reload
	scratch_load_dwordx4 v[4:7], off, s2 offset:16 ; 16-byte Folded Reload
	scratch_load_dwordx4 v[8:11], off, s2 offset:32 ; 16-byte Folded Reload
	;; [unrolled: 1-line block ×7, first 2 shown]
	s_movk_i32 s2, 0x1398
	v_mov_b32_e32 v206, v46
	s_waitcnt vmcnt(4)
	v_mov_b64_e32 v[60:61], v[12:13]
	scratch_load_dwordx4 v[0:3], off, s2    ; 16-byte Folded Reload
	scratch_load_dwordx4 v[4:7], off, s2 offset:16 ; 16-byte Folded Reload
	scratch_load_dwordx4 v[8:11], off, s2 offset:32 ; 16-byte Folded Reload
	;; [unrolled: 1-line block ×7, first 2 shown]
	scratch_load_dwordx4 v[102:105], off, off offset:2064 ; 16-byte Folded Reload
	scratch_load_dwordx4 v[106:109], off, off offset:2080 ; 16-byte Folded Reload
	;; [unrolled: 1-line block ×8, first 2 shown]
	v_mov_b32_e32 v177, v61
	v_mov_b32_e32 v207, v61
	s_waitcnt vmcnt(12)
	v_mov_b32_e32 v178, v14
	s_waitcnt vmcnt(4)
	v_mov_b32_e32 v179, v117
	scratch_load_dwordx4 v[0:3], off, off offset:2448 ; 16-byte Folded Reload
	scratch_load_dwordx4 v[4:7], off, off offset:2464 ; 16-byte Folded Reload
	;; [unrolled: 1-line block ×16, first 2 shown]
	s_waitcnt vmcnt(11)
	v_mov_b32_e32 v180, v16
	s_waitcnt vmcnt(3)
	v_mov_b32_e32 v182, v120
	scratch_load_dwordx4 v[0:3], off, off offset:528 ; 16-byte Folded Reload
	scratch_load_dwordx4 v[4:7], off, off offset:544 ; 16-byte Folded Reload
	;; [unrolled: 1-line block ×16, first 2 shown]
	s_waitcnt vmcnt(12)
	v_mov_b64_e32 v[0:1], v[62:63]
	v_mov_b64_e32 v[2:3], v[64:65]
	;; [unrolled: 1-line block ×8, first 2 shown]
	s_waitcnt vmcnt(11)
	v_mov_b32_e32 v183, v19
	s_waitcnt vmcnt(10)
	v_mov_b64_e32 v[16:17], v[78:79]
	s_waitcnt vmcnt(2)
	v_mov_b32_e32 v184, v122
	scratch_load_dwordx4 v[102:105], off, off offset:3736 ; 16-byte Folded Reload
	scratch_load_dwordx4 v[106:109], off, off offset:3752 ; 16-byte Folded Reload
	;; [unrolled: 1-line block ×8, first 2 shown]
	v_mov_b64_e32 v[18:19], v[80:81]
	v_mov_b64_e32 v[20:21], v[82:83]
	;; [unrolled: 1-line block ×3, first 2 shown]
	v_mov_b32_e32 v187, v23
	v_mov_b32_e32 v217, v23
	s_waitcnt vmcnt(2)
	v_mov_b32_e32 v185, v123
	scratch_load_dwordx4 v[102:105], off, off offset:400 ; 16-byte Folded Reload
	scratch_load_dwordx4 v[106:109], off, off offset:416 ; 16-byte Folded Reload
	;; [unrolled: 1-line block ×8, first 2 shown]
	s_waitcnt vmcnt(2)
	v_mov_b32_e32 v186, v124
	scratch_load_dwordx4 v[114:117], off, off offset:8 ; 16-byte Folded Reload
	scratch_load_dwordx4 v[118:121], off, off offset:24 ; 16-byte Folded Reload
	;; [unrolled: 1-line block ×16, first 2 shown]
	s_waitcnt vmcnt(15)
	v_mov_b32_e32 v194, v114
	s_waitcnt vmcnt(7)
	v_mov_b32_e32 v195, v63
	scratch_load_dwordx4 v[62:65], off, off offset:3220 ; 16-byte Folded Reload
	scratch_load_dwordx4 v[66:69], off, off offset:3236 ; 16-byte Folded Reload
	;; [unrolled: 1-line block ×32, first 2 shown]
	s_waitcnt vmcnt(30)
	v_mov_b32_e32 v24, v62
	v_mov_b32_e32 v25, v63
	s_waitcnt vmcnt(14)
	v_mov_b32_e32 v200, v96
	s_waitcnt vmcnt(6)
	v_mov_b32_e32 v201, v121
	scratch_load_dwordx4 v[90:93], off, off offset:3092 ; 16-byte Folded Reload
	scratch_load_dwordx4 v[94:97], off, off offset:3108 ; 16-byte Folded Reload
	;; [unrolled: 1-line block ×8, first 2 shown]
	v_mov_b32_e32 v26, v64
	v_mov_b32_e32 v27, v65
	;; [unrolled: 1-line block ×3, first 2 shown]
	v_mov_b64_e32 v[62:63], v[84:85]
	v_mov_b64_e32 v[64:65], v[86:87]
	;; [unrolled: 1-line block ×3, first 2 shown]
	v_mov_b32_e32 v198, v28
	v_mov_b32_e32 v199, v67
	s_waitcnt vmcnt(5)
	v_mov_b32_e32 v203, v99
	scratch_load_dwordx4 v[90:93], off, off offset:2964 ; 16-byte Folded Reload
	scratch_load_dwordx4 v[94:97], off, off offset:2980 ; 16-byte Folded Reload
	;; [unrolled: 1-line block ×16, first 2 shown]
	scratch_load_dwordx4 v[68:71], off, s2  ; 16-byte Folded Reload
	scratch_load_dwordx4 v[72:75], off, s2 offset:16 ; 16-byte Folded Reload
	scratch_load_dwordx4 v[76:79], off, s2 offset:32 ; 16-byte Folded Reload
	;; [unrolled: 1-line block ×7, first 2 shown]
	scratch_load_dwordx4 v[34:37], off, off offset:2064 ; 16-byte Folded Reload
	scratch_load_dwordx4 v[38:41], off, off offset:2080 ; 16-byte Folded Reload
	;; [unrolled: 1-line block ×8, first 2 shown]
	s_movk_i32 s2, 0x1318
	s_waitcnt vmcnt(29)
	v_mov_b32_e32 v204, v100
	s_waitcnt vmcnt(21)
	v_mov_b32_e32 v205, v113
	;; [unrolled: 2-line block ×4, first 2 shown]
	scratch_load_dwordx4 v[34:37], off, off offset:2448 ; 16-byte Folded Reload
	scratch_load_dwordx4 v[38:41], off, off offset:2464 ; 16-byte Folded Reload
	scratch_load_dwordx4 v[42:45], off, off offset:2480 ; 16-byte Folded Reload
	scratch_load_dwordx4 v[46:49], off, off offset:2496 ; 16-byte Folded Reload
	scratch_load_dwordx4 v[50:53], off, off offset:2512 ; 16-byte Folded Reload
	scratch_load_dwordx4 v[54:57], off, off offset:2528 ; 16-byte Folded Reload
	scratch_load_dwordx4 v[58:61], off, off offset:2544 ; 16-byte Folded Reload
	scratch_load_dwordx4 v[62:65], off, off offset:2560 ; 16-byte Folded Reload
	s_waitcnt vmcnt(3)
	v_mov_b32_e32 v210, v50
	scratch_load_dwordx4 v[34:37], off, off offset:136 ; 16-byte Folded Reload
	scratch_load_dwordx4 v[38:41], off, off offset:152 ; 16-byte Folded Reload
	scratch_load_dwordx4 v[42:45], off, off offset:168 ; 16-byte Folded Reload
	scratch_load_dwordx4 v[46:49], off, off offset:184 ; 16-byte Folded Reload
	scratch_load_dwordx4 v[50:53], off, off offset:200 ; 16-byte Folded Reload
	scratch_load_dwordx4 v[54:57], off, off offset:216 ; 16-byte Folded Reload
	scratch_load_dwordx4 v[58:61], off, off offset:232 ; 16-byte Folded Reload
	scratch_load_dwordx4 v[62:65], off, off offset:248 ; 16-byte Folded Reload
	s_waitcnt vmcnt(3)
	v_mov_b32_e32 v212, v52
	;; [unrolled: 10-line block ×5, first 2 shown]
	scratch_load_dwordx4 v[34:37], off, off offset:400 ; 16-byte Folded Reload
	scratch_load_dwordx4 v[38:41], off, off offset:416 ; 16-byte Folded Reload
	;; [unrolled: 1-line block ×8, first 2 shown]
	s_nop 0
	scratch_store_dwordx4 off, v[0:3], off offset:272 ; 16-byte Folded Spill
	s_nop 0
	scratch_store_dwordx4 off, v[4:7], off offset:288 ; 16-byte Folded Spill
	scratch_store_dwordx4 off, v[8:11], off offset:304 ; 16-byte Folded Spill
	scratch_store_dwordx4 off, v[12:15], off offset:320 ; 16-byte Folded Spill
	scratch_store_dwordx4 off, v[16:19], off offset:336 ; 16-byte Folded Spill
	scratch_store_dwordx4 off, v[20:23], off offset:352 ; 16-byte Folded Spill
	scratch_store_dwordx4 off, v[24:27], off offset:368 ; 16-byte Folded Spill
	scratch_store_dwordx4 off, v[28:31], off offset:384 ; 16-byte Folded Spill
	s_waitcnt vmcnt(10)
	v_mov_b32_e32 v216, v56
	scratch_load_dwordx4 v[114:117], off, off offset:8 ; 16-byte Folded Reload
	scratch_load_dwordx4 v[118:121], off, off offset:24 ; 16-byte Folded Reload
	;; [unrolled: 1-line block ×16, first 2 shown]
	s_waitcnt vmcnt(1)
	v_mov_b32_e32 v140, v56
	scratch_load_dwordx4 v[34:37], off, off offset:2576 ; 16-byte Folded Reload
	scratch_load_dwordx4 v[38:41], off, off offset:2592 ; 16-byte Folded Reload
	;; [unrolled: 1-line block ×8, first 2 shown]
	v_mov_b32_e32 v66, v140
	v_mov_b32_e32 v246, v66
	;; [unrolled: 1-line block ×3, first 2 shown]
	s_waitcnt vmcnt(7)
	v_mov_b32_e32 v115, v35
	scratch_load_dwordx4 v[34:37], off, s2  ; 16-byte Folded Reload
	scratch_load_dwordx4 v[38:41], off, s2 offset:16 ; 16-byte Folded Reload
	scratch_load_dwordx4 v[42:45], off, s2 offset:32 ; 16-byte Folded Reload
	;; [unrolled: 1-line block ×7, first 2 shown]
	s_movk_i32 s2, 0x1118
	s_waitcnt vmcnt(5)
	v_mov_b32_e32 v44, v28
	v_mov_b32_e32 v45, v67
	s_waitcnt vmcnt(2)
	v_mov_b32_e32 v54, v82
	s_waitcnt vmcnt(0)
	v_mov_b32_e32 v64, v188
	v_mov_b32_e32 v48, v154
	;; [unrolled: 1-line block ×7, first 2 shown]
	scratch_load_dwordx4 v[90:93], off, s2  ; 16-byte Folded Reload
	scratch_load_dwordx4 v[94:97], off, s2 offset:16 ; 16-byte Folded Reload
	scratch_load_dwordx4 v[98:101], off, s2 offset:32 ; 16-byte Folded Reload
	;; [unrolled: 1-line block ×7, first 2 shown]
	v_mov_b32_e32 v38, v28
	v_mov_b32_e32 v37, v27
	;; [unrolled: 1-line block ×5, first 2 shown]
	s_movk_i32 s2, 0x1198
	s_waitcnt vmcnt(7)
	v_mov_b32_e32 v43, v93
	scratch_load_dwordx4 v[84:87], off, off offset:3864 ; 16-byte Folded Reload
	scratch_load_dwordx4 v[88:91], off, off offset:3880 ; 16-byte Folded Reload
	;; [unrolled: 1-line block ×24, first 2 shown]
	s_waitcnt vmcnt(9)
	v_mov_b32_e32 v140, v38
	s_waitcnt vmcnt(8)
	v_mov_b32_e32 v144, v154
	v_mov_b32_e32 v46, v90
	v_mov_b32_e32 v47, v121
	v_mov_b32_e32 v142, v90
	s_waitcnt vmcnt(5)
	v_mov_b32_e32 v49, v9
	scratch_load_dwordx4 v[0:3], off, off offset:2964 ; 16-byte Folded Reload
	scratch_load_dwordx4 v[4:7], off, off offset:2980 ; 16-byte Folded Reload
	;; [unrolled: 1-line block ×16, first 2 shown]
	s_waitcnt vmcnt(1)
	v_mov_b32_e32 v128, v38
	v_mov_b32_e32 v127, v37
	;; [unrolled: 1-line block ×7, first 2 shown]
	scratch_load_dwordx4 v[92:95], off, s2  ; 16-byte Folded Reload
	scratch_load_dwordx4 v[96:99], off, s2 offset:16 ; 16-byte Folded Reload
	scratch_load_dwordx4 v[100:103], off, s2 offset:32 ; 16-byte Folded Reload
	;; [unrolled: 1-line block ×7, first 2 shown]
	s_movk_i32 s2, 0xf98
	scratch_load_dwordx4 v[0:3], off, s2    ; 16-byte Folded Reload
	scratch_load_dwordx4 v[4:7], off, s2 offset:16 ; 16-byte Folded Reload
	scratch_load_dwordx4 v[8:11], off, s2 offset:32 ; 16-byte Folded Reload
	;; [unrolled: 1-line block ×7, first 2 shown]
	s_movk_i32 s2, 0x1318
	s_waitcnt vmcnt(8)
	v_mov_b32_e32 v122, v90
	v_mov_b32_e32 v121, v89
	;; [unrolled: 1-line block ×9, first 2 shown]
	s_waitcnt vmcnt(4)
	v_mov_b32_e32 v53, v13
	scratch_load_dwordx4 v[0:3], off, off offset:2064 ; 16-byte Folded Reload
	scratch_load_dwordx4 v[4:7], off, off offset:2080 ; 16-byte Folded Reload
	;; [unrolled: 1-line block ×8, first 2 shown]
	s_waitcnt vmcnt(4)
	v_mov_b32_e32 v55, v15
	scratch_load_dwordx4 v[0:3], off, off offset:2448 ; 16-byte Folded Reload
	scratch_load_dwordx4 v[4:7], off, off offset:2464 ; 16-byte Folded Reload
	;; [unrolled: 1-line block ×8, first 2 shown]
	v_mov_b64_e32 v[234:235], v[54:55]
	v_mov_b64_e32 v[232:233], v[52:53]
	;; [unrolled: 1-line block ×8, first 2 shown]
	s_waitcnt vmcnt(3)
	v_mov_b32_e32 v56, v16
	scratch_load_dwordx4 v[0:3], off, off offset:136 ; 16-byte Folded Reload
	scratch_load_dwordx4 v[4:7], off, off offset:152 ; 16-byte Folded Reload
	scratch_load_dwordx4 v[8:11], off, off offset:168 ; 16-byte Folded Reload
	scratch_load_dwordx4 v[12:15], off, off offset:184 ; 16-byte Folded Reload
	scratch_load_dwordx4 v[16:19], off, off offset:200 ; 16-byte Folded Reload
	scratch_load_dwordx4 v[20:23], off, off offset:216 ; 16-byte Folded Reload
	scratch_load_dwordx4 v[24:27], off, off offset:232 ; 16-byte Folded Reload
	scratch_load_dwordx4 v[28:31], off, off offset:248 ; 16-byte Folded Reload
	s_waitcnt vmcnt(3)
	v_mov_b32_e32 v58, v18
	scratch_load_dwordx4 v[0:3], off, off offset:528 ; 16-byte Folded Reload
	scratch_load_dwordx4 v[4:7], off, off offset:544 ; 16-byte Folded Reload
	scratch_load_dwordx4 v[8:11], off, off offset:560 ; 16-byte Folded Reload
	scratch_load_dwordx4 v[12:15], off, off offset:576 ; 16-byte Folded Reload
	scratch_load_dwordx4 v[16:19], off, off offset:592 ; 16-byte Folded Reload
	scratch_load_dwordx4 v[20:23], off, off offset:608 ; 16-byte Folded Reload
	scratch_load_dwordx4 v[24:27], off, off offset:624 ; 16-byte Folded Reload
	scratch_load_dwordx4 v[28:31], off, off offset:640 ; 16-byte Folded Reload
	;; [unrolled: 10-line block ×7, first 2 shown]
	v_mov_b32_e32 v244, v64
	v_mov_b32_e32 v243, v63
	;; [unrolled: 1-line block ×9, first 2 shown]
	s_waitcnt vmcnt(7)
	v_mov_b32_e32 v136, v0
	scratch_load_dwordx4 v[0:3], off, off offset:2576 ; 16-byte Folded Reload
	scratch_load_dwordx4 v[4:7], off, off offset:2592 ; 16-byte Folded Reload
	;; [unrolled: 1-line block ×8, first 2 shown]
	s_waitcnt vmcnt(7)
	v_mov_b32_e32 v137, v1
	scratch_load_dwordx4 v[0:3], off, s2    ; 16-byte Folded Reload
	scratch_load_dwordx4 v[4:7], off, s2 offset:16 ; 16-byte Folded Reload
	scratch_load_dwordx4 v[8:11], off, s2 offset:32 ; 16-byte Folded Reload
	;; [unrolled: 1-line block ×7, first 2 shown]
	s_movk_i32 s2, 0x1118
	s_waitcnt vmcnt(7)
	v_mov_b32_e32 v138, v2
	scratch_load_dwordx4 v[0:3], off, s2    ; 16-byte Folded Reload
	scratch_load_dwordx4 v[4:7], off, s2 offset:16 ; 16-byte Folded Reload
	scratch_load_dwordx4 v[8:11], off, s2 offset:32 ; 16-byte Folded Reload
	;; [unrolled: 1-line block ×7, first 2 shown]
	s_movk_i32 s2, 0xf98
	s_waitcnt vmcnt(7)
	v_mov_b32_e32 v139, v3
	scratch_load_dwordx4 v[0:3], off, off offset:3352 ; 16-byte Folded Reload
	scratch_load_dwordx4 v[4:7], off, off offset:3368 ; 16-byte Folded Reload
	scratch_load_dwordx4 v[8:11], off, off offset:3384 ; 16-byte Folded Reload
	scratch_load_dwordx4 v[12:15], off, off offset:3400 ; 16-byte Folded Reload
	scratch_load_dwordx4 v[16:19], off, off offset:3416 ; 16-byte Folded Reload
	scratch_load_dwordx4 v[20:23], off, off offset:3432 ; 16-byte Folded Reload
	scratch_load_dwordx4 v[24:27], off, off offset:3448 ; 16-byte Folded Reload
	scratch_load_dwordx4 v[28:31], off, off offset:3464 ; 16-byte Folded Reload
	s_waitcnt vmcnt(6)
	v_mov_b32_e32 v141, v5
	scratch_load_dwordx4 v[0:3], off, off offset:2320 ; 16-byte Folded Reload
	scratch_load_dwordx4 v[4:7], off, off offset:2336 ; 16-byte Folded Reload
	scratch_load_dwordx4 v[8:11], off, off offset:2352 ; 16-byte Folded Reload
	scratch_load_dwordx4 v[12:15], off, off offset:2368 ; 16-byte Folded Reload
	scratch_load_dwordx4 v[16:19], off, off offset:2384 ; 16-byte Folded Reload
	scratch_load_dwordx4 v[20:23], off, off offset:2400 ; 16-byte Folded Reload
	scratch_load_dwordx4 v[24:27], off, off offset:2416 ; 16-byte Folded Reload
	scratch_load_dwordx4 v[28:31], off, off offset:2432 ; 16-byte Folded Reload
	;; [unrolled: 10-line block ×5, first 2 shown]
	s_waitcnt vmcnt(5)
	v_mov_b32_e32 v147, v11
	scratch_load_dwordx4 v[0:3], off, s2    ; 16-byte Folded Reload
	scratch_load_dwordx4 v[4:7], off, s2 offset:16 ; 16-byte Folded Reload
	scratch_load_dwordx4 v[8:11], off, s2 offset:32 ; 16-byte Folded Reload
	;; [unrolled: 1-line block ×7, first 2 shown]
	s_movk_i32 s2, 0x1398
	s_waitcnt vmcnt(4)
	v_mov_b32_e32 v149, v13
	scratch_load_dwordx4 v[0:3], off, s2    ; 16-byte Folded Reload
	scratch_load_dwordx4 v[4:7], off, s2 offset:16 ; 16-byte Folded Reload
	scratch_load_dwordx4 v[8:11], off, s2 offset:32 ; 16-byte Folded Reload
	;; [unrolled: 1-line block ×7, first 2 shown]
	s_movk_i32 s2, 0x15a0
	s_waitcnt vmcnt(4)
	v_mov_b32_e32 v150, v14
	scratch_load_dwordx4 v[0:3], off, off offset:2064 ; 16-byte Folded Reload
	scratch_load_dwordx4 v[4:7], off, off offset:2080 ; 16-byte Folded Reload
	;; [unrolled: 1-line block ×8, first 2 shown]
	s_waitcnt vmcnt(4)
	v_mov_b32_e32 v151, v15
	scratch_load_dwordx4 v[0:3], off, off offset:2448 ; 16-byte Folded Reload
	scratch_load_dwordx4 v[4:7], off, off offset:2464 ; 16-byte Folded Reload
	;; [unrolled: 1-line block ×8, first 2 shown]
	scratch_load_dwordx4 v[66:69], off, s2  ; 16-byte Folded Reload
	scratch_load_dwordx4 v[70:73], off, s2 offset:16 ; 16-byte Folded Reload
	scratch_load_dwordx4 v[74:77], off, s2 offset:32 ; 16-byte Folded Reload
	;; [unrolled: 1-line block ×7, first 2 shown]
	v_cmp_neq_f32_e64 s[2:3], 0, v255
	s_waitcnt vmcnt(12)
	v_mov_b64_e32 v[112:113], v[14:15]
	v_mov_b64_e32 v[110:111], v[12:13]
	;; [unrolled: 1-line block ×8, first 2 shown]
	s_waitcnt vmcnt(11)
	v_mov_b32_e32 v114, v16
	v_mov_b32_e32 v152, v16
	scratch_load_dwordx4 v[0:3], off, off offset:136 ; 16-byte Folded Reload
	scratch_load_dwordx4 v[4:7], off, off offset:152 ; 16-byte Folded Reload
	;; [unrolled: 1-line block ×16, first 2 shown]
	s_waitcnt vmcnt(19)
	v_mov_b32_e32 v153, v83
	s_waitcnt vmcnt(11)
	v_mov_b32_e32 v154, v18
	scratch_load_dwordx4 v[0:3], off, off offset:2836 ; 16-byte Folded Reload
	scratch_load_dwordx4 v[4:7], off, off offset:2852 ; 16-byte Folded Reload
	;; [unrolled: 1-line block ×8, first 2 shown]
	s_waitcnt vmcnt(11)
	v_mov_b32_e32 v155, v53
	s_waitcnt vmcnt(2)
	v_mov_b32_e32 v156, v20
	scratch_load_dwordx4 v[0:3], off, off offset:3736 ; 16-byte Folded Reload
	scratch_load_dwordx4 v[4:7], off, off offset:3752 ; 16-byte Folded Reload
	scratch_load_dwordx4 v[8:11], off, off offset:3768 ; 16-byte Folded Reload
	scratch_load_dwordx4 v[12:15], off, off offset:3784 ; 16-byte Folded Reload
	scratch_load_dwordx4 v[16:19], off, off offset:3800 ; 16-byte Folded Reload
	scratch_load_dwordx4 v[20:23], off, off offset:3816 ; 16-byte Folded Reload
	scratch_load_dwordx4 v[24:27], off, off offset:3832 ; 16-byte Folded Reload
	scratch_load_dwordx4 v[28:31], off, off offset:3848 ; 16-byte Folded Reload
	s_waitcnt vmcnt(2)
	v_mov_b32_e32 v157, v21
	scratch_load_dwordx4 v[0:3], off, off offset:400 ; 16-byte Folded Reload
	scratch_load_dwordx4 v[4:7], off, off offset:416 ; 16-byte Folded Reload
	scratch_load_dwordx4 v[8:11], off, off offset:432 ; 16-byte Folded Reload
	scratch_load_dwordx4 v[12:15], off, off offset:448 ; 16-byte Folded Reload
	scratch_load_dwordx4 v[16:19], off, off offset:464 ; 16-byte Folded Reload
	scratch_load_dwordx4 v[20:23], off, off offset:480 ; 16-byte Folded Reload
	scratch_load_dwordx4 v[24:27], off, off offset:496 ; 16-byte Folded Reload
	scratch_load_dwordx4 v[28:31], off, off offset:512 ; 16-byte Folded Reload
	s_waitcnt vmcnt(2)
	v_mov_b32_e32 v158, v22
	scratch_load_dwordx4 v[0:3], off, off offset:272 ; 16-byte Folded Reload
	scratch_load_dwordx4 v[4:7], off, off offset:288 ; 16-byte Folded Reload
	scratch_load_dwordx4 v[8:11], off, off offset:304 ; 16-byte Folded Reload
	scratch_load_dwordx4 v[12:15], off, off offset:320 ; 16-byte Folded Reload
	scratch_load_dwordx4 v[16:19], off, off offset:336 ; 16-byte Folded Reload
	scratch_load_dwordx4 v[20:23], off, off offset:352 ; 16-byte Folded Reload
	scratch_load_dwordx4 v[24:27], off, off offset:368 ; 16-byte Folded Reload
	scratch_load_dwordx4 v[28:31], off, off offset:384 ; 16-byte Folded Reload
	s_waitcnt lgkmcnt(0)
	s_barrier
	scratch_load_dword v0, off, off offset:4 ; 4-byte Folded Reload
	s_waitcnt vmcnt(3)
	v_mov_b32_e32 v159, v23
	scratch_store_dwordx4 off, v[136:139], off offset:784 ; 16-byte Folded Spill
	s_nop 0
	scratch_store_dwordx4 off, v[140:143], off offset:800 ; 16-byte Folded Spill
	scratch_store_dwordx4 off, v[144:147], off offset:816 ; 16-byte Folded Spill
	;; [unrolled: 1-line block ×7, first 2 shown]
	v_mov_b64_e32 v[130:131], v[220:221]
	v_mov_b64_e32 v[132:133], v[222:223]
	;; [unrolled: 1-line block ×16, first 2 shown]
	scratch_store_dwordx4 off, v[194:197], off offset:1168 ; 16-byte Folded Spill
	s_nop 0
	scratch_store_dwordx4 off, v[198:201], off offset:1184 ; 16-byte Folded Spill
	scratch_store_dwordx4 off, v[202:205], off offset:1200 ; 16-byte Folded Spill
	;; [unrolled: 1-line block ×7, first 2 shown]
	v_mov_b32_e32 v214, v188
	scratch_store_dwordx4 off, v[164:167], off offset:1040 ; 16-byte Folded Spill
	s_nop 0
	scratch_store_dwordx4 off, v[168:171], off offset:1056 ; 16-byte Folded Spill
	scratch_store_dwordx4 off, v[172:175], off offset:1072 ; 16-byte Folded Spill
	;; [unrolled: 1-line block ×7, first 2 shown]
	s_waitcnt vmcnt(24)
	v_cmp_lt_i32_e32 vcc, 1, v0
	scratch_load_dwordx4 v[164:167], off, off offset:8 ; 16-byte Folded Reload
	scratch_load_dwordx4 v[168:171], off, off offset:24 ; 16-byte Folded Reload
	;; [unrolled: 1-line block ×16, first 2 shown]
	v_mov_b32_e32 v230, v114
	v_mov_b32_e32 v157, v163
	s_waitcnt vmcnt(2)
	v_mov_b32_e32 v217, v23
	scratch_store_dwordx4 off, v[0:3], off offset:1296 ; 16-byte Folded Spill
	s_nop 0
	scratch_store_dwordx4 off, v[4:7], off offset:1312 ; 16-byte Folded Spill
	scratch_store_dwordx4 off, v[8:11], off offset:1328 ; 16-byte Folded Spill
	scratch_store_dwordx4 off, v[12:15], off offset:1344 ; 16-byte Folded Spill
	scratch_store_dwordx4 off, v[16:19], off offset:1360 ; 16-byte Folded Spill
	scratch_store_dwordx4 off, v[20:23], off offset:1376 ; 16-byte Folded Spill
	s_waitcnt vmcnt(7)
	scratch_store_dwordx4 off, v[24:27], off offset:1392 ; 16-byte Folded Spill
	s_waitcnt vmcnt(7)
	scratch_store_dwordx4 off, v[28:31], off offset:1408 ; 16-byte Folded Spill
	scratch_load_dwordx4 v[0:3], off, off offset:400 ; 16-byte Folded Reload
	s_nop 0
	scratch_load_dwordx4 v[4:7], off, off offset:416 ; 16-byte Folded Reload
	scratch_load_dwordx4 v[8:11], off, off offset:432 ; 16-byte Folded Reload
	scratch_load_dwordx4 v[12:15], off, off offset:448 ; 16-byte Folded Reload
	scratch_load_dwordx4 v[16:19], off, off offset:464 ; 16-byte Folded Reload
	scratch_load_dwordx4 v[20:23], off, off offset:480 ; 16-byte Folded Reload
	scratch_load_dwordx4 v[24:27], off, off offset:496 ; 16-byte Folded Reload
	scratch_load_dwordx4 v[28:31], off, off offset:512 ; 16-byte Folded Reload
	s_waitcnt vmcnt(2)
	v_mov_b32_e32 v218, v22
	scratch_store_dwordx4 off, v[0:3], off offset:912 ; 16-byte Folded Spill
	s_nop 0
	scratch_store_dwordx4 off, v[4:7], off offset:928 ; 16-byte Folded Spill
	scratch_store_dwordx4 off, v[8:11], off offset:944 ; 16-byte Folded Spill
	scratch_store_dwordx4 off, v[12:15], off offset:960 ; 16-byte Folded Spill
	scratch_store_dwordx4 off, v[16:19], off offset:976 ; 16-byte Folded Spill
	scratch_store_dwordx4 off, v[20:23], off offset:992 ; 16-byte Folded Spill
	s_waitcnt vmcnt(7)
	scratch_store_dwordx4 off, v[24:27], off offset:1008 ; 16-byte Folded Spill
	s_waitcnt vmcnt(7)
	scratch_store_dwordx4 off, v[28:31], off offset:1024 ; 16-byte Folded Spill
	scratch_load_dwordx4 v[0:3], off, off offset:3736 ; 16-byte Folded Reload
	s_nop 0
	scratch_load_dwordx4 v[4:7], off, off offset:3752 ; 16-byte Folded Reload
	scratch_load_dwordx4 v[8:11], off, off offset:3768 ; 16-byte Folded Reload
	scratch_load_dwordx4 v[12:15], off, off offset:3784 ; 16-byte Folded Reload
	scratch_load_dwordx4 v[16:19], off, off offset:3800 ; 16-byte Folded Reload
	scratch_load_dwordx4 v[20:23], off, off offset:3816 ; 16-byte Folded Reload
	scratch_load_dwordx4 v[24:27], off, off offset:3832 ; 16-byte Folded Reload
	scratch_load_dwordx4 v[28:31], off, off offset:3848 ; 16-byte Folded Reload
	;; [unrolled: 22-line block ×3, first 2 shown]
	s_waitcnt vmcnt(2)
	v_mov_b32_e32 v244, v20
	scratch_store_dwordx4 off, v[0:3], off offset:272 ; 16-byte Folded Spill
	s_nop 0
	scratch_store_dwordx4 off, v[4:7], off offset:288 ; 16-byte Folded Spill
	scratch_store_dwordx4 off, v[8:11], off offset:304 ; 16-byte Folded Spill
	;; [unrolled: 1-line block ×5, first 2 shown]
	s_waitcnt vmcnt(7)
	scratch_store_dwordx4 off, v[24:27], off offset:368 ; 16-byte Folded Spill
	s_waitcnt vmcnt(7)
	scratch_store_dwordx4 off, v[28:31], off offset:384 ; 16-byte Folded Spill
	scratch_store_dwordx4 off, v[34:37], off offset:1808 ; 16-byte Folded Spill
	s_nop 0
	scratch_store_dwordx4 off, v[38:41], off offset:1824 ; 16-byte Folded Spill
	scratch_store_dwordx4 off, v[42:45], off offset:1840 ; 16-byte Folded Spill
	;; [unrolled: 1-line block ×7, first 2 shown]
	scratch_load_dwordx4 v[34:37], off, off offset:136 ; 16-byte Folded Reload
	s_nop 0
	scratch_load_dwordx4 v[38:41], off, off offset:152 ; 16-byte Folded Reload
	scratch_load_dwordx4 v[42:45], off, off offset:168 ; 16-byte Folded Reload
	;; [unrolled: 1-line block ×7, first 2 shown]
	s_waitcnt vmcnt(7)
	scratch_store_dwordx4 off, v[34:37], off offset:400 ; 16-byte Folded Spill
	s_waitcnt vmcnt(7)
	scratch_store_dwordx4 off, v[38:41], off offset:416 ; 16-byte Folded Spill
	;; [unrolled: 2-line block ×8, first 2 shown]
	scratch_store_dwordx4 off, v[66:69], off offset:2192 ; 16-byte Folded Spill
	s_nop 0
	scratch_store_dwordx4 off, v[70:73], off offset:2208 ; 16-byte Folded Spill
	scratch_store_dwordx4 off, v[74:77], off offset:2224 ; 16-byte Folded Spill
	;; [unrolled: 1-line block ×8, first 2 shown]
	s_nop 0
	scratch_store_dwordx4 off, v[102:105], off offset:1696 ; 16-byte Folded Spill
	scratch_store_dwordx4 off, v[106:109], off offset:1712 ; 16-byte Folded Spill
	;; [unrolled: 1-line block ×7, first 2 shown]
	scratch_load_dwordx4 v[18:21], off, off offset:2064 ; 16-byte Folded Reload
	scratch_load_dwordx4 v[22:25], off, off offset:2080 ; 16-byte Folded Reload
	;; [unrolled: 1-line block ×8, first 2 shown]
	s_waitcnt vmcnt(4)
	v_mov_b64_e32 v[0:1], v[18:19]
	v_mov_b64_e32 v[2:3], v[20:21]
	;; [unrolled: 1-line block ×8, first 2 shown]
	scratch_store_dwordx4 off, v[0:3], off offset:2708 ; 16-byte Folded Spill
	s_nop 0
	scratch_store_dwordx4 off, v[4:7], off offset:2724 ; 16-byte Folded Spill
	scratch_store_dwordx4 off, v[8:11], off offset:2740 ; 16-byte Folded Spill
	;; [unrolled: 1-line block ×7, first 2 shown]
	scratch_load_dwordx4 v[34:37], off, s18 ; 16-byte Folded Reload
	scratch_load_dwordx4 v[38:41], off, s18 offset:16 ; 16-byte Folded Reload
	scratch_load_dwordx4 v[42:45], off, s18 offset:32 ; 16-byte Folded Reload
	;; [unrolled: 1-line block ×7, first 2 shown]
	s_movk_i32 s18, 0xf98
	s_waitcnt vmcnt(5)
	v_mov_b64_e32 v[0:1], v[34:35]
	s_waitcnt vmcnt(4)
	v_mov_b32_e32 v12, v46
	v_mov_b64_e32 v[2:3], v[36:37]
	v_mov_b64_e32 v[4:5], v[38:39]
	;; [unrolled: 1-line block ×5, first 2 shown]
	v_mov_b32_e32 v13, v47
	v_mov_b32_e32 v14, v48
	;; [unrolled: 1-line block ×3, first 2 shown]
	scratch_store_dwordx4 off, v[0:3], off offset:656 ; 16-byte Folded Spill
	s_nop 0
	scratch_store_dwordx4 off, v[4:7], off offset:672 ; 16-byte Folded Spill
	scratch_store_dwordx4 off, v[8:11], off offset:688 ; 16-byte Folded Spill
	;; [unrolled: 1-line block ×7, first 2 shown]
	scratch_load_dwordx4 v[34:37], off, s18 ; 16-byte Folded Reload
	scratch_load_dwordx4 v[38:41], off, s18 offset:16 ; 16-byte Folded Reload
	scratch_load_dwordx4 v[42:45], off, s18 offset:32 ; 16-byte Folded Reload
	;; [unrolled: 1-line block ×7, first 2 shown]
	s_movk_i32 s18, 0x1198
	s_waitcnt vmcnt(5)
	v_mov_b64_e32 v[0:1], v[34:35]
	v_mov_b64_e32 v[2:3], v[36:37]
	;; [unrolled: 1-line block ×6, first 2 shown]
	s_waitcnt vmcnt(4)
	v_mov_b64_e32 v[12:13], v[46:47]
	scratch_store_dwordx4 off, v[0:3], off offset:3480 ; 16-byte Folded Spill
	s_nop 0
	scratch_store_dwordx4 off, v[4:7], off offset:3496 ; 16-byte Folded Spill
	scratch_store_dwordx4 off, v[8:11], off offset:3512 ; 16-byte Folded Spill
	scratch_store_dwordx4 off, v[12:15], off offset:3528 ; 16-byte Folded Spill
	scratch_store_dwordx4 off, v[16:19], off offset:3544 ; 16-byte Folded Spill
	scratch_store_dwordx4 off, v[20:23], off offset:3560 ; 16-byte Folded Spill
	scratch_store_dwordx4 off, v[24:27], off offset:3576 ; 16-byte Folded Spill
	scratch_store_dwordx4 off, v[28:31], off offset:3592 ; 16-byte Folded Spill
	scratch_load_dwordx4 v[18:21], off, s18 ; 16-byte Folded Reload
	s_nop 0
	scratch_load_dwordx4 v[22:25], off, s18 offset:16 ; 16-byte Folded Reload
	scratch_load_dwordx4 v[26:29], off, s18 offset:32 ; 16-byte Folded Reload
	;; [unrolled: 1-line block ×7, first 2 shown]
	s_movk_i32 s18, 0x1098
	s_waitcnt vmcnt(5)
	v_mov_b64_e32 v[0:1], v[18:19]
	v_mov_b64_e32 v[2:3], v[20:21]
	;; [unrolled: 1-line block ×6, first 2 shown]
	s_waitcnt vmcnt(4)
	v_mov_b32_e32 v12, v30
	scratch_store_dwordx4 off, v[0:3], off offset:1936 ; 16-byte Folded Spill
	s_nop 0
	scratch_store_dwordx4 off, v[4:7], off offset:1952 ; 16-byte Folded Spill
	scratch_store_dwordx4 off, v[8:11], off offset:1968 ; 16-byte Folded Spill
	;; [unrolled: 1-line block ×7, first 2 shown]
	scratch_load_dwordx4 v[18:21], off, off offset:1424 ; 16-byte Folded Reload
	s_nop 0
	scratch_load_dwordx4 v[22:25], off, off offset:1440 ; 16-byte Folded Reload
	scratch_load_dwordx4 v[26:29], off, off offset:1456 ; 16-byte Folded Reload
	;; [unrolled: 1-line block ×7, first 2 shown]
	s_waitcnt vmcnt(5)
	v_mov_b64_e32 v[0:1], v[18:19]
	v_mov_b64_e32 v[2:3], v[20:21]
	;; [unrolled: 1-line block ×6, first 2 shown]
	scratch_store_dwordx4 off, v[0:3], s18  ; 16-byte Folded Spill
	s_nop 0
	scratch_store_dwordx4 off, v[4:7], s18 offset:16 ; 16-byte Folded Spill
	scratch_store_dwordx4 off, v[8:11], s18 offset:32 ; 16-byte Folded Spill
	;; [unrolled: 1-line block ×6, first 2 shown]
	s_waitcnt vmcnt(11)
	scratch_store_dwordx4 off, v[28:31], s18 offset:112 ; 16-byte Folded Spill
	scratch_load_dwordx4 v[18:21], off, off offset:2964 ; 16-byte Folded Reload
	s_nop 0
	scratch_load_dwordx4 v[22:25], off, off offset:2980 ; 16-byte Folded Reload
	scratch_load_dwordx4 v[26:29], off, off offset:2996 ; 16-byte Folded Reload
	;; [unrolled: 1-line block ×7, first 2 shown]
	s_movk_i32 s18, 0x1298
	s_waitcnt vmcnt(5)
	v_mov_b32_e32 v0, v18
	v_mov_b32_e32 v1, v19
	;; [unrolled: 1-line block ×11, first 2 shown]
	scratch_store_dwordx4 off, v[0:3], off offset:3608 ; 16-byte Folded Spill
	s_nop 0
	scratch_store_dwordx4 off, v[4:7], off offset:3624 ; 16-byte Folded Spill
	scratch_store_dwordx4 off, v[8:11], off offset:3640 ; 16-byte Folded Spill
	;; [unrolled: 1-line block ×6, first 2 shown]
	s_waitcnt vmcnt(11)
	scratch_store_dwordx4 off, v[28:31], off offset:3720 ; 16-byte Folded Spill
	scratch_load_dwordx4 v[34:37], off, off offset:3092 ; 16-byte Folded Reload
	scratch_load_dwordx4 v[38:41], off, off offset:3108 ; 16-byte Folded Reload
	;; [unrolled: 1-line block ×8, first 2 shown]
	s_waitcnt vmcnt(5)
	v_mov_b64_e32 v[0:1], v[34:35]
	v_mov_b64_e32 v[2:3], v[36:37]
	;; [unrolled: 1-line block ×5, first 2 shown]
	v_mov_b32_e32 v211, v9
	scratch_store_dwordx4 off, v[0:3], s18  ; 16-byte Folded Spill
	s_nop 0
	scratch_store_dwordx4 off, v[4:7], s18 offset:16 ; 16-byte Folded Spill
	scratch_store_dwordx4 off, v[8:11], s18 offset:32 ; 16-byte Folded Spill
	;; [unrolled: 1-line block ×7, first 2 shown]
	s_movk_i32 s18, 0x1418
	scratch_load_dwordx4 v[18:21], off, s18 ; 16-byte Folded Reload
	scratch_load_dwordx4 v[22:25], off, s18 offset:16 ; 16-byte Folded Reload
	scratch_load_dwordx4 v[26:29], off, s18 offset:32 ; 16-byte Folded Reload
	;; [unrolled: 1-line block ×7, first 2 shown]
	s_movk_i32 s18, 0x1218
	s_waitcnt vmcnt(5)
	v_mov_b32_e32 v0, v18
	v_mov_b32_e32 v1, v19
	v_mov_b32_e32 v2, v20
	v_mov_b32_e32 v3, v21
	v_mov_b32_e32 v4, v22
	v_mov_b32_e32 v5, v23
	v_mov_b32_e32 v6, v24
	v_mov_b32_e32 v7, v25
	v_mov_b32_e32 v8, v26
	v_mov_b32_e32 v210, v8
	scratch_store_dwordx4 off, v[0:3], s18  ; 16-byte Folded Spill
	s_nop 0
	scratch_store_dwordx4 off, v[4:7], s18 offset:16 ; 16-byte Folded Spill
	scratch_store_dwordx4 off, v[8:11], s18 offset:32 ; 16-byte Folded Spill
	;; [unrolled: 1-line block ×6, first 2 shown]
	s_waitcnt vmcnt(11)
	scratch_store_dwordx4 off, v[28:31], s18 offset:112 ; 16-byte Folded Spill
	scratch_load_dwordx4 v[34:37], off, off offset:2320 ; 16-byte Folded Reload
	scratch_load_dwordx4 v[38:41], off, off offset:2336 ; 16-byte Folded Reload
	;; [unrolled: 1-line block ×8, first 2 shown]
	s_movk_i32 s18, 0x1520
	s_waitcnt vmcnt(6)
	v_mov_b64_e32 v[0:1], v[34:35]
	v_mov_b64_e32 v[2:3], v[36:37]
	;; [unrolled: 1-line block ×4, first 2 shown]
	v_mov_b32_e32 v213, v7
	scratch_store_dwordx4 off, v[0:3], s18  ; 16-byte Folded Spill
	s_nop 0
	scratch_store_dwordx4 off, v[4:7], s18 offset:16 ; 16-byte Folded Spill
	scratch_store_dwordx4 off, v[8:11], s18 offset:32 ; 16-byte Folded Spill
	;; [unrolled: 1-line block ×7, first 2 shown]
	v_mov_b32_e32 v0, v116
	v_mov_b32_e32 v1, v117
	v_mov_b32_e32 v2, v118
	v_mov_b32_e32 v3, v119
	v_mov_b32_e32 v4, v120
	v_mov_b32_e32 v5, v121
	v_mov_b32_e32 v6, v122
	s_movk_i32 s18, 0x14a0
	v_mov_b32_e32 v212, v6
	scratch_store_dwordx4 off, v[0:3], s18  ; 16-byte Folded Spill
	s_nop 0
	scratch_store_dwordx4 off, v[4:7], s18 offset:16 ; 16-byte Folded Spill
	scratch_store_dwordx4 off, v[8:11], s18 offset:32 ; 16-byte Folded Spill
	;; [unrolled: 1-line block ×7, first 2 shown]
	scratch_load_dwordx4 v[34:37], off, off offset:3352 ; 16-byte Folded Reload
	scratch_load_dwordx4 v[38:41], off, off offset:3368 ; 16-byte Folded Reload
	;; [unrolled: 1-line block ×8, first 2 shown]
	s_movk_i32 s18, 0x1620
	v_mov_b32_e32 v0, v124
	v_mov_b32_e32 v4, v128
	;; [unrolled: 1-line block ×5, first 2 shown]
	s_waitcnt vmcnt(6)
	v_mov_b64_e32 v[20:21], v[34:35]
	v_mov_b64_e32 v[22:23], v[36:37]
	;; [unrolled: 1-line block ×3, first 2 shown]
	scratch_store_dwordx4 off, v[20:23], s18 ; 16-byte Folded Spill
	s_nop 0
	scratch_store_dwordx4 off, v[24:27], s18 offset:16 ; 16-byte Folded Spill
	scratch_store_dwordx4 off, v[28:31], s18 offset:32 ; 16-byte Folded Spill
	;; [unrolled: 1-line block ×4, first 2 shown]
	s_waitcnt vmcnt(10)
	scratch_store_dwordx4 off, v[40:43], s18 offset:80 ; 16-byte Folded Spill
	s_waitcnt vmcnt(10)
	scratch_store_dwordx4 off, v[44:47], s18 offset:96 ; 16-byte Folded Spill
	;; [unrolled: 2-line block ×3, first 2 shown]
	v_mov_b32_e32 v24, v4
	s_movk_i32 s18, 0x16a0
	scratch_store_dwordx4 off, v[0:3], s18  ; 16-byte Folded Spill
	s_nop 0
	scratch_store_dwordx4 off, v[4:7], s18 offset:16 ; 16-byte Folded Spill
	scratch_store_dwordx4 off, v[8:11], s18 offset:32 ; 16-byte Folded Spill
	;; [unrolled: 1-line block ×7, first 2 shown]
	s_movk_i32 s18, 0x1118
	scratch_load_dwordx4 v[98:101], off, s18 ; 16-byte Folded Reload
	scratch_load_dwordx4 v[102:105], off, s18 offset:16 ; 16-byte Folded Reload
	scratch_load_dwordx4 v[106:109], off, s18 offset:32 ; 16-byte Folded Reload
	;; [unrolled: 1-line block ×7, first 2 shown]
	s_movk_i32 s18, 0x1318
	scratch_load_dwordx4 v[34:37], off, s18 ; 16-byte Folded Reload
	scratch_load_dwordx4 v[38:41], off, s18 offset:16 ; 16-byte Folded Reload
	scratch_load_dwordx4 v[42:45], off, s18 offset:32 ; 16-byte Folded Reload
	;; [unrolled: 1-line block ×7, first 2 shown]
	s_movk_i32 s18, 0x1720
	s_waitcnt vmcnt(15)
	v_mov_b32_e32 v5, v101
	s_waitcnt vmcnt(7)
	v_mov_b32_e32 v0, v34
	v_mov_b32_e32 v2, v36
	;; [unrolled: 1-line block ×4, first 2 shown]
	scratch_store_dwordx4 off, v[0:3], s18  ; 16-byte Folded Spill
	s_nop 0
	scratch_store_dwordx4 off, v[4:7], s18 offset:16 ; 16-byte Folded Spill
	scratch_store_dwordx4 off, v[8:11], s18 offset:32 ; 16-byte Folded Spill
	;; [unrolled: 1-line block ×7, first 2 shown]
	s_and_saveexec_b64 s[18:19], vcc
	s_cbranch_execz .LBB58_31
; %bb.30:
	scratch_load_dwordx4 v[34:37], off, off offset:136 ; 16-byte Folded Reload
	scratch_load_dwordx4 v[38:41], off, off offset:152 ; 16-byte Folded Reload
	;; [unrolled: 1-line block ×8, first 2 shown]
	v_div_scale_f32 v1, s[20:21], v255, v255, 1.0
	v_rcp_f32_e32 v2, v1
	v_mov_b32_e32 v27, v5
	v_mov_b32_e32 v22, v212
	;; [unrolled: 1-line block ×3, first 2 shown]
	v_fma_f32 v3, -v1, v2, 1.0
	v_fmac_f32_e32 v2, v3, v2
	v_div_scale_f32 v3, vcc, 1.0, v255, 1.0
	v_mul_f32_e32 v4, v3, v2
	v_fma_f32 v5, -v1, v4, v3
	v_fmac_f32_e32 v4, v5, v2
	v_fma_f32 v1, -v1, v4, v3
	v_div_fmas_f32 v1, v1, v2, v4
	v_div_fixup_f32 v1, v1, v255, 1.0
	v_cndmask_b32_e64 v1, v255, v1, s[2:3]
	v_mov_b32_e32 v20, v210
	v_mov_b32_e32 v21, v211
	;; [unrolled: 1-line block ×5, first 2 shown]
	s_movk_i32 s20, 0x1018
	v_mov_b32_e32 v216, v218
	v_mov_b32_e32 v208, v214
	;; [unrolled: 1-line block ×5, first 2 shown]
	s_waitcnt vmcnt(3)
	v_mov_b32_e32 v18, v52
	scratch_load_dwordx4 v[34:37], off, off offset:528 ; 16-byte Folded Reload
	scratch_load_dwordx4 v[38:41], off, off offset:544 ; 16-byte Folded Reload
	;; [unrolled: 1-line block ×8, first 2 shown]
	s_waitcnt vmcnt(3)
	v_mov_b32_e32 v19, v53
	scratch_load_dwordx4 v[34:37], off, off offset:2576 ; 16-byte Folded Reload
	scratch_load_dwordx4 v[38:41], off, off offset:2592 ; 16-byte Folded Reload
	;; [unrolled: 1-line block ×8, first 2 shown]
	ds_read2_b32 v[2:3], v254 offset0:2 offset1:3
	ds_read2_b32 v[4:5], v254 offset0:4 offset1:5
	;; [unrolled: 1-line block ×4, first 2 shown]
	s_waitcnt vmcnt(7)
	v_mul_f32_e32 v28, v35, v1
	s_waitcnt lgkmcnt(3)
	v_pk_fma_f32 v[26:27], v[28:29], v[2:3], v[26:27] op_sel_hi:[0,1,1] neg_lo:[1,0,0] neg_hi:[1,0,0]
	s_waitcnt lgkmcnt(2)
	v_pk_fma_f32 v[24:25], v[28:29], v[4:5], v[24:25] op_sel_hi:[0,1,1] neg_lo:[1,0,0] neg_hi:[1,0,0]
	s_waitcnt lgkmcnt(1)
	v_pk_fma_f32 v[22:23], v[28:29], v[6:7], v[22:23] op_sel_hi:[0,1,1] neg_lo:[1,0,0] neg_hi:[1,0,0]
	s_waitcnt lgkmcnt(0)
	v_pk_fma_f32 v[20:21], v[28:29], v[8:9], v[20:21] op_sel_hi:[0,1,1] neg_lo:[1,0,0] neg_hi:[1,0,0]
	ds_read2_b32 v[2:3], v254 offset0:10 offset1:11
	ds_read2_b32 v[4:5], v254 offset0:12 offset1:13
	;; [unrolled: 1-line block ×4, first 2 shown]
	v_mov_b32_e32 v165, v28
	s_waitcnt lgkmcnt(3)
	v_pk_fma_f32 v[10:11], v[28:29], v[2:3], v[10:11] op_sel_hi:[0,1,1] neg_lo:[1,0,0] neg_hi:[1,0,0]
	s_waitcnt lgkmcnt(2)
	v_pk_fma_f32 v[12:13], v[28:29], v[4:5], v[12:13] op_sel_hi:[0,1,1] neg_lo:[1,0,0] neg_hi:[1,0,0]
	;; [unrolled: 2-line block ×4, first 2 shown]
	ds_read2_b32 v[2:3], v254 offset0:18 offset1:19
	ds_read2_b32 v[4:5], v254 offset0:20 offset1:21
	ds_read2_b32 v[6:7], v254 offset0:22 offset1:23
	ds_read2_b32 v[8:9], v254 offset0:24 offset1:25
	v_mov_b32_e32 v212, v22
	s_waitcnt lgkmcnt(3)
	v_pk_fma_f32 v[18:19], v[28:29], v[2:3], v[18:19] op_sel_hi:[0,1,1] neg_lo:[1,0,0] neg_hi:[1,0,0]
	s_waitcnt lgkmcnt(2)
	v_pk_fma_f32 v[228:229], v[28:29], v[4:5], v[228:229] op_sel_hi:[0,1,1] neg_lo:[1,0,0] neg_hi:[1,0,0]
	ds_read2_b32 v[2:3], v254 offset0:26 offset1:27
	ds_read2_b32 v[4:5], v254 offset0:28 offset1:29
	scratch_load_dwordx4 v[32:35], off, s20 ; 16-byte Folded Reload
	scratch_load_dwordx4 v[36:39], off, s20 offset:16 ; 16-byte Folded Reload
	scratch_load_dwordx4 v[40:43], off, s20 offset:32 ; 16-byte Folded Reload
	;; [unrolled: 1-line block ×7, first 2 shown]
	scratch_load_dwordx2 v[0:1], off, off offset:264 ; 8-byte Folded Reload
	s_nop 0
	scratch_store_dwordx4 off, v[164:167], off offset:2576 ; 16-byte Folded Spill
	s_nop 0
	scratch_store_dwordx4 off, v[168:171], off offset:2592 ; 16-byte Folded Spill
	scratch_store_dwordx4 off, v[172:175], off offset:2608 ; 16-byte Folded Spill
	;; [unrolled: 1-line block ×7, first 2 shown]
	v_mov_b32_e32 v166, v26
	s_movk_i32 s20, 0x1720
	s_waitcnt lgkmcnt(3)
	v_pk_fma_f32 v[216:217], v[28:29], v[6:7], v[216:217] op_sel_hi:[0,1,1] neg_lo:[1,0,0] neg_hi:[1,0,0]
	s_waitcnt lgkmcnt(2)
	v_pk_fma_f32 v[208:209], v[28:29], v[8:9], v[208:209] op_sel_hi:[0,1,1] neg_lo:[1,0,0] neg_hi:[1,0,0]
	;; [unrolled: 2-line block ×3, first 2 shown]
	v_mov_b32_e32 v213, v23
	v_mov_b32_e32 v210, v20
	;; [unrolled: 1-line block ×6, first 2 shown]
	scratch_store_dwordx4 off, v[164:167], s20 ; 16-byte Folded Spill
	s_nop 0
	scratch_store_dwordx4 off, v[168:171], s20 offset:16 ; 16-byte Folded Spill
	scratch_store_dwordx4 off, v[172:175], s20 offset:32 ; 16-byte Folded Spill
	;; [unrolled: 1-line block ×7, first 2 shown]
	v_mov_b32_e32 v167, v27
	s_movk_i32 s20, 0x16a0
	s_waitcnt vmcnt(17)
	v_mov_b32_e32 v253, v61
	s_waitcnt vmcnt(16)
	v_mov_b32_e32 v252, v1
	s_waitcnt lgkmcnt(0)
	v_pk_fma_f32 v[252:253], v[28:29], v[4:5], v[252:253] op_sel_hi:[0,1,1] neg_lo:[1,0,0] neg_hi:[1,0,0]
	v_mov_b32_e32 v5, v27
	v_mov_b64_e32 v[98:99], v[164:165]
	v_mov_b64_e32 v[100:101], v[166:167]
	;; [unrolled: 1-line block ×16, first 2 shown]
	v_mov_b32_e32 v168, v24
	scratch_store_dwordx4 off, v[164:167], s20 ; 16-byte Folded Spill
	s_nop 0
	scratch_store_dwordx4 off, v[168:171], s20 offset:16 ; 16-byte Folded Spill
	scratch_store_dwordx4 off, v[172:175], s20 offset:32 ; 16-byte Folded Spill
	scratch_store_dwordx4 off, v[176:179], s20 offset:48 ; 16-byte Folded Spill
	scratch_store_dwordx4 off, v[180:183], s20 offset:64 ; 16-byte Folded Spill
	scratch_store_dwordx4 off, v[184:187], s20 offset:80 ; 16-byte Folded Spill
	scratch_store_dwordx4 off, v[188:191], s20 offset:96 ; 16-byte Folded Spill
	scratch_store_dwordx4 off, v[192:195], s20 offset:112 ; 16-byte Folded Spill
	v_mov_b32_e32 v169, v25
	s_movk_i32 s20, 0x1620
	scratch_store_dwordx4 off, v[164:167], s20 ; 16-byte Folded Spill
	s_nop 0
	scratch_store_dwordx4 off, v[168:171], s20 offset:16 ; 16-byte Folded Spill
	scratch_store_dwordx4 off, v[172:175], s20 offset:32 ; 16-byte Folded Spill
	scratch_store_dwordx4 off, v[176:179], s20 offset:48 ; 16-byte Folded Spill
	scratch_store_dwordx4 off, v[180:183], s20 offset:64 ; 16-byte Folded Spill
	scratch_store_dwordx4 off, v[184:187], s20 offset:80 ; 16-byte Folded Spill
	scratch_store_dwordx4 off, v[188:191], s20 offset:96 ; 16-byte Folded Spill
	scratch_store_dwordx4 off, v[192:195], s20 offset:112 ; 16-byte Folded Spill
	v_mov_b32_e32 v170, v22
	s_movk_i32 s20, 0x14a0
	;; [unrolled: 11-line block ×6, first 2 shown]
	scratch_store_dwordx4 off, v[164:167], off offset:3608 ; 16-byte Folded Spill
	s_nop 0
	scratch_store_dwordx4 off, v[168:171], off offset:3624 ; 16-byte Folded Spill
	scratch_store_dwordx4 off, v[172:175], off offset:3640 ; 16-byte Folded Spill
	;; [unrolled: 1-line block ×7, first 2 shown]
	v_mov_b32_e32 v175, v11
	scratch_store_dwordx4 off, v[164:167], s20 ; 16-byte Folded Spill
	s_nop 0
	scratch_store_dwordx4 off, v[168:171], s20 offset:16 ; 16-byte Folded Spill
	scratch_store_dwordx4 off, v[172:175], s20 offset:32 ; 16-byte Folded Spill
	;; [unrolled: 1-line block ×7, first 2 shown]
	v_mov_b32_e32 v176, v12
	s_movk_i32 s20, 0x1018
	scratch_store_dwordx4 off, v[164:167], off offset:1936 ; 16-byte Folded Spill
	s_nop 0
	scratch_store_dwordx4 off, v[168:171], off offset:1952 ; 16-byte Folded Spill
	scratch_store_dwordx4 off, v[172:175], off offset:1968 ; 16-byte Folded Spill
	scratch_store_dwordx4 off, v[176:179], off offset:1984 ; 16-byte Folded Spill
	scratch_store_dwordx4 off, v[180:183], off offset:2000 ; 16-byte Folded Spill
	scratch_store_dwordx4 off, v[184:187], off offset:2016 ; 16-byte Folded Spill
	scratch_store_dwordx4 off, v[188:191], off offset:2032 ; 16-byte Folded Spill
	scratch_store_dwordx4 off, v[192:195], off offset:2048 ; 16-byte Folded Spill
	v_mov_b32_e32 v177, v13
	scratch_store_dwordx4 off, v[164:167], off offset:3480 ; 16-byte Folded Spill
	s_nop 0
	scratch_store_dwordx4 off, v[168:171], off offset:3496 ; 16-byte Folded Spill
	scratch_store_dwordx4 off, v[172:175], off offset:3512 ; 16-byte Folded Spill
	scratch_store_dwordx4 off, v[176:179], off offset:3528 ; 16-byte Folded Spill
	scratch_store_dwordx4 off, v[180:183], off offset:3544 ; 16-byte Folded Spill
	scratch_store_dwordx4 off, v[184:187], off offset:3560 ; 16-byte Folded Spill
	scratch_store_dwordx4 off, v[188:191], off offset:3576 ; 16-byte Folded Spill
	scratch_store_dwordx4 off, v[192:195], off offset:3592 ; 16-byte Folded Spill
	v_mov_b32_e32 v178, v14
	scratch_store_dwordx4 off, v[164:167], off offset:656 ; 16-byte Folded Spill
	s_nop 0
	scratch_store_dwordx4 off, v[168:171], off offset:672 ; 16-byte Folded Spill
	scratch_store_dwordx4 off, v[172:175], off offset:688 ; 16-byte Folded Spill
	scratch_store_dwordx4 off, v[176:179], off offset:704 ; 16-byte Folded Spill
	scratch_store_dwordx4 off, v[180:183], off offset:720 ; 16-byte Folded Spill
	scratch_store_dwordx4 off, v[184:187], off offset:736 ; 16-byte Folded Spill
	scratch_store_dwordx4 off, v[188:191], off offset:752 ; 16-byte Folded Spill
	scratch_store_dwordx4 off, v[192:195], off offset:768 ; 16-byte Folded Spill
	v_mov_b32_e32 v179, v15
	scratch_store_dwordx4 off, v[164:167], off offset:2708 ; 16-byte Folded Spill
	s_nop 0
	scratch_store_dwordx4 off, v[168:171], off offset:2724 ; 16-byte Folded Spill
	scratch_store_dwordx4 off, v[172:175], off offset:2740 ; 16-byte Folded Spill
	scratch_store_dwordx4 off, v[176:179], off offset:2756 ; 16-byte Folded Spill
	scratch_store_dwordx4 off, v[180:183], off offset:2772 ; 16-byte Folded Spill
	scratch_store_dwordx4 off, v[184:187], off offset:2788 ; 16-byte Folded Spill
	scratch_store_dwordx4 off, v[188:191], off offset:2804 ; 16-byte Folded Spill
	scratch_store_dwordx4 off, v[192:195], off offset:2820 ; 16-byte Folded Spill
	v_mov_b32_e32 v180, v82
	scratch_store_dwordx4 off, v[164:167], off offset:1680 ; 16-byte Folded Spill
	s_nop 0
	scratch_store_dwordx4 off, v[168:171], off offset:1696 ; 16-byte Folded Spill
	scratch_store_dwordx4 off, v[172:175], off offset:1712 ; 16-byte Folded Spill
	scratch_store_dwordx4 off, v[176:179], off offset:1728 ; 16-byte Folded Spill
	scratch_store_dwordx4 off, v[180:183], off offset:1744 ; 16-byte Folded Spill
	scratch_store_dwordx4 off, v[184:187], off offset:1760 ; 16-byte Folded Spill
	scratch_store_dwordx4 off, v[188:191], off offset:1776 ; 16-byte Folded Spill
	scratch_store_dwordx4 off, v[192:195], off offset:1792 ; 16-byte Folded Spill
	v_mov_b32_e32 v181, v83
	scratch_store_dwordx4 off, v[164:167], off offset:2192 ; 16-byte Folded Spill
	s_nop 0
	scratch_store_dwordx4 off, v[168:171], off offset:2208 ; 16-byte Folded Spill
	scratch_store_dwordx4 off, v[172:175], off offset:2224 ; 16-byte Folded Spill
	scratch_store_dwordx4 off, v[176:179], off offset:2240 ; 16-byte Folded Spill
	scratch_store_dwordx4 off, v[180:183], off offset:2256 ; 16-byte Folded Spill
	scratch_store_dwordx4 off, v[184:187], off offset:2272 ; 16-byte Folded Spill
	scratch_store_dwordx4 off, v[188:191], off offset:2288 ; 16-byte Folded Spill
	scratch_store_dwordx4 off, v[192:195], off offset:2304 ; 16-byte Folded Spill
	v_mov_b32_e32 v182, v18
	scratch_store_dwordx4 off, v[164:167], off offset:400 ; 16-byte Folded Spill
	s_nop 0
	scratch_store_dwordx4 off, v[168:171], off offset:416 ; 16-byte Folded Spill
	scratch_store_dwordx4 off, v[172:175], off offset:432 ; 16-byte Folded Spill
	scratch_store_dwordx4 off, v[176:179], off offset:448 ; 16-byte Folded Spill
	scratch_store_dwordx4 off, v[180:183], off offset:464 ; 16-byte Folded Spill
	scratch_store_dwordx4 off, v[184:187], off offset:480 ; 16-byte Folded Spill
	scratch_store_dwordx4 off, v[188:191], off offset:496 ; 16-byte Folded Spill
	scratch_store_dwordx4 off, v[192:195], off offset:512 ; 16-byte Folded Spill
	v_mov_b32_e32 v183, v19
	scratch_store_dwordx4 off, v[164:167], off offset:1808 ; 16-byte Folded Spill
	s_nop 0
	scratch_store_dwordx4 off, v[168:171], off offset:1824 ; 16-byte Folded Spill
	scratch_store_dwordx4 off, v[172:175], off offset:1840 ; 16-byte Folded Spill
	scratch_store_dwordx4 off, v[176:179], off offset:1856 ; 16-byte Folded Spill
	scratch_store_dwordx4 off, v[180:183], off offset:1872 ; 16-byte Folded Spill
	scratch_store_dwordx4 off, v[184:187], off offset:1888 ; 16-byte Folded Spill
	scratch_store_dwordx4 off, v[188:191], off offset:1904 ; 16-byte Folded Spill
	scratch_store_dwordx4 off, v[192:195], off offset:1920 ; 16-byte Folded Spill
	v_mov_b32_e32 v184, v228
	scratch_store_dwordx4 off, v[164:167], off offset:272 ; 16-byte Folded Spill
	s_nop 0
	scratch_store_dwordx4 off, v[168:171], off offset:288 ; 16-byte Folded Spill
	scratch_store_dwordx4 off, v[172:175], off offset:304 ; 16-byte Folded Spill
	scratch_store_dwordx4 off, v[176:179], off offset:320 ; 16-byte Folded Spill
	scratch_store_dwordx4 off, v[180:183], off offset:336 ; 16-byte Folded Spill
	scratch_store_dwordx4 off, v[184:187], off offset:352 ; 16-byte Folded Spill
	scratch_store_dwordx4 off, v[188:191], off offset:368 ; 16-byte Folded Spill
	scratch_store_dwordx4 off, v[192:195], off offset:384 ; 16-byte Folded Spill
	v_mov_b32_e32 v185, v229
	scratch_store_dwordx4 off, v[164:167], off offset:1552 ; 16-byte Folded Spill
	s_nop 0
	scratch_store_dwordx4 off, v[168:171], off offset:1568 ; 16-byte Folded Spill
	scratch_store_dwordx4 off, v[172:175], off offset:1584 ; 16-byte Folded Spill
	scratch_store_dwordx4 off, v[176:179], off offset:1600 ; 16-byte Folded Spill
	scratch_store_dwordx4 off, v[180:183], off offset:1616 ; 16-byte Folded Spill
	scratch_store_dwordx4 off, v[184:187], off offset:1632 ; 16-byte Folded Spill
	scratch_store_dwordx4 off, v[188:191], off offset:1648 ; 16-byte Folded Spill
	scratch_store_dwordx4 off, v[192:195], off offset:1664 ; 16-byte Folded Spill
	v_mov_b32_e32 v186, v216
	scratch_store_dwordx4 off, v[164:167], off offset:912 ; 16-byte Folded Spill
	s_nop 0
	scratch_store_dwordx4 off, v[168:171], off offset:928 ; 16-byte Folded Spill
	scratch_store_dwordx4 off, v[172:175], off offset:944 ; 16-byte Folded Spill
	scratch_store_dwordx4 off, v[176:179], off offset:960 ; 16-byte Folded Spill
	scratch_store_dwordx4 off, v[180:183], off offset:976 ; 16-byte Folded Spill
	scratch_store_dwordx4 off, v[184:187], off offset:992 ; 16-byte Folded Spill
	scratch_store_dwordx4 off, v[188:191], off offset:1008 ; 16-byte Folded Spill
	scratch_store_dwordx4 off, v[192:195], off offset:1024 ; 16-byte Folded Spill
	v_mov_b32_e32 v187, v217
	scratch_store_dwordx4 off, v[164:167], off offset:1296 ; 16-byte Folded Spill
	s_nop 0
	scratch_store_dwordx4 off, v[168:171], off offset:1312 ; 16-byte Folded Spill
	scratch_store_dwordx4 off, v[172:175], off offset:1328 ; 16-byte Folded Spill
	scratch_store_dwordx4 off, v[176:179], off offset:1344 ; 16-byte Folded Spill
	scratch_store_dwordx4 off, v[180:183], off offset:1360 ; 16-byte Folded Spill
	scratch_store_dwordx4 off, v[184:187], off offset:1376 ; 16-byte Folded Spill
	scratch_store_dwordx4 off, v[188:191], off offset:1392 ; 16-byte Folded Spill
	scratch_store_dwordx4 off, v[192:195], off offset:1408 ; 16-byte Folded Spill
	s_nop 0
	v_mov_b32_e32 v188, v208
	scratch_store_dwordx4 off, v[164:167], off offset:1040 ; 16-byte Folded Spill
	s_nop 0
	scratch_store_dwordx4 off, v[168:171], off offset:1056 ; 16-byte Folded Spill
	scratch_store_dwordx4 off, v[172:175], off offset:1072 ; 16-byte Folded Spill
	scratch_store_dwordx4 off, v[176:179], off offset:1088 ; 16-byte Folded Spill
	scratch_store_dwordx4 off, v[180:183], off offset:1104 ; 16-byte Folded Spill
	scratch_store_dwordx4 off, v[184:187], off offset:1120 ; 16-byte Folded Spill
	scratch_store_dwordx4 off, v[188:191], off offset:1136 ; 16-byte Folded Spill
	scratch_store_dwordx4 off, v[192:195], off offset:1152 ; 16-byte Folded Spill
	s_nop 0
	v_mov_b32_e32 v189, v209
	;; [unrolled: 11-line block ×3, first 2 shown]
	v_mov_b64_e32 v[130:131], v[164:165]
	v_mov_b64_e32 v[132:133], v[166:167]
	;; [unrolled: 1-line block ×16, first 2 shown]
	v_mov_b32_e32 v191, v31
	scratch_store_dwordx4 off, v[164:167], off offset:784 ; 16-byte Folded Spill
	s_nop 0
	scratch_store_dwordx4 off, v[168:171], off offset:800 ; 16-byte Folded Spill
	scratch_store_dwordx4 off, v[172:175], off offset:816 ; 16-byte Folded Spill
	;; [unrolled: 1-line block ×7, first 2 shown]
	s_nop 1
	v_mov_b32_e32 v192, v252
	v_mov_b32_e32 v193, v253
	scratch_store_dwordx4 off, v[224:227], s20 ; 16-byte Folded Spill
	s_nop 0
	scratch_store_dwordx4 off, v[228:231], s20 offset:16 ; 16-byte Folded Spill
	scratch_store_dwordx4 off, v[232:235], s20 offset:32 ; 16-byte Folded Spill
	;; [unrolled: 1-line block ×7, first 2 shown]
	v_mov_b32_e32 v232, v14
	v_mov_b32_e32 v230, v82
	;; [unrolled: 1-line block ×3, first 2 shown]
	scratch_store_dwordx2 off, v[0:1], off offset:264 ; 8-byte Folded Spill
	scratch_store_dwordx4 off, v[0:3], off offset:136 ; 16-byte Folded Spill
	s_nop 0
	scratch_store_dwordx4 off, v[4:7], off offset:152 ; 16-byte Folded Spill
	scratch_store_dwordx4 off, v[8:11], off offset:168 ; 16-byte Folded Spill
	;; [unrolled: 1-line block ×8, first 2 shown]
	s_nop 0
	scratch_store_dwordx4 off, v[4:7], off offset:544 ; 16-byte Folded Spill
	scratch_store_dwordx4 off, v[8:11], off offset:560 ; 16-byte Folded Spill
	;; [unrolled: 1-line block ×7, first 2 shown]
	v_mov_b32_e32 v244, v228
	v_mov_b32_e32 v162, v30
	;; [unrolled: 1-line block ×3, first 2 shown]
.LBB58_31:
	s_or_b64 exec, exec, s[18:19]
	s_waitcnt vmcnt(63) expcnt(7) lgkmcnt(15)
	s_barrier
	scratch_load_dword v0, off, off offset:4 ; 4-byte Folded Reload
	v_mov_b32_e32 v2, v26
	s_cmp_lt_i32 s22, 4
	s_waitcnt vmcnt(0)
	v_lshl_add_u32 v30, v0, 2, v254
	ds_write_b32 v30, v26
	s_waitcnt lgkmcnt(0)
	s_barrier
	ds_read_b32 v32, v254 offset:8
	v_mov_b32_e32 v30, 2
	s_cbranch_scc1 .LBB58_34
; %bb.32:
	scratch_load_dwordx4 v[34:37], off, off offset:400 ; 16-byte Folded Reload
	scratch_load_dwordx4 v[38:41], off, off offset:416 ; 16-byte Folded Reload
	;; [unrolled: 1-line block ×8, first 2 shown]
	scratch_load_dword v0, off, off offset:3348 ; 4-byte Folded Reload
	v_mov_b32_e32 v30, 2
	s_mov_b32 s18, 3
	s_waitcnt vmcnt(0)
	v_add3_u32 v31, v0, 0, 12
.LBB58_33:                              ; =>This Inner Loop Header: Depth=1
	ds_read_b32 v62, v31
	v_add_u32_e32 v31, 4, v31
	s_waitcnt lgkmcnt(0)
	v_cmp_lt_f32_e64 vcc, |v32|, |v62|
	s_nop 1
	v_cndmask_b32_e32 v32, v32, v62, vcc
	v_mov_b32_e32 v62, s18
	s_add_i32 s18, s18, 1
	v_cndmask_b32_e32 v30, v30, v62, vcc
	s_cmp_lg_u32 s22, s18
	s_cbranch_scc1 .LBB58_33
	s_branch .LBB58_35
.LBB58_34:
	scratch_load_dwordx4 v[34:37], off, off offset:400 ; 16-byte Folded Reload
	scratch_load_dwordx4 v[38:41], off, off offset:416 ; 16-byte Folded Reload
	;; [unrolled: 1-line block ×8, first 2 shown]
.LBB58_35:
	v_cndmask_b32_e64 v31, 2, 1, s[0:1]
	s_waitcnt vmcnt(0)
	v_cndmask_b32_e64 v62, 0, 1, s[0:1]
	v_cndmask_b32_e64 v246, v31, v62, s[2:3]
	s_waitcnt lgkmcnt(0)
	v_cmp_eq_f32_e32 vcc, 0, v32
	s_and_saveexec_b64 s[0:1], vcc
	s_xor_b64 s[0:1], exec, s[0:1]
; %bb.36:
	v_cmp_ne_u32_e32 vcc, 0, v246
	s_nop 1
	v_cndmask_b32_e32 v246, 3, v246, vcc
; %bb.37:
	s_andn2_saveexec_b64 s[0:1], s[0:1]
	s_cbranch_execz .LBB58_39
; %bb.38:
	v_div_scale_f32 v31, s[2:3], v32, v32, 1.0
	v_rcp_f32_e32 v62, v31
	v_div_scale_f32 v63, vcc, 1.0, v32, 1.0
	v_fma_f32 v64, -v31, v62, 1.0
	v_fmac_f32_e32 v62, v64, v62
	v_mul_f32_e32 v64, v63, v62
	v_fma_f32 v65, -v31, v64, v63
	v_fmac_f32_e32 v64, v65, v62
	v_fma_f32 v31, -v31, v64, v63
	v_div_fmas_f32 v31, v31, v62, v64
	v_div_fixup_f32 v32, v31, v32, 1.0
.LBB58_39:
	s_or_b64 exec, exec, s[0:1]
	scratch_load_dword v0, off, off offset:4 ; 4-byte Folded Reload
	s_waitcnt vmcnt(0)
	v_cmp_ne_u32_e32 vcc, v0, v30
	s_mov_b64 s[0:1], exec
	s_and_b64 s[2:3], s[0:1], vcc
	s_xor_b64 s[0:1], s[2:3], s[0:1]
	v_mov_b32_e32 v3, v5
	s_mov_b64 exec, s[2:3]
	s_cbranch_execz .LBB58_45
; %bb.40:
	scratch_load_dword v0, off, off offset:4 ; 4-byte Folded Reload
	s_waitcnt vmcnt(0)
	v_cmp_eq_u32_e32 vcc, 2, v0
	s_and_saveexec_b64 s[2:3], vcc
	s_cbranch_execz .LBB58_44
; %bb.41:
	v_cmp_ne_u32_e32 vcc, 2, v30
	s_xor_b64 s[18:19], s[16:17], -1
	s_and_b64 s[20:21], s[18:19], vcc
	s_and_saveexec_b64 s[18:19], s[20:21]
	s_cbranch_execz .LBB58_43
; %bb.42:
	s_movk_i32 s20, 0x1498
	scratch_load_dwordx2 v[0:1], off, s20   ; 8-byte Folded Reload
	v_ashrrev_i32_e32 v31, 31, v30
	v_mov_b32_e32 v3, v5
	s_waitcnt vmcnt(0)
	v_lshl_add_u64 v[62:63], v[30:31], 2, v[0:1]
	global_load_dword v31, v[62:63], off
	global_load_dword v64, v[0:1], off offset:8
	s_waitcnt vmcnt(1)
	global_store_dword v[0:1], v31, off offset:8
	s_waitcnt vmcnt(1)
	global_store_dword v[62:63], v64, off
.LBB58_43:
	s_or_b64 exec, exec, s[18:19]
	v_mov_b32_e32 v0, v30
	scratch_store_dword off, v0, off offset:2704 ; 4-byte Folded Spill
	scratch_store_dword off, v0, off offset:4 ; 4-byte Folded Spill
.LBB58_44:
	s_or_b64 exec, exec, s[2:3]
.LBB58_45:
	s_andn2_saveexec_b64 s[0:1], s[0:1]
	s_cbranch_execz .LBB58_47
; %bb.46:
	ds_write2_b32 v254, v167, v168 offset0:3 offset1:4
	ds_write2_b32 v254, v169, v170 offset0:5 offset1:6
	;; [unrolled: 1-line block ×13, first 2 shown]
	s_movk_i32 s2, 0x1018
	scratch_load_dwordx4 v[34:37], off, s2  ; 16-byte Folded Reload
	scratch_load_dwordx4 v[38:41], off, s2 offset:16 ; 16-byte Folded Reload
	scratch_load_dwordx4 v[42:45], off, s2 offset:32 ; 16-byte Folded Reload
	;; [unrolled: 1-line block ×7, first 2 shown]
	v_mov_b32_e32 v0, 2
	scratch_store_dword off, v0, off offset:4 ; 4-byte Folded Spill
	s_waitcnt vmcnt(1)
	ds_write_b32 v254, v63 offset:116
.LBB58_47:
	s_or_b64 exec, exec, s[0:1]
	s_waitcnt lgkmcnt(0)
	s_barrier
	scratch_load_dword v0, off, off offset:4 ; 4-byte Folded Reload
	s_waitcnt vmcnt(0)
	v_cmp_lt_i32_e32 vcc, 2, v0
	s_and_saveexec_b64 s[0:1], vcc
	s_cbranch_execz .LBB58_49
; %bb.48:
	scratch_load_dwordx4 v[98:101], off, off offset:2576 ; 16-byte Folded Reload
	scratch_load_dwordx4 v[102:105], off, off offset:2592 ; 16-byte Folded Reload
	;; [unrolled: 1-line block ×8, first 2 shown]
	ds_read2_b32 v[0:1], v254 offset0:3 offset1:4
	ds_read2_b32 v[34:35], v254 offset0:5 offset1:6
	;; [unrolled: 1-line block ×4, first 2 shown]
	s_waitcnt vmcnt(7)
	v_mul_f32_e32 v100, v2, v32
	v_mov_b32_e32 v2, v167
	v_mov_b32_e32 v3, v168
	s_movk_i32 s2, 0x1018
	v_mov_b32_e32 v216, v100
	v_mov_b32_e32 v132, v100
	s_waitcnt lgkmcnt(3)
	v_pk_fma_f32 v[30:31], v[100:101], v[0:1], v[2:3] op_sel_hi:[0,1,1] neg_lo:[1,0,0] neg_hi:[1,0,0]
	v_mov_b32_e32 v0, v169
	v_mov_b32_e32 v1, v170
	s_waitcnt lgkmcnt(2)
	v_pk_fma_f32 v[62:63], v[100:101], v[34:35], v[0:1] op_sel_hi:[0,1,1] neg_lo:[1,0,0] neg_hi:[1,0,0]
	;; [unrolled: 4-line block ×4, first 2 shown]
	ds_read2_b32 v[0:1], v254 offset0:11 offset1:12
	ds_read2_b32 v[4:5], v254 offset0:13 offset1:14
	;; [unrolled: 1-line block ×4, first 2 shown]
	v_mov_b32_e32 v2, v175
	v_mov_b32_e32 v3, v176
	;; [unrolled: 1-line block ×3, first 2 shown]
	s_waitcnt lgkmcnt(3)
	v_pk_fma_f32 v[94:95], v[100:101], v[0:1], v[2:3] op_sel_hi:[0,1,1] neg_lo:[1,0,0] neg_hi:[1,0,0]
	v_mov_b32_e32 v0, v177
	v_mov_b32_e32 v1, v178
	s_waitcnt lgkmcnt(2)
	v_pk_fma_f32 v[96:97], v[100:101], v[4:5], v[0:1] op_sel_hi:[0,1,1] neg_lo:[1,0,0] neg_hi:[1,0,0]
	v_mov_b32_e32 v0, v179
	v_mov_b32_e32 v1, v180
	;; [unrolled: 4-line block ×3, first 2 shown]
	s_waitcnt lgkmcnt(0)
	v_pk_fma_f32 v[36:37], v[100:101], v[8:9], v[0:1] op_sel_hi:[0,1,1] neg_lo:[1,0,0] neg_hi:[1,0,0]
	ds_read2_b32 v[0:1], v254 offset0:19 offset1:20
	ds_read2_b32 v[4:5], v254 offset0:21 offset1:22
	;; [unrolled: 1-line block ×4, first 2 shown]
	v_mov_b32_e32 v2, v183
	v_mov_b32_e32 v3, v184
	;; [unrolled: 1-line block ×3, first 2 shown]
	s_waitcnt lgkmcnt(3)
	v_pk_fma_f32 v[38:39], v[100:101], v[0:1], v[2:3] op_sel_hi:[0,1,1] neg_lo:[1,0,0] neg_hi:[1,0,0]
	v_mov_b32_e32 v0, v185
	v_mov_b32_e32 v1, v186
	s_waitcnt lgkmcnt(2)
	v_pk_fma_f32 v[158:159], v[100:101], v[4:5], v[0:1] op_sel_hi:[0,1,1] neg_lo:[1,0,0] neg_hi:[1,0,0]
	v_mov_b32_e32 v0, v187
	v_mov_b32_e32 v1, v188
	;; [unrolled: 4-line block ×3, first 2 shown]
	ds_read2_b32 v[2:3], v254 offset0:27 offset1:28
	ds_read_b32 v4, v254 offset:116
	s_waitcnt lgkmcnt(2)
	v_pk_fma_f32 v[40:41], v[100:101], v[8:9], v[0:1] op_sel_hi:[0,1,1] neg_lo:[1,0,0] neg_hi:[1,0,0]
	v_mov_b32_e32 v0, v191
	v_mov_b32_e32 v1, v192
	scratch_load_dwordx4 v[162:165], off, s2 ; 16-byte Folded Reload
	scratch_load_dwordx4 v[166:169], off, s2 offset:16 ; 16-byte Folded Reload
	scratch_load_dwordx4 v[170:173], off, s2 offset:32 ; 16-byte Folded Reload
	;; [unrolled: 1-line block ×7, first 2 shown]
	s_waitcnt lgkmcnt(1)
	v_pk_fma_f32 v[28:29], v[100:101], v[2:3], v[0:1] op_sel_hi:[0,1,1] neg_lo:[1,0,0] neg_hi:[1,0,0]
	v_mov_b32_e32 v0, v98
	v_mov_b32_e32 v1, v99
	;; [unrolled: 1-line block ×4, first 2 shown]
	s_movk_i32 s2, 0x16a0
	v_mov_b32_e32 v101, v30
	v_mov_b32_e32 v219, v62
	;; [unrolled: 1-line block ×13, first 2 shown]
	s_waitcnt vmcnt(7)
	v_mov_b32_e32 v164, v98
	v_mov_b32_e32 v165, v99
	s_waitcnt vmcnt(6)
	v_mov_b32_e32 v166, v100
	v_mov_b32_e32 v135, v62
	;; [unrolled: 1-line block ×24, first 2 shown]
	s_waitcnt vmcnt(5)
	v_mov_b32_e32 v170, v63
	v_mov_b32_e32 v171, v64
	v_mov_b32_e32 v172, v65
	v_mov_b32_e32 v173, v92
	s_waitcnt vmcnt(4)
	v_mov_b32_e32 v174, v93
	v_mov_b32_e32 v175, v94
	v_mov_b32_e32 v176, v95
	v_mov_b32_e32 v177, v96
	;; [unrolled: 5-line block ×6, first 2 shown]
	v_mov_b32_e32 v211, v92
	v_mov_b32_e32 v83, v36
	;; [unrolled: 1-line block ×3, first 2 shown]
	s_waitcnt lgkmcnt(0)
	v_fma_f32 v193, -v100, v4, v191
	v_mov_b32_e32 v4, v31
	scratch_store_dwordx4 off, v[0:3], s2   ; 16-byte Folded Spill
	s_nop 0
	scratch_store_dwordx4 off, v[4:7], s2 offset:16 ; 16-byte Folded Spill
	scratch_store_dwordx4 off, v[8:11], s2 offset:32 ; 16-byte Folded Spill
	scratch_store_dwordx4 off, v[12:15], s2 offset:48 ; 16-byte Folded Spill
	scratch_store_dwordx4 off, v[16:19], s2 offset:64 ; 16-byte Folded Spill
	scratch_store_dwordx4 off, v[20:23], s2 offset:80 ; 16-byte Folded Spill
	scratch_store_dwordx4 off, v[24:27], s2 offset:96 ; 16-byte Folded Spill
	scratch_store_dwordx4 off, v[28:31], s2 offset:112 ; 16-byte Folded Spill
	v_mov_b32_e32 v5, v62
	s_movk_i32 s2, 0x1620
	scratch_store_dwordx4 off, v[0:3], s2   ; 16-byte Folded Spill
	s_nop 0
	scratch_store_dwordx4 off, v[4:7], s2 offset:16 ; 16-byte Folded Spill
	scratch_store_dwordx4 off, v[8:11], s2 offset:32 ; 16-byte Folded Spill
	scratch_store_dwordx4 off, v[12:15], s2 offset:48 ; 16-byte Folded Spill
	scratch_store_dwordx4 off, v[16:19], s2 offset:64 ; 16-byte Folded Spill
	scratch_store_dwordx4 off, v[20:23], s2 offset:80 ; 16-byte Folded Spill
	scratch_store_dwordx4 off, v[24:27], s2 offset:96 ; 16-byte Folded Spill
	scratch_store_dwordx4 off, v[28:31], s2 offset:112 ; 16-byte Folded Spill
	v_mov_b32_e32 v6, v63
	s_movk_i32 s2, 0x14a0
	;; [unrolled: 11-line block ×6, first 2 shown]
	scratch_store_dwordx4 off, v[0:3], off offset:3608 ; 16-byte Folded Spill
	s_nop 0
	scratch_store_dwordx4 off, v[4:7], off offset:3624 ; 16-byte Folded Spill
	scratch_store_dwordx4 off, v[8:11], off offset:3640 ; 16-byte Folded Spill
	;; [unrolled: 1-line block ×7, first 2 shown]
	v_mov_b32_e32 v11, v94
	scratch_store_dwordx4 off, v[0:3], s2   ; 16-byte Folded Spill
	s_nop 0
	scratch_store_dwordx4 off, v[4:7], s2 offset:16 ; 16-byte Folded Spill
	scratch_store_dwordx4 off, v[8:11], s2 offset:32 ; 16-byte Folded Spill
	;; [unrolled: 1-line block ×7, first 2 shown]
	v_mov_b32_e32 v12, v95
	s_movk_i32 s2, 0x1720
	scratch_store_dwordx4 off, v[0:3], off offset:1936 ; 16-byte Folded Spill
	s_nop 0
	scratch_store_dwordx4 off, v[4:7], off offset:1952 ; 16-byte Folded Spill
	scratch_store_dwordx4 off, v[8:11], off offset:1968 ; 16-byte Folded Spill
	;; [unrolled: 1-line block ×7, first 2 shown]
	v_mov_b32_e32 v13, v96
	scratch_store_dwordx4 off, v[0:3], off offset:3480 ; 16-byte Folded Spill
	s_nop 0
	scratch_store_dwordx4 off, v[4:7], off offset:3496 ; 16-byte Folded Spill
	scratch_store_dwordx4 off, v[8:11], off offset:3512 ; 16-byte Folded Spill
	;; [unrolled: 1-line block ×7, first 2 shown]
	v_mov_b32_e32 v14, v97
	v_mov_b32_e32 v15, v34
	;; [unrolled: 1-line block ×4, first 2 shown]
	scratch_store_dwordx4 off, v[214:217], off offset:656 ; 16-byte Folded Spill
	s_nop 0
	scratch_store_dwordx4 off, v[218:221], off offset:672 ; 16-byte Folded Spill
	scratch_store_dwordx4 off, v[222:225], off offset:688 ; 16-byte Folded Spill
	;; [unrolled: 1-line block ×8, first 2 shown]
	s_nop 0
	scratch_store_dwordx4 off, v[4:7], off offset:2724 ; 16-byte Folded Spill
	scratch_store_dwordx4 off, v[8:11], off offset:2740 ; 16-byte Folded Spill
	;; [unrolled: 1-line block ×7, first 2 shown]
	v_mov_b32_e32 v16, v35
	v_mov_b32_e32 v232, v97
	;; [unrolled: 1-line block ×9, first 2 shown]
	scratch_store_dwordx4 off, v[0:3], off offset:1680 ; 16-byte Folded Spill
	s_nop 0
	scratch_store_dwordx4 off, v[4:7], off offset:1696 ; 16-byte Folded Spill
	scratch_store_dwordx4 off, v[8:11], off offset:1712 ; 16-byte Folded Spill
	scratch_store_dwordx4 off, v[12:15], off offset:1728 ; 16-byte Folded Spill
	scratch_store_dwordx4 off, v[16:19], off offset:1744 ; 16-byte Folded Spill
	scratch_store_dwordx4 off, v[20:23], off offset:1760 ; 16-byte Folded Spill
	scratch_store_dwordx4 off, v[24:27], off offset:1776 ; 16-byte Folded Spill
	scratch_store_dwordx4 off, v[28:31], off offset:1792 ; 16-byte Folded Spill
	v_mov_b32_e32 v17, v36
	scratch_store_dwordx4 off, v[0:3], off offset:2192 ; 16-byte Folded Spill
	s_nop 0
	scratch_store_dwordx4 off, v[4:7], off offset:2208 ; 16-byte Folded Spill
	scratch_store_dwordx4 off, v[8:11], off offset:2224 ; 16-byte Folded Spill
	scratch_store_dwordx4 off, v[12:15], off offset:2240 ; 16-byte Folded Spill
	scratch_store_dwordx4 off, v[16:19], off offset:2256 ; 16-byte Folded Spill
	scratch_store_dwordx4 off, v[20:23], off offset:2272 ; 16-byte Folded Spill
	scratch_store_dwordx4 off, v[24:27], off offset:2288 ; 16-byte Folded Spill
	scratch_store_dwordx4 off, v[28:31], off offset:2304 ; 16-byte Folded Spill
	v_mov_b32_e32 v18, v37
	;; [unrolled: 10-line block ×7, first 2 shown]
	scratch_store_dwordx4 off, v[0:3], off offset:1296 ; 16-byte Folded Spill
	s_nop 0
	scratch_store_dwordx4 off, v[4:7], off offset:1312 ; 16-byte Folded Spill
	scratch_store_dwordx4 off, v[8:11], off offset:1328 ; 16-byte Folded Spill
	scratch_store_dwordx4 off, v[12:15], off offset:1344 ; 16-byte Folded Spill
	scratch_store_dwordx4 off, v[16:19], off offset:1360 ; 16-byte Folded Spill
	scratch_store_dwordx4 off, v[20:23], off offset:1376 ; 16-byte Folded Spill
	scratch_store_dwordx4 off, v[24:27], off offset:1392 ; 16-byte Folded Spill
	scratch_store_dwordx4 off, v[28:31], off offset:1408 ; 16-byte Folded Spill
	s_nop 0
	v_mov_b32_e32 v24, v161
	scratch_store_dwordx4 off, v[0:3], off offset:1040 ; 16-byte Folded Spill
	s_nop 0
	scratch_store_dwordx4 off, v[4:7], off offset:1056 ; 16-byte Folded Spill
	scratch_store_dwordx4 off, v[8:11], off offset:1072 ; 16-byte Folded Spill
	scratch_store_dwordx4 off, v[12:15], off offset:1088 ; 16-byte Folded Spill
	scratch_store_dwordx4 off, v[16:19], off offset:1104 ; 16-byte Folded Spill
	scratch_store_dwordx4 off, v[20:23], off offset:1120 ; 16-byte Folded Spill
	scratch_store_dwordx4 off, v[24:27], off offset:1136 ; 16-byte Folded Spill
	scratch_store_dwordx4 off, v[28:31], off offset:1152 ; 16-byte Folded Spill
	s_nop 0
	v_mov_b32_e32 v25, v40
	;; [unrolled: 11-line block ×3, first 2 shown]
	v_mov_b32_e32 v27, v28
	v_mov_b32_e32 v133, v30
	;; [unrolled: 1-line block ×3, first 2 shown]
	scratch_store_dwordx4 off, v[0:3], off offset:784 ; 16-byte Folded Spill
	s_nop 0
	scratch_store_dwordx4 off, v[4:7], off offset:800 ; 16-byte Folded Spill
	scratch_store_dwordx4 off, v[8:11], off offset:816 ; 16-byte Folded Spill
	;; [unrolled: 1-line block ×7, first 2 shown]
	scratch_store_dwordx4 off, v[98:101], s2 ; 16-byte Folded Spill
	s_nop 0
	scratch_store_dwordx4 off, v[102:105], s2 offset:16 ; 16-byte Folded Spill
	scratch_store_dwordx4 off, v[106:109], s2 offset:32 ; 16-byte Folded Spill
	;; [unrolled: 1-line block ×7, first 2 shown]
	v_mov_b32_e32 v25, v62
	s_movk_i32 s2, 0x1018
	v_mov_b32_e32 v24, v31
	v_mov_b32_e32 v167, v30
	;; [unrolled: 1-line block ×5, first 2 shown]
	scratch_store_dwordx4 off, v[0:3], off offset:136 ; 16-byte Folded Spill
	s_nop 0
	scratch_store_dwordx4 off, v[4:7], off offset:152 ; 16-byte Folded Spill
	scratch_store_dwordx4 off, v[8:11], off offset:168 ; 16-byte Folded Spill
	;; [unrolled: 1-line block ×8, first 2 shown]
	s_nop 0
	scratch_store_dwordx4 off, v[4:7], off offset:544 ; 16-byte Folded Spill
	scratch_store_dwordx4 off, v[8:11], off offset:560 ; 16-byte Folded Spill
	;; [unrolled: 1-line block ×7, first 2 shown]
	scratch_store_dwordx2 off, v[28:29], off offset:264 ; 8-byte Folded Spill
	v_mov_b32_e32 v157, v28
	v_mov_b32_e32 v29, v193
	scratch_store_dwordx4 off, v[0:3], s2   ; 16-byte Folded Spill
	s_nop 0
	scratch_store_dwordx4 off, v[4:7], s2 offset:16 ; 16-byte Folded Spill
	scratch_store_dwordx4 off, v[8:11], s2 offset:32 ; 16-byte Folded Spill
	scratch_store_dwordx4 off, v[12:15], s2 offset:48 ; 16-byte Folded Spill
	scratch_store_dwordx4 off, v[16:19], s2 offset:64 ; 16-byte Folded Spill
	scratch_store_dwordx4 off, v[20:23], s2 offset:80 ; 16-byte Folded Spill
	scratch_store_dwordx4 off, v[24:27], s2 offset:96 ; 16-byte Folded Spill
	scratch_store_dwordx4 off, v[28:31], s2 offset:112 ; 16-byte Folded Spill
.LBB58_49:
	s_or_b64 exec, exec, s[0:1]
	s_waitcnt vmcnt(63) expcnt(7) lgkmcnt(15)
	s_barrier
	scratch_load_dword v0, off, off offset:4 ; 4-byte Folded Reload
	s_cmp_lt_i32 s22, 5
	s_waitcnt vmcnt(0)
	v_lshl_add_u32 v30, v0, 2, v254
	ds_write_b32 v30, v3
	s_waitcnt lgkmcnt(0)
	s_barrier
	ds_read_b32 v32, v254 offset:12
	v_mov_b32_e32 v30, 3
	s_cbranch_scc1 .LBB58_52
; %bb.50:
	scratch_load_dword v0, off, off offset:3348 ; 4-byte Folded Reload
	v_mov_b32_e32 v30, 3
	s_mov_b32 s0, 4
	s_waitcnt vmcnt(0)
	v_add3_u32 v31, v0, 0, 16
.LBB58_51:                              ; =>This Inner Loop Header: Depth=1
	ds_read_b32 v62, v31
	v_add_u32_e32 v31, 4, v31
	s_waitcnt lgkmcnt(0)
	v_cmp_lt_f32_e64 vcc, |v32|, |v62|
	s_nop 1
	v_cndmask_b32_e32 v32, v32, v62, vcc
	v_mov_b32_e32 v62, s0
	s_add_i32 s0, s0, 1
	v_cndmask_b32_e32 v30, v30, v62, vcc
	s_cmp_lg_u32 s22, s0
	s_cbranch_scc1 .LBB58_51
.LBB58_52:
	v_mov_b32_e32 v4, v24
	s_waitcnt lgkmcnt(0)
	v_cmp_eq_f32_e32 vcc, 0, v32
	s_and_saveexec_b64 s[0:1], vcc
	s_xor_b64 s[0:1], exec, s[0:1]
; %bb.53:
	v_cmp_ne_u32_e32 vcc, 0, v246
	s_nop 1
	v_cndmask_b32_e32 v246, 4, v246, vcc
; %bb.54:
	s_andn2_saveexec_b64 s[0:1], s[0:1]
	s_cbranch_execz .LBB58_56
; %bb.55:
	v_div_scale_f32 v31, s[2:3], v32, v32, 1.0
	v_rcp_f32_e32 v62, v31
	v_div_scale_f32 v63, vcc, 1.0, v32, 1.0
	v_mov_b32_e32 v4, v24
	v_fma_f32 v64, -v31, v62, 1.0
	v_fmac_f32_e32 v62, v64, v62
	v_mul_f32_e32 v64, v63, v62
	v_fma_f32 v65, -v31, v64, v63
	v_fmac_f32_e32 v64, v65, v62
	v_fma_f32 v31, -v31, v64, v63
	v_div_fmas_f32 v31, v31, v62, v64
	v_div_fixup_f32 v32, v31, v32, 1.0
.LBB58_56:
	s_or_b64 exec, exec, s[0:1]
	scratch_load_dword v0, off, off offset:4 ; 4-byte Folded Reload
	s_waitcnt vmcnt(0)
	v_cmp_ne_u32_e32 vcc, v0, v30
	s_and_saveexec_b64 s[0:1], vcc
	s_xor_b64 s[0:1], exec, s[0:1]
	s_cbranch_execz .LBB58_62
; %bb.57:
	scratch_load_dword v0, off, off offset:4 ; 4-byte Folded Reload
	s_waitcnt vmcnt(0)
	v_cmp_eq_u32_e32 vcc, 3, v0
	s_and_saveexec_b64 s[2:3], vcc
	s_cbranch_execz .LBB58_61
; %bb.58:
	v_cmp_ne_u32_e32 vcc, 3, v30
	s_xor_b64 s[18:19], s[16:17], -1
	s_and_b64 s[20:21], s[18:19], vcc
	s_and_saveexec_b64 s[18:19], s[20:21]
	s_cbranch_execz .LBB58_60
; %bb.59:
	s_movk_i32 s20, 0x1498
	scratch_load_dwordx2 v[0:1], off, s20   ; 8-byte Folded Reload
	v_ashrrev_i32_e32 v31, 31, v30
	v_mov_b32_e32 v4, v24
	s_waitcnt vmcnt(0)
	v_lshl_add_u64 v[62:63], v[30:31], 2, v[0:1]
	global_load_dword v31, v[62:63], off
	global_load_dword v64, v[0:1], off offset:12
	s_waitcnt vmcnt(1)
	global_store_dword v[0:1], v31, off offset:12
	s_waitcnt vmcnt(1)
	global_store_dword v[62:63], v64, off
.LBB58_60:
	s_or_b64 exec, exec, s[18:19]
	v_mov_b32_e32 v0, v30
	scratch_store_dword off, v0, off offset:2704 ; 4-byte Folded Spill
	scratch_store_dword off, v0, off offset:4 ; 4-byte Folded Spill
.LBB58_61:
	s_or_b64 exec, exec, s[2:3]
.LBB58_62:
	s_or_saveexec_b64 s[0:1], s[0:1]
	v_mov_b32_e32 v209, v11
	v_mov_b32_e32 v208, v10
	;; [unrolled: 1-line block ×5, first 2 shown]
	scratch_store_dwordx4 off, v[20:23], off offset:3352 ; 16-byte Folded Spill
	s_nop 0
	scratch_store_dwordx4 off, v[24:27], off offset:3368 ; 16-byte Folded Spill
	scratch_store_dwordx4 off, v[28:31], off offset:3384 ; 16-byte Folded Spill
	;; [unrolled: 1-line block ×7, first 2 shown]
	s_xor_b64 exec, exec, s[0:1]
	s_cbranch_execz .LBB58_64
; %bb.63:
	v_mov_b32_e32 v0, 3
	ds_write2_b32 v254, v168, v169 offset0:4 offset1:5
	ds_write2_b32 v254, v170, v171 offset0:6 offset1:7
	;; [unrolled: 1-line block ×13, first 2 shown]
	scratch_store_dword off, v0, off offset:4 ; 4-byte Folded Spill
.LBB58_64:
	s_or_b64 exec, exec, s[0:1]
	s_waitcnt lgkmcnt(0)
	s_barrier
	scratch_load_dword v0, off, off offset:4 ; 4-byte Folded Reload
	s_waitcnt vmcnt(0)
	v_cmp_lt_i32_e32 vcc, 3, v0
	s_and_saveexec_b64 s[0:1], vcc
	s_cbranch_execz .LBB58_66
; %bb.65:
	v_mul_f32_e32 v0, v3, v32
	ds_read2_b32 v[2:3], v254 offset0:4 offset1:5
	ds_read2_b32 v[30:31], v254 offset0:6 offset1:7
	;; [unrolled: 1-line block ×5, first 2 shown]
	s_waitcnt lgkmcnt(4)
	v_pk_fma_f32 v[212:213], v[0:1], v[2:3], v[168:169] op_sel_hi:[0,1,1] neg_lo:[1,0,0] neg_hi:[1,0,0]
	s_waitcnt lgkmcnt(3)
	v_pk_fma_f32 v[8:9], v[0:1], v[30:31], v[170:171] op_sel_hi:[0,1,1] neg_lo:[1,0,0] neg_hi:[1,0,0]
	;; [unrolled: 2-line block ×4, first 2 shown]
	scratch_store_dwordx4 off, v[164:167], off offset:8 ; 16-byte Folded Spill
	s_nop 0
	scratch_store_dwordx4 off, v[168:171], off offset:24 ; 16-byte Folded Spill
	scratch_store_dwordx4 off, v[172:175], off offset:40 ; 16-byte Folded Spill
	scratch_store_dwordx4 off, v[176:179], off offset:56 ; 16-byte Folded Spill
	scratch_store_dwordx4 off, v[180:183], off offset:72 ; 16-byte Folded Spill
	scratch_store_dwordx4 off, v[184:187], off offset:88 ; 16-byte Folded Spill
	scratch_store_dwordx4 off, v[188:191], off offset:104 ; 16-byte Folded Spill
	scratch_store_dwordx4 off, v[192:195], off offset:120 ; 16-byte Folded Spill
	s_movk_i32 s2, 0x1720
	scratch_load_dwordx4 v[88:91], off, s2  ; 16-byte Folded Reload
	scratch_load_dwordx4 v[92:95], off, s2 offset:16 ; 16-byte Folded Reload
	scratch_load_dwordx4 v[96:99], off, s2 offset:32 ; 16-byte Folded Reload
	scratch_load_dwordx4 v[100:103], off, s2 offset:48 ; 16-byte Folded Reload
	scratch_load_dwordx4 v[104:107], off, s2 offset:64 ; 16-byte Folded Reload
	scratch_load_dwordx4 v[108:111], off, s2 offset:80 ; 16-byte Folded Reload
	scratch_load_dwordx4 v[112:115], off, s2 offset:96 ; 16-byte Folded Reload
	scratch_load_dwordx4 v[116:119], off, s2 offset:112 ; 16-byte Folded Reload
	v_mov_b32_e32 v5, v0
	v_mov_b32_e32 v6, v212
	;; [unrolled: 1-line block ×3, first 2 shown]
	s_movk_i32 s2, 0x1620
	v_mov_b32_e32 v34, v212
	v_mov_b32_e32 v35, v213
	;; [unrolled: 1-line block ×10, first 2 shown]
	s_waitcnt lgkmcnt(0)
	v_pk_fma_f32 v[40:41], v[0:1], v[36:37], v[174:175] op_sel_hi:[0,1,1] neg_lo:[1,0,0] neg_hi:[1,0,0]
	s_waitcnt vmcnt(7)
	v_mov_b32_e32 v122, v90
	v_mov_b32_e32 v121, v89
	;; [unrolled: 1-line block ×6, first 2 shown]
	scratch_store_dwordx4 off, v[2:5], s2   ; 16-byte Folded Spill
	s_nop 0
	scratch_store_dwordx4 off, v[6:9], s2 offset:16 ; 16-byte Folded Spill
	scratch_store_dwordx4 off, v[10:13], s2 offset:32 ; 16-byte Folded Spill
	;; [unrolled: 1-line block ×7, first 2 shown]
	s_movk_i32 s2, 0x1520
	v_mov_b32_e32 v64, v122
	v_mov_b32_e32 v208, v120
	;; [unrolled: 1-line block ×7, first 2 shown]
	v_mov_b64_e32 v[18:19], v[8:9]
	v_mov_b64_e32 v[16:17], v[6:7]
	;; [unrolled: 1-line block ×4, first 2 shown]
	scratch_store_dwordx4 off, v[2:5], s2   ; 16-byte Folded Spill
	s_nop 0
	scratch_store_dwordx4 off, v[6:9], s2 offset:16 ; 16-byte Folded Spill
	scratch_store_dwordx4 off, v[10:13], s2 offset:32 ; 16-byte Folded Spill
	;; [unrolled: 1-line block ×7, first 2 shown]
	s_movk_i32 s2, 0x1298
	v_mov_b64_e32 v[28:29], v[10:11]
	v_mov_b64_e32 v[26:27], v[8:9]
	;; [unrolled: 1-line block ×5, first 2 shown]
	scratch_store_dwordx4 off, v[2:5], s2   ; 16-byte Folded Spill
	s_nop 0
	scratch_store_dwordx4 off, v[6:9], s2 offset:16 ; 16-byte Folded Spill
	scratch_store_dwordx4 off, v[10:13], s2 offset:32 ; 16-byte Folded Spill
	;; [unrolled: 1-line block ×7, first 2 shown]
	s_movk_i32 s2, 0x1098
	v_mov_b32_e32 v36, v18
	v_mov_b32_e32 v30, v120
	;; [unrolled: 1-line block ×8, first 2 shown]
	v_mov_b64_e32 v[62:63], v[40:41]
	v_mov_b64_e32 v[60:61], v[38:39]
	;; [unrolled: 1-line block ×6, first 2 shown]
	scratch_store_dwordx4 off, v[30:33], s2 ; 16-byte Folded Spill
	s_nop 0
	scratch_store_dwordx4 off, v[34:37], s2 offset:16 ; 16-byte Folded Spill
	scratch_store_dwordx4 off, v[38:41], s2 offset:32 ; 16-byte Folded Spill
	;; [unrolled: 1-line block ×7, first 2 shown]
	ds_read2_b32 v[2:3], v254 offset0:12 offset1:13
	ds_read2_b32 v[4:5], v254 offset0:14 offset1:15
	;; [unrolled: 1-line block ×4, first 2 shown]
	v_mov_b64_e32 v[138:139], v[28:29]
	s_waitcnt lgkmcnt(3)
	v_pk_fma_f32 v[42:43], v[0:1], v[2:3], v[176:177] op_sel_hi:[0,1,1] neg_lo:[1,0,0] neg_hi:[1,0,0]
	v_mov_b64_e32 v[76:77], v[42:43]
	s_waitcnt lgkmcnt(2)
	v_pk_fma_f32 v[228:229], v[0:1], v[4:5], v[178:179] op_sel_hi:[0,1,1] neg_lo:[1,0,0] neg_hi:[1,0,0]
	v_mov_b32_e32 v224, v62
	v_mov_b32_e32 v225, v63
	;; [unrolled: 1-line block ×14, first 2 shown]
	v_mov_b64_e32 v[136:137], v[26:27]
	v_mov_b64_e32 v[134:135], v[24:25]
	;; [unrolled: 1-line block ×4, first 2 shown]
	s_waitcnt vmcnt(32)
	v_mov_b64_e32 v[118:119], v[18:19]
	v_mov_b32_e32 v220, v18
	v_mov_b32_e32 v221, v19
	v_mov_b64_e32 v[116:117], v[16:17]
	v_mov_b64_e32 v[114:115], v[14:15]
	;; [unrolled: 1-line block ×3, first 2 shown]
	s_movk_i32 s2, 0x1218
	scratch_store_dwordx4 off, v[30:33], off offset:3480 ; 16-byte Folded Spill
	s_nop 0
	scratch_store_dwordx4 off, v[34:37], off offset:3496 ; 16-byte Folded Spill
	scratch_store_dwordx4 off, v[38:41], off offset:3512 ; 16-byte Folded Spill
	;; [unrolled: 1-line block ×7, first 2 shown]
	v_mov_b32_e32 v44, v228
	v_mov_b32_e32 v45, v229
	scratch_store_dwordx4 off, v[30:33], off offset:2708 ; 16-byte Folded Spill
	s_nop 0
	scratch_store_dwordx4 off, v[34:37], off offset:2724 ; 16-byte Folded Spill
	scratch_store_dwordx4 off, v[38:41], off offset:2740 ; 16-byte Folded Spill
	;; [unrolled: 1-line block ×7, first 2 shown]
	s_waitcnt lgkmcnt(1)
	v_pk_fma_f32 v[46:47], v[0:1], v[6:7], v[180:181] op_sel_hi:[0,1,1] neg_lo:[1,0,0] neg_hi:[1,0,0]
	v_mov_b64_e32 v[168:169], v[46:47]
	v_mov_b32_e32 v78, v168
	v_mov_b32_e32 v79, v169
	v_mov_b64_e32 v[166:167], v[44:45]
	v_mov_b64_e32 v[164:165], v[42:43]
	;; [unrolled: 1-line block ×8, first 2 shown]
	scratch_store_dwordx4 off, v[30:33], off offset:2192 ; 16-byte Folded Spill
	s_nop 0
	scratch_store_dwordx4 off, v[34:37], off offset:2208 ; 16-byte Folded Spill
	scratch_store_dwordx4 off, v[38:41], off offset:2224 ; 16-byte Folded Spill
	;; [unrolled: 1-line block ×7, first 2 shown]
	s_waitcnt lgkmcnt(0)
	v_pk_fma_f32 v[48:49], v[0:1], v[8:9], v[182:183] op_sel_hi:[0,1,1] neg_lo:[1,0,0] neg_hi:[1,0,0]
	v_mov_b64_e32 v[106:107], v[44:45]
	v_mov_b64_e32 v[110:111], v[48:49]
	;; [unrolled: 1-line block ×10, first 2 shown]
	scratch_store_dwordx4 off, v[30:33], off offset:1808 ; 16-byte Folded Spill
	s_nop 0
	scratch_store_dwordx4 off, v[34:37], off offset:1824 ; 16-byte Folded Spill
	scratch_store_dwordx4 off, v[38:41], off offset:1840 ; 16-byte Folded Spill
	;; [unrolled: 1-line block ×7, first 2 shown]
	ds_read2_b32 v[2:3], v254 offset0:20 offset1:21
	ds_read2_b32 v[4:5], v254 offset0:22 offset1:23
	;; [unrolled: 1-line block ×4, first 2 shown]
	v_mov_b32_e32 v80, v110
	s_waitcnt lgkmcnt(3)
	v_pk_fma_f32 v[50:51], v[0:1], v[2:3], v[184:185] op_sel_hi:[0,1,1] neg_lo:[1,0,0] neg_hi:[1,0,0]
	v_mov_b32_e32 v81, v111
	v_mov_b32_e32 v52, v120
	;; [unrolled: 1-line block ×11, first 2 shown]
	v_mov_b64_e32 v[150:151], v[40:41]
	v_mov_b64_e32 v[206:207], v[42:43]
	;; [unrolled: 1-line block ×3, first 2 shown]
	v_mov_b32_e32 v72, v150
	v_mov_b32_e32 v73, v151
	;; [unrolled: 1-line block ×6, first 2 shown]
	v_mov_b64_e32 v[204:205], v[40:41]
	v_mov_b64_e32 v[184:185], v[44:45]
	scratch_store_dwordx4 off, v[62:65], off offset:1552 ; 16-byte Folded Spill
	s_nop 0
	scratch_store_dwordx4 off, v[66:69], off offset:1568 ; 16-byte Folded Spill
	scratch_store_dwordx4 off, v[70:73], off offset:1584 ; 16-byte Folded Spill
	;; [unrolled: 1-line block ×7, first 2 shown]
	v_mov_b64_e32 v[148:149], v[38:39]
	v_mov_b64_e32 v[146:147], v[36:37]
	;; [unrolled: 1-line block ×19, first 2 shown]
	scratch_load_dwordx4 v[20:23], off, off offset:8 ; 16-byte Folded Reload
	scratch_load_dwordx4 v[24:27], off, off offset:24 ; 16-byte Folded Reload
	;; [unrolled: 1-line block ×8, first 2 shown]
	v_mov_b32_e32 v66, v228
	v_mov_b32_e32 v67, v229
	s_waitcnt vmcnt(4)
	v_mov_b64_e32 v[20:21], v[152:153]
	v_mov_b32_e32 v72, v190
	v_mov_b32_e32 v73, v191
	;; [unrolled: 1-line block ×8, first 2 shown]
	v_mov_b64_e32 v[22:23], v[154:155]
	v_mov_b64_e32 v[24:25], v[156:157]
	;; [unrolled: 1-line block ×7, first 2 shown]
	s_waitcnt vmcnt(3)
	v_mov_b64_e32 v[36:37], v[168:169]
	v_mov_b32_e32 v70, v110
	v_mov_b32_e32 v71, v111
	v_mov_b64_e32 v[166:167], v[66:67]
	s_waitcnt vmcnt(0)
	v_mov_b64_e32 v[50:51], v[206:207]
	v_mov_b64_e32 v[164:165], v[64:65]
	;; [unrolled: 1-line block ×8, first 2 shown]
	v_mov_b32_e32 v62, v120
	v_mov_b32_e32 v63, v121
	;; [unrolled: 1-line block ×9, first 2 shown]
	v_mov_b64_e32 v[80:81], v[92:93]
	v_mov_b64_e32 v[82:83], v[94:95]
	;; [unrolled: 1-line block ×8, first 2 shown]
	s_waitcnt lgkmcnt(2)
	v_pk_fma_f32 v[74:75], v[0:1], v[4:5], v[42:43] op_sel_hi:[0,1,1] neg_lo:[1,0,0] neg_hi:[1,0,0]
	v_mov_b64_e32 v[38:39], v[194:195]
	v_mov_b64_e32 v[40:41], v[196:197]
	;; [unrolled: 1-line block ×21, first 2 shown]
	v_mov_b32_e32 v68, v18
	v_mov_b32_e32 v69, v19
	;; [unrolled: 1-line block ×4, first 2 shown]
	scratch_store_dwordx4 off, v[38:41], off offset:1936 ; 16-byte Folded Spill
	s_nop 0
	scratch_store_dwordx4 off, v[42:45], off offset:1952 ; 16-byte Folded Spill
	scratch_store_dwordx4 off, v[46:49], off offset:1968 ; 16-byte Folded Spill
	;; [unrolled: 1-line block ×8, first 2 shown]
	s_nop 0
	scratch_store_dwordx4 off, v[24:27], off offset:1696 ; 16-byte Folded Spill
	scratch_store_dwordx4 off, v[28:31], off offset:1712 ; 16-byte Folded Spill
	;; [unrolled: 1-line block ×7, first 2 shown]
	v_mov_b64_e32 v[36:37], v[108:109]
	v_mov_b64_e32 v[20:21], v[80:81]
	;; [unrolled: 1-line block ×3, first 2 shown]
	v_mov_b32_e32 v70, v138
	v_mov_b32_e32 v71, v139
	;; [unrolled: 1-line block ×4, first 2 shown]
	v_mov_b64_e32 v[22:23], v[82:83]
	v_mov_b64_e32 v[24:25], v[84:85]
	;; [unrolled: 1-line block ×7, first 2 shown]
	v_mov_b32_e32 v80, v38
	v_mov_b32_e32 v81, v39
	;; [unrolled: 1-line block ×6, first 2 shown]
	scratch_store_dwordx4 off, v[20:23], off offset:400 ; 16-byte Folded Spill
	s_nop 0
	scratch_store_dwordx4 off, v[24:27], off offset:416 ; 16-byte Folded Spill
	scratch_store_dwordx4 off, v[28:31], off offset:432 ; 16-byte Folded Spill
	scratch_store_dwordx4 off, v[32:35], off offset:448 ; 16-byte Folded Spill
	scratch_store_dwordx4 off, v[36:39], off offset:464 ; 16-byte Folded Spill
	scratch_store_dwordx4 off, v[40:43], off offset:480 ; 16-byte Folded Spill
	scratch_store_dwordx4 off, v[44:47], off offset:496 ; 16-byte Folded Spill
	scratch_store_dwordx4 off, v[48:51], off offset:512 ; 16-byte Folded Spill
	scratch_store_dwordx4 off, v[176:179], off offset:272 ; 16-byte Folded Spill
	s_nop 0
	scratch_store_dwordx4 off, v[180:183], off offset:288 ; 16-byte Folded Spill
	scratch_store_dwordx4 off, v[184:187], off offset:304 ; 16-byte Folded Spill
	scratch_store_dwordx4 off, v[188:191], off offset:320 ; 16-byte Folded Spill
	scratch_store_dwordx4 off, v[192:195], off offset:336 ; 16-byte Folded Spill
	scratch_store_dwordx4 off, v[196:199], off offset:352 ; 16-byte Folded Spill
	scratch_store_dwordx4 off, v[200:203], off offset:368 ; 16-byte Folded Spill
	scratch_store_dwordx4 off, v[204:207], off offset:384 ; 16-byte Folded Spill
	;; [unrolled: 9-line block ×3, first 2 shown]
	scratch_load_dwordx4 v[20:23], off, off offset:8 ; 16-byte Folded Reload
	scratch_load_dwordx4 v[24:27], off, off offset:24 ; 16-byte Folded Reload
	;; [unrolled: 1-line block ×8, first 2 shown]
	v_mov_b32_e32 v188, v18
	v_mov_b32_e32 v189, v19
	scratch_load_dwordx4 v[10:13], off, off offset:1936 ; 16-byte Folded Reload
	scratch_load_dwordx4 v[14:17], off, off offset:1952 ; 16-byte Folded Reload
	;; [unrolled: 1-line block ×8, first 2 shown]
	v_mov_b32_e32 v182, v120
	v_mov_b32_e32 v183, v121
	;; [unrolled: 1-line block ×20, first 2 shown]
	s_waitcnt vmcnt(9) lgkmcnt(1)
	v_pk_fma_f32 v[206:207], v[0:1], v[6:7], v[44:45] op_sel_hi:[0,1,1] neg_lo:[1,0,0] neg_hi:[1,0,0]
	scratch_load_dwordx4 v[24:27], off, off offset:1680 ; 16-byte Folded Reload
	scratch_load_dwordx4 v[28:31], off, off offset:1696 ; 16-byte Folded Reload
	;; [unrolled: 1-line block ×16, first 2 shown]
	s_waitcnt vmcnt(20)
	v_mov_b32_e32 v64, v22
	v_mov_b32_e32 v65, v23
	;; [unrolled: 1-line block ×4, first 2 shown]
	s_waitcnt vmcnt(11)
	v_mov_b64_e32 v[102:103], v[40:41]
	scratch_load_dwordx4 v[24:27], off, off offset:272 ; 16-byte Folded Reload
	scratch_load_dwordx4 v[28:31], off, off offset:288 ; 16-byte Folded Reload
	;; [unrolled: 1-line block ×8, first 2 shown]
	s_nop 0
	scratch_store_dwordx4 off, v[152:155], off offset:912 ; 16-byte Folded Spill
	s_nop 0
	scratch_store_dwordx4 off, v[156:159], off offset:928 ; 16-byte Folded Spill
	scratch_store_dwordx4 off, v[160:163], off offset:944 ; 16-byte Folded Spill
	;; [unrolled: 1-line block ×7, first 2 shown]
	scratch_store_dwordx4 off, v[130:133], s2 ; 16-byte Folded Spill
	s_nop 0
	scratch_store_dwordx4 off, v[134:137], s2 offset:16 ; 16-byte Folded Spill
	scratch_store_dwordx4 off, v[138:141], s2 offset:32 ; 16-byte Folded Spill
	;; [unrolled: 1-line block ×7, first 2 shown]
	v_mov_b32_e32 v198, v102
	v_mov_b32_e32 v199, v103
	s_waitcnt vmcnt(24)
	v_mov_b64_e32 v[98:99], v[88:89]
	v_mov_b32_e32 v200, v88
	v_mov_b32_e32 v201, v89
	v_mov_b64_e32 v[96:97], v[86:87]
	v_mov_b64_e32 v[94:95], v[84:85]
	s_waitcnt vmcnt(16)
	v_mov_b32_e32 v52, v120
	v_mov_b32_e32 v53, v121
	;; [unrolled: 1-line block ×4, first 2 shown]
	v_mov_b64_e32 v[92:93], v[82:83]
	v_mov_b64_e32 v[90:91], v[80:81]
	;; [unrolled: 1-line block ×7, first 2 shown]
	v_mov_b32_e32 v70, v98
	v_mov_b32_e32 v71, v99
	;; [unrolled: 1-line block ×8, first 2 shown]
	v_mov_b64_e32 v[100:101], v[140:141]
	v_mov_b32_e32 v60, v138
	v_mov_b32_e32 v62, v150
	;; [unrolled: 1-line block ×3, first 2 shown]
	v_mov_b64_e32 v[102:103], v[142:143]
	v_mov_b64_e32 v[104:105], v[144:145]
	;; [unrolled: 1-line block ×5, first 2 shown]
	scratch_load_dwordx4 v[124:127], off, off offset:1680 ; 16-byte Folded Reload
	scratch_load_dwordx4 v[128:131], off, off offset:1696 ; 16-byte Folded Reload
	;; [unrolled: 1-line block ×8, first 2 shown]
	s_waitcnt vmcnt(3)
	v_mov_b64_e32 v[178:179], v[140:141]
	scratch_load_dwordx4 v[124:127], off, off offset:912 ; 16-byte Folded Reload
	scratch_load_dwordx4 v[128:131], off, off offset:928 ; 16-byte Folded Reload
	;; [unrolled: 1-line block ×8, first 2 shown]
	v_mov_b32_e32 v68, v178
	v_mov_b32_e32 v69, v179
	v_mov_b64_e32 v[18:19], v[178:179]
	s_waitcnt vmcnt(2)
	v_mov_b32_e32 v74, v146
	v_mov_b32_e32 v75, v147
	scratch_store_dwordx4 off, v[52:55], off offset:1168 ; 16-byte Folded Spill
	s_nop 0
	scratch_store_dwordx4 off, v[56:59], off offset:1184 ; 16-byte Folded Spill
	scratch_store_dwordx4 off, v[60:63], off offset:1200 ; 16-byte Folded Spill
	;; [unrolled: 1-line block ×7, first 2 shown]
	scratch_load_dwordx4 v[24:27], off, off offset:8 ; 16-byte Folded Reload
	s_nop 0
	scratch_load_dwordx4 v[28:31], off, off offset:24 ; 16-byte Folded Reload
	scratch_load_dwordx4 v[32:35], off, off offset:40 ; 16-byte Folded Reload
	;; [unrolled: 1-line block ×7, first 2 shown]
	scratch_load_dwordx4 v[124:127], off, s2 ; 16-byte Folded Reload
	scratch_load_dwordx4 v[128:131], off, s2 offset:16 ; 16-byte Folded Reload
	scratch_load_dwordx4 v[132:135], off, s2 offset:32 ; 16-byte Folded Reload
	;; [unrolled: 1-line block ×7, first 2 shown]
	v_mov_b32_e32 v68, v18
	v_mov_b32_e32 v69, v19
	s_waitcnt vmcnt(10)
	v_mov_b64_e32 v[36:37], v[100:101]
	v_mov_b64_e32 v[38:39], v[102:103]
	v_mov_b64_e32 v[40:41], v[104:105]
	v_mov_b64_e32 v[42:43], v[106:107]
	v_mov_b64_e32 v[44:45], v[108:109]
	v_mov_b64_e32 v[46:47], v[110:111]
	v_mov_b64_e32 v[80:81], v[112:113]
	v_mov_b32_e32 v62, v110
	v_mov_b32_e32 v63, v111
	s_waitcnt vmcnt(4)
	v_mov_b32_e32 v136, v118
	v_mov_b32_e32 v137, v119
	v_mov_b64_e32 v[82:83], v[114:115]
	v_mov_b64_e32 v[84:85], v[116:117]
	;; [unrolled: 1-line block ×3, first 2 shown]
	v_mov_b32_e32 v55, v0
	v_mov_b32_e32 v134, v212
	;; [unrolled: 1-line block ×6, first 2 shown]
	v_mov_b64_e32 v[24:25], v[124:125]
	v_mov_b64_e32 v[26:27], v[126:127]
	;; [unrolled: 1-line block ×5, first 2 shown]
	s_waitcnt lgkmcnt(0)
	v_pk_fma_f32 v[78:79], v[0:1], v[8:9], v[50:51] op_sel_hi:[0,1,1] neg_lo:[1,0,0] neg_hi:[1,0,0]
	v_mov_b32_e32 v60, v32
	v_mov_b32_e32 v61, v33
	scratch_load_dwordx4 v[2:5], off, off offset:272 ; 16-byte Folded Reload
	scratch_load_dwordx4 v[6:9], off, off offset:288 ; 16-byte Folded Reload
	;; [unrolled: 1-line block ×8, first 2 shown]
	v_mov_b32_e32 v133, v0
	v_mov_b32_e32 v130, v120
	;; [unrolled: 1-line block ×4, first 2 shown]
	s_waitcnt vmcnt(2)
	v_mov_b64_e32 v[108:109], v[22:23]
	v_mov_b64_e32 v[106:107], v[20:21]
	v_mov_b64_e32 v[104:105], v[18:19]
	scratch_load_dwordx4 v[2:5], off, off offset:912 ; 16-byte Folded Reload
	scratch_load_dwordx4 v[6:9], off, off offset:928 ; 16-byte Folded Reload
	;; [unrolled: 1-line block ×8, first 2 shown]
	v_mov_b32_e32 v72, v108
	v_mov_b32_e32 v73, v109
	s_waitcnt vmcnt(2)
	v_mov_b64_e32 v[174:175], v[24:25]
	v_mov_b64_e32 v[172:173], v[22:23]
	;; [unrolled: 1-line block ×4, first 2 shown]
	scratch_load_dwordx4 v[2:5], off, off offset:8 ; 16-byte Folded Reload
	scratch_load_dwordx4 v[6:9], off, off offset:24 ; 16-byte Folded Reload
	;; [unrolled: 1-line block ×8, first 2 shown]
	s_waitcnt vmcnt(7)
	v_mov_b32_e32 v5, v0
	scratch_store_dwordx4 off, v[2:5], off offset:8 ; 16-byte Folded Spill
	s_waitcnt vmcnt(7)
	scratch_store_dwordx4 off, v[6:9], off offset:24 ; 16-byte Folded Spill
	s_waitcnt vmcnt(7)
	;; [unrolled: 2-line block ×7, first 2 shown]
	scratch_store_dwordx4 off, v[30:33], off offset:120 ; 16-byte Folded Spill
	scratch_load_dwordx4 v[4:7], off, s2    ; 16-byte Folded Reload
	s_nop 0
	scratch_load_dwordx4 v[8:11], off, s2 offset:16 ; 16-byte Folded Reload
	scratch_load_dwordx4 v[12:15], off, s2 offset:32 ; 16-byte Folded Reload
	;; [unrolled: 1-line block ×7, first 2 shown]
	v_mov_b32_e32 v74, v174
	v_mov_b32_e32 v75, v175
	scratch_load_dwordx4 v[144:147], off, off offset:1936 ; 16-byte Folded Reload
	scratch_load_dwordx4 v[148:151], off, off offset:1952 ; 16-byte Folded Reload
	;; [unrolled: 1-line block ×16, first 2 shown]
	s_waitcnt vmcnt(15)
	v_mov_b32_e32 v144, v228
	v_mov_b32_e32 v145, v229
	s_waitcnt vmcnt(13)
	v_mov_b32_e32 v154, v206
	v_mov_b32_e32 v155, v207
	s_movk_i32 s2, 0x16a0
	v_mov_b64_e32 v[0:1], v[4:5]
	v_mov_b32_e32 v138, v12
	v_mov_b32_e32 v139, v13
	v_mov_b64_e32 v[2:3], v[6:7]
	v_mov_b64_e32 v[4:5], v[8:9]
	;; [unrolled: 1-line block ×10, first 2 shown]
	s_waitcnt vmcnt(4)
	v_mov_b64_e32 v[32:33], v[88:89]
	v_mov_b64_e32 v[34:35], v[90:91]
	;; [unrolled: 1-line block ×8, first 2 shown]
	s_waitcnt vmcnt(3)
	v_mov_b64_e32 v[48:49], v[104:105]
	scratch_load_dwordx4 v[88:91], off, off offset:400 ; 16-byte Folded Reload
	scratch_load_dwordx4 v[92:95], off, off offset:416 ; 16-byte Folded Reload
	;; [unrolled: 1-line block ×8, first 2 shown]
	v_mov_b32_e32 v140, v22
	v_mov_b32_e32 v141, v23
	;; [unrolled: 1-line block ×8, first 2 shown]
	v_mov_b64_e32 v[10:11], v[12:13]
	v_mov_b64_e32 v[12:13], v[14:15]
	;; [unrolled: 1-line block ×6, first 2 shown]
	s_waitcnt vmcnt(3)
	v_mov_b32_e32 v148, v106
	v_mov_b32_e32 v149, v107
	scratch_load_dwordx4 v[88:91], off, off offset:272 ; 16-byte Folded Reload
	scratch_load_dwordx4 v[92:95], off, off offset:288 ; 16-byte Folded Reload
	;; [unrolled: 1-line block ×8, first 2 shown]
	s_waitcnt vmcnt(2)
	v_mov_b32_e32 v150, v108
	v_mov_b32_e32 v151, v109
	scratch_load_dwordx4 v[88:91], off, off offset:912 ; 16-byte Folded Reload
	scratch_load_dwordx4 v[92:95], off, off offset:928 ; 16-byte Folded Reload
	;; [unrolled: 1-line block ×8, first 2 shown]
	s_waitcnt vmcnt(4)
	v_mov_b64_e32 v[172:173], v[102:103]
	v_mov_b64_e32 v[160:161], v[90:91]
	s_waitcnt vmcnt(2)
	v_mov_b64_e32 v[180:181], v[110:111]
	v_mov_b64_e32 v[158:159], v[88:89]
	v_mov_b32_e32 v152, v180
	v_mov_b32_e32 v153, v181
	scratch_store_dwordx4 off, v[130:133], off offset:784 ; 16-byte Folded Spill
	s_nop 0
	scratch_store_dwordx4 off, v[134:137], off offset:800 ; 16-byte Folded Spill
	scratch_store_dwordx4 off, v[138:141], off offset:816 ; 16-byte Folded Spill
	;; [unrolled: 1-line block ×7, first 2 shown]
	v_mov_b64_e32 v[170:171], v[100:101]
	v_mov_b64_e32 v[168:169], v[98:99]
	;; [unrolled: 1-line block ×8, first 2 shown]
	scratch_load_dwordx4 v[88:91], off, off offset:8 ; 16-byte Folded Reload
	scratch_load_dwordx4 v[92:95], off, off offset:24 ; 16-byte Folded Reload
	;; [unrolled: 1-line block ×8, first 2 shown]
	s_waitcnt vmcnt(7)
	v_mov_b32_e32 v88, v120
	scratch_store_dwordx4 off, v[88:91], off offset:8 ; 16-byte Folded Spill
	s_waitcnt vmcnt(7)
	scratch_store_dwordx4 off, v[92:95], off offset:24 ; 16-byte Folded Spill
	s_waitcnt vmcnt(7)
	scratch_store_dwordx4 off, v[96:99], off offset:40 ; 16-byte Folded Spill
	s_waitcnt vmcnt(7)
	scratch_store_dwordx4 off, v[100:103], off offset:56 ; 16-byte Folded Spill
	s_waitcnt vmcnt(7)
	scratch_store_dwordx4 off, v[104:107], off offset:72 ; 16-byte Folded Spill
	s_waitcnt vmcnt(7)
	scratch_store_dwordx4 off, v[108:111], off offset:88 ; 16-byte Folded Spill
	s_waitcnt vmcnt(7)
	scratch_store_dwordx4 off, v[112:115], off offset:104 ; 16-byte Folded Spill
	s_waitcnt vmcnt(7)
	scratch_store_dwordx4 off, v[116:119], off offset:120 ; 16-byte Folded Spill
	scratch_load_dwordx4 v[88:91], off, off offset:8 ; 16-byte Folded Reload
	s_nop 0
	scratch_load_dwordx4 v[92:95], off, off offset:24 ; 16-byte Folded Reload
	scratch_load_dwordx4 v[96:99], off, off offset:40 ; 16-byte Folded Reload
	scratch_load_dwordx4 v[100:103], off, off offset:56 ; 16-byte Folded Reload
	scratch_load_dwordx4 v[104:107], off, off offset:72 ; 16-byte Folded Reload
	scratch_load_dwordx4 v[108:111], off, off offset:88 ; 16-byte Folded Reload
	scratch_load_dwordx4 v[112:115], off, off offset:104 ; 16-byte Folded Reload
	scratch_load_dwordx4 v[116:119], off, off offset:120 ; 16-byte Folded Reload
	s_waitcnt vmcnt(7)
	v_mov_b32_e32 v89, v121
	scratch_store_dwordx4 off, v[88:91], off offset:8 ; 16-byte Folded Spill
	s_waitcnt vmcnt(7)
	scratch_store_dwordx4 off, v[92:95], off offset:24 ; 16-byte Folded Spill
	s_waitcnt vmcnt(7)
	scratch_store_dwordx4 off, v[96:99], off offset:40 ; 16-byte Folded Spill
	s_waitcnt vmcnt(7)
	scratch_store_dwordx4 off, v[100:103], off offset:56 ; 16-byte Folded Spill
	s_waitcnt vmcnt(7)
	scratch_store_dwordx4 off, v[104:107], off offset:72 ; 16-byte Folded Spill
	s_waitcnt vmcnt(7)
	scratch_store_dwordx4 off, v[108:111], off offset:88 ; 16-byte Folded Spill
	s_waitcnt vmcnt(7)
	scratch_store_dwordx4 off, v[112:115], off offset:104 ; 16-byte Folded Spill
	s_waitcnt vmcnt(7)
	scratch_store_dwordx4 off, v[116:119], off offset:120 ; 16-byte Folded Spill
	scratch_load_dwordx4 v[88:91], off, off offset:8 ; 16-byte Folded Reload
	s_nop 0
	scratch_load_dwordx4 v[92:95], off, off offset:24 ; 16-byte Folded Reload
	scratch_load_dwordx4 v[96:99], off, off offset:40 ; 16-byte Folded Reload
	scratch_load_dwordx4 v[100:103], off, off offset:56 ; 16-byte Folded Reload
	scratch_load_dwordx4 v[104:107], off, off offset:72 ; 16-byte Folded Reload
	scratch_load_dwordx4 v[108:111], off, off offset:88 ; 16-byte Folded Reload
	scratch_load_dwordx4 v[112:115], off, off offset:104 ; 16-byte Folded Reload
	scratch_load_dwordx4 v[116:119], off, off offset:120 ; 16-byte Folded Reload
	;; [unrolled: 26-line block ×3, first 2 shown]
	s_waitcnt vmcnt(6)
	v_mov_b32_e32 v92, v212
	scratch_store_dwordx4 off, v[88:91], off offset:8 ; 16-byte Folded Spill
	s_nop 0
	scratch_store_dwordx4 off, v[92:95], off offset:24 ; 16-byte Folded Spill
	s_waitcnt vmcnt(7)
	scratch_store_dwordx4 off, v[96:99], off offset:40 ; 16-byte Folded Spill
	s_waitcnt vmcnt(7)
	scratch_store_dwordx4 off, v[100:103], off offset:56 ; 16-byte Folded Spill
	s_waitcnt vmcnt(7)
	scratch_store_dwordx4 off, v[104:107], off offset:72 ; 16-byte Folded Spill
	s_waitcnt vmcnt(7)
	scratch_store_dwordx4 off, v[108:111], off offset:88 ; 16-byte Folded Spill
	s_waitcnt vmcnt(7)
	scratch_store_dwordx4 off, v[112:115], off offset:104 ; 16-byte Folded Spill
	s_waitcnt vmcnt(7)
	scratch_store_dwordx4 off, v[116:119], off offset:120 ; 16-byte Folded Spill
	scratch_load_dwordx4 v[88:91], off, off offset:8 ; 16-byte Folded Reload
	s_nop 0
	scratch_load_dwordx4 v[92:95], off, off offset:24 ; 16-byte Folded Reload
	scratch_load_dwordx4 v[96:99], off, off offset:40 ; 16-byte Folded Reload
	;; [unrolled: 1-line block ×7, first 2 shown]
	s_waitcnt vmcnt(6)
	v_mov_b32_e32 v93, v213
	scratch_store_dwordx4 off, v[88:91], off offset:8 ; 16-byte Folded Spill
	s_nop 0
	scratch_store_dwordx4 off, v[92:95], off offset:24 ; 16-byte Folded Spill
	s_waitcnt vmcnt(7)
	scratch_store_dwordx4 off, v[96:99], off offset:40 ; 16-byte Folded Spill
	s_waitcnt vmcnt(7)
	;; [unrolled: 2-line block ×6, first 2 shown]
	scratch_store_dwordx4 off, v[116:119], off offset:120 ; 16-byte Folded Spill
	scratch_load_dwordx4 v[88:91], off, off offset:8 ; 16-byte Folded Reload
	s_nop 0
	scratch_load_dwordx4 v[92:95], off, off offset:24 ; 16-byte Folded Reload
	scratch_load_dwordx4 v[96:99], off, off offset:40 ; 16-byte Folded Reload
	;; [unrolled: 1-line block ×7, first 2 shown]
	v_mov_b64_e32 v[136:137], v[86:87]
	s_waitcnt vmcnt(6)
	v_mov_b32_e32 v94, v136
	scratch_store_dwordx4 off, v[88:91], off offset:8 ; 16-byte Folded Spill
	s_nop 0
	scratch_store_dwordx4 off, v[92:95], off offset:24 ; 16-byte Folded Spill
	s_waitcnt vmcnt(7)
	scratch_store_dwordx4 off, v[96:99], off offset:40 ; 16-byte Folded Spill
	s_waitcnt vmcnt(7)
	;; [unrolled: 2-line block ×6, first 2 shown]
	scratch_store_dwordx4 off, v[116:119], off offset:120 ; 16-byte Folded Spill
	scratch_load_dwordx4 v[88:91], off, off offset:8 ; 16-byte Folded Reload
	s_nop 0
	scratch_load_dwordx4 v[92:95], off, off offset:24 ; 16-byte Folded Reload
	scratch_load_dwordx4 v[96:99], off, off offset:40 ; 16-byte Folded Reload
	;; [unrolled: 1-line block ×7, first 2 shown]
	s_waitcnt vmcnt(6)
	v_mov_b32_e32 v95, v137
	scratch_store_dwordx4 off, v[88:91], off offset:8 ; 16-byte Folded Spill
	s_nop 0
	scratch_store_dwordx4 off, v[92:95], off offset:24 ; 16-byte Folded Spill
	s_waitcnt vmcnt(7)
	scratch_store_dwordx4 off, v[96:99], off offset:40 ; 16-byte Folded Spill
	s_waitcnt vmcnt(7)
	;; [unrolled: 2-line block ×6, first 2 shown]
	scratch_store_dwordx4 off, v[116:119], off offset:120 ; 16-byte Folded Spill
	scratch_load_dwordx4 v[88:91], off, off offset:8 ; 16-byte Folded Reload
	s_nop 0
	scratch_load_dwordx4 v[92:95], off, off offset:24 ; 16-byte Folded Reload
	scratch_load_dwordx4 v[96:99], off, off offset:40 ; 16-byte Folded Reload
	;; [unrolled: 1-line block ×7, first 2 shown]
	v_mov_b64_e32 v[146:147], v[8:9]
	s_waitcnt vmcnt(5)
	v_mov_b32_e32 v96, v146
	scratch_store_dwordx4 off, v[88:91], off offset:8 ; 16-byte Folded Spill
	s_nop 0
	scratch_store_dwordx4 off, v[92:95], off offset:24 ; 16-byte Folded Spill
	scratch_store_dwordx4 off, v[96:99], off offset:40 ; 16-byte Folded Spill
	s_waitcnt vmcnt(7)
	scratch_store_dwordx4 off, v[100:103], off offset:56 ; 16-byte Folded Spill
	s_waitcnt vmcnt(7)
	;; [unrolled: 2-line block ×5, first 2 shown]
	scratch_store_dwordx4 off, v[116:119], off offset:120 ; 16-byte Folded Spill
	scratch_load_dwordx4 v[88:91], off, off offset:8 ; 16-byte Folded Reload
	s_nop 0
	scratch_load_dwordx4 v[92:95], off, off offset:24 ; 16-byte Folded Reload
	scratch_load_dwordx4 v[96:99], off, off offset:40 ; 16-byte Folded Reload
	;; [unrolled: 1-line block ×7, first 2 shown]
	s_waitcnt vmcnt(5)
	v_mov_b32_e32 v97, v147
	scratch_store_dwordx4 off, v[88:91], off offset:8 ; 16-byte Folded Spill
	s_nop 0
	scratch_store_dwordx4 off, v[92:95], off offset:24 ; 16-byte Folded Spill
	scratch_store_dwordx4 off, v[96:99], off offset:40 ; 16-byte Folded Spill
	s_waitcnt vmcnt(7)
	scratch_store_dwordx4 off, v[100:103], off offset:56 ; 16-byte Folded Spill
	s_waitcnt vmcnt(7)
	;; [unrolled: 2-line block ×5, first 2 shown]
	scratch_store_dwordx4 off, v[116:119], off offset:120 ; 16-byte Folded Spill
	scratch_store_dwordx4 off, v[10:13], off offset:3608 ; 16-byte Folded Spill
	s_nop 0
	scratch_store_dwordx4 off, v[14:17], off offset:3624 ; 16-byte Folded Spill
	scratch_store_dwordx4 off, v[18:21], off offset:3640 ; 16-byte Folded Spill
	;; [unrolled: 1-line block ×7, first 2 shown]
	scratch_load_dwordx4 v[88:91], off, off offset:8 ; 16-byte Folded Reload
	scratch_load_dwordx4 v[92:95], off, off offset:24 ; 16-byte Folded Reload
	;; [unrolled: 1-line block ×8, first 2 shown]
	v_mov_b64_e32 v[144:145], v[6:7]
	v_mov_b64_e32 v[142:143], v[4:5]
	v_mov_b64_e32 v[140:141], v[2:3]
	v_mov_b64_e32 v[138:139], v[0:1]
	v_mov_b64_e32 v[134:135], v[84:85]
	v_mov_b64_e32 v[132:133], v[82:83]
	v_mov_b64_e32 v[130:131], v[80:81]
	s_waitcnt vmcnt(5)
	v_mov_b32_e32 v98, v20
	scratch_store_dwordx4 off, v[88:91], off offset:8 ; 16-byte Folded Spill
	s_nop 0
	scratch_store_dwordx4 off, v[92:95], off offset:24 ; 16-byte Folded Spill
	scratch_store_dwordx4 off, v[96:99], off offset:40 ; 16-byte Folded Spill
	s_waitcnt vmcnt(7)
	scratch_store_dwordx4 off, v[100:103], off offset:56 ; 16-byte Folded Spill
	s_waitcnt vmcnt(7)
	;; [unrolled: 2-line block ×5, first 2 shown]
	scratch_store_dwordx4 off, v[116:119], off offset:120 ; 16-byte Folded Spill
	scratch_load_dwordx4 v[88:91], off, off offset:8 ; 16-byte Folded Reload
	s_nop 0
	scratch_load_dwordx4 v[92:95], off, off offset:24 ; 16-byte Folded Reload
	scratch_load_dwordx4 v[96:99], off, off offset:40 ; 16-byte Folded Reload
	;; [unrolled: 1-line block ×7, first 2 shown]
	s_waitcnt vmcnt(5)
	v_mov_b32_e32 v99, v21
	scratch_store_dwordx4 off, v[88:91], off offset:8 ; 16-byte Folded Spill
	s_nop 0
	scratch_store_dwordx4 off, v[92:95], off offset:24 ; 16-byte Folded Spill
	scratch_store_dwordx4 off, v[96:99], off offset:40 ; 16-byte Folded Spill
	s_waitcnt vmcnt(7)
	scratch_store_dwordx4 off, v[100:103], off offset:56 ; 16-byte Folded Spill
	s_waitcnt vmcnt(7)
	;; [unrolled: 2-line block ×5, first 2 shown]
	scratch_store_dwordx4 off, v[116:119], off offset:120 ; 16-byte Folded Spill
	scratch_load_dwordx4 v[0:3], off, off offset:1936 ; 16-byte Folded Reload
	scratch_load_dwordx4 v[4:7], off, off offset:1952 ; 16-byte Folded Reload
	;; [unrolled: 1-line block ×16, first 2 shown]
	s_waitcnt vmcnt(9)
	v_mov_b64_e32 v[26:27], v[12:13]
	s_waitcnt vmcnt(4)
	v_mov_b32_e32 v100, v26
	scratch_store_dwordx4 off, v[88:91], off offset:8 ; 16-byte Folded Spill
	s_nop 0
	scratch_store_dwordx4 off, v[92:95], off offset:24 ; 16-byte Folded Spill
	scratch_store_dwordx4 off, v[96:99], off offset:40 ; 16-byte Folded Spill
	;; [unrolled: 1-line block ×3, first 2 shown]
	s_waitcnt vmcnt(7)
	scratch_store_dwordx4 off, v[104:107], off offset:72 ; 16-byte Folded Spill
	s_waitcnt vmcnt(7)
	scratch_store_dwordx4 off, v[108:111], off offset:88 ; 16-byte Folded Spill
	;; [unrolled: 2-line block ×4, first 2 shown]
	scratch_load_dwordx4 v[88:91], off, off offset:8 ; 16-byte Folded Reload
	s_nop 0
	scratch_load_dwordx4 v[92:95], off, off offset:24 ; 16-byte Folded Reload
	scratch_load_dwordx4 v[96:99], off, off offset:40 ; 16-byte Folded Reload
	;; [unrolled: 1-line block ×7, first 2 shown]
	s_waitcnt vmcnt(4)
	v_mov_b32_e32 v101, v27
	scratch_store_dwordx4 off, v[88:91], off offset:8 ; 16-byte Folded Spill
	s_nop 0
	scratch_store_dwordx4 off, v[92:95], off offset:24 ; 16-byte Folded Spill
	scratch_store_dwordx4 off, v[96:99], off offset:40 ; 16-byte Folded Spill
	;; [unrolled: 1-line block ×3, first 2 shown]
	s_waitcnt vmcnt(7)
	scratch_store_dwordx4 off, v[104:107], off offset:72 ; 16-byte Folded Spill
	s_waitcnt vmcnt(7)
	scratch_store_dwordx4 off, v[108:111], off offset:88 ; 16-byte Folded Spill
	;; [unrolled: 2-line block ×4, first 2 shown]
	scratch_load_dwordx4 v[0:3], off, off offset:8 ; 16-byte Folded Reload
	scratch_load_dwordx4 v[4:7], off, off offset:24 ; 16-byte Folded Reload
	scratch_load_dwordx4 v[8:11], off, off offset:40 ; 16-byte Folded Reload
	scratch_load_dwordx4 v[12:15], off, off offset:56 ; 16-byte Folded Reload
	scratch_load_dwordx4 v[16:19], off, off offset:72 ; 16-byte Folded Reload
	scratch_load_dwordx4 v[20:23], off, off offset:88 ; 16-byte Folded Reload
	scratch_load_dwordx4 v[24:27], off, off offset:104 ; 16-byte Folded Reload
	scratch_load_dwordx4 v[28:31], off, off offset:120 ; 16-byte Folded Reload
	s_waitcnt vmcnt(4)
	v_mov_b32_e32 v14, v228
	scratch_store_dwordx4 off, v[0:3], off offset:8 ; 16-byte Folded Spill
	s_nop 0
	scratch_store_dwordx4 off, v[4:7], off offset:24 ; 16-byte Folded Spill
	scratch_store_dwordx4 off, v[8:11], off offset:40 ; 16-byte Folded Spill
	;; [unrolled: 1-line block ×3, first 2 shown]
	s_waitcnt vmcnt(7)
	scratch_store_dwordx4 off, v[16:19], off offset:72 ; 16-byte Folded Spill
	s_waitcnt vmcnt(7)
	scratch_store_dwordx4 off, v[20:23], off offset:88 ; 16-byte Folded Spill
	;; [unrolled: 2-line block ×4, first 2 shown]
	scratch_load_dwordx4 v[0:3], off, off offset:8 ; 16-byte Folded Reload
	s_nop 0
	scratch_load_dwordx4 v[4:7], off, off offset:24 ; 16-byte Folded Reload
	scratch_load_dwordx4 v[8:11], off, off offset:40 ; 16-byte Folded Reload
	;; [unrolled: 1-line block ×7, first 2 shown]
	s_waitcnt vmcnt(4)
	v_mov_b32_e32 v15, v229
	scratch_store_dwordx4 off, v[0:3], off offset:8 ; 16-byte Folded Spill
	s_nop 0
	scratch_store_dwordx4 off, v[4:7], off offset:24 ; 16-byte Folded Spill
	scratch_store_dwordx4 off, v[8:11], off offset:40 ; 16-byte Folded Spill
	;; [unrolled: 1-line block ×3, first 2 shown]
	s_waitcnt vmcnt(7)
	scratch_store_dwordx4 off, v[16:19], off offset:72 ; 16-byte Folded Spill
	s_waitcnt vmcnt(7)
	scratch_store_dwordx4 off, v[20:23], off offset:88 ; 16-byte Folded Spill
	;; [unrolled: 2-line block ×4, first 2 shown]
	scratch_load_dwordx4 v[0:3], off, off offset:8 ; 16-byte Folded Reload
	s_nop 0
	scratch_load_dwordx4 v[4:7], off, off offset:24 ; 16-byte Folded Reload
	scratch_load_dwordx4 v[8:11], off, off offset:40 ; 16-byte Folded Reload
	;; [unrolled: 1-line block ×7, first 2 shown]
	s_waitcnt vmcnt(3)
	v_mov_b32_e32 v16, v48
	scratch_store_dwordx4 off, v[0:3], off offset:8 ; 16-byte Folded Spill
	s_nop 0
	scratch_store_dwordx4 off, v[4:7], off offset:24 ; 16-byte Folded Spill
	scratch_store_dwordx4 off, v[8:11], off offset:40 ; 16-byte Folded Spill
	;; [unrolled: 1-line block ×4, first 2 shown]
	s_waitcnt vmcnt(7)
	scratch_store_dwordx4 off, v[20:23], off offset:88 ; 16-byte Folded Spill
	s_waitcnt vmcnt(7)
	scratch_store_dwordx4 off, v[24:27], off offset:104 ; 16-byte Folded Spill
	;; [unrolled: 2-line block ×3, first 2 shown]
	scratch_load_dwordx4 v[0:3], off, off offset:8 ; 16-byte Folded Reload
	s_nop 0
	scratch_load_dwordx4 v[4:7], off, off offset:24 ; 16-byte Folded Reload
	scratch_load_dwordx4 v[8:11], off, off offset:40 ; 16-byte Folded Reload
	;; [unrolled: 1-line block ×7, first 2 shown]
	s_waitcnt vmcnt(3)
	v_mov_b32_e32 v17, v49
	scratch_store_dwordx4 off, v[0:3], off offset:8 ; 16-byte Folded Spill
	s_nop 0
	scratch_store_dwordx4 off, v[4:7], off offset:24 ; 16-byte Folded Spill
	scratch_store_dwordx4 off, v[8:11], off offset:40 ; 16-byte Folded Spill
	;; [unrolled: 1-line block ×4, first 2 shown]
	s_waitcnt vmcnt(7)
	scratch_store_dwordx4 off, v[20:23], off offset:88 ; 16-byte Folded Spill
	s_waitcnt vmcnt(7)
	scratch_store_dwordx4 off, v[24:27], off offset:104 ; 16-byte Folded Spill
	;; [unrolled: 2-line block ×3, first 2 shown]
	scratch_load_dwordx4 v[0:3], off, off offset:400 ; 16-byte Folded Reload
	s_nop 0
	scratch_load_dwordx4 v[4:7], off, off offset:416 ; 16-byte Folded Reload
	scratch_load_dwordx4 v[8:11], off, off offset:432 ; 16-byte Folded Reload
	;; [unrolled: 1-line block ×7, first 2 shown]
	s_waitcnt vmcnt(3)
	v_mov_b64_e32 v[110:111], v[18:19]
	v_mov_b64_e32 v[108:109], v[16:17]
	scratch_load_dwordx4 v[0:3], off, off offset:8 ; 16-byte Folded Reload
	scratch_load_dwordx4 v[4:7], off, off offset:24 ; 16-byte Folded Reload
	;; [unrolled: 1-line block ×8, first 2 shown]
	s_waitcnt vmcnt(3)
	v_mov_b32_e32 v18, v110
	scratch_store_dwordx4 off, v[0:3], off offset:8 ; 16-byte Folded Spill
	s_nop 0
	scratch_store_dwordx4 off, v[4:7], off offset:24 ; 16-byte Folded Spill
	scratch_store_dwordx4 off, v[8:11], off offset:40 ; 16-byte Folded Spill
	;; [unrolled: 1-line block ×4, first 2 shown]
	s_waitcnt vmcnt(7)
	scratch_store_dwordx4 off, v[20:23], off offset:88 ; 16-byte Folded Spill
	s_waitcnt vmcnt(7)
	scratch_store_dwordx4 off, v[24:27], off offset:104 ; 16-byte Folded Spill
	s_waitcnt vmcnt(7)
	scratch_store_dwordx4 off, v[28:31], off offset:120 ; 16-byte Folded Spill
	scratch_load_dwordx4 v[0:3], off, off offset:8 ; 16-byte Folded Reload
	s_nop 0
	scratch_load_dwordx4 v[4:7], off, off offset:24 ; 16-byte Folded Reload
	scratch_load_dwordx4 v[8:11], off, off offset:40 ; 16-byte Folded Reload
	;; [unrolled: 1-line block ×7, first 2 shown]
	s_waitcnt vmcnt(3)
	v_mov_b32_e32 v19, v111
	scratch_store_dwordx4 off, v[0:3], off offset:8 ; 16-byte Folded Spill
	s_nop 0
	scratch_store_dwordx4 off, v[4:7], off offset:24 ; 16-byte Folded Spill
	scratch_store_dwordx4 off, v[8:11], off offset:40 ; 16-byte Folded Spill
	;; [unrolled: 1-line block ×4, first 2 shown]
	s_waitcnt vmcnt(7)
	scratch_store_dwordx4 off, v[20:23], off offset:88 ; 16-byte Folded Spill
	s_waitcnt vmcnt(7)
	scratch_store_dwordx4 off, v[24:27], off offset:104 ; 16-byte Folded Spill
	s_waitcnt vmcnt(7)
	scratch_store_dwordx4 off, v[28:31], off offset:120 ; 16-byte Folded Spill
	scratch_load_dwordx4 v[0:3], off, off offset:8 ; 16-byte Folded Reload
	s_nop 0
	scratch_load_dwordx4 v[4:7], off, off offset:24 ; 16-byte Folded Reload
	scratch_load_dwordx4 v[8:11], off, off offset:40 ; 16-byte Folded Reload
	;; [unrolled: 1-line block ×15, first 2 shown]
	s_waitcnt vmcnt(2)
	v_mov_b32_e32 v20, v108
	scratch_store_dwordx4 off, v[0:3], off offset:8 ; 16-byte Folded Spill
	s_nop 0
	scratch_store_dwordx4 off, v[4:7], off offset:24 ; 16-byte Folded Spill
	scratch_store_dwordx4 off, v[8:11], off offset:40 ; 16-byte Folded Spill
	;; [unrolled: 1-line block ×7, first 2 shown]
	scratch_load_dwordx4 v[0:3], off, off offset:8 ; 16-byte Folded Reload
	s_nop 0
	scratch_load_dwordx4 v[4:7], off, off offset:24 ; 16-byte Folded Reload
	scratch_load_dwordx4 v[8:11], off, off offset:40 ; 16-byte Folded Reload
	scratch_load_dwordx4 v[12:15], off, off offset:56 ; 16-byte Folded Reload
	scratch_load_dwordx4 v[16:19], off, off offset:72 ; 16-byte Folded Reload
	scratch_load_dwordx4 v[20:23], off, off offset:88 ; 16-byte Folded Reload
	scratch_load_dwordx4 v[24:27], off, off offset:104 ; 16-byte Folded Reload
	scratch_load_dwordx4 v[28:31], off, off offset:120 ; 16-byte Folded Reload
	s_waitcnt vmcnt(2)
	v_mov_b32_e32 v21, v109
	scratch_store_dwordx4 off, v[0:3], off offset:8 ; 16-byte Folded Spill
	s_nop 0
	scratch_store_dwordx4 off, v[4:7], off offset:24 ; 16-byte Folded Spill
	scratch_store_dwordx4 off, v[8:11], off offset:40 ; 16-byte Folded Spill
	scratch_store_dwordx4 off, v[12:15], off offset:56 ; 16-byte Folded Spill
	scratch_store_dwordx4 off, v[16:19], off offset:72 ; 16-byte Folded Spill
	scratch_store_dwordx4 off, v[20:23], off offset:88 ; 16-byte Folded Spill
	s_waitcnt vmcnt(7)
	scratch_store_dwordx4 off, v[24:27], off offset:104 ; 16-byte Folded Spill
	s_waitcnt vmcnt(7)
	scratch_store_dwordx4 off, v[28:31], off offset:120 ; 16-byte Folded Spill
	scratch_load_dwordx4 v[0:3], off, off offset:8 ; 16-byte Folded Reload
	s_nop 0
	scratch_load_dwordx4 v[4:7], off, off offset:24 ; 16-byte Folded Reload
	scratch_load_dwordx4 v[8:11], off, off offset:40 ; 16-byte Folded Reload
	scratch_load_dwordx4 v[12:15], off, off offset:56 ; 16-byte Folded Reload
	scratch_load_dwordx4 v[16:19], off, off offset:72 ; 16-byte Folded Reload
	scratch_load_dwordx4 v[20:23], off, off offset:88 ; 16-byte Folded Reload
	scratch_load_dwordx4 v[24:27], off, off offset:104 ; 16-byte Folded Reload
	scratch_load_dwordx4 v[28:31], off, off offset:120 ; 16-byte Folded Reload
	s_waitcnt vmcnt(2)
	v_mov_b32_e32 v22, v180
	scratch_store_dwordx4 off, v[0:3], off offset:8 ; 16-byte Folded Spill
	s_nop 0
	scratch_store_dwordx4 off, v[4:7], off offset:24 ; 16-byte Folded Spill
	scratch_store_dwordx4 off, v[8:11], off offset:40 ; 16-byte Folded Spill
	scratch_store_dwordx4 off, v[12:15], off offset:56 ; 16-byte Folded Spill
	scratch_store_dwordx4 off, v[16:19], off offset:72 ; 16-byte Folded Spill
	scratch_store_dwordx4 off, v[20:23], off offset:88 ; 16-byte Folded Spill
	s_waitcnt vmcnt(7)
	scratch_store_dwordx4 off, v[24:27], off offset:104 ; 16-byte Folded Spill
	s_waitcnt vmcnt(7)
	scratch_store_dwordx4 off, v[28:31], off offset:120 ; 16-byte Folded Spill
	;; [unrolled: 22-line block ×3, first 2 shown]
	scratch_load_dwordx4 v[0:3], off, off offset:8 ; 16-byte Folded Reload
	s_nop 0
	scratch_load_dwordx4 v[4:7], off, off offset:24 ; 16-byte Folded Reload
	scratch_load_dwordx4 v[8:11], off, off offset:40 ; 16-byte Folded Reload
	scratch_load_dwordx4 v[12:15], off, off offset:56 ; 16-byte Folded Reload
	scratch_load_dwordx4 v[16:19], off, off offset:72 ; 16-byte Folded Reload
	scratch_load_dwordx4 v[20:23], off, off offset:88 ; 16-byte Folded Reload
	scratch_load_dwordx4 v[24:27], off, off offset:104 ; 16-byte Folded Reload
	scratch_load_dwordx4 v[28:31], off, off offset:120 ; 16-byte Folded Reload
	s_waitcnt vmcnt(1)
	v_mov_b32_e32 v24, v206
	scratch_store_dwordx4 off, v[0:3], off offset:8 ; 16-byte Folded Spill
	s_nop 0
	scratch_store_dwordx4 off, v[4:7], off offset:24 ; 16-byte Folded Spill
	scratch_store_dwordx4 off, v[8:11], off offset:40 ; 16-byte Folded Spill
	scratch_store_dwordx4 off, v[12:15], off offset:56 ; 16-byte Folded Spill
	scratch_store_dwordx4 off, v[16:19], off offset:72 ; 16-byte Folded Spill
	scratch_store_dwordx4 off, v[20:23], off offset:88 ; 16-byte Folded Spill
	scratch_store_dwordx4 off, v[24:27], off offset:104 ; 16-byte Folded Spill
	s_waitcnt vmcnt(7)
	scratch_store_dwordx4 off, v[28:31], off offset:120 ; 16-byte Folded Spill
	scratch_load_dwordx4 v[0:3], off, off offset:8 ; 16-byte Folded Reload
	s_nop 0
	scratch_load_dwordx4 v[4:7], off, off offset:24 ; 16-byte Folded Reload
	scratch_load_dwordx4 v[8:11], off, off offset:40 ; 16-byte Folded Reload
	scratch_load_dwordx4 v[12:15], off, off offset:56 ; 16-byte Folded Reload
	scratch_load_dwordx4 v[16:19], off, off offset:72 ; 16-byte Folded Reload
	scratch_load_dwordx4 v[20:23], off, off offset:88 ; 16-byte Folded Reload
	scratch_load_dwordx4 v[24:27], off, off offset:104 ; 16-byte Folded Reload
	scratch_load_dwordx4 v[28:31], off, off offset:120 ; 16-byte Folded Reload
	s_waitcnt vmcnt(1)
	v_mov_b32_e32 v25, v207
	scratch_store_dwordx4 off, v[0:3], off offset:8 ; 16-byte Folded Spill
	s_nop 0
	scratch_store_dwordx4 off, v[4:7], off offset:24 ; 16-byte Folded Spill
	scratch_store_dwordx4 off, v[8:11], off offset:40 ; 16-byte Folded Spill
	scratch_store_dwordx4 off, v[12:15], off offset:56 ; 16-byte Folded Spill
	scratch_store_dwordx4 off, v[16:19], off offset:72 ; 16-byte Folded Spill
	scratch_store_dwordx4 off, v[20:23], off offset:88 ; 16-byte Folded Spill
	scratch_store_dwordx4 off, v[24:27], off offset:104 ; 16-byte Folded Spill
	s_waitcnt vmcnt(7)
	scratch_store_dwordx4 off, v[28:31], off offset:120 ; 16-byte Folded Spill
	;; [unrolled: 21-line block ×4, first 2 shown]
	scratch_store_dwordx4 off, v[120:123], off offset:1424 ; 16-byte Folded Spill
	s_nop 0
	scratch_store_dwordx4 off, v[124:127], off offset:1440 ; 16-byte Folded Spill
	scratch_store_dwordx4 off, v[128:131], off offset:1456 ; 16-byte Folded Spill
	;; [unrolled: 1-line block ×7, first 2 shown]
	scratch_load_dwordx4 v[0:3], off, off offset:8 ; 16-byte Folded Reload
	scratch_load_dwordx4 v[4:7], off, off offset:24 ; 16-byte Folded Reload
	scratch_load_dwordx4 v[8:11], off, off offset:40 ; 16-byte Folded Reload
	scratch_load_dwordx4 v[12:15], off, off offset:56 ; 16-byte Folded Reload
	scratch_load_dwordx4 v[16:19], off, off offset:72 ; 16-byte Folded Reload
	scratch_load_dwordx4 v[20:23], off, off offset:88 ; 16-byte Folded Reload
	scratch_load_dwordx4 v[24:27], off, off offset:104 ; 16-byte Folded Reload
	scratch_load_dwordx4 v[28:31], off, off offset:120 ; 16-byte Folded Reload
	s_waitcnt vmcnt(6)
	v_mov_b32_e32 v4, v212
	s_waitcnt vmcnt(0)
	v_mov_b32_e32 v1, v28
	scratch_store_dwordx2 off, v[0:1], off offset:264 ; 8-byte Folded Spill
	scratch_store_dwordx4 off, v[0:3], off offset:3220 ; 16-byte Folded Spill
	s_nop 0
	scratch_store_dwordx4 off, v[4:7], off offset:3236 ; 16-byte Folded Spill
	scratch_store_dwordx4 off, v[8:11], off offset:3252 ; 16-byte Folded Spill
	;; [unrolled: 1-line block ×7, first 2 shown]
	scratch_store_dwordx4 off, v[208:211], s2 ; 16-byte Folded Spill
	s_nop 0
	scratch_store_dwordx4 off, v[212:215], s2 offset:16 ; 16-byte Folded Spill
	scratch_store_dwordx4 off, v[216:219], s2 offset:32 ; 16-byte Folded Spill
	;; [unrolled: 1-line block ×7, first 2 shown]
	scratch_store_dwordx4 off, v[208:211], off offset:3352 ; 16-byte Folded Spill
	s_nop 0
	scratch_store_dwordx4 off, v[212:215], off offset:3368 ; 16-byte Folded Spill
	scratch_store_dwordx4 off, v[216:219], off offset:3384 ; 16-byte Folded Spill
	;; [unrolled: 1-line block ×7, first 2 shown]
	s_movk_i32 s2, 0x14a0
	v_mov_b32_e32 v212, v136
	scratch_store_dwordx4 off, v[130:133], s2 ; 16-byte Folded Spill
	s_nop 0
	scratch_store_dwordx4 off, v[134:137], s2 offset:16 ; 16-byte Folded Spill
	scratch_store_dwordx4 off, v[138:141], s2 offset:32 ; 16-byte Folded Spill
	;; [unrolled: 1-line block ×7, first 2 shown]
	scratch_load_dwordx4 v[80:83], off, off offset:3608 ; 16-byte Folded Reload
	scratch_load_dwordx4 v[84:87], off, off offset:3624 ; 16-byte Folded Reload
	;; [unrolled: 1-line block ×8, first 2 shown]
	s_movk_i32 s2, 0x1018
	v_mov_b32_e32 v232, v228
	v_mov_b64_e32 v[0:1], v[138:139]
	v_mov_b64_e32 v[2:3], v[140:141]
	;; [unrolled: 1-line block ×3, first 2 shown]
	s_waitcnt vmcnt(5)
	v_mov_b32_e32 v208, v90
	v_mov_b32_e32 v209, v91
	scratch_load_dwordx4 v[80:83], off, off offset:1936 ; 16-byte Folded Reload
	scratch_load_dwordx4 v[84:87], off, off offset:1952 ; 16-byte Folded Reload
	;; [unrolled: 1-line block ×8, first 2 shown]
	s_nop 0
	scratch_store_dwordx4 off, v[214:217], off offset:656 ; 16-byte Folded Spill
	s_nop 0
	scratch_store_dwordx4 off, v[218:221], off offset:672 ; 16-byte Folded Spill
	scratch_store_dwordx4 off, v[222:225], off offset:688 ; 16-byte Folded Spill
	;; [unrolled: 1-line block ×7, first 2 shown]
	v_mov_b64_e32 v[6:7], v[144:145]
	v_mov_b64_e32 v[8:9], v[146:147]
	s_waitcnt vmcnt(15)
	v_mov_b32_e32 v83, v49
	v_mov_b32_e32 v210, v8
	;; [unrolled: 1-line block ×8, first 2 shown]
	s_waitcnt vmcnt(13)
	v_mov_b32_e32 v89, v229
	s_waitcnt vmcnt(12)
	v_mov_b64_e32 v[142:143], v[92:93]
	scratch_load_dwordx4 v[92:95], off, off offset:400 ; 16-byte Folded Reload
	scratch_load_dwordx4 v[96:99], off, off offset:416 ; 16-byte Folded Reload
	;; [unrolled: 1-line block ×8, first 2 shown]
	v_mov_b32_e32 v80, v142
	v_mov_b32_e32 v91, v143
	s_waitcnt vmcnt(3)
	v_mov_b32_e32 v82, v110
	scratch_store_dwordx4 off, v[64:67], off offset:136 ; 16-byte Folded Spill
	s_nop 0
	scratch_store_dwordx4 off, v[68:71], off offset:152 ; 16-byte Folded Spill
	scratch_store_dwordx4 off, v[72:75], off offset:168 ; 16-byte Folded Spill
	;; [unrolled: 1-line block ×8, first 2 shown]
	s_nop 0
	scratch_store_dwordx4 off, v[96:99], off offset:544 ; 16-byte Folded Spill
	scratch_store_dwordx4 off, v[100:103], off offset:560 ; 16-byte Folded Spill
	;; [unrolled: 1-line block ×4, first 2 shown]
	s_waitcnt vmcnt(15)
	scratch_store_dwordx4 off, v[112:115], off offset:608 ; 16-byte Folded Spill
	s_waitcnt vmcnt(15)
	scratch_store_dwordx4 off, v[116:119], off offset:624 ; 16-byte Folded Spill
	;; [unrolled: 2-line block ×3, first 2 shown]
	scratch_load_dwordx4 v[98:101], off, off offset:1424 ; 16-byte Folded Reload
	s_nop 0
	scratch_load_dwordx4 v[102:105], off, off offset:1440 ; 16-byte Folded Reload
	scratch_load_dwordx4 v[106:109], off, off offset:1456 ; 16-byte Folded Reload
	;; [unrolled: 1-line block ×7, first 2 shown]
                                        ; kill: def $vgpr98_vgpr99_vgpr100_vgpr101 killed $vgpr98_vgpr99_vgpr100_vgpr101 def $vgpr119_vgpr120_vgpr121_vgpr122_vgpr123_vgpr124_vgpr125_vgpr126_vgpr127_vgpr128_vgpr129 def $vgpr103_vgpr104_vgpr105_vgpr106_vgpr107_vgpr108_vgpr109_vgpr110_vgpr111_vgpr112_vgpr113_vgpr114_vgpr115_vgpr116_vgpr117_vgpr118
	scratch_load_dwordx4 v[0:3], off, off offset:272 ; 16-byte Folded Reload
	scratch_load_dwordx4 v[4:7], off, off offset:288 ; 16-byte Folded Reload
	;; [unrolled: 1-line block ×8, first 2 shown]
	s_nop 0
	scratch_store_dwordx4 off, v[182:185], off offset:1040 ; 16-byte Folded Spill
	s_nop 0
	scratch_store_dwordx4 off, v[186:189], off offset:1056 ; 16-byte Folded Spill
	scratch_store_dwordx4 off, v[190:193], off offset:1072 ; 16-byte Folded Spill
	;; [unrolled: 1-line block ×7, first 2 shown]
	scratch_load_dwordx4 v[164:167], off, off offset:8 ; 16-byte Folded Reload
	s_nop 0
	scratch_load_dwordx4 v[168:171], off, off offset:24 ; 16-byte Folded Reload
	scratch_load_dwordx4 v[172:175], off, off offset:40 ; 16-byte Folded Reload
	;; [unrolled: 1-line block ×7, first 2 shown]
	v_mov_b64_e32 v[144:145], v[66:67]
	v_mov_b64_e32 v[156:157], v[78:79]
	;; [unrolled: 1-line block ×14, first 2 shown]
	s_waitcnt vmcnt(18)
	v_mov_b64_e32 v[50:51], v[20:21]
	v_mov_b64_e32 v[48:49], v[18:19]
	v_mov_b64_e32 v[46:47], v[16:17]
	scratch_load_dwordx4 v[0:3], off, off offset:3220 ; 16-byte Folded Reload
	scratch_load_dwordx4 v[4:7], off, off offset:3236 ; 16-byte Folded Reload
	;; [unrolled: 1-line block ×8, first 2 shown]
	v_mov_b32_e32 v244, v50
	v_mov_b32_e32 v229, v51
	;; [unrolled: 1-line block ×4, first 2 shown]
	s_waitcnt vmcnt(0)
	v_mov_b32_e32 v29, v193
	scratch_store_dwordx4 off, v[0:3], s2   ; 16-byte Folded Spill
	s_nop 0
	scratch_store_dwordx4 off, v[4:7], s2 offset:16 ; 16-byte Folded Spill
	scratch_store_dwordx4 off, v[8:11], s2 offset:32 ; 16-byte Folded Spill
	scratch_store_dwordx4 off, v[12:15], s2 offset:48 ; 16-byte Folded Spill
	scratch_store_dwordx4 off, v[16:19], s2 offset:64 ; 16-byte Folded Spill
	scratch_store_dwordx4 off, v[20:23], s2 offset:80 ; 16-byte Folded Spill
	scratch_store_dwordx4 off, v[24:27], s2 offset:96 ; 16-byte Folded Spill
	scratch_store_dwordx4 off, v[28:31], s2 offset:112 ; 16-byte Folded Spill
.LBB58_66:
	s_or_b64 exec, exec, s[0:1]
	s_barrier
	scratch_load_dword v0, off, off offset:4 ; 4-byte Folded Reload
	s_cmp_lt_i32 s22, 6
	s_waitcnt vmcnt(0)
	v_lshl_add_u32 v30, v0, 2, v254
	ds_write_b32 v30, v4
	s_waitcnt lgkmcnt(0)
	s_barrier
	ds_read_b32 v32, v254 offset:16
	v_mov_b32_e32 v30, 4
	s_cbranch_scc1 .LBB58_86
; %bb.67:
	scratch_load_dword v0, off, off offset:3348 ; 4-byte Folded Reload
	scratch_load_dwordx4 v[34:37], off, off offset:3352 ; 16-byte Folded Reload
	scratch_load_dwordx4 v[38:41], off, off offset:3368 ; 16-byte Folded Reload
	;; [unrolled: 1-line block ×8, first 2 shown]
	v_mov_b32_e32 v30, 4
	s_mov_b32 s0, 5
	v_mov_b32_e32 v15, v89
	v_mov_b32_e32 v12, v80
	v_mov_b32_e32 v13, v91
	v_mov_b32_e32 v10, v208
	v_mov_b32_e32 v11, v209
	s_waitcnt vmcnt(6)
	v_mov_b32_e32 v5, v39
	v_add3_u32 v31, v0, 0, 20
.LBB58_68:                              ; =>This Inner Loop Header: Depth=1
	s_waitcnt vmcnt(0)
	ds_read_b32 v62, v31
	v_add_u32_e32 v31, 4, v31
	s_waitcnt lgkmcnt(0)
	v_cmp_lt_f32_e64 vcc, |v32|, |v62|
	s_nop 1
	v_cndmask_b32_e32 v32, v32, v62, vcc
	v_mov_b32_e32 v62, s0
	s_add_i32 s0, s0, 1
	v_cndmask_b32_e32 v30, v30, v62, vcc
	s_cmp_lg_u32 s22, s0
	s_cbranch_scc1 .LBB58_68
; %bb.69:
	v_cmp_eq_f32_e32 vcc, 0, v32
	s_and_saveexec_b64 s[0:1], vcc
	s_xor_b64 s[0:1], exec, s[0:1]
.LBB58_70:
	v_cmp_ne_u32_e32 vcc, 0, v246
	s_nop 1
	v_cndmask_b32_e32 v246, 5, v246, vcc
.LBB58_71:
	s_andn2_saveexec_b64 s[0:1], s[0:1]
	s_cbranch_execz .LBB58_73
; %bb.72:
	v_div_scale_f32 v31, s[2:3], v32, v32, 1.0
	s_waitcnt vmcnt(0)
	v_rcp_f32_e32 v62, v31
	v_div_scale_f32 v63, vcc, 1.0, v32, 1.0
	v_fma_f32 v64, -v31, v62, 1.0
	v_fmac_f32_e32 v62, v64, v62
	v_mul_f32_e32 v64, v63, v62
	v_fma_f32 v65, -v31, v64, v63
	v_fmac_f32_e32 v64, v65, v62
	v_fma_f32 v31, -v31, v64, v63
	v_div_fmas_f32 v31, v31, v62, v64
	v_div_fixup_f32 v32, v31, v32, 1.0
.LBB58_73:
	s_or_b64 exec, exec, s[0:1]
	scratch_load_dword v0, off, off offset:4 ; 4-byte Folded Reload
	s_waitcnt vmcnt(0)
	v_cmp_ne_u32_e32 vcc, v0, v30
	s_and_saveexec_b64 s[0:1], vcc
	s_xor_b64 s[0:1], exec, s[0:1]
	s_cbranch_execz .LBB58_79
; %bb.74:
	scratch_load_dword v0, off, off offset:4 ; 4-byte Folded Reload
	s_waitcnt vmcnt(0)
	v_cmp_eq_u32_e32 vcc, 4, v0
	s_and_saveexec_b64 s[2:3], vcc
	s_cbranch_execz .LBB58_78
; %bb.75:
	v_cmp_ne_u32_e32 vcc, 4, v30
	s_xor_b64 s[18:19], s[16:17], -1
	s_and_b64 s[20:21], s[18:19], vcc
	s_and_saveexec_b64 s[18:19], s[20:21]
	s_cbranch_execz .LBB58_77
; %bb.76:
	s_movk_i32 s20, 0x1498
	scratch_load_dwordx2 v[0:1], off, s20   ; 8-byte Folded Reload
	v_ashrrev_i32_e32 v31, 31, v30
	s_waitcnt vmcnt(0)
	v_lshl_add_u64 v[62:63], v[30:31], 2, v[0:1]
	global_load_dword v31, v[62:63], off
	global_load_dword v64, v[0:1], off offset:16
	s_waitcnt vmcnt(1)
	global_store_dword v[0:1], v31, off offset:16
	s_waitcnt vmcnt(1)
	global_store_dword v[62:63], v64, off
.LBB58_77:
	s_or_b64 exec, exec, s[18:19]
	v_mov_b32_e32 v0, v30
	scratch_store_dword off, v0, off offset:2704 ; 4-byte Folded Spill
	scratch_store_dword off, v0, off offset:4 ; 4-byte Folded Spill
.LBB58_78:
	s_or_b64 exec, exec, s[2:3]
.LBB58_79:
	s_andn2_saveexec_b64 s[0:1], s[0:1]
	s_cbranch_execz .LBB58_81
; %bb.80:
	ds_write2_b32 v254, v169, v170 offset0:5 offset1:6
	ds_write2_b32 v254, v171, v172 offset0:7 offset1:8
	;; [unrolled: 1-line block ×12, first 2 shown]
	s_movk_i32 s2, 0x1018
	scratch_load_dwordx4 v[34:37], off, s2  ; 16-byte Folded Reload
	scratch_load_dwordx4 v[38:41], off, s2 offset:16 ; 16-byte Folded Reload
	scratch_load_dwordx4 v[42:45], off, s2 offset:32 ; 16-byte Folded Reload
	;; [unrolled: 1-line block ×7, first 2 shown]
	v_mov_b32_e32 v0, 4
	scratch_store_dword off, v0, off offset:4 ; 4-byte Folded Spill
	s_waitcnt vmcnt(1)
	ds_write_b32 v254, v63 offset:116
.LBB58_81:
	s_or_b64 exec, exec, s[0:1]
	s_waitcnt lgkmcnt(0)
	s_barrier
	scratch_load_dword v0, off, off offset:4 ; 4-byte Folded Reload
	s_waitcnt vmcnt(0)
	v_cmp_lt_i32_e32 vcc, 4, v0
	s_and_saveexec_b64 s[0:1], vcc
	s_cbranch_execz .LBB58_83
; %bb.82:
	ds_read2_b32 v[0:1], v254 offset0:5 offset1:6
	v_mul_f32_e32 v102, v4, v32
	ds_read2_b32 v[4:5], v254 offset0:7 offset1:8
	ds_read2_b32 v[34:35], v254 offset0:9 offset1:10
	;; [unrolled: 1-line block ×3, first 2 shown]
	v_mov_b32_e32 v2, v169
	v_mov_b32_e32 v3, v170
	s_waitcnt lgkmcnt(3)
	v_pk_fma_f32 v[30:31], v[102:103], v[0:1], v[2:3] op_sel_hi:[0,1,1] neg_lo:[1,0,0] neg_hi:[1,0,0]
	v_mov_b32_e32 v0, v171
	v_mov_b32_e32 v1, v172
	s_waitcnt lgkmcnt(2)
	v_pk_fma_f32 v[62:63], v[102:103], v[4:5], v[0:1] op_sel_hi:[0,1,1] neg_lo:[1,0,0] neg_hi:[1,0,0]
	;; [unrolled: 4-line block ×4, first 2 shown]
	ds_read2_b32 v[0:1], v254 offset0:13 offset1:14
	ds_read2_b32 v[4:5], v254 offset0:15 offset1:16
	;; [unrolled: 1-line block ×4, first 2 shown]
	v_mov_b32_e32 v2, v177
	v_mov_b32_e32 v3, v178
	s_movk_i32 s2, 0x1018
	s_waitcnt lgkmcnt(3)
	v_pk_fma_f32 v[94:95], v[102:103], v[0:1], v[2:3] op_sel_hi:[0,1,1] neg_lo:[1,0,0] neg_hi:[1,0,0]
	v_mov_b32_e32 v0, v179
	v_mov_b32_e32 v1, v180
	s_waitcnt lgkmcnt(2)
	v_pk_fma_f32 v[96:97], v[102:103], v[4:5], v[0:1] op_sel_hi:[0,1,1] neg_lo:[1,0,0] neg_hi:[1,0,0]
	v_mov_b32_e32 v0, v181
	v_mov_b32_e32 v1, v182
	s_waitcnt lgkmcnt(1)
	v_pk_fma_f32 v[34:35], v[102:103], v[6:7], v[0:1] op_sel_hi:[0,1,1] neg_lo:[1,0,0] neg_hi:[1,0,0]
	v_mov_b32_e32 v0, v183
	v_mov_b32_e32 v1, v184
	s_waitcnt lgkmcnt(0)
	v_pk_fma_f32 v[36:37], v[102:103], v[8:9], v[0:1] op_sel_hi:[0,1,1] neg_lo:[1,0,0] neg_hi:[1,0,0]
	ds_read2_b32 v[0:1], v254 offset0:21 offset1:22
	ds_read2_b32 v[4:5], v254 offset0:23 offset1:24
	;; [unrolled: 1-line block ×4, first 2 shown]
	v_mov_b32_e32 v2, v185
	v_mov_b32_e32 v3, v186
	;; [unrolled: 1-line block ×3, first 2 shown]
	s_waitcnt lgkmcnt(3)
	v_pk_fma_f32 v[38:39], v[102:103], v[0:1], v[2:3] op_sel_hi:[0,1,1] neg_lo:[1,0,0] neg_hi:[1,0,0]
	v_mov_b32_e32 v0, v187
	v_mov_b32_e32 v1, v188
	s_waitcnt lgkmcnt(2)
	v_pk_fma_f32 v[158:159], v[102:103], v[4:5], v[0:1] op_sel_hi:[0,1,1] neg_lo:[1,0,0] neg_hi:[1,0,0]
	v_mov_b32_e32 v0, v189
	v_mov_b32_e32 v1, v190
	ds_read_b32 v2, v254 offset:116
	s_waitcnt lgkmcnt(2)
	v_pk_fma_f32 v[160:161], v[102:103], v[6:7], v[0:1] op_sel_hi:[0,1,1] neg_lo:[1,0,0] neg_hi:[1,0,0]
	v_mov_b32_e32 v0, v191
	v_mov_b32_e32 v1, v192
	scratch_load_dwordx4 v[162:165], off, s2 ; 16-byte Folded Reload
	scratch_load_dwordx4 v[166:169], off, s2 offset:16 ; 16-byte Folded Reload
	scratch_load_dwordx4 v[170:173], off, s2 offset:32 ; 16-byte Folded Reload
	;; [unrolled: 1-line block ×7, first 2 shown]
	s_waitcnt lgkmcnt(1)
	v_pk_fma_f32 v[28:29], v[102:103], v[8:9], v[0:1] op_sel_hi:[0,1,1] neg_lo:[1,0,0] neg_hi:[1,0,0]
	v_mov_b32_e32 v0, v98
	v_mov_b32_e32 v1, v99
	;; [unrolled: 1-line block ×6, first 2 shown]
	s_movk_i32 s2, 0x14a0
	v_mov_b32_e32 v103, v30
	v_mov_b32_e32 v215, v99
	;; [unrolled: 1-line block ×18, first 2 shown]
	s_waitcnt vmcnt(7)
	v_mov_b32_e32 v164, v98
	v_mov_b32_e32 v165, v99
	s_waitcnt vmcnt(6)
	v_mov_b32_e32 v166, v100
	v_mov_b32_e32 v167, v101
	;; [unrolled: 1-line block ×23, first 2 shown]
	s_waitcnt vmcnt(5)
	v_mov_b32_e32 v171, v62
	v_mov_b32_e32 v172, v63
	v_mov_b32_e32 v173, v64
	s_waitcnt vmcnt(4)
	v_mov_b32_e32 v174, v65
	v_mov_b32_e32 v175, v92
	v_mov_b32_e32 v176, v93
	v_mov_b32_e32 v177, v94
	s_waitcnt vmcnt(3)
	v_mov_b32_e32 v178, v95
	;; [unrolled: 5-line block ×5, first 2 shown]
	v_mov_b32_e32 v213, v62
	v_mov_b32_e32 v210, v63
	;; [unrolled: 1-line block ×5, first 2 shown]
	s_waitcnt lgkmcnt(0)
	v_fma_f32 v193, -v102, v2, v191
	v_mov_b32_e32 v2, v100
	scratch_store_dwordx4 off, v[0:3], s2   ; 16-byte Folded Spill
	s_nop 0
	scratch_store_dwordx4 off, v[4:7], s2 offset:16 ; 16-byte Folded Spill
	scratch_store_dwordx4 off, v[8:11], s2 offset:32 ; 16-byte Folded Spill
	scratch_store_dwordx4 off, v[12:15], s2 offset:48 ; 16-byte Folded Spill
	scratch_store_dwordx4 off, v[16:19], s2 offset:64 ; 16-byte Folded Spill
	scratch_store_dwordx4 off, v[20:23], s2 offset:80 ; 16-byte Folded Spill
	scratch_store_dwordx4 off, v[24:27], s2 offset:96 ; 16-byte Folded Spill
	scratch_store_dwordx4 off, v[28:31], s2 offset:112 ; 16-byte Folded Spill
	v_mov_b32_e32 v7, v62
	s_movk_i32 s2, 0x1520
	scratch_store_dwordx4 off, v[0:3], s2   ; 16-byte Folded Spill
	s_nop 0
	scratch_store_dwordx4 off, v[4:7], s2 offset:16 ; 16-byte Folded Spill
	scratch_store_dwordx4 off, v[8:11], s2 offset:32 ; 16-byte Folded Spill
	scratch_store_dwordx4 off, v[12:15], s2 offset:48 ; 16-byte Folded Spill
	scratch_store_dwordx4 off, v[16:19], s2 offset:64 ; 16-byte Folded Spill
	scratch_store_dwordx4 off, v[20:23], s2 offset:80 ; 16-byte Folded Spill
	scratch_store_dwordx4 off, v[24:27], s2 offset:96 ; 16-byte Folded Spill
	scratch_store_dwordx4 off, v[28:31], s2 offset:112 ; 16-byte Folded Spill
	v_mov_b32_e32 v8, v63
	s_movk_i32 s2, 0x1218
	;; [unrolled: 11-line block ×4, first 2 shown]
	scratch_store_dwordx4 off, v[0:3], off offset:3608 ; 16-byte Folded Spill
	s_nop 0
	scratch_store_dwordx4 off, v[4:7], off offset:3624 ; 16-byte Folded Spill
	scratch_store_dwordx4 off, v[8:11], off offset:3640 ; 16-byte Folded Spill
	;; [unrolled: 1-line block ×7, first 2 shown]
	v_mov_b32_e32 v11, v92
	scratch_store_dwordx4 off, v[0:3], s2   ; 16-byte Folded Spill
	s_nop 0
	scratch_store_dwordx4 off, v[4:7], s2 offset:16 ; 16-byte Folded Spill
	scratch_store_dwordx4 off, v[8:11], s2 offset:32 ; 16-byte Folded Spill
	;; [unrolled: 1-line block ×7, first 2 shown]
	v_mov_b32_e32 v12, v93
	s_movk_i32 s2, 0x1620
	scratch_store_dwordx4 off, v[0:3], off offset:1936 ; 16-byte Folded Spill
	s_nop 0
	scratch_store_dwordx4 off, v[4:7], off offset:1952 ; 16-byte Folded Spill
	scratch_store_dwordx4 off, v[8:11], off offset:1968 ; 16-byte Folded Spill
	scratch_store_dwordx4 off, v[12:15], off offset:1984 ; 16-byte Folded Spill
	scratch_store_dwordx4 off, v[16:19], off offset:2000 ; 16-byte Folded Spill
	scratch_store_dwordx4 off, v[20:23], off offset:2016 ; 16-byte Folded Spill
	scratch_store_dwordx4 off, v[24:27], off offset:2032 ; 16-byte Folded Spill
	scratch_store_dwordx4 off, v[28:31], off offset:2048 ; 16-byte Folded Spill
	v_mov_b32_e32 v13, v94
	scratch_store_dwordx4 off, v[0:3], off offset:3480 ; 16-byte Folded Spill
	s_nop 0
	scratch_store_dwordx4 off, v[4:7], off offset:3496 ; 16-byte Folded Spill
	scratch_store_dwordx4 off, v[8:11], off offset:3512 ; 16-byte Folded Spill
	;; [unrolled: 1-line block ×7, first 2 shown]
	v_mov_b32_e32 v14, v95
	v_mov_b32_e32 v15, v96
	;; [unrolled: 1-line block ×4, first 2 shown]
	scratch_store_dwordx4 off, v[214:217], off offset:656 ; 16-byte Folded Spill
	s_nop 0
	scratch_store_dwordx4 off, v[218:221], off offset:672 ; 16-byte Folded Spill
	scratch_store_dwordx4 off, v[222:225], off offset:688 ; 16-byte Folded Spill
	scratch_store_dwordx4 off, v[226:229], off offset:704 ; 16-byte Folded Spill
	scratch_store_dwordx4 off, v[230:233], off offset:720 ; 16-byte Folded Spill
	scratch_store_dwordx4 off, v[234:237], off offset:736 ; 16-byte Folded Spill
	scratch_store_dwordx4 off, v[238:241], off offset:752 ; 16-byte Folded Spill
	scratch_store_dwordx4 off, v[242:245], off offset:768 ; 16-byte Folded Spill
	scratch_store_dwordx4 off, v[0:3], off offset:2708 ; 16-byte Folded Spill
	s_nop 0
	scratch_store_dwordx4 off, v[4:7], off offset:2724 ; 16-byte Folded Spill
	scratch_store_dwordx4 off, v[8:11], off offset:2740 ; 16-byte Folded Spill
	;; [unrolled: 1-line block ×7, first 2 shown]
	v_mov_b32_e32 v16, v97
	v_mov_b32_e32 v232, v95
	;; [unrolled: 1-line block ×9, first 2 shown]
	scratch_store_dwordx4 off, v[0:3], off offset:1680 ; 16-byte Folded Spill
	s_nop 0
	scratch_store_dwordx4 off, v[4:7], off offset:1696 ; 16-byte Folded Spill
	scratch_store_dwordx4 off, v[8:11], off offset:1712 ; 16-byte Folded Spill
	scratch_store_dwordx4 off, v[12:15], off offset:1728 ; 16-byte Folded Spill
	scratch_store_dwordx4 off, v[16:19], off offset:1744 ; 16-byte Folded Spill
	scratch_store_dwordx4 off, v[20:23], off offset:1760 ; 16-byte Folded Spill
	scratch_store_dwordx4 off, v[24:27], off offset:1776 ; 16-byte Folded Spill
	scratch_store_dwordx4 off, v[28:31], off offset:1792 ; 16-byte Folded Spill
	v_mov_b32_e32 v17, v34
	scratch_store_dwordx4 off, v[0:3], off offset:2192 ; 16-byte Folded Spill
	s_nop 0
	scratch_store_dwordx4 off, v[4:7], off offset:2208 ; 16-byte Folded Spill
	scratch_store_dwordx4 off, v[8:11], off offset:2224 ; 16-byte Folded Spill
	scratch_store_dwordx4 off, v[12:15], off offset:2240 ; 16-byte Folded Spill
	scratch_store_dwordx4 off, v[16:19], off offset:2256 ; 16-byte Folded Spill
	scratch_store_dwordx4 off, v[20:23], off offset:2272 ; 16-byte Folded Spill
	scratch_store_dwordx4 off, v[24:27], off offset:2288 ; 16-byte Folded Spill
	scratch_store_dwordx4 off, v[28:31], off offset:2304 ; 16-byte Folded Spill
	v_mov_b32_e32 v18, v35
	;; [unrolled: 10-line block ×7, first 2 shown]
	scratch_store_dwordx4 off, v[0:3], off offset:1296 ; 16-byte Folded Spill
	s_nop 0
	scratch_store_dwordx4 off, v[4:7], off offset:1312 ; 16-byte Folded Spill
	scratch_store_dwordx4 off, v[8:11], off offset:1328 ; 16-byte Folded Spill
	scratch_store_dwordx4 off, v[12:15], off offset:1344 ; 16-byte Folded Spill
	scratch_store_dwordx4 off, v[16:19], off offset:1360 ; 16-byte Folded Spill
	scratch_store_dwordx4 off, v[20:23], off offset:1376 ; 16-byte Folded Spill
	scratch_store_dwordx4 off, v[24:27], off offset:1392 ; 16-byte Folded Spill
	scratch_store_dwordx4 off, v[28:31], off offset:1408 ; 16-byte Folded Spill
	s_nop 0
	v_mov_b32_e32 v24, v159
	scratch_store_dwordx4 off, v[0:3], off offset:1040 ; 16-byte Folded Spill
	s_nop 0
	scratch_store_dwordx4 off, v[4:7], off offset:1056 ; 16-byte Folded Spill
	scratch_store_dwordx4 off, v[8:11], off offset:1072 ; 16-byte Folded Spill
	scratch_store_dwordx4 off, v[12:15], off offset:1088 ; 16-byte Folded Spill
	scratch_store_dwordx4 off, v[16:19], off offset:1104 ; 16-byte Folded Spill
	scratch_store_dwordx4 off, v[20:23], off offset:1120 ; 16-byte Folded Spill
	scratch_store_dwordx4 off, v[24:27], off offset:1136 ; 16-byte Folded Spill
	scratch_store_dwordx4 off, v[28:31], off offset:1152 ; 16-byte Folded Spill
	s_nop 0
	v_mov_b32_e32 v25, v160
	;; [unrolled: 11-line block ×3, first 2 shown]
	v_mov_b32_e32 v27, v28
	v_mov_b32_e32 v135, v30
	;; [unrolled: 1-line block ×3, first 2 shown]
	scratch_store_dwordx4 off, v[0:3], off offset:784 ; 16-byte Folded Spill
	s_nop 0
	scratch_store_dwordx4 off, v[4:7], off offset:800 ; 16-byte Folded Spill
	scratch_store_dwordx4 off, v[8:11], off offset:816 ; 16-byte Folded Spill
	;; [unrolled: 1-line block ×7, first 2 shown]
	scratch_store_dwordx4 off, v[98:101], s2 ; 16-byte Folded Spill
	s_nop 0
	scratch_store_dwordx4 off, v[102:105], s2 offset:16 ; 16-byte Folded Spill
	scratch_store_dwordx4 off, v[106:109], s2 offset:32 ; 16-byte Folded Spill
	;; [unrolled: 1-line block ×7, first 2 shown]
	s_movk_i32 s2, 0x16a0
	scratch_store_dwordx4 off, v[98:101], s2 ; 16-byte Folded Spill
	s_nop 0
	scratch_store_dwordx4 off, v[102:105], s2 offset:16 ; 16-byte Folded Spill
	scratch_store_dwordx4 off, v[106:109], s2 offset:32 ; 16-byte Folded Spill
	;; [unrolled: 1-line block ×7, first 2 shown]
	v_mov_b32_e32 v169, v30
	v_mov_b32_e32 v170, v31
	;; [unrolled: 1-line block ×5, first 2 shown]
	scratch_store_dwordx4 off, v[0:3], off offset:136 ; 16-byte Folded Spill
	s_nop 0
	scratch_store_dwordx4 off, v[4:7], off offset:152 ; 16-byte Folded Spill
	scratch_store_dwordx4 off, v[8:11], off offset:168 ; 16-byte Folded Spill
	;; [unrolled: 1-line block ×8, first 2 shown]
	s_nop 0
	scratch_store_dwordx4 off, v[4:7], off offset:544 ; 16-byte Folded Spill
	scratch_store_dwordx4 off, v[8:11], off offset:560 ; 16-byte Folded Spill
	;; [unrolled: 1-line block ×7, first 2 shown]
	s_movk_i32 s2, 0x1018
	scratch_store_dwordx2 off, v[28:29], off offset:264 ; 8-byte Folded Spill
	v_mov_b32_e32 v157, v28
	v_mov_b32_e32 v29, v193
	scratch_store_dwordx4 off, v[0:3], s2   ; 16-byte Folded Spill
	s_nop 0
	scratch_store_dwordx4 off, v[4:7], s2 offset:16 ; 16-byte Folded Spill
	scratch_store_dwordx4 off, v[8:11], s2 offset:32 ; 16-byte Folded Spill
	;; [unrolled: 1-line block ×7, first 2 shown]
.LBB58_83:
	s_or_b64 exec, exec, s[0:1]
	s_waitcnt vmcnt(63) expcnt(7) lgkmcnt(15)
	s_barrier
	scratch_load_dword v0, off, off offset:4 ; 4-byte Folded Reload
	s_cmp_lt_i32 s22, 7
	s_waitcnt vmcnt(0)
	v_lshl_add_u32 v30, v0, 2, v254
	ds_write_b32 v30, v5
	s_waitcnt lgkmcnt(0)
	s_barrier
	ds_read_b32 v32, v254 offset:20
	v_mov_b32_e32 v30, 5
	s_cbranch_scc1 .LBB58_87
; %bb.84:
	s_movk_i32 s1, 0x1018
	scratch_load_dword v0, off, off offset:3348 ; 4-byte Folded Reload
	scratch_load_dwordx4 v[34:37], off, s1  ; 16-byte Folded Reload
	scratch_load_dwordx4 v[38:41], off, s1 offset:16 ; 16-byte Folded Reload
	scratch_load_dwordx4 v[42:45], off, s1 offset:32 ; 16-byte Folded Reload
	;; [unrolled: 1-line block ×7, first 2 shown]
	v_mov_b32_e32 v30, 5
	s_mov_b32 s0, 6
	s_waitcnt vmcnt(8)
	v_add3_u32 v31, v0, 0, 24
	s_waitcnt vmcnt(0)
	v_mov_b32_e32 v33, v63
.LBB58_85:                              ; =>This Inner Loop Header: Depth=1
	ds_read_b32 v62, v31
	v_add_u32_e32 v31, 4, v31
	s_waitcnt lgkmcnt(0)
	v_cmp_lt_f32_e64 vcc, |v32|, |v62|
	s_nop 1
	v_cndmask_b32_e32 v32, v32, v62, vcc
	v_mov_b32_e32 v62, s0
	s_add_i32 s0, s0, 1
	v_cndmask_b32_e32 v30, v30, v62, vcc
	s_cmp_lg_u32 s22, s0
	s_cbranch_scc1 .LBB58_85
	s_branch .LBB58_88
.LBB58_86:
	scratch_load_dwordx4 v[34:37], off, off offset:3352 ; 16-byte Folded Reload
	scratch_load_dwordx4 v[38:41], off, off offset:3368 ; 16-byte Folded Reload
	;; [unrolled: 1-line block ×8, first 2 shown]
	v_mov_b32_e32 v15, v89
	v_mov_b32_e32 v12, v80
	;; [unrolled: 1-line block ×5, first 2 shown]
	s_waitcnt vmcnt(6)
	v_mov_b32_e32 v5, v39
	s_waitcnt lgkmcnt(0)
	v_cmp_eq_f32_e32 vcc, 0, v32
	s_and_saveexec_b64 s[0:1], vcc
	s_xor_b64 s[0:1], exec, s[0:1]
	s_cbranch_execnz .LBB58_70
	s_branch .LBB58_71
.LBB58_87:
	s_movk_i32 s0, 0x1018
	scratch_load_dwordx4 v[34:37], off, s0  ; 16-byte Folded Reload
	scratch_load_dwordx4 v[38:41], off, s0 offset:16 ; 16-byte Folded Reload
	scratch_load_dwordx4 v[42:45], off, s0 offset:32 ; 16-byte Folded Reload
	;; [unrolled: 1-line block ×7, first 2 shown]
	s_waitcnt vmcnt(0)
	v_mov_b32_e32 v33, v63
.LBB58_88:
	v_mov_b32_e32 v6, v212
	s_waitcnt lgkmcnt(0)
	v_cmp_eq_f32_e32 vcc, 0, v32
	s_and_saveexec_b64 s[0:1], vcc
	s_xor_b64 s[0:1], exec, s[0:1]
; %bb.89:
	v_cmp_ne_u32_e32 vcc, 0, v246
	s_nop 1
	v_cndmask_b32_e32 v246, 6, v246, vcc
; %bb.90:
	s_andn2_saveexec_b64 s[0:1], s[0:1]
	s_cbranch_execz .LBB58_92
; %bb.91:
	v_div_scale_f32 v31, s[2:3], v32, v32, 1.0
	v_rcp_f32_e32 v62, v31
	v_div_scale_f32 v63, vcc, 1.0, v32, 1.0
	v_mov_b32_e32 v6, v212
	v_fma_f32 v64, -v31, v62, 1.0
	v_fmac_f32_e32 v62, v64, v62
	v_mul_f32_e32 v64, v63, v62
	v_fma_f32 v65, -v31, v64, v63
	v_fmac_f32_e32 v64, v65, v62
	v_fma_f32 v31, -v31, v64, v63
	v_div_fmas_f32 v31, v31, v62, v64
	v_div_fixup_f32 v32, v31, v32, 1.0
.LBB58_92:
	s_or_b64 exec, exec, s[0:1]
	scratch_load_dword v0, off, off offset:4 ; 4-byte Folded Reload
	s_waitcnt vmcnt(0)
	v_cmp_ne_u32_e32 vcc, v0, v30
	s_and_saveexec_b64 s[0:1], vcc
	s_xor_b64 s[0:1], exec, s[0:1]
	s_cbranch_execz .LBB58_98
; %bb.93:
	scratch_load_dword v0, off, off offset:4 ; 4-byte Folded Reload
	s_waitcnt vmcnt(0)
	v_cmp_eq_u32_e32 vcc, 5, v0
	s_and_saveexec_b64 s[2:3], vcc
	s_cbranch_execz .LBB58_97
; %bb.94:
	v_cmp_ne_u32_e32 vcc, 5, v30
	s_xor_b64 s[18:19], s[16:17], -1
	s_and_b64 s[20:21], s[18:19], vcc
	s_and_saveexec_b64 s[18:19], s[20:21]
	s_cbranch_execz .LBB58_96
; %bb.95:
	s_movk_i32 s20, 0x1498
	scratch_load_dwordx2 v[0:1], off, s20   ; 8-byte Folded Reload
	v_ashrrev_i32_e32 v31, 31, v30
	v_mov_b32_e32 v6, v212
	s_waitcnt vmcnt(0)
	v_lshl_add_u64 v[62:63], v[30:31], 2, v[0:1]
	global_load_dword v31, v[62:63], off
	global_load_dword v64, v[0:1], off offset:20
	s_waitcnt vmcnt(1)
	global_store_dword v[0:1], v31, off offset:20
	s_waitcnt vmcnt(1)
	global_store_dword v[62:63], v64, off
.LBB58_96:
	s_or_b64 exec, exec, s[18:19]
	v_mov_b32_e32 v0, v30
	scratch_store_dword off, v0, off offset:2704 ; 4-byte Folded Spill
	scratch_store_dword off, v0, off offset:4 ; 4-byte Folded Spill
.LBB58_97:
	s_or_b64 exec, exec, s[2:3]
.LBB58_98:
	s_or_saveexec_b64 s[0:1], s[0:1]
	v_mov_b32_e32 v209, v11
	v_mov_b32_e32 v90, v10
	;; [unrolled: 1-line block ×5, first 2 shown]
	s_xor_b64 exec, exec, s[0:1]
	s_cbranch_execz .LBB58_100
; %bb.99:
	v_mov_b32_e32 v0, 5
	ds_write2_b32 v254, v170, v171 offset0:6 offset1:7
	ds_write2_b32 v254, v172, v173 offset0:8 offset1:9
	;; [unrolled: 1-line block ×12, first 2 shown]
	scratch_store_dword off, v0, off offset:4 ; 4-byte Folded Spill
.LBB58_100:
	s_or_b64 exec, exec, s[0:1]
	s_waitcnt lgkmcnt(0)
	s_barrier
	scratch_load_dword v0, off, off offset:4 ; 4-byte Folded Reload
	s_waitcnt vmcnt(0)
	v_cmp_lt_i32_e32 vcc, 5, v0
	s_and_saveexec_b64 s[0:1], vcc
	s_cbranch_execz .LBB58_102
; %bb.101:
	v_mul_f32_e32 v0, v5, v32
	ds_read2_b32 v[4:5], v254 offset0:6 offset1:7
	ds_read2_b32 v[32:33], v254 offset0:8 offset1:9
	;; [unrolled: 1-line block ×5, first 2 shown]
	s_movk_i32 s2, 0x16a0
	s_waitcnt lgkmcnt(4)
	v_pk_fma_f32 v[42:43], v[0:1], v[4:5], v[170:171] op_sel_hi:[0,1,1] neg_lo:[1,0,0] neg_hi:[1,0,0]
	s_waitcnt lgkmcnt(3)
	v_pk_fma_f32 v[40:41], v[0:1], v[32:33], v[172:173] op_sel_hi:[0,1,1] neg_lo:[1,0,0] neg_hi:[1,0,0]
	s_waitcnt lgkmcnt(2)
	v_pk_fma_f32 v[38:39], v[0:1], v[34:35], v[174:175] op_sel_hi:[0,1,1] neg_lo:[1,0,0] neg_hi:[1,0,0]
	ds_read2_b32 v[4:5], v254 offset0:26 offset1:27
	s_waitcnt lgkmcnt(2)
	v_pk_fma_f32 v[192:193], v[0:1], v[30:31], v[192:193] op_sel_hi:[0,1,1] neg_lo:[1,0,0] neg_hi:[1,0,0]
	scratch_load_dwordx4 v[6:9], off, s2    ; 16-byte Folded Reload
	scratch_load_dwordx4 v[10:13], off, s2 offset:16 ; 16-byte Folded Reload
	scratch_load_dwordx4 v[14:17], off, s2 offset:32 ; 16-byte Folded Reload
	;; [unrolled: 1-line block ×7, first 2 shown]
	s_waitcnt vmcnt(3)
	v_mov_b64_e32 v[22:23], v[42:43]
	v_mov_b32_e32 v21, v0
	v_mov_b32_e32 v11, v0
	;; [unrolled: 1-line block ×4, first 2 shown]
	s_movk_i32 s2, 0x1520
	v_mov_b32_e32 v97, v0
	v_mov_b32_e32 v213, v0
	;; [unrolled: 1-line block ×12, first 2 shown]
	scratch_store_dwordx4 off, v[6:9], s2   ; 16-byte Folded Spill
	s_nop 0
	scratch_store_dwordx4 off, v[10:13], s2 offset:16 ; 16-byte Folded Spill
	scratch_store_dwordx4 off, v[14:17], s2 offset:32 ; 16-byte Folded Spill
	;; [unrolled: 1-line block ×4, first 2 shown]
	s_waitcnt vmcnt(7)
	scratch_store_dwordx4 off, v[26:29], s2 offset:80 ; 16-byte Folded Spill
	s_waitcnt vmcnt(7)
	scratch_store_dwordx4 off, v[30:33], s2 offset:96 ; 16-byte Folded Spill
	;; [unrolled: 2-line block ×3, first 2 shown]
	v_mov_b64_e32 v[14:15], v[40:41]
	s_movk_i32 s2, 0x1298
	v_mov_b32_e32 v92, v208
	v_mov_b32_e32 v93, v209
	;; [unrolled: 1-line block ×5, first 2 shown]
	v_mov_b64_e32 v[24:25], v[22:23]
	v_mov_b64_e32 v[50:51], v[14:15]
	;; [unrolled: 1-line block ×9, first 2 shown]
	scratch_store_dwordx4 off, v[6:9], s2   ; 16-byte Folded Spill
	s_nop 0
	scratch_store_dwordx4 off, v[10:13], s2 offset:16 ; 16-byte Folded Spill
	scratch_store_dwordx4 off, v[14:17], s2 offset:32 ; 16-byte Folded Spill
	;; [unrolled: 1-line block ×7, first 2 shown]
	v_mov_b64_e32 v[16:17], v[38:39]
	v_mov_b32_e32 v14, v50
	v_mov_b32_e32 v15, v51
	v_mov_b32_e32 v30, v208
	v_mov_b32_e32 v31, v209
	v_mov_b32_e32 v32, v210
	v_mov_b32_e32 v33, v211
	v_mov_b32_e32 v34, v212
	v_mov_b32_e32 v35, v0
	v_mov_b32_e32 v38, v50
	v_mov_b32_e32 v39, v51
	s_movk_i32 s2, 0x1098
	v_mov_b32_e32 v26, v208
	v_mov_b32_e32 v27, v209
	;; [unrolled: 1-line block ×6, first 2 shown]
	v_mov_b64_e32 v[62:63], v[16:17]
	v_mov_b64_e32 v[60:61], v[14:15]
	;; [unrolled: 1-line block ×6, first 2 shown]
	v_mov_b32_e32 v36, v24
	v_mov_b32_e32 v37, v25
	;; [unrolled: 1-line block ×4, first 2 shown]
	scratch_store_dwordx4 off, v[30:33], s2 ; 16-byte Folded Spill
	s_nop 0
	scratch_store_dwordx4 off, v[34:37], s2 offset:16 ; 16-byte Folded Spill
	scratch_store_dwordx4 off, v[38:41], s2 offset:32 ; 16-byte Folded Spill
	scratch_store_dwordx4 off, v[42:45], s2 offset:48 ; 16-byte Folded Spill
	scratch_store_dwordx4 off, v[46:49], s2 offset:64 ; 16-byte Folded Spill
	scratch_store_dwordx4 off, v[50:53], s2 offset:80 ; 16-byte Folded Spill
	scratch_store_dwordx4 off, v[54:57], s2 offset:96 ; 16-byte Folded Spill
	scratch_store_dwordx4 off, v[58:61], s2 offset:112 ; 16-byte Folded Spill
	s_waitcnt lgkmcnt(1)
	v_pk_fma_f32 v[38:39], v[0:1], v[2:3], v[176:177] op_sel_hi:[0,1,1] neg_lo:[1,0,0] neg_hi:[1,0,0]
	v_mov_b32_e32 v36, v62
	v_mov_b32_e32 v37, v63
	;; [unrolled: 1-line block ×6, first 2 shown]
	v_mov_b64_e32 v[76:77], v[38:39]
	v_mov_b64_e32 v[136:137], v[24:25]
	;; [unrolled: 1-line block ×3, first 2 shown]
	v_mov_b32_e32 v102, v62
	v_mov_b32_e32 v103, v63
	;; [unrolled: 1-line block ×6, first 2 shown]
	v_mov_b64_e32 v[134:135], v[22:23]
	v_mov_b64_e32 v[132:133], v[20:21]
	;; [unrolled: 1-line block ×3, first 2 shown]
	s_movk_i32 s2, 0x14a0
	v_mov_b32_e32 v34, v50
	v_mov_b32_e32 v35, v51
	v_mov_b64_e32 v[74:75], v[36:37]
	v_mov_b64_e32 v[86:87], v[50:51]
	;; [unrolled: 1-line block ×7, first 2 shown]
	v_mov_b32_e32 v30, v208
	v_mov_b32_e32 v31, v209
	;; [unrolled: 1-line block ×10, first 2 shown]
	v_mov_b64_e32 v[84:85], v[48:49]
	v_mov_b64_e32 v[82:83], v[46:47]
	;; [unrolled: 1-line block ×4, first 2 shown]
	v_mov_b32_e32 v42, v76
	v_mov_b32_e32 v43, v77
	scratch_store_dwordx4 off, v[30:33], off offset:3480 ; 16-byte Folded Spill
	s_nop 0
	scratch_store_dwordx4 off, v[34:37], off offset:3496 ; 16-byte Folded Spill
	scratch_store_dwordx4 off, v[38:41], off offset:3512 ; 16-byte Folded Spill
	;; [unrolled: 1-line block ×7, first 2 shown]
	ds_read2_b32 v[2:3], v254 offset0:14 offset1:15
	ds_read2_b32 v[6:7], v254 offset0:16 offset1:17
	;; [unrolled: 1-line block ×4, first 2 shown]
	v_mov_b32_e32 v30, v212
	s_waitcnt lgkmcnt(3)
	v_pk_fma_f32 v[40:41], v[0:1], v[2:3], v[178:179] op_sel_hi:[0,1,1] neg_lo:[1,0,0] neg_hi:[1,0,0]
	v_mov_b32_e32 v31, v0
	v_mov_b32_e32 v32, v24
	;; [unrolled: 1-line block ×9, first 2 shown]
	v_mov_b64_e32 v[164:165], v[40:41]
	v_mov_b64_e32 v[162:163], v[38:39]
	;; [unrolled: 1-line block ×8, first 2 shown]
	v_mov_b32_e32 v30, v208
	v_mov_b32_e32 v31, v209
	;; [unrolled: 1-line block ×15, first 2 shown]
	scratch_store_dwordx4 off, v[30:33], off offset:2708 ; 16-byte Folded Spill
	s_nop 0
	scratch_store_dwordx4 off, v[34:37], off offset:2724 ; 16-byte Folded Spill
	scratch_store_dwordx4 off, v[38:41], off offset:2740 ; 16-byte Folded Spill
	;; [unrolled: 1-line block ×7, first 2 shown]
	s_waitcnt lgkmcnt(2)
	v_pk_fma_f32 v[42:43], v[0:1], v[6:7], v[180:181] op_sel_hi:[0,1,1] neg_lo:[1,0,0] neg_hi:[1,0,0]
	v_mov_b32_e32 v40, v164
	v_mov_b32_e32 v41, v165
	;; [unrolled: 1-line block ×12, first 2 shown]
	v_mov_b64_e32 v[126:127], v[40:41]
	v_mov_b64_e32 v[128:129], v[42:43]
	;; [unrolled: 1-line block ×9, first 2 shown]
	v_mov_b32_e32 v30, v208
	v_mov_b32_e32 v31, v209
	;; [unrolled: 1-line block ×17, first 2 shown]
	scratch_store_dwordx4 off, v[30:33], off offset:2192 ; 16-byte Folded Spill
	s_nop 0
	scratch_store_dwordx4 off, v[34:37], off offset:2208 ; 16-byte Folded Spill
	scratch_store_dwordx4 off, v[38:41], off offset:2224 ; 16-byte Folded Spill
	;; [unrolled: 1-line block ×7, first 2 shown]
	s_waitcnt lgkmcnt(1)
	v_pk_fma_f32 v[110:111], v[0:1], v[8:9], v[182:183] op_sel_hi:[0,1,1] neg_lo:[1,0,0] neg_hi:[1,0,0]
	v_mov_b32_e32 v42, v76
	v_mov_b32_e32 v43, v77
	;; [unrolled: 1-line block ×7, first 2 shown]
	v_mov_b64_e32 v[204:205], v[74:75]
	v_mov_b64_e32 v[228:229], v[164:165]
	;; [unrolled: 1-line block ×7, first 2 shown]
	v_mov_b32_e32 v64, v210
	v_mov_b32_e32 v65, v211
	v_mov_b32_e32 v66, v212
	v_mov_b32_e32 v67, v0
	v_mov_b32_e32 v68, v136
	v_mov_b32_e32 v69, v137
	v_mov_b32_e32 v74, v206
	v_mov_b32_e32 v75, v207
	v_mov_b32_e32 v100, v86
	scratch_store_dwordx4 off, v[30:33], off offset:1808 ; 16-byte Folded Spill
	s_nop 0
	scratch_store_dwordx4 off, v[34:37], off offset:1824 ; 16-byte Folded Spill
	scratch_store_dwordx4 off, v[38:41], off offset:1840 ; 16-byte Folded Spill
	;; [unrolled: 1-line block ×7, first 2 shown]
	s_waitcnt lgkmcnt(0)
	v_pk_fma_f32 v[50:51], v[0:1], v[10:11], v[184:185] op_sel_hi:[0,1,1] neg_lo:[1,0,0] neg_hi:[1,0,0]
	v_mov_b64_e32 v[8:9], v[78:79]
	v_mov_b64_e32 v[16:17], v[86:87]
	;; [unrolled: 1-line block ×5, first 2 shown]
	v_mov_b32_e32 v42, v76
	v_mov_b32_e32 v43, v77
	;; [unrolled: 1-line block ×15, first 2 shown]
	v_mov_b64_e32 v[22:23], v[186:187]
	v_mov_b64_e32 v[226:227], v[162:163]
	v_mov_b32_e32 v44, v164
	v_mov_b32_e32 v45, v165
	v_mov_b64_e32 v[224:225], v[160:161]
	v_mov_b64_e32 v[222:223], v[158:159]
	;; [unrolled: 1-line block ×16, first 2 shown]
	v_mov_b32_e32 v108, v128
	v_mov_b32_e32 v109, v129
	;; [unrolled: 1-line block ×6, first 2 shown]
	v_mov_b64_e32 v[148:149], v[62:63]
	v_mov_b64_e32 v[146:147], v[60:61]
	;; [unrolled: 1-line block ×6, first 2 shown]
	v_mov_b32_e32 v62, v208
	v_mov_b32_e32 v63, v209
	;; [unrolled: 1-line block ×4, first 2 shown]
	scratch_store_dwordx4 off, v[62:65], off offset:1552 ; 16-byte Folded Spill
	s_nop 0
	scratch_store_dwordx4 off, v[66:69], off offset:1568 ; 16-byte Folded Spill
	scratch_store_dwordx4 off, v[70:73], off offset:1584 ; 16-byte Folded Spill
	;; [unrolled: 1-line block ×7, first 2 shown]
	v_mov_b64_e32 v[76:77], v[150:151]
	v_mov_b64_e32 v[78:79], v[152:153]
	;; [unrolled: 1-line block ×8, first 2 shown]
	ds_read2_b32 v[2:3], v254 offset0:22 offset1:23
	ds_read2_b32 v[6:7], v254 offset0:24 offset1:25
	v_mov_b32_e32 v66, v228
	v_mov_b32_e32 v67, v229
	;; [unrolled: 1-line block ×3, first 2 shown]
	s_waitcnt lgkmcnt(1)
	v_pk_fma_f32 v[74:75], v[0:1], v[2:3], v[22:23] op_sel_hi:[0,1,1] neg_lo:[1,0,0] neg_hi:[1,0,0]
	v_mov_b32_e32 v53, v209
	v_mov_b32_e32 v54, v210
	;; [unrolled: 1-line block ×3, first 2 shown]
	scratch_store_dwordx4 off, v[76:79], off offset:656 ; 16-byte Folded Spill
	s_nop 0
	scratch_store_dwordx4 off, v[80:83], off offset:672 ; 16-byte Folded Spill
	scratch_store_dwordx4 off, v[84:87], off offset:688 ; 16-byte Folded Spill
	;; [unrolled: 1-line block ×7, first 2 shown]
	v_mov_b32_e32 v56, v212
	v_mov_b32_e32 v57, v0
	;; [unrolled: 1-line block ×16, first 2 shown]
	v_mov_b64_e32 v[164:165], v[66:67]
	v_mov_b64_e32 v[172:173], v[74:75]
	;; [unrolled: 1-line block ×12, first 2 shown]
	v_mov_b32_e32 v62, v208
	v_mov_b32_e32 v63, v209
	;; [unrolled: 1-line block ×22, first 2 shown]
	v_mov_b64_e32 v[174:175], v[172:173]
	v_mov_b64_e32 v[172:173], v[170:171]
	;; [unrolled: 1-line block ×12, first 2 shown]
	v_mov_b32_e32 v2, v210
	v_mov_b32_e32 v3, v211
	;; [unrolled: 1-line block ×4, first 2 shown]
	scratch_store_dwordx4 off, v[62:65], off offset:1296 ; 16-byte Folded Spill
	s_nop 0
	scratch_store_dwordx4 off, v[66:69], off offset:1312 ; 16-byte Folded Spill
	scratch_store_dwordx4 off, v[70:73], off offset:1328 ; 16-byte Folded Spill
	;; [unrolled: 1-line block ×7, first 2 shown]
	v_mov_b32_e32 v64, v226
	v_mov_b64_e32 v[88:89], v[16:17]
	v_mov_b64_e32 v[86:87], v[14:15]
	;; [unrolled: 1-line block ×6, first 2 shown]
	v_mov_b32_e32 v65, v227
	v_mov_b64_e32 v[14:15], v[216:217]
	v_mov_b64_e32 v[16:17], v[218:219]
	;; [unrolled: 1-line block ×5, first 2 shown]
	scratch_load_dwordx4 v[214:217], off, off offset:656 ; 16-byte Folded Reload
	scratch_load_dwordx4 v[218:221], off, off offset:672 ; 16-byte Folded Reload
	;; [unrolled: 1-line block ×8, first 2 shown]
	s_waitcnt lgkmcnt(0)
	v_pk_fma_f32 v[76:77], v[0:1], v[6:7], v[24:25] op_sel_hi:[0,1,1] neg_lo:[1,0,0] neg_hi:[1,0,0]
	v_mov_b32_e32 v62, v148
	v_mov_b32_e32 v63, v149
	v_mov_b64_e32 v[150:151], v[148:149]
	v_mov_b64_e32 v[24:25], v[206:207]
	v_mov_b32_e32 v68, v128
	v_mov_b32_e32 v69, v129
	;; [unrolled: 1-line block ×8, first 2 shown]
	v_mov_b64_e32 v[200:201], v[76:77]
	v_mov_b64_e32 v[198:199], v[74:75]
	;; [unrolled: 1-line block ×10, first 2 shown]
	v_mov_b32_e32 v138, v88
	v_mov_b32_e32 v139, v89
	;; [unrolled: 1-line block ×4, first 2 shown]
	s_waitcnt vmcnt(2)
	v_mov_b64_e32 v[236:237], v[228:229]
	v_mov_b32_e32 v66, v236
	v_mov_b32_e32 v67, v237
	v_mov_b64_e32 v[190:191], v[66:67]
	v_mov_b64_e32 v[234:235], v[226:227]
	;; [unrolled: 1-line block ×16, first 2 shown]
	v_mov_b32_e32 v60, v88
	v_mov_b32_e32 v61, v89
	;; [unrolled: 1-line block ×6, first 2 shown]
	v_mov_b64_e32 v[218:219], v[134:135]
	v_mov_b64_e32 v[216:217], v[132:133]
	;; [unrolled: 1-line block ×3, first 2 shown]
	scratch_store_dwordx4 off, v[52:55], off offset:1168 ; 16-byte Folded Spill
	s_nop 0
	scratch_store_dwordx4 off, v[56:59], off offset:1184 ; 16-byte Folded Spill
	scratch_store_dwordx4 off, v[60:63], off offset:1200 ; 16-byte Folded Spill
	;; [unrolled: 1-line block ×7, first 2 shown]
	v_mov_b32_e32 v58, v220
	v_mov_b32_e32 v59, v221
	scratch_store_dwordx4 off, v[214:217], s2 ; 16-byte Folded Spill
	s_nop 0
	scratch_store_dwordx4 off, v[218:221], s2 offset:16 ; 16-byte Folded Spill
	scratch_store_dwordx4 off, v[222:225], s2 offset:32 ; 16-byte Folded Spill
	;; [unrolled: 1-line block ×5, first 2 shown]
	s_waitcnt vmcnt(15)
	scratch_store_dwordx4 off, v[238:241], s2 offset:96 ; 16-byte Folded Spill
	s_waitcnt vmcnt(15)
	scratch_store_dwordx4 off, v[242:245], s2 offset:112 ; 16-byte Folded Spill
	scratch_store_dwordx4 off, v[140:143], off offset:3608 ; 16-byte Folded Spill
	s_nop 0
	scratch_store_dwordx4 off, v[144:147], off offset:3624 ; 16-byte Folded Spill
	scratch_store_dwordx4 off, v[148:151], off offset:3640 ; 16-byte Folded Spill
	;; [unrolled: 1-line block ×7, first 2 shown]
	v_pk_fma_f32 v[78:79], v[0:1], v[4:5], v[26:27] op_sel_hi:[0,1,1] neg_lo:[1,0,0] neg_hi:[1,0,0]
	v_mov_b32_e32 v135, v0
	v_mov_b32_e32 v130, v208
	;; [unrolled: 1-line block ×12, first 2 shown]
	v_mov_b64_e32 v[24:25], v[22:23]
	v_mov_b64_e32 v[22:23], v[20:21]
	;; [unrolled: 1-line block ×6, first 2 shown]
	v_mov_b32_e32 v5, v0
	v_mov_b32_e32 v0, v208
	;; [unrolled: 1-line block ×6, first 2 shown]
	v_mov_b64_e32 v[214:215], v[222:223]
	v_mov_b64_e32 v[216:217], v[224:225]
	;; [unrolled: 1-line block ×8, first 2 shown]
	v_mov_b32_e32 v144, v228
	v_mov_b32_e32 v145, v229
	v_mov_b64_e32 v[228:229], v[166:167]
	v_mov_b64_e32 v[226:227], v[164:165]
	;; [unrolled: 1-line block ×8, first 2 shown]
	v_mov_b32_e32 v154, v200
	v_mov_b32_e32 v155, v201
	scratch_store_dwordx4 off, v[176:179], off offset:1040 ; 16-byte Folded Spill
	s_nop 0
	scratch_store_dwordx4 off, v[180:183], off offset:1056 ; 16-byte Folded Spill
	scratch_store_dwordx4 off, v[184:187], off offset:1072 ; 16-byte Folded Spill
	;; [unrolled: 1-line block ×7, first 2 shown]
	v_mov_b64_e32 v[236:237], v[174:175]
	v_mov_b32_e32 v140, v150
	v_mov_b32_e32 v141, v151
	;; [unrolled: 1-line block ×8, first 2 shown]
	scratch_store_dwordx4 off, v[130:133], off offset:784 ; 16-byte Folded Spill
	s_nop 0
	scratch_store_dwordx4 off, v[134:137], off offset:800 ; 16-byte Folded Spill
	scratch_store_dwordx4 off, v[138:141], off offset:816 ; 16-byte Folded Spill
	;; [unrolled: 1-line block ×7, first 2 shown]
	scratch_load_dwordx4 v[130:133], off, s2 ; 16-byte Folded Reload
	s_nop 0
	scratch_load_dwordx4 v[134:137], off, s2 offset:16 ; 16-byte Folded Reload
	scratch_load_dwordx4 v[138:141], off, s2 offset:32 ; 16-byte Folded Reload
	scratch_load_dwordx4 v[142:145], off, s2 offset:48 ; 16-byte Folded Reload
	scratch_load_dwordx4 v[146:149], off, s2 offset:64 ; 16-byte Folded Reload
	scratch_load_dwordx4 v[150:153], off, s2 offset:80 ; 16-byte Folded Reload
	scratch_load_dwordx4 v[154:157], off, s2 offset:96 ; 16-byte Folded Reload
	scratch_load_dwordx4 v[158:161], off, s2 offset:112 ; 16-byte Folded Reload
	v_mov_b64_e32 v[234:235], v[172:173]
	v_mov_b64_e32 v[232:233], v[170:171]
	;; [unrolled: 1-line block ×3, first 2 shown]
	scratch_load_dwordx4 v[140:143], off, off offset:3608 ; 16-byte Folded Reload
	scratch_load_dwordx4 v[144:147], off, off offset:3624 ; 16-byte Folded Reload
	;; [unrolled: 1-line block ×8, first 2 shown]
	s_movk_i32 s2, 0x1620
	v_mov_b64_e32 v[26:27], v[206:207]
	v_mov_b32_e32 v12, v26
	v_mov_b32_e32 v13, v27
	scratch_store_dwordx4 off, v[14:17], off offset:1936 ; 16-byte Folded Spill
	s_nop 0
	scratch_store_dwordx4 off, v[18:21], off offset:1952 ; 16-byte Folded Spill
	scratch_store_dwordx4 off, v[22:25], off offset:1968 ; 16-byte Folded Spill
	;; [unrolled: 1-line block ×7, first 2 shown]
	scratch_load_dwordx4 v[152:155], off, off offset:656 ; 16-byte Folded Reload
	scratch_load_dwordx4 v[156:159], off, off offset:672 ; 16-byte Folded Reload
	;; [unrolled: 1-line block ×8, first 2 shown]
	v_mov_b32_e32 v16, v128
	v_mov_b32_e32 v17, v129
	s_waitcnt vmcnt(0)
	v_mov_b64_e32 v[174:175], v[230:231]
	v_mov_b32_e32 v22, v236
	v_mov_b32_e32 v23, v237
	v_mov_b64_e32 v[176:177], v[232:233]
	v_mov_b64_e32 v[178:179], v[234:235]
	v_mov_b32_e32 v6, v136
	v_mov_b32_e32 v7, v137
	scratch_store_dwordx4 off, v[112:115], off offset:1680 ; 16-byte Folded Spill
	s_nop 0
	scratch_store_dwordx4 off, v[116:119], off offset:1696 ; 16-byte Folded Spill
	scratch_store_dwordx4 off, v[120:123], off offset:1712 ; 16-byte Folded Spill
	scratch_store_dwordx4 off, v[124:127], off offset:1728 ; 16-byte Folded Spill
	scratch_store_dwordx4 off, v[128:131], off offset:1744 ; 16-byte Folded Spill
	scratch_store_dwordx4 off, v[132:135], off offset:1760 ; 16-byte Folded Spill
	scratch_store_dwordx4 off, v[136:139], off offset:1776 ; 16-byte Folded Spill
	scratch_store_dwordx4 off, v[140:143], off offset:1792 ; 16-byte Folded Spill
	v_mov_b64_e32 v[180:181], v[236:237]
	v_mov_b32_e32 v10, v150
	v_mov_b32_e32 v11, v151
	;; [unrolled: 1-line block ×11, first 2 shown]
	v_mov_b64_e32 v[158:159], v[214:215]
	v_mov_b64_e32 v[160:161], v[216:217]
	;; [unrolled: 1-line block ×8, first 2 shown]
	scratch_load_dwordx4 v[214:217], off, off offset:1040 ; 16-byte Folded Reload
	scratch_load_dwordx4 v[218:221], off, off offset:1056 ; 16-byte Folded Reload
	scratch_load_dwordx4 v[222:225], off, off offset:1072 ; 16-byte Folded Reload
	scratch_load_dwordx4 v[226:229], off, off offset:1088 ; 16-byte Folded Reload
	scratch_load_dwordx4 v[230:233], off, off offset:1104 ; 16-byte Folded Reload
	scratch_load_dwordx4 v[234:237], off, off offset:1120 ; 16-byte Folded Reload
	scratch_load_dwordx4 v[238:241], off, off offset:1136 ; 16-byte Folded Reload
	scratch_load_dwordx4 v[242:245], off, off offset:1152 ; 16-byte Folded Reload
	v_mov_b64_e32 v[112:113], v[130:131]
	v_mov_b64_e32 v[114:115], v[132:133]
	;; [unrolled: 1-line block ×4, first 2 shown]
	v_mov_b32_e32 v138, v88
	v_mov_b32_e32 v137, v87
	;; [unrolled: 1-line block ×10, first 2 shown]
	s_waitcnt vmcnt(4)
	v_mov_b64_e32 v[182:183], v[214:215]
	v_mov_b64_e32 v[184:185], v[216:217]
	;; [unrolled: 1-line block ×3, first 2 shown]
	s_waitcnt vmcnt(1)
	v_mov_b64_e32 v[198:199], v[230:231]
	v_mov_b64_e32 v[188:189], v[220:221]
	;; [unrolled: 1-line block ×10, first 2 shown]
	scratch_store_dwordx4 off, v[208:211], s2 ; 16-byte Folded Spill
	s_nop 0
	scratch_store_dwordx4 off, v[212:215], s2 offset:16 ; 16-byte Folded Spill
	scratch_store_dwordx4 off, v[216:219], s2 offset:32 ; 16-byte Folded Spill
	;; [unrolled: 1-line block ×7, first 2 shown]
	s_movk_i32 s2, 0x1218
	scratch_store_dwordx2 off, v[90:91], off offset:264 ; 8-byte Folded Spill
	scratch_store_dwordx4 off, v[130:133], s2 ; 16-byte Folded Spill
	s_nop 0
	scratch_store_dwordx4 off, v[134:137], s2 offset:16 ; 16-byte Folded Spill
	scratch_store_dwordx4 off, v[138:141], s2 offset:32 ; 16-byte Folded Spill
	;; [unrolled: 1-line block ×7, first 2 shown]
	v_mov_b32_e32 v208, v118
	v_mov_b32_e32 v213, v119
	scratch_load_dwordx4 v[112:115], off, off offset:1936 ; 16-byte Folded Reload
	scratch_load_dwordx4 v[116:119], off, off offset:1952 ; 16-byte Folded Reload
	;; [unrolled: 1-line block ×16, first 2 shown]
	v_mov_b32_e32 v211, v89
	v_mov_b32_e32 v210, v88
	s_waitcnt vmcnt(0)
	v_mov_b32_e32 v244, v50
	v_mov_b32_e32 v218, v180
	;; [unrolled: 1-line block ×4, first 2 shown]
	v_mov_b64_e32 v[192:193], v[28:29]
	v_mov_b32_e32 v214, v206
	v_mov_b32_e32 v219, v207
	;; [unrolled: 1-line block ×6, first 2 shown]
	scratch_load_dwordx4 v[112:115], off, off offset:1680 ; 16-byte Folded Reload
	scratch_load_dwordx4 v[116:119], off, off offset:1696 ; 16-byte Folded Reload
	scratch_load_dwordx4 v[120:123], off, off offset:1712 ; 16-byte Folded Reload
	scratch_load_dwordx4 v[124:127], off, off offset:1728 ; 16-byte Folded Reload
	scratch_load_dwordx4 v[128:131], off, off offset:1744 ; 16-byte Folded Reload
	scratch_load_dwordx4 v[132:135], off, off offset:1760 ; 16-byte Folded Reload
	scratch_load_dwordx4 v[136:139], off, off offset:1776 ; 16-byte Folded Reload
	scratch_load_dwordx4 v[140:143], off, off offset:1792 ; 16-byte Folded Reload
	v_mov_b32_e32 v89, v229
	v_mov_b32_e32 v232, v228
	s_waitcnt vmcnt(3)
	v_mov_b32_e32 v83, v129
	scratch_store_dwordx4 off, v[64:67], off offset:136 ; 16-byte Folded Spill
	s_nop 0
	scratch_store_dwordx4 off, v[68:71], off offset:152 ; 16-byte Folded Spill
	scratch_store_dwordx4 off, v[72:75], off offset:168 ; 16-byte Folded Spill
	scratch_store_dwordx4 off, v[76:79], off offset:184 ; 16-byte Folded Spill
	scratch_store_dwordx4 off, v[80:83], off offset:200 ; 16-byte Folded Spill
	scratch_store_dwordx4 off, v[84:87], off offset:216 ; 16-byte Folded Spill
	scratch_store_dwordx4 off, v[88:91], off offset:232 ; 16-byte Folded Spill
	scratch_store_dwordx4 off, v[92:95], off offset:248 ; 16-byte Folded Spill
	scratch_store_dwordx4 off, v[92:95], off offset:400 ; 16-byte Folded Spill
	s_nop 0
	scratch_store_dwordx4 off, v[96:99], off offset:416 ; 16-byte Folded Spill
	scratch_store_dwordx4 off, v[100:103], off offset:432 ; 16-byte Folded Spill
	scratch_store_dwordx4 off, v[104:107], off offset:448 ; 16-byte Folded Spill
	scratch_store_dwordx4 off, v[108:111], off offset:464 ; 16-byte Folded Spill
	scratch_store_dwordx4 off, v[112:115], off offset:480 ; 16-byte Folded Spill
	scratch_store_dwordx4 off, v[116:119], off offset:496 ; 16-byte Folded Spill
	scratch_store_dwordx4 off, v[120:123], off offset:512 ; 16-byte Folded Spill
	;; [unrolled: 9-line block ×5, first 2 shown]
	v_mov_b64_e32 v[178:179], v[14:15]
	v_mov_b32_e32 v230, v128
	v_mov_b64_e32 v[176:177], v[12:13]
	v_mov_b64_e32 v[174:175], v[10:11]
	;; [unrolled: 1-line block ×7, first 2 shown]
	v_mov_b32_e32 v6, v208
	v_mov_b32_e32 v33, v193
	v_mov_b64_e32 v[156:157], v[78:79]
	v_mov_b64_e32 v[154:155], v[76:77]
	;; [unrolled: 1-line block ×6, first 2 shown]
	v_mov_b32_e32 v162, v156
	s_waitcnt vmcnt(40)
	v_mov_b64_e32 v[144:145], v[66:67]
	v_mov_b32_e32 v217, v181
	v_mov_b64_e32 v[190:191], v[26:27]
	v_mov_b32_e32 v229, v51
	v_mov_b64_e32 v[188:189], v[24:25]
	v_mov_b64_e32 v[186:187], v[22:23]
	;; [unrolled: 1-line block ×12, first 2 shown]
.LBB58_102:
	s_or_b64 exec, exec, s[0:1]
	s_barrier
	scratch_load_dword v0, off, off offset:4 ; 4-byte Folded Reload
	s_cmp_lt_i32 s22, 8
	s_waitcnt vmcnt(0)
	v_lshl_add_u32 v30, v0, 2, v254
	ds_write_b32 v30, v6
	s_waitcnt lgkmcnt(0)
	s_barrier
	ds_read_b32 v32, v254 offset:24
	v_mov_b32_e32 v30, 6
	s_cbranch_scc1 .LBB58_105
; %bb.103:
	scratch_load_dword v0, off, off offset:3348 ; 4-byte Folded Reload
	v_mov_b32_e32 v30, 6
	s_mov_b32 s0, 7
	v_mov_b32_e32 v15, v89
	v_mov_b32_e32 v12, v80
	;; [unrolled: 1-line block ×5, first 2 shown]
	s_waitcnt vmcnt(0)
	v_add3_u32 v31, v0, 0, 28
.LBB58_104:                             ; =>This Inner Loop Header: Depth=1
	ds_read_b32 v62, v31
	v_add_u32_e32 v31, 4, v31
	s_waitcnt lgkmcnt(0)
	v_cmp_lt_f32_e64 vcc, |v32|, |v62|
	s_nop 1
	v_cndmask_b32_e32 v32, v32, v62, vcc
	v_mov_b32_e32 v62, s0
	s_add_i32 s0, s0, 1
	v_cndmask_b32_e32 v30, v30, v62, vcc
	s_cmp_lg_u32 s22, s0
	s_cbranch_scc1 .LBB58_104
	s_branch .LBB58_106
.LBB58_105:
	v_mov_b32_e32 v15, v89
	v_mov_b32_e32 v12, v80
	;; [unrolled: 1-line block ×5, first 2 shown]
.LBB58_106:
	v_mov_b32_e32 v7, v213
	s_waitcnt lgkmcnt(0)
	v_cmp_eq_f32_e32 vcc, 0, v32
	s_and_saveexec_b64 s[0:1], vcc
	s_xor_b64 s[0:1], exec, s[0:1]
; %bb.107:
	v_cmp_ne_u32_e32 vcc, 0, v246
	s_nop 1
	v_cndmask_b32_e32 v246, 7, v246, vcc
; %bb.108:
	s_andn2_saveexec_b64 s[0:1], s[0:1]
	s_cbranch_execz .LBB58_110
; %bb.109:
	v_div_scale_f32 v31, s[2:3], v32, v32, 1.0
	v_rcp_f32_e32 v62, v31
	v_div_scale_f32 v63, vcc, 1.0, v32, 1.0
	v_mov_b32_e32 v7, v213
	v_fma_f32 v64, -v31, v62, 1.0
	v_fmac_f32_e32 v62, v64, v62
	v_mul_f32_e32 v64, v63, v62
	v_fma_f32 v65, -v31, v64, v63
	v_fmac_f32_e32 v64, v65, v62
	v_fma_f32 v31, -v31, v64, v63
	v_div_fmas_f32 v31, v31, v62, v64
	v_div_fixup_f32 v32, v31, v32, 1.0
.LBB58_110:
	s_or_b64 exec, exec, s[0:1]
	scratch_load_dword v0, off, off offset:4 ; 4-byte Folded Reload
	s_waitcnt vmcnt(0)
	v_cmp_ne_u32_e32 vcc, v0, v30
	s_and_saveexec_b64 s[0:1], vcc
	s_xor_b64 s[0:1], exec, s[0:1]
	s_cbranch_execz .LBB58_116
; %bb.111:
	scratch_load_dword v0, off, off offset:4 ; 4-byte Folded Reload
	s_waitcnt vmcnt(0)
	v_cmp_eq_u32_e32 vcc, 6, v0
	s_and_saveexec_b64 s[2:3], vcc
	s_cbranch_execz .LBB58_115
; %bb.112:
	v_cmp_ne_u32_e32 vcc, 6, v30
	s_xor_b64 s[18:19], s[16:17], -1
	s_and_b64 s[20:21], s[18:19], vcc
	s_and_saveexec_b64 s[18:19], s[20:21]
	s_cbranch_execz .LBB58_114
; %bb.113:
	s_movk_i32 s20, 0x1498
	scratch_load_dwordx2 v[0:1], off, s20   ; 8-byte Folded Reload
	v_ashrrev_i32_e32 v31, 31, v30
	v_mov_b32_e32 v7, v213
	s_waitcnt vmcnt(0)
	v_lshl_add_u64 v[62:63], v[30:31], 2, v[0:1]
	global_load_dword v31, v[62:63], off
	global_load_dword v64, v[0:1], off offset:24
	s_waitcnt vmcnt(1)
	global_store_dword v[0:1], v31, off offset:24
	s_waitcnt vmcnt(1)
	global_store_dword v[62:63], v64, off
.LBB58_114:
	s_or_b64 exec, exec, s[18:19]
	v_mov_b32_e32 v0, v30
	scratch_store_dword off, v0, off offset:2704 ; 4-byte Folded Spill
	scratch_store_dword off, v0, off offset:4 ; 4-byte Folded Spill
.LBB58_115:
	s_or_b64 exec, exec, s[2:3]
.LBB58_116:
	s_andn2_saveexec_b64 s[0:1], s[0:1]
	s_cbranch_execz .LBB58_118
; %bb.117:
	v_mov_b32_e32 v0, 6
	ds_write2_b32 v254, v171, v172 offset0:7 offset1:8
	ds_write2_b32 v254, v173, v174 offset0:9 offset1:10
	;; [unrolled: 1-line block ×11, first 2 shown]
	ds_write_b32 v254, v33 offset:116
	scratch_store_dword off, v0, off offset:4 ; 4-byte Folded Spill
.LBB58_118:
	s_or_b64 exec, exec, s[0:1]
	s_waitcnt lgkmcnt(0)
	s_barrier
	scratch_load_dword v0, off, off offset:4 ; 4-byte Folded Reload
	s_waitcnt vmcnt(0)
	v_cmp_lt_i32_e32 vcc, 6, v0
	s_and_saveexec_b64 s[0:1], vcc
	s_cbranch_execz .LBB58_120
; %bb.119:
	s_movk_i32 s2, 0x1620
	scratch_load_dwordx4 v[40:43], off, s2  ; 16-byte Folded Reload
	scratch_load_dwordx4 v[44:47], off, s2 offset:16 ; 16-byte Folded Reload
	scratch_load_dwordx4 v[48:51], off, s2 offset:32 ; 16-byte Folded Reload
	;; [unrolled: 1-line block ×7, first 2 shown]
	ds_read2_b32 v[0:1], v254 offset0:7 offset1:8
	s_waitcnt vmcnt(6)
	v_mul_f32_e32 v46, v6, v32
	ds_read2_b32 v[4:5], v254 offset0:9 offset1:10
	ds_read2_b32 v[6:7], v254 offset0:11 offset1:12
	;; [unrolled: 1-line block ×3, first 2 shown]
	v_mov_b32_e32 v2, v171
	v_mov_b32_e32 v3, v172
	s_movk_i32 s2, 0x1218
	v_mov_b32_e32 v220, v46
	v_mov_b32_e32 v136, v46
	;; [unrolled: 1-line block ×4, first 2 shown]
	s_waitcnt lgkmcnt(3)
	v_pk_fma_f32 v[30:31], v[46:47], v[0:1], v[2:3] op_sel_hi:[0,1,1] neg_lo:[1,0,0] neg_hi:[1,0,0]
	v_mov_b32_e32 v0, v173
	v_mov_b32_e32 v1, v174
	s_waitcnt vmcnt(2) lgkmcnt(2)
	v_pk_fma_f32 v[62:63], v[46:47], v[4:5], v[0:1] op_sel_hi:[0,1,1] neg_lo:[1,0,0] neg_hi:[1,0,0]
	v_mov_b32_e32 v0, v175
	v_mov_b32_e32 v1, v176
	s_waitcnt vmcnt(1) lgkmcnt(1)
	v_pk_fma_f32 v[64:65], v[46:47], v[6:7], v[0:1] op_sel_hi:[0,1,1] neg_lo:[1,0,0] neg_hi:[1,0,0]
	v_mov_b32_e32 v0, v177
	v_mov_b32_e32 v1, v178
	s_waitcnt lgkmcnt(0)
	v_pk_fma_f32 v[92:93], v[46:47], v[34:35], v[0:1] op_sel_hi:[0,1,1] neg_lo:[1,0,0] neg_hi:[1,0,0]
	ds_read2_b32 v[0:1], v254 offset0:15 offset1:16
	ds_read2_b32 v[4:5], v254 offset0:17 offset1:18
	;; [unrolled: 1-line block ×4, first 2 shown]
	v_mov_b32_e32 v2, v179
	v_mov_b32_e32 v3, v180
	;; [unrolled: 1-line block ×3, first 2 shown]
	s_waitcnt lgkmcnt(3)
	v_pk_fma_f32 v[94:95], v[46:47], v[0:1], v[2:3] op_sel_hi:[0,1,1] neg_lo:[1,0,0] neg_hi:[1,0,0]
	v_mov_b32_e32 v0, v181
	v_mov_b32_e32 v1, v182
	s_waitcnt lgkmcnt(2)
	v_pk_fma_f32 v[96:97], v[46:47], v[4:5], v[0:1] op_sel_hi:[0,1,1] neg_lo:[1,0,0] neg_hi:[1,0,0]
	v_mov_b32_e32 v0, v183
	v_mov_b32_e32 v1, v184
	;; [unrolled: 4-line block ×3, first 2 shown]
	s_waitcnt lgkmcnt(0)
	v_pk_fma_f32 v[36:37], v[46:47], v[8:9], v[0:1] op_sel_hi:[0,1,1] neg_lo:[1,0,0] neg_hi:[1,0,0]
	ds_read2_b32 v[0:1], v254 offset0:23 offset1:24
	ds_read2_b32 v[4:5], v254 offset0:25 offset1:26
	;; [unrolled: 1-line block ×3, first 2 shown]
	ds_read_b32 v8, v254 offset:116
	v_mov_b32_e32 v2, v187
	v_mov_b32_e32 v3, v188
	v_mov_b32_e32 v216, v42
	s_waitcnt lgkmcnt(3)
	v_pk_fma_f32 v[38:39], v[46:47], v[0:1], v[2:3] op_sel_hi:[0,1,1] neg_lo:[1,0,0] neg_hi:[1,0,0]
	v_mov_b32_e32 v0, v189
	v_mov_b32_e32 v1, v190
	s_waitcnt lgkmcnt(2)
	v_pk_fma_f32 v[158:159], v[46:47], v[4:5], v[0:1] op_sel_hi:[0,1,1] neg_lo:[1,0,0] neg_hi:[1,0,0]
	v_mov_b32_e32 v0, v191
	v_mov_b32_e32 v1, v192
	s_waitcnt lgkmcnt(1)
	v_pk_fma_f32 v[28:29], v[46:47], v[6:7], v[0:1] op_sel_hi:[0,1,1] neg_lo:[1,0,0] neg_hi:[1,0,0]
	s_waitcnt lgkmcnt(0)
	v_fma_f32 v193, -v46, v8, v33
	v_mov_b32_e32 v0, v40
	v_mov_b32_e32 v1, v41
	;; [unrolled: 1-line block ×10, first 2 shown]
	scratch_store_dwordx4 off, v[0:3], s2   ; 16-byte Folded Spill
	s_nop 0
	scratch_store_dwordx4 off, v[4:7], s2 offset:16 ; 16-byte Folded Spill
	scratch_store_dwordx4 off, v[8:11], s2 offset:32 ; 16-byte Folded Spill
	;; [unrolled: 1-line block ×7, first 2 shown]
	v_mov_b32_e32 v9, v62
	s_movk_i32 s2, 0x1298
	v_mov_b32_e32 v217, v43
	v_mov_b32_e32 v218, v44
	;; [unrolled: 1-line block ×41, first 2 shown]
	scratch_store_dwordx4 off, v[0:3], s2   ; 16-byte Folded Spill
	s_nop 0
	scratch_store_dwordx4 off, v[4:7], s2 offset:16 ; 16-byte Folded Spill
	scratch_store_dwordx4 off, v[8:11], s2 offset:32 ; 16-byte Folded Spill
	;; [unrolled: 1-line block ×7, first 2 shown]
	v_mov_b32_e32 v10, v63
	s_movk_i32 s2, 0x1098
	v_mov_b32_e32 v155, v158
	v_mov_b32_e32 v156, v159
	;; [unrolled: 1-line block ×19, first 2 shown]
	scratch_store_dwordx4 off, v[0:3], off offset:3608 ; 16-byte Folded Spill
	s_nop 0
	scratch_store_dwordx4 off, v[4:7], off offset:3624 ; 16-byte Folded Spill
	scratch_store_dwordx4 off, v[8:11], off offset:3640 ; 16-byte Folded Spill
	;; [unrolled: 1-line block ×7, first 2 shown]
	v_mov_b32_e32 v11, v64
	scratch_store_dwordx4 off, v[0:3], s2   ; 16-byte Folded Spill
	s_nop 0
	scratch_store_dwordx4 off, v[4:7], s2 offset:16 ; 16-byte Folded Spill
	scratch_store_dwordx4 off, v[8:11], s2 offset:32 ; 16-byte Folded Spill
	;; [unrolled: 1-line block ×7, first 2 shown]
	v_mov_b32_e32 v12, v65
	s_movk_i32 s2, 0x1520
	scratch_store_dwordx4 off, v[0:3], off offset:1936 ; 16-byte Folded Spill
	s_nop 0
	scratch_store_dwordx4 off, v[4:7], off offset:1952 ; 16-byte Folded Spill
	scratch_store_dwordx4 off, v[8:11], off offset:1968 ; 16-byte Folded Spill
	;; [unrolled: 1-line block ×7, first 2 shown]
	v_mov_b32_e32 v13, v92
	scratch_store_dwordx4 off, v[0:3], off offset:3480 ; 16-byte Folded Spill
	s_nop 0
	scratch_store_dwordx4 off, v[4:7], off offset:3496 ; 16-byte Folded Spill
	scratch_store_dwordx4 off, v[8:11], off offset:3512 ; 16-byte Folded Spill
	;; [unrolled: 1-line block ×7, first 2 shown]
	v_mov_b32_e32 v14, v93
	v_mov_b32_e32 v15, v94
	;; [unrolled: 1-line block ×4, first 2 shown]
	scratch_store_dwordx4 off, v[214:217], off offset:656 ; 16-byte Folded Spill
	s_nop 0
	scratch_store_dwordx4 off, v[218:221], off offset:672 ; 16-byte Folded Spill
	scratch_store_dwordx4 off, v[222:225], off offset:688 ; 16-byte Folded Spill
	;; [unrolled: 1-line block ×8, first 2 shown]
	s_nop 0
	scratch_store_dwordx4 off, v[4:7], off offset:2724 ; 16-byte Folded Spill
	scratch_store_dwordx4 off, v[8:11], off offset:2740 ; 16-byte Folded Spill
	;; [unrolled: 1-line block ×7, first 2 shown]
	v_mov_b32_e32 v16, v95
	v_mov_b32_e32 v232, v93
	;; [unrolled: 1-line block ×9, first 2 shown]
	scratch_store_dwordx4 off, v[0:3], off offset:1680 ; 16-byte Folded Spill
	s_nop 0
	scratch_store_dwordx4 off, v[4:7], off offset:1696 ; 16-byte Folded Spill
	scratch_store_dwordx4 off, v[8:11], off offset:1712 ; 16-byte Folded Spill
	scratch_store_dwordx4 off, v[12:15], off offset:1728 ; 16-byte Folded Spill
	scratch_store_dwordx4 off, v[16:19], off offset:1744 ; 16-byte Folded Spill
	scratch_store_dwordx4 off, v[20:23], off offset:1760 ; 16-byte Folded Spill
	scratch_store_dwordx4 off, v[24:27], off offset:1776 ; 16-byte Folded Spill
	scratch_store_dwordx4 off, v[28:31], off offset:1792 ; 16-byte Folded Spill
	v_mov_b32_e32 v17, v96
	scratch_store_dwordx4 off, v[0:3], off offset:2192 ; 16-byte Folded Spill
	s_nop 0
	scratch_store_dwordx4 off, v[4:7], off offset:2208 ; 16-byte Folded Spill
	scratch_store_dwordx4 off, v[8:11], off offset:2224 ; 16-byte Folded Spill
	scratch_store_dwordx4 off, v[12:15], off offset:2240 ; 16-byte Folded Spill
	scratch_store_dwordx4 off, v[16:19], off offset:2256 ; 16-byte Folded Spill
	scratch_store_dwordx4 off, v[20:23], off offset:2272 ; 16-byte Folded Spill
	scratch_store_dwordx4 off, v[24:27], off offset:2288 ; 16-byte Folded Spill
	scratch_store_dwordx4 off, v[28:31], off offset:2304 ; 16-byte Folded Spill
	v_mov_b32_e32 v18, v97
	;; [unrolled: 10-line block ×7, first 2 shown]
	scratch_store_dwordx4 off, v[0:3], off offset:1296 ; 16-byte Folded Spill
	s_nop 0
	scratch_store_dwordx4 off, v[4:7], off offset:1312 ; 16-byte Folded Spill
	scratch_store_dwordx4 off, v[8:11], off offset:1328 ; 16-byte Folded Spill
	scratch_store_dwordx4 off, v[12:15], off offset:1344 ; 16-byte Folded Spill
	scratch_store_dwordx4 off, v[16:19], off offset:1360 ; 16-byte Folded Spill
	scratch_store_dwordx4 off, v[20:23], off offset:1376 ; 16-byte Folded Spill
	scratch_store_dwordx4 off, v[24:27], off offset:1392 ; 16-byte Folded Spill
	scratch_store_dwordx4 off, v[28:31], off offset:1408 ; 16-byte Folded Spill
	s_nop 0
	v_mov_b32_e32 v24, v39
	scratch_store_dwordx4 off, v[0:3], off offset:1040 ; 16-byte Folded Spill
	s_nop 0
	scratch_store_dwordx4 off, v[4:7], off offset:1056 ; 16-byte Folded Spill
	scratch_store_dwordx4 off, v[8:11], off offset:1072 ; 16-byte Folded Spill
	scratch_store_dwordx4 off, v[12:15], off offset:1088 ; 16-byte Folded Spill
	scratch_store_dwordx4 off, v[16:19], off offset:1104 ; 16-byte Folded Spill
	scratch_store_dwordx4 off, v[20:23], off offset:1120 ; 16-byte Folded Spill
	scratch_store_dwordx4 off, v[24:27], off offset:1136 ; 16-byte Folded Spill
	scratch_store_dwordx4 off, v[28:31], off offset:1152 ; 16-byte Folded Spill
	s_nop 0
	v_mov_b32_e32 v25, v158
	;; [unrolled: 11-line block ×3, first 2 shown]
	v_mov_b32_e32 v27, v28
	v_mov_b32_e32 v137, v30
	;; [unrolled: 1-line block ×3, first 2 shown]
	scratch_store_dwordx4 off, v[0:3], off offset:784 ; 16-byte Folded Spill
	s_nop 0
	scratch_store_dwordx4 off, v[4:7], off offset:800 ; 16-byte Folded Spill
	scratch_store_dwordx4 off, v[8:11], off offset:816 ; 16-byte Folded Spill
	;; [unrolled: 1-line block ×7, first 2 shown]
	scratch_store_dwordx4 off, v[40:43], s2 ; 16-byte Folded Spill
	s_nop 0
	scratch_store_dwordx4 off, v[44:47], s2 offset:16 ; 16-byte Folded Spill
	scratch_store_dwordx4 off, v[48:51], s2 offset:32 ; 16-byte Folded Spill
	;; [unrolled: 1-line block ×6, first 2 shown]
	s_waitcnt vmcnt(62)
	scratch_store_dwordx4 off, v[68:71], s2 offset:112 ; 16-byte Folded Spill
	s_movk_i32 s2, 0x14a0
	scratch_store_dwordx4 off, v[40:43], s2 ; 16-byte Folded Spill
	s_nop 0
	scratch_store_dwordx4 off, v[44:47], s2 offset:16 ; 16-byte Folded Spill
	scratch_store_dwordx4 off, v[48:51], s2 offset:32 ; 16-byte Folded Spill
	;; [unrolled: 1-line block ×7, first 2 shown]
	v_mov_b32_e32 v171, v30
	v_mov_b32_e32 v172, v31
	;; [unrolled: 1-line block ×5, first 2 shown]
	scratch_store_dwordx4 off, v[0:3], off offset:136 ; 16-byte Folded Spill
	s_nop 0
	scratch_store_dwordx4 off, v[4:7], off offset:152 ; 16-byte Folded Spill
	scratch_store_dwordx4 off, v[8:11], off offset:168 ; 16-byte Folded Spill
	;; [unrolled: 1-line block ×8, first 2 shown]
	s_nop 0
	scratch_store_dwordx4 off, v[4:7], off offset:544 ; 16-byte Folded Spill
	scratch_store_dwordx4 off, v[8:11], off offset:560 ; 16-byte Folded Spill
	;; [unrolled: 1-line block ×7, first 2 shown]
	v_mov_b32_e32 v211, v62
	v_mov_b32_e32 v157, v28
	scratch_store_dwordx2 off, v[28:29], off offset:264 ; 8-byte Folded Spill
.LBB58_120:
	s_or_b64 exec, exec, s[0:1]
	s_waitcnt vmcnt(63) expcnt(7) lgkmcnt(15)
	s_barrier
	scratch_load_dword v0, off, off offset:4 ; 4-byte Folded Reload
	s_cmp_lt_i32 s22, 9
	s_waitcnt vmcnt(0)
	v_lshl_add_u32 v30, v0, 2, v254
	ds_write_b32 v30, v7
	s_waitcnt lgkmcnt(0)
	s_barrier
	ds_read_b32 v32, v254 offset:28
	v_mov_b32_e32 v30, 7
	s_cbranch_scc1 .LBB58_123
; %bb.121:
	scratch_load_dword v0, off, off offset:3348 ; 4-byte Folded Reload
	v_mov_b32_e32 v30, 7
	s_mov_b32 s0, 8
	s_waitcnt vmcnt(0)
	v_add3_u32 v31, v0, 0, 32
.LBB58_122:                             ; =>This Inner Loop Header: Depth=1
	ds_read_b32 v62, v31
	v_add_u32_e32 v31, 4, v31
	s_waitcnt lgkmcnt(0)
	v_cmp_lt_f32_e64 vcc, |v32|, |v62|
	s_nop 1
	v_cndmask_b32_e32 v32, v32, v62, vcc
	v_mov_b32_e32 v62, s0
	s_add_i32 s0, s0, 1
	v_cndmask_b32_e32 v30, v30, v62, vcc
	s_cmp_lg_u32 s22, s0
	s_cbranch_scc1 .LBB58_122
.LBB58_123:
	v_mov_b32_e32 v8, v210
	s_waitcnt lgkmcnt(0)
	v_cmp_eq_f32_e32 vcc, 0, v32
	s_and_saveexec_b64 s[0:1], vcc
	s_xor_b64 s[0:1], exec, s[0:1]
; %bb.124:
	v_cmp_ne_u32_e32 vcc, 0, v246
	s_nop 1
	v_cndmask_b32_e32 v246, 8, v246, vcc
; %bb.125:
	s_andn2_saveexec_b64 s[0:1], s[0:1]
	s_cbranch_execz .LBB58_127
; %bb.126:
	v_div_scale_f32 v31, s[2:3], v32, v32, 1.0
	v_rcp_f32_e32 v62, v31
	v_div_scale_f32 v63, vcc, 1.0, v32, 1.0
	v_mov_b32_e32 v8, v210
	v_fma_f32 v64, -v31, v62, 1.0
	v_fmac_f32_e32 v62, v64, v62
	v_mul_f32_e32 v64, v63, v62
	v_fma_f32 v65, -v31, v64, v63
	v_fmac_f32_e32 v64, v65, v62
	v_fma_f32 v31, -v31, v64, v63
	v_div_fmas_f32 v31, v31, v62, v64
	v_div_fixup_f32 v32, v31, v32, 1.0
.LBB58_127:
	s_or_b64 exec, exec, s[0:1]
	scratch_load_dword v0, off, off offset:4 ; 4-byte Folded Reload
	s_waitcnt vmcnt(0)
	v_cmp_ne_u32_e32 vcc, v0, v30
	s_and_saveexec_b64 s[0:1], vcc
	s_xor_b64 s[0:1], exec, s[0:1]
	s_cbranch_execz .LBB58_133
; %bb.128:
	scratch_load_dword v0, off, off offset:4 ; 4-byte Folded Reload
	s_waitcnt vmcnt(0)
	v_cmp_eq_u32_e32 vcc, 7, v0
	s_and_saveexec_b64 s[2:3], vcc
	s_cbranch_execz .LBB58_132
; %bb.129:
	v_cmp_ne_u32_e32 vcc, 7, v30
	s_xor_b64 s[18:19], s[16:17], -1
	s_and_b64 s[20:21], s[18:19], vcc
	s_and_saveexec_b64 s[18:19], s[20:21]
	s_cbranch_execz .LBB58_131
; %bb.130:
	s_movk_i32 s20, 0x1498
	scratch_load_dwordx2 v[0:1], off, s20   ; 8-byte Folded Reload
	v_ashrrev_i32_e32 v31, 31, v30
	v_mov_b32_e32 v8, v210
	s_waitcnt vmcnt(0)
	v_lshl_add_u64 v[62:63], v[30:31], 2, v[0:1]
	global_load_dword v31, v[62:63], off
	global_load_dword v64, v[0:1], off offset:28
	s_waitcnt vmcnt(1)
	global_store_dword v[0:1], v31, off offset:28
	s_waitcnt vmcnt(1)
	global_store_dword v[62:63], v64, off
.LBB58_131:
	s_or_b64 exec, exec, s[18:19]
	v_mov_b32_e32 v0, v30
	scratch_store_dword off, v0, off offset:2704 ; 4-byte Folded Spill
	scratch_store_dword off, v0, off offset:4 ; 4-byte Folded Spill
.LBB58_132:
	s_or_b64 exec, exec, s[2:3]
.LBB58_133:
	s_or_saveexec_b64 s[0:1], s[0:1]
	v_mov_b32_e32 v209, v11
	v_mov_b32_e32 v90, v10
	;; [unrolled: 1-line block ×5, first 2 shown]
	s_xor_b64 exec, exec, s[0:1]
	s_cbranch_execz .LBB58_135
; %bb.134:
	v_mov_b32_e32 v0, 7
	ds_write2_b32 v254, v172, v173 offset0:8 offset1:9
	ds_write2_b32 v254, v174, v175 offset0:10 offset1:11
	;; [unrolled: 1-line block ×11, first 2 shown]
	scratch_store_dword off, v0, off offset:4 ; 4-byte Folded Spill
.LBB58_135:
	s_or_b64 exec, exec, s[0:1]
	s_waitcnt lgkmcnt(0)
	s_barrier
	scratch_load_dword v0, off, off offset:4 ; 4-byte Folded Reload
	s_waitcnt vmcnt(0)
	v_cmp_lt_i32_e32 vcc, 7, v0
	s_and_saveexec_b64 s[0:1], vcc
	s_cbranch_execz .LBB58_137
; %bb.136:
	v_mul_f32_e32 v248, v7, v32
	ds_read2_b32 v[6:7], v254 offset0:8 offset1:9
	ds_read2_b32 v[30:31], v254 offset0:10 offset1:11
	;; [unrolled: 1-line block ×5, first 2 shown]
	s_waitcnt lgkmcnt(4)
	v_pk_fma_f32 v[16:17], v[248:249], v[6:7], v[172:173] op_sel_hi:[0,1,1] neg_lo:[1,0,0] neg_hi:[1,0,0]
	s_waitcnt lgkmcnt(3)
	v_pk_fma_f32 v[18:19], v[248:249], v[30:31], v[174:175] op_sel_hi:[0,1,1] neg_lo:[1,0,0] neg_hi:[1,0,0]
	;; [unrolled: 2-line block ×4, first 2 shown]
	ds_read2_b32 v[250:251], v254 offset0:26 offset1:27
	scratch_store_dwordx4 off, v[164:167], off offset:8 ; 16-byte Folded Spill
	s_nop 0
	scratch_store_dwordx4 off, v[168:171], off offset:24 ; 16-byte Folded Spill
	scratch_store_dwordx4 off, v[172:175], off offset:40 ; 16-byte Folded Spill
	;; [unrolled: 1-line block ×7, first 2 shown]
	s_movk_i32 s2, 0x14a0
	scratch_load_dwordx4 v[214:217], off, s2 ; 16-byte Folded Reload
	scratch_load_dwordx4 v[218:221], off, s2 offset:16 ; 16-byte Folded Reload
	scratch_load_dwordx4 v[222:225], off, s2 offset:32 ; 16-byte Folded Reload
	;; [unrolled: 1-line block ×7, first 2 shown]
	v_mov_b32_e32 v15, v248
	s_movk_i32 s2, 0x1298
	v_mov_b32_e32 v107, v248
	s_waitcnt vmcnt(4)
	v_mov_b32_e32 v229, v248
	v_mov_b32_e32 v221, v248
	;; [unrolled: 1-line block ×9, first 2 shown]
	v_mov_b64_e32 v[50:51], v[16:17]
	v_mov_b64_e32 v[48:49], v[14:15]
	;; [unrolled: 1-line block ×5, first 2 shown]
	scratch_store_dwordx4 off, v[8:11], s2  ; 16-byte Folded Spill
	s_nop 0
	scratch_store_dwordx4 off, v[12:15], s2 offset:16 ; 16-byte Folded Spill
	scratch_store_dwordx4 off, v[16:19], s2 offset:32 ; 16-byte Folded Spill
	;; [unrolled: 1-line block ×7, first 2 shown]
	v_mov_b32_e32 v30, v214
	v_mov_b32_e32 v31, v215
	;; [unrolled: 1-line block ×10, first 2 shown]
	s_movk_i32 s2, 0x1098
	v_mov_b32_e32 v108, v50
	v_mov_b32_e32 v109, v51
	;; [unrolled: 1-line block ×20, first 2 shown]
	v_mov_b64_e32 v[110:111], v[18:19]
	v_mov_b32_e32 v40, v110
	v_mov_b32_e32 v41, v111
	scratch_store_dwordx4 off, v[30:33], s2 ; 16-byte Folded Spill
	s_nop 0
	scratch_store_dwordx4 off, v[34:37], s2 offset:16 ; 16-byte Folded Spill
	scratch_store_dwordx4 off, v[38:41], s2 offset:32 ; 16-byte Folded Spill
	;; [unrolled: 1-line block ×7, first 2 shown]
	v_mov_b64_e32 v[24:25], v[20:21]
	v_mov_b64_e32 v[22:23], v[18:19]
	;; [unrolled: 1-line block ×20, first 2 shown]
	s_waitcnt vmcnt(19)
	v_mov_b32_e32 v232, v154
	v_mov_b32_e32 v233, v155
	s_waitcnt vmcnt(18)
	v_mov_b32_e32 v234, v142
	v_mov_b32_e32 v235, v143
	s_movk_i32 s2, 0x1520
	v_mov_b64_e32 v[60:61], v[50:51]
	v_mov_b64_e32 v[58:59], v[48:49]
	;; [unrolled: 1-line block ×5, first 2 shown]
	v_mov_b32_e32 v42, v24
	v_mov_b32_e32 v43, v25
	scratch_store_dwordx4 off, v[30:33], off offset:3480 ; 16-byte Folded Spill
	s_nop 0
	scratch_store_dwordx4 off, v[34:37], off offset:3496 ; 16-byte Folded Spill
	scratch_store_dwordx4 off, v[38:41], off offset:3512 ; 16-byte Folded Spill
	;; [unrolled: 1-line block ×7, first 2 shown]
	s_waitcnt lgkmcnt(1)
	v_pk_fma_f32 v[40:41], v[248:249], v[2:3], v[178:179] op_sel_hi:[0,1,1] neg_lo:[1,0,0] neg_hi:[1,0,0]
	v_mov_b32_e32 v30, v218
	v_mov_b32_e32 v31, v219
	;; [unrolled: 1-line block ×11, first 2 shown]
	v_mov_b64_e32 v[170:171], v[40:41]
	v_mov_b64_e32 v[168:169], v[38:39]
	;; [unrolled: 1-line block ×8, first 2 shown]
	v_mov_b32_e32 v30, v214
	v_mov_b32_e32 v31, v215
	;; [unrolled: 1-line block ×14, first 2 shown]
	scratch_store_dwordx4 off, v[30:33], off offset:2708 ; 16-byte Folded Spill
	s_nop 0
	scratch_store_dwordx4 off, v[34:37], off offset:2724 ; 16-byte Folded Spill
	scratch_store_dwordx4 off, v[38:41], off offset:2740 ; 16-byte Folded Spill
	;; [unrolled: 1-line block ×7, first 2 shown]
	ds_read2_b32 v[2:3], v254 offset0:16 offset1:17
	ds_read2_b32 v[4:5], v254 offset0:18 offset1:19
	;; [unrolled: 1-line block ×4, first 2 shown]
	v_mov_b32_e32 v40, v170
	s_waitcnt lgkmcnt(3)
	v_pk_fma_f32 v[42:43], v[248:249], v[2:3], v[180:181] op_sel_hi:[0,1,1] neg_lo:[1,0,0] neg_hi:[1,0,0]
	v_mov_b32_e32 v41, v171
	v_mov_b32_e32 v30, v218
	;; [unrolled: 1-line block ×9, first 2 shown]
	v_mov_b64_e32 v[98:99], v[42:43]
	v_mov_b32_e32 v42, v24
	v_mov_b32_e32 v43, v25
	;; [unrolled: 1-line block ×5, first 2 shown]
	v_mov_b64_e32 v[106:107], v[98:99]
	s_waitcnt vmcnt(33)
	v_mov_b32_e32 v238, v106
	v_mov_b32_e32 v239, v107
	;; [unrolled: 1-line block ×8, first 2 shown]
	v_mov_b64_e32 v[96:97], v[40:41]
	v_mov_b64_e32 v[94:95], v[38:39]
	;; [unrolled: 1-line block ×8, first 2 shown]
	v_mov_b32_e32 v30, v214
	v_mov_b32_e32 v31, v215
	;; [unrolled: 1-line block ×12, first 2 shown]
	scratch_store_dwordx4 off, v[30:33], off offset:2192 ; 16-byte Folded Spill
	s_nop 0
	scratch_store_dwordx4 off, v[34:37], off offset:2208 ; 16-byte Folded Spill
	scratch_store_dwordx4 off, v[38:41], off offset:2224 ; 16-byte Folded Spill
	;; [unrolled: 1-line block ×7, first 2 shown]
	s_waitcnt lgkmcnt(2)
	v_pk_fma_f32 v[44:45], v[248:249], v[4:5], v[182:183] op_sel_hi:[0,1,1] neg_lo:[1,0,0] neg_hi:[1,0,0]
	v_mov_b32_e32 v40, v170
	v_mov_b32_e32 v41, v171
	;; [unrolled: 1-line block ×12, first 2 shown]
	v_mov_b64_e32 v[80:81], v[44:45]
	v_mov_b64_e32 v[78:79], v[42:43]
	v_mov_b32_e32 v42, v24
	v_mov_b32_e32 v43, v25
	v_mov_b32_e32 v44, v170
	v_mov_b32_e32 v45, v171
	v_mov_b32_e32 v46, v98
	v_mov_b32_e32 v48, v80
	v_mov_b32_e32 v49, v81
	v_mov_b64_e32 v[212:213], v[80:81]
	v_mov_b64_e32 v[210:211], v[78:79]
	v_mov_b32_e32 v78, v106
	v_mov_b32_e32 v79, v107
	;; [unrolled: 1-line block ×6, first 2 shown]
	v_mov_b64_e32 v[76:77], v[40:41]
	v_mov_b64_e32 v[74:75], v[38:39]
	;; [unrolled: 1-line block ×8, first 2 shown]
	v_mov_b32_e32 v30, v214
	v_mov_b32_e32 v31, v215
	;; [unrolled: 1-line block ×12, first 2 shown]
	scratch_store_dwordx4 off, v[30:33], off offset:1808 ; 16-byte Folded Spill
	s_nop 0
	scratch_store_dwordx4 off, v[34:37], off offset:1824 ; 16-byte Folded Spill
	scratch_store_dwordx4 off, v[38:41], off offset:1840 ; 16-byte Folded Spill
	scratch_store_dwordx4 off, v[42:45], off offset:1856 ; 16-byte Folded Spill
	scratch_store_dwordx4 off, v[46:49], off offset:1872 ; 16-byte Folded Spill
	scratch_store_dwordx4 off, v[50:53], off offset:1888 ; 16-byte Folded Spill
	scratch_store_dwordx4 off, v[54:57], off offset:1904 ; 16-byte Folded Spill
	scratch_store_dwordx4 off, v[58:61], off offset:1920 ; 16-byte Folded Spill
	s_waitcnt lgkmcnt(1)
	v_pk_fma_f32 v[50:51], v[248:249], v[8:9], v[184:185] op_sel_hi:[0,1,1] neg_lo:[1,0,0] neg_hi:[1,0,0]
	v_mov_b64_e32 v[208:209], v[76:77]
	v_mov_b64_e32 v[206:207], v[74:75]
	;; [unrolled: 1-line block ×8, first 2 shown]
	v_mov_b32_e32 v62, v214
	v_mov_b32_e32 v63, v215
	;; [unrolled: 1-line block ×14, first 2 shown]
	v_mov_b64_e32 v[40:41], v[52:53]
	v_mov_b64_e32 v[46:47], v[58:59]
	;; [unrolled: 1-line block ×4, first 2 shown]
	v_mov_b32_e32 v38, v48
	v_mov_b32_e32 v39, v49
	;; [unrolled: 1-line block ×4, first 2 shown]
	v_mov_b64_e32 v[104:105], v[96:97]
	v_mov_b32_e32 v48, v80
	v_mov_b32_e32 v49, v81
	v_mov_b64_e32 v[128:129], v[50:51]
	v_mov_b64_e32 v[42:43], v[54:55]
	v_mov_b32_e32 v44, v170
	v_mov_b32_e32 v45, v171
	v_mov_b64_e32 v[102:103], v[94:95]
	v_mov_b64_e32 v[100:101], v[92:93]
	;; [unrolled: 1-line block ×7, first 2 shown]
	v_mov_b32_e32 v70, v60
	v_mov_b32_e32 v71, v61
	;; [unrolled: 1-line block ×10, first 2 shown]
	v_mov_b64_e32 v[122:123], v[44:45]
	scratch_store_dwordx4 off, v[62:65], off offset:1552 ; 16-byte Folded Spill
	s_nop 0
	scratch_store_dwordx4 off, v[66:69], off offset:1568 ; 16-byte Folded Spill
	scratch_store_dwordx4 off, v[70:73], off offset:1584 ; 16-byte Folded Spill
	;; [unrolled: 1-line block ×7, first 2 shown]
	v_mov_b64_e32 v[120:121], v[42:43]
	v_mov_b64_e32 v[118:119], v[40:41]
	;; [unrolled: 1-line block ×7, first 2 shown]
	scratch_load_dwordx4 v[12:15], off, off offset:8 ; 16-byte Folded Reload
	scratch_load_dwordx4 v[16:19], off, off offset:24 ; 16-byte Folded Reload
	;; [unrolled: 1-line block ×8, first 2 shown]
	v_mov_b64_e32 v[126:127], v[48:49]
	v_mov_b64_e32 v[124:125], v[46:47]
	;; [unrolled: 1-line block ×4, first 2 shown]
	v_mov_b32_e32 v62, v214
	v_mov_b32_e32 v63, v215
	;; [unrolled: 1-line block ×22, first 2 shown]
	s_waitcnt vmcnt(62)
	v_mov_b32_e32 v242, v128
	v_mov_b32_e32 v243, v129
	;; [unrolled: 1-line block ×4, first 2 shown]
	s_waitcnt vmcnt(2) lgkmcnt(0)
	v_pk_fma_f32 v[244:245], v[248:249], v[10:11], v[34:35] op_sel_hi:[0,1,1] neg_lo:[1,0,0] neg_hi:[1,0,0]
	s_waitcnt vmcnt(0)
	v_mov_b64_e32 v[32:33], v[194:195]
	v_mov_b64_e32 v[34:35], v[196:197]
	;; [unrolled: 1-line block ×8, first 2 shown]
	scratch_store_dwordx4 off, v[32:35], off offset:400 ; 16-byte Folded Spill
	s_nop 0
	scratch_store_dwordx4 off, v[36:39], off offset:416 ; 16-byte Folded Spill
	scratch_store_dwordx4 off, v[40:43], off offset:432 ; 16-byte Folded Spill
	;; [unrolled: 1-line block ×7, first 2 shown]
	v_mov_b32_e32 v84, v244
	v_mov_b32_e32 v85, v245
	scratch_store_dwordx4 off, v[62:65], off offset:1296 ; 16-byte Folded Spill
	s_nop 0
	scratch_store_dwordx4 off, v[66:69], off offset:1312 ; 16-byte Folded Spill
	scratch_store_dwordx4 off, v[70:73], off offset:1328 ; 16-byte Folded Spill
	;; [unrolled: 1-line block ×7, first 2 shown]
	v_mov_b64_e32 v[198:199], v[170:171]
	ds_read2_b32 v[2:3], v254 offset0:24 offset1:25
	scratch_load_dwordx4 v[8:11], off, off offset:8 ; 16-byte Folded Reload
	scratch_load_dwordx4 v[12:15], off, off offset:24 ; 16-byte Folded Reload
	;; [unrolled: 1-line block ×8, first 2 shown]
	v_mov_b64_e32 v[210:211], v[60:61]
	v_mov_b64_e32 v[196:197], v[168:169]
	;; [unrolled: 1-line block ×8, first 2 shown]
	v_mov_b32_e32 v166, v60
	v_mov_b32_e32 v167, v61
	v_mov_b64_e32 v[208:209], v[58:59]
	v_mov_b64_e32 v[206:207], v[56:57]
	;; [unrolled: 1-line block ×4, first 2 shown]
	scratch_load_dwordx4 v[52:55], off, off offset:400 ; 16-byte Folded Reload
	scratch_load_dwordx4 v[56:59], off, off offset:416 ; 16-byte Folded Reload
	;; [unrolled: 1-line block ×8, first 2 shown]
	s_waitcnt vmcnt(8)
	v_mov_b64_e32 v[34:35], v[184:185]
	v_mov_b64_e32 v[48:49], v[198:199]
	;; [unrolled: 1-line block ×3, first 2 shown]
	v_mov_b32_e32 v172, v198
	v_mov_b32_e32 v173, v199
	v_mov_b64_e32 v[36:37], v[186:187]
	v_mov_b64_e32 v[38:39], v[188:189]
	;; [unrolled: 1-line block ×6, first 2 shown]
	s_waitcnt vmcnt(7)
	v_mov_b32_e32 v52, v214
	v_mov_b32_e32 v53, v215
	v_mov_b32_e32 v54, v216
	v_mov_b32_e32 v55, v217
	s_waitcnt vmcnt(6)
	v_mov_b32_e32 v56, v218
	v_mov_b32_e32 v57, v219
	v_mov_b32_e32 v58, v220
	v_mov_b32_e32 v59, v248
	;; [unrolled: 5-line block ×3, first 2 shown]
	s_waitcnt vmcnt(4)
	v_mov_b32_e32 v66, v48
	v_mov_b32_e32 v67, v49
	s_waitcnt vmcnt(2)
	v_mov_b32_e32 v72, v128
	v_mov_b32_e32 v73, v129
	;; [unrolled: 1-line block ×4, first 2 shown]
	v_mov_b64_e32 v[20:21], v[130:131]
	v_mov_b32_e32 v165, v248
	v_mov_b64_e32 v[22:23], v[132:133]
	v_mov_b64_e32 v[24:25], v[134:135]
	;; [unrolled: 1-line block ×5, first 2 shown]
	v_mov_b32_e32 v180, v244
	v_mov_b32_e32 v181, v245
	;; [unrolled: 1-line block ×13, first 2 shown]
	v_mov_b64_e32 v[198:199], v[104:105]
	v_mov_b64_e32 v[196:197], v[102:103]
	;; [unrolled: 1-line block ×9, first 2 shown]
	s_waitcnt lgkmcnt(0)
	v_pk_fma_f32 v[182:183], v[248:249], v[2:3], v[32:33] op_sel_hi:[0,1,1] neg_lo:[1,0,0] neg_hi:[1,0,0]
	v_mov_b64_e32 v[32:33], v[142:143]
	v_mov_b32_e32 v64, v32
	v_mov_b32_e32 v65, v33
	s_waitcnt vmcnt(1)
	v_mov_b32_e32 v76, v182
	v_mov_b32_e32 v77, v183
	v_mov_b64_e32 v[102:103], v[46:47]
	v_mov_b64_e32 v[100:101], v[44:45]
	;; [unrolled: 1-line block ×9, first 2 shown]
	v_mov_b32_e32 v176, v70
	v_mov_b32_e32 v177, v71
	;; [unrolled: 1-line block ×6, first 2 shown]
	scratch_store_dwordx4 off, v[52:55], off offset:1168 ; 16-byte Folded Spill
	s_nop 0
	scratch_store_dwordx4 off, v[56:59], off offset:1184 ; 16-byte Folded Spill
	scratch_store_dwordx4 off, v[60:63], off offset:1200 ; 16-byte Folded Spill
	;; [unrolled: 1-line block ×6, first 2 shown]
	s_waitcnt vmcnt(7)
	scratch_store_dwordx4 off, v[80:83], off offset:1280 ; 16-byte Folded Spill
	scratch_load_dwordx4 v[34:37], off, off offset:8 ; 16-byte Folded Reload
	s_nop 0
	scratch_load_dwordx4 v[38:41], off, off offset:24 ; 16-byte Folded Reload
	scratch_load_dwordx4 v[42:45], off, off offset:40 ; 16-byte Folded Reload
	;; [unrolled: 1-line block ×7, first 2 shown]
	s_nop 0
	scratch_store_dwordx4 off, v[90:93], off offset:656 ; 16-byte Folded Spill
	s_nop 0
	scratch_store_dwordx4 off, v[94:97], off offset:672 ; 16-byte Folded Spill
	scratch_store_dwordx4 off, v[98:101], off offset:688 ; 16-byte Folded Spill
	;; [unrolled: 1-line block ×7, first 2 shown]
	s_waitcnt vmcnt(9)
	v_mov_b32_e32 v59, v248
	v_mov_b64_e32 v[34:35], v[144:145]
	v_mov_b64_e32 v[80:81], v[202:203]
	v_mov_b32_e32 v52, v214
	v_mov_b32_e32 v53, v215
	v_mov_b64_e32 v[36:37], v[146:147]
	v_mov_b64_e32 v[38:39], v[148:149]
	;; [unrolled: 1-line block ×9, first 2 shown]
	v_mov_b32_e32 v146, v200
	v_mov_b32_e32 v147, v201
	s_waitcnt vmcnt(8)
	v_mov_b32_e32 v62, v154
	v_mov_b32_e32 v63, v155
	;; [unrolled: 1-line block ×8, first 2 shown]
	v_mov_b64_e32 v[14:15], v[20:21]
	v_mov_b64_e32 v[16:17], v[22:23]
	;; [unrolled: 1-line block ×7, first 2 shown]
	v_mov_b32_e32 v64, v32
	v_mov_b32_e32 v65, v33
	;; [unrolled: 1-line block ×9, first 2 shown]
	v_pk_fma_f32 v[78:79], v[248:249], v[250:251], v[60:61] op_sel_hi:[0,1,1] neg_lo:[1,0,0] neg_hi:[1,0,0]
	scratch_store_dwordx4 off, v[108:111], off offset:272 ; 16-byte Folded Spill
	s_nop 0
	scratch_store_dwordx4 off, v[112:115], off offset:288 ; 16-byte Folded Spill
	scratch_store_dwordx4 off, v[116:119], off offset:304 ; 16-byte Folded Spill
	;; [unrolled: 1-line block ×8, first 2 shown]
	s_nop 0
	scratch_store_dwordx4 off, v[226:229], off offset:928 ; 16-byte Folded Spill
	scratch_store_dwordx4 off, v[230:233], off offset:944 ; 16-byte Folded Spill
	;; [unrolled: 1-line block ×7, first 2 shown]
	scratch_load_dwordx4 v[90:93], off, off offset:8 ; 16-byte Folded Reload
	scratch_load_dwordx4 v[94:97], off, off offset:24 ; 16-byte Folded Reload
	;; [unrolled: 1-line block ×8, first 2 shown]
	v_mov_b32_e32 v60, v210
	v_mov_b32_e32 v61, v211
	;; [unrolled: 1-line block ×13, first 2 shown]
	s_waitcnt vmcnt(6)
	v_mov_b32_e32 v97, v248
	scratch_store_dwordx4 off, v[90:93], off offset:8 ; 16-byte Folded Spill
	s_nop 0
	scratch_store_dwordx4 off, v[94:97], off offset:24 ; 16-byte Folded Spill
	s_waitcnt vmcnt(7)
	scratch_store_dwordx4 off, v[98:101], off offset:40 ; 16-byte Folded Spill
	s_waitcnt vmcnt(7)
	;; [unrolled: 2-line block ×6, first 2 shown]
	scratch_store_dwordx4 off, v[118:121], off offset:120 ; 16-byte Folded Spill
	scratch_load_dwordx4 v[90:93], off, off offset:656 ; 16-byte Folded Reload
	s_nop 0
	scratch_load_dwordx4 v[94:97], off, off offset:672 ; 16-byte Folded Reload
	scratch_load_dwordx4 v[98:101], off, off offset:688 ; 16-byte Folded Reload
	;; [unrolled: 1-line block ×7, first 2 shown]
	s_nop 0
	scratch_store_dwordx4 off, v[184:187], off offset:1680 ; 16-byte Folded Spill
	s_nop 0
	scratch_store_dwordx4 off, v[188:191], off offset:1696 ; 16-byte Folded Spill
	scratch_store_dwordx4 off, v[192:195], off offset:1712 ; 16-byte Folded Spill
	;; [unrolled: 1-line block ×7, first 2 shown]
	v_mov_b64_e32 v[206:207], v[182:183]
	v_mov_b32_e32 v137, v248
	v_mov_b64_e32 v[204:205], v[180:181]
	v_mov_b64_e32 v[202:203], v[178:179]
	;; [unrolled: 1-line block ×12, first 2 shown]
	s_waitcnt vmcnt(12)
	v_mov_b32_e32 v144, v104
	v_mov_b32_e32 v145, v105
	scratch_load_dwordx4 v[90:93], off, off offset:272 ; 16-byte Folded Reload
	scratch_load_dwordx4 v[94:97], off, off offset:288 ; 16-byte Folded Reload
	;; [unrolled: 1-line block ×8, first 2 shown]
	s_waitcnt vmcnt(4)
	v_mov_b64_e32 v[236:237], v[104:105]
	v_mov_b64_e32 v[234:235], v[102:103]
	s_waitcnt vmcnt(2)
	v_mov_b64_e32 v[242:243], v[110:111]
	v_mov_b64_e32 v[232:233], v[100:101]
	;; [unrolled: 1-line block ×9, first 2 shown]
	scratch_load_dwordx4 v[90:93], off, off offset:912 ; 16-byte Folded Reload
	scratch_load_dwordx4 v[94:97], off, off offset:928 ; 16-byte Folded Reload
	scratch_load_dwordx4 v[98:101], off, off offset:944 ; 16-byte Folded Reload
	scratch_load_dwordx4 v[102:105], off, off offset:960 ; 16-byte Folded Reload
	scratch_load_dwordx4 v[106:109], off, off offset:976 ; 16-byte Folded Reload
	scratch_load_dwordx4 v[110:113], off, off offset:992 ; 16-byte Folded Reload
	scratch_load_dwordx4 v[114:117], off, off offset:1008 ; 16-byte Folded Reload
	scratch_load_dwordx4 v[118:121], off, off offset:1024 ; 16-byte Folded Reload
	v_mov_b32_e32 v150, v242
	v_mov_b32_e32 v151, v243
	s_waitcnt vmcnt(2)
	v_mov_b32_e32 v152, v112
	v_mov_b32_e32 v153, v113
	scratch_store_dwordx4 off, v[130:133], off offset:784 ; 16-byte Folded Spill
	s_nop 0
	scratch_store_dwordx4 off, v[134:137], off offset:800 ; 16-byte Folded Spill
	scratch_store_dwordx4 off, v[138:141], off offset:816 ; 16-byte Folded Spill
	;; [unrolled: 1-line block ×7, first 2 shown]
	scratch_load_dwordx4 v[92:95], off, off offset:8 ; 16-byte Folded Reload
	scratch_load_dwordx4 v[96:99], off, off offset:24 ; 16-byte Folded Reload
	;; [unrolled: 1-line block ×8, first 2 shown]
	s_waitcnt vmcnt(7)
	v_mov_b32_e32 v92, v214
	scratch_store_dwordx4 off, v[92:95], off offset:8 ; 16-byte Folded Spill
	s_waitcnt vmcnt(7)
	scratch_store_dwordx4 off, v[96:99], off offset:24 ; 16-byte Folded Spill
	s_waitcnt vmcnt(7)
	scratch_store_dwordx4 off, v[100:103], off offset:40 ; 16-byte Folded Spill
	s_waitcnt vmcnt(7)
	scratch_store_dwordx4 off, v[104:107], off offset:56 ; 16-byte Folded Spill
	s_waitcnt vmcnt(7)
	scratch_store_dwordx4 off, v[108:111], off offset:72 ; 16-byte Folded Spill
	s_waitcnt vmcnt(7)
	scratch_store_dwordx4 off, v[112:115], off offset:88 ; 16-byte Folded Spill
	s_waitcnt vmcnt(7)
	scratch_store_dwordx4 off, v[116:119], off offset:104 ; 16-byte Folded Spill
	s_waitcnt vmcnt(7)
	scratch_store_dwordx4 off, v[120:123], off offset:120 ; 16-byte Folded Spill
	scratch_load_dwordx4 v[90:93], off, off offset:8 ; 16-byte Folded Reload
	s_nop 0
	scratch_load_dwordx4 v[94:97], off, off offset:24 ; 16-byte Folded Reload
	scratch_load_dwordx4 v[98:101], off, off offset:40 ; 16-byte Folded Reload
	scratch_load_dwordx4 v[102:105], off, off offset:56 ; 16-byte Folded Reload
	scratch_load_dwordx4 v[106:109], off, off offset:72 ; 16-byte Folded Reload
	scratch_load_dwordx4 v[110:113], off, off offset:88 ; 16-byte Folded Reload
	scratch_load_dwordx4 v[114:117], off, off offset:104 ; 16-byte Folded Reload
	scratch_load_dwordx4 v[118:121], off, off offset:120 ; 16-byte Folded Reload
	s_waitcnt vmcnt(7)
	v_mov_b32_e32 v91, v215
	scratch_store_dwordx4 off, v[90:93], off offset:8 ; 16-byte Folded Spill
	s_waitcnt vmcnt(7)
	scratch_store_dwordx4 off, v[94:97], off offset:24 ; 16-byte Folded Spill
	s_waitcnt vmcnt(7)
	scratch_store_dwordx4 off, v[98:101], off offset:40 ; 16-byte Folded Spill
	s_waitcnt vmcnt(7)
	scratch_store_dwordx4 off, v[102:105], off offset:56 ; 16-byte Folded Spill
	s_waitcnt vmcnt(7)
	scratch_store_dwordx4 off, v[106:109], off offset:72 ; 16-byte Folded Spill
	s_waitcnt vmcnt(7)
	scratch_store_dwordx4 off, v[110:113], off offset:88 ; 16-byte Folded Spill
	s_waitcnt vmcnt(7)
	scratch_store_dwordx4 off, v[114:117], off offset:104 ; 16-byte Folded Spill
	s_waitcnt vmcnt(7)
	scratch_store_dwordx4 off, v[118:121], off offset:120 ; 16-byte Folded Spill
	scratch_load_dwordx4 v[90:93], off, off offset:8 ; 16-byte Folded Reload
	s_nop 0
	scratch_load_dwordx4 v[94:97], off, off offset:24 ; 16-byte Folded Reload
	scratch_load_dwordx4 v[98:101], off, off offset:40 ; 16-byte Folded Reload
	scratch_load_dwordx4 v[102:105], off, off offset:56 ; 16-byte Folded Reload
	scratch_load_dwordx4 v[106:109], off, off offset:72 ; 16-byte Folded Reload
	scratch_load_dwordx4 v[110:113], off, off offset:88 ; 16-byte Folded Reload
	scratch_load_dwordx4 v[114:117], off, off offset:104 ; 16-byte Folded Reload
	scratch_load_dwordx4 v[118:121], off, off offset:120 ; 16-byte Folded Reload
	;; [unrolled: 26-line block ×4, first 2 shown]
	s_waitcnt vmcnt(6)
	v_mov_b32_e32 v94, v218
	scratch_store_dwordx4 off, v[90:93], off offset:8 ; 16-byte Folded Spill
	s_nop 0
	scratch_store_dwordx4 off, v[94:97], off offset:24 ; 16-byte Folded Spill
	s_waitcnt vmcnt(7)
	scratch_store_dwordx4 off, v[98:101], off offset:40 ; 16-byte Folded Spill
	s_waitcnt vmcnt(7)
	scratch_store_dwordx4 off, v[102:105], off offset:56 ; 16-byte Folded Spill
	s_waitcnt vmcnt(7)
	scratch_store_dwordx4 off, v[106:109], off offset:72 ; 16-byte Folded Spill
	s_waitcnt vmcnt(7)
	scratch_store_dwordx4 off, v[110:113], off offset:88 ; 16-byte Folded Spill
	s_waitcnt vmcnt(7)
	scratch_store_dwordx4 off, v[114:117], off offset:104 ; 16-byte Folded Spill
	s_waitcnt vmcnt(7)
	scratch_store_dwordx4 off, v[118:121], off offset:120 ; 16-byte Folded Spill
	scratch_load_dwordx4 v[90:93], off, off offset:8 ; 16-byte Folded Reload
	s_nop 0
	scratch_load_dwordx4 v[94:97], off, off offset:24 ; 16-byte Folded Reload
	scratch_load_dwordx4 v[98:101], off, off offset:40 ; 16-byte Folded Reload
	scratch_load_dwordx4 v[102:105], off, off offset:56 ; 16-byte Folded Reload
	scratch_load_dwordx4 v[106:109], off, off offset:72 ; 16-byte Folded Reload
	scratch_load_dwordx4 v[110:113], off, off offset:88 ; 16-byte Folded Reload
	scratch_load_dwordx4 v[114:117], off, off offset:104 ; 16-byte Folded Reload
	scratch_load_dwordx4 v[118:121], off, off offset:120 ; 16-byte Folded Reload
	s_waitcnt vmcnt(6)
	v_mov_b32_e32 v95, v219
	scratch_store_dwordx4 off, v[90:93], off offset:8 ; 16-byte Folded Spill
	s_nop 0
	scratch_store_dwordx4 off, v[94:97], off offset:24 ; 16-byte Folded Spill
	s_waitcnt vmcnt(7)
	scratch_store_dwordx4 off, v[98:101], off offset:40 ; 16-byte Folded Spill
	s_waitcnt vmcnt(7)
	scratch_store_dwordx4 off, v[102:105], off offset:56 ; 16-byte Folded Spill
	s_waitcnt vmcnt(7)
	scratch_store_dwordx4 off, v[106:109], off offset:72 ; 16-byte Folded Spill
	s_waitcnt vmcnt(7)
	scratch_store_dwordx4 off, v[110:113], off offset:88 ; 16-byte Folded Spill
	s_waitcnt vmcnt(7)
	scratch_store_dwordx4 off, v[114:117], off offset:104 ; 16-byte Folded Spill
	s_waitcnt vmcnt(7)
	scratch_store_dwordx4 off, v[118:121], off offset:120 ; 16-byte Folded Spill
	scratch_load_dwordx4 v[90:93], off, off offset:8 ; 16-byte Folded Reload
	s_nop 0
	scratch_load_dwordx4 v[94:97], off, off offset:24 ; 16-byte Folded Reload
	scratch_load_dwordx4 v[98:101], off, off offset:40 ; 16-byte Folded Reload
	scratch_load_dwordx4 v[102:105], off, off offset:56 ; 16-byte Folded Reload
	scratch_load_dwordx4 v[106:109], off, off offset:72 ; 16-byte Folded Reload
	scratch_load_dwordx4 v[110:113], off, off offset:88 ; 16-byte Folded Reload
	scratch_load_dwordx4 v[114:117], off, off offset:104 ; 16-byte Folded Reload
	scratch_load_dwordx4 v[118:121], off, off offset:120 ; 16-byte Folded Reload
	;; [unrolled: 26-line block ×3, first 2 shown]
	s_waitcnt vmcnt(5)
	v_mov_b32_e32 v98, v88
	scratch_store_dwordx4 off, v[90:93], off offset:8 ; 16-byte Folded Spill
	s_nop 0
	scratch_store_dwordx4 off, v[94:97], off offset:24 ; 16-byte Folded Spill
	scratch_store_dwordx4 off, v[98:101], off offset:40 ; 16-byte Folded Spill
	s_waitcnt vmcnt(7)
	scratch_store_dwordx4 off, v[102:105], off offset:56 ; 16-byte Folded Spill
	s_waitcnt vmcnt(7)
	scratch_store_dwordx4 off, v[106:109], off offset:72 ; 16-byte Folded Spill
	s_waitcnt vmcnt(7)
	scratch_store_dwordx4 off, v[110:113], off offset:88 ; 16-byte Folded Spill
	s_waitcnt vmcnt(7)
	scratch_store_dwordx4 off, v[114:117], off offset:104 ; 16-byte Folded Spill
	s_waitcnt vmcnt(7)
	scratch_store_dwordx4 off, v[118:121], off offset:120 ; 16-byte Folded Spill
	scratch_load_dwordx4 v[90:93], off, off offset:8 ; 16-byte Folded Reload
	s_nop 0
	scratch_load_dwordx4 v[94:97], off, off offset:24 ; 16-byte Folded Reload
	scratch_load_dwordx4 v[98:101], off, off offset:40 ; 16-byte Folded Reload
	scratch_load_dwordx4 v[102:105], off, off offset:56 ; 16-byte Folded Reload
	scratch_load_dwordx4 v[106:109], off, off offset:72 ; 16-byte Folded Reload
	scratch_load_dwordx4 v[110:113], off, off offset:88 ; 16-byte Folded Reload
	scratch_load_dwordx4 v[114:117], off, off offset:104 ; 16-byte Folded Reload
	scratch_load_dwordx4 v[118:121], off, off offset:120 ; 16-byte Folded Reload
	s_waitcnt vmcnt(5)
	v_mov_b32_e32 v99, v89
	scratch_store_dwordx4 off, v[90:93], off offset:8 ; 16-byte Folded Spill
	s_nop 0
	scratch_store_dwordx4 off, v[94:97], off offset:24 ; 16-byte Folded Spill
	scratch_store_dwordx4 off, v[98:101], off offset:40 ; 16-byte Folded Spill
	s_waitcnt vmcnt(7)
	scratch_store_dwordx4 off, v[102:105], off offset:56 ; 16-byte Folded Spill
	s_waitcnt vmcnt(7)
	scratch_store_dwordx4 off, v[106:109], off offset:72 ; 16-byte Folded Spill
	s_waitcnt vmcnt(7)
	scratch_store_dwordx4 off, v[110:113], off offset:88 ; 16-byte Folded Spill
	s_waitcnt vmcnt(7)
	scratch_store_dwordx4 off, v[114:117], off offset:104 ; 16-byte Folded Spill
	s_waitcnt vmcnt(7)
	scratch_store_dwordx4 off, v[118:121], off offset:120 ; 16-byte Folded Spill
	scratch_load_dwordx4 v[90:93], off, off offset:8 ; 16-byte Folded Reload
	s_nop 0
	scratch_load_dwordx4 v[94:97], off, off offset:24 ; 16-byte Folded Reload
	scratch_load_dwordx4 v[98:101], off, off offset:40 ; 16-byte Folded Reload
	scratch_load_dwordx4 v[102:105], off, off offset:56 ; 16-byte Folded Reload
	scratch_load_dwordx4 v[106:109], off, off offset:72 ; 16-byte Folded Reload
	scratch_load_dwordx4 v[110:113], off, off offset:88 ; 16-byte Folded Reload
	scratch_load_dwordx4 v[114:117], off, off offset:104 ; 16-byte Folded Reload
	scratch_load_dwordx4 v[118:121], off, off offset:120 ; 16-byte Folded Reload
	;; [unrolled: 25-line block ×4, first 2 shown]
	s_waitcnt vmcnt(4)
	v_mov_b32_e32 v102, v26
	scratch_store_dwordx4 off, v[90:93], off offset:8 ; 16-byte Folded Spill
	s_nop 0
	scratch_store_dwordx4 off, v[94:97], off offset:24 ; 16-byte Folded Spill
	scratch_store_dwordx4 off, v[98:101], off offset:40 ; 16-byte Folded Spill
	;; [unrolled: 1-line block ×3, first 2 shown]
	s_waitcnt vmcnt(7)
	scratch_store_dwordx4 off, v[106:109], off offset:72 ; 16-byte Folded Spill
	s_waitcnt vmcnt(7)
	scratch_store_dwordx4 off, v[110:113], off offset:88 ; 16-byte Folded Spill
	;; [unrolled: 2-line block ×4, first 2 shown]
	scratch_load_dwordx4 v[90:93], off, off offset:8 ; 16-byte Folded Reload
	s_nop 0
	scratch_load_dwordx4 v[94:97], off, off offset:24 ; 16-byte Folded Reload
	scratch_load_dwordx4 v[98:101], off, off offset:40 ; 16-byte Folded Reload
	;; [unrolled: 1-line block ×7, first 2 shown]
	s_waitcnt vmcnt(4)
	v_mov_b32_e32 v103, v27
	scratch_store_dwordx4 off, v[90:93], off offset:8 ; 16-byte Folded Spill
	s_nop 0
	scratch_store_dwordx4 off, v[94:97], off offset:24 ; 16-byte Folded Spill
	scratch_store_dwordx4 off, v[98:101], off offset:40 ; 16-byte Folded Spill
	scratch_store_dwordx4 off, v[102:105], off offset:56 ; 16-byte Folded Spill
	s_waitcnt vmcnt(7)
	scratch_store_dwordx4 off, v[106:109], off offset:72 ; 16-byte Folded Spill
	s_waitcnt vmcnt(7)
	scratch_store_dwordx4 off, v[110:113], off offset:88 ; 16-byte Folded Spill
	;; [unrolled: 2-line block ×4, first 2 shown]
	scratch_store_dwordx4 off, v[14:17], off offset:1936 ; 16-byte Folded Spill
	s_nop 0
	scratch_store_dwordx4 off, v[18:21], off offset:1952 ; 16-byte Folded Spill
	scratch_store_dwordx4 off, v[22:25], off offset:1968 ; 16-byte Folded Spill
	;; [unrolled: 1-line block ×7, first 2 shown]
	scratch_load_dwordx4 v[0:3], off, off offset:8 ; 16-byte Folded Reload
	s_nop 0
	scratch_load_dwordx4 v[4:7], off, off offset:24 ; 16-byte Folded Reload
	scratch_load_dwordx4 v[8:11], off, off offset:40 ; 16-byte Folded Reload
	;; [unrolled: 1-line block ×15, first 2 shown]
	s_waitcnt vmcnt(4)
	v_mov_b32_e32 v14, v104
	scratch_store_dwordx4 off, v[0:3], off offset:8 ; 16-byte Folded Spill
	s_nop 0
	scratch_store_dwordx4 off, v[4:7], off offset:24 ; 16-byte Folded Spill
	scratch_store_dwordx4 off, v[8:11], off offset:40 ; 16-byte Folded Spill
	;; [unrolled: 1-line block ×7, first 2 shown]
	scratch_load_dwordx4 v[0:3], off, off offset:8 ; 16-byte Folded Reload
	s_nop 0
	scratch_load_dwordx4 v[4:7], off, off offset:24 ; 16-byte Folded Reload
	scratch_load_dwordx4 v[8:11], off, off offset:40 ; 16-byte Folded Reload
	scratch_load_dwordx4 v[12:15], off, off offset:56 ; 16-byte Folded Reload
	scratch_load_dwordx4 v[16:19], off, off offset:72 ; 16-byte Folded Reload
	scratch_load_dwordx4 v[20:23], off, off offset:88 ; 16-byte Folded Reload
	scratch_load_dwordx4 v[24:27], off, off offset:104 ; 16-byte Folded Reload
	scratch_load_dwordx4 v[28:31], off, off offset:120 ; 16-byte Folded Reload
	s_waitcnt vmcnt(4)
	v_mov_b32_e32 v15, v105
	scratch_store_dwordx4 off, v[0:3], off offset:8 ; 16-byte Folded Spill
	s_nop 0
	scratch_store_dwordx4 off, v[4:7], off offset:24 ; 16-byte Folded Spill
	scratch_store_dwordx4 off, v[8:11], off offset:40 ; 16-byte Folded Spill
	;; [unrolled: 1-line block ×3, first 2 shown]
	s_waitcnt vmcnt(7)
	scratch_store_dwordx4 off, v[16:19], off offset:72 ; 16-byte Folded Spill
	s_waitcnt vmcnt(7)
	scratch_store_dwordx4 off, v[20:23], off offset:88 ; 16-byte Folded Spill
	;; [unrolled: 2-line block ×4, first 2 shown]
	scratch_load_dwordx4 v[0:3], off, off offset:8 ; 16-byte Folded Reload
	s_nop 0
	scratch_load_dwordx4 v[4:7], off, off offset:24 ; 16-byte Folded Reload
	scratch_load_dwordx4 v[8:11], off, off offset:40 ; 16-byte Folded Reload
	;; [unrolled: 1-line block ×15, first 2 shown]
	s_waitcnt vmcnt(3)
	v_mov_b64_e32 v[128:129], v[106:107]
	v_mov_b32_e32 v16, v128
	scratch_store_dwordx4 off, v[0:3], off offset:8 ; 16-byte Folded Spill
	s_nop 0
	scratch_store_dwordx4 off, v[4:7], off offset:24 ; 16-byte Folded Spill
	scratch_store_dwordx4 off, v[8:11], off offset:40 ; 16-byte Folded Spill
	;; [unrolled: 1-line block ×7, first 2 shown]
	scratch_load_dwordx4 v[0:3], off, off offset:8 ; 16-byte Folded Reload
	s_nop 0
	scratch_load_dwordx4 v[4:7], off, off offset:24 ; 16-byte Folded Reload
	scratch_load_dwordx4 v[8:11], off, off offset:40 ; 16-byte Folded Reload
	;; [unrolled: 1-line block ×7, first 2 shown]
	s_waitcnt vmcnt(3)
	v_mov_b32_e32 v17, v129
	scratch_store_dwordx4 off, v[0:3], off offset:8 ; 16-byte Folded Spill
	s_nop 0
	scratch_store_dwordx4 off, v[4:7], off offset:24 ; 16-byte Folded Spill
	scratch_store_dwordx4 off, v[8:11], off offset:40 ; 16-byte Folded Spill
	scratch_store_dwordx4 off, v[12:15], off offset:56 ; 16-byte Folded Spill
	scratch_store_dwordx4 off, v[16:19], off offset:72 ; 16-byte Folded Spill
	s_waitcnt vmcnt(7)
	scratch_store_dwordx4 off, v[20:23], off offset:88 ; 16-byte Folded Spill
	s_waitcnt vmcnt(7)
	scratch_store_dwordx4 off, v[24:27], off offset:104 ; 16-byte Folded Spill
	;; [unrolled: 2-line block ×3, first 2 shown]
	scratch_load_dwordx4 v[0:3], off, off offset:400 ; 16-byte Folded Reload
	s_nop 0
	scratch_load_dwordx4 v[4:7], off, off offset:416 ; 16-byte Folded Reload
	scratch_load_dwordx4 v[8:11], off, off offset:432 ; 16-byte Folded Reload
	;; [unrolled: 1-line block ×7, first 2 shown]
	s_waitcnt vmcnt(3)
	v_mov_b64_e32 v[148:149], v[18:19]
	v_mov_b64_e32 v[146:147], v[16:17]
	scratch_load_dwordx4 v[0:3], off, off offset:8 ; 16-byte Folded Reload
	scratch_load_dwordx4 v[4:7], off, off offset:24 ; 16-byte Folded Reload
	;; [unrolled: 1-line block ×8, first 2 shown]
	s_waitcnt vmcnt(3)
	v_mov_b32_e32 v18, v148
	scratch_store_dwordx4 off, v[0:3], off offset:8 ; 16-byte Folded Spill
	s_nop 0
	scratch_store_dwordx4 off, v[4:7], off offset:24 ; 16-byte Folded Spill
	scratch_store_dwordx4 off, v[8:11], off offset:40 ; 16-byte Folded Spill
	;; [unrolled: 1-line block ×4, first 2 shown]
	s_waitcnt vmcnt(7)
	scratch_store_dwordx4 off, v[20:23], off offset:88 ; 16-byte Folded Spill
	s_waitcnt vmcnt(7)
	scratch_store_dwordx4 off, v[24:27], off offset:104 ; 16-byte Folded Spill
	;; [unrolled: 2-line block ×3, first 2 shown]
	scratch_load_dwordx4 v[0:3], off, off offset:8 ; 16-byte Folded Reload
	s_nop 0
	scratch_load_dwordx4 v[4:7], off, off offset:24 ; 16-byte Folded Reload
	scratch_load_dwordx4 v[8:11], off, off offset:40 ; 16-byte Folded Reload
	scratch_load_dwordx4 v[12:15], off, off offset:56 ; 16-byte Folded Reload
	scratch_load_dwordx4 v[16:19], off, off offset:72 ; 16-byte Folded Reload
	scratch_load_dwordx4 v[20:23], off, off offset:88 ; 16-byte Folded Reload
	scratch_load_dwordx4 v[24:27], off, off offset:104 ; 16-byte Folded Reload
	scratch_load_dwordx4 v[28:31], off, off offset:120 ; 16-byte Folded Reload
	s_waitcnt vmcnt(3)
	v_mov_b32_e32 v19, v149
	scratch_store_dwordx4 off, v[0:3], off offset:8 ; 16-byte Folded Spill
	s_nop 0
	scratch_store_dwordx4 off, v[4:7], off offset:24 ; 16-byte Folded Spill
	scratch_store_dwordx4 off, v[8:11], off offset:40 ; 16-byte Folded Spill
	;; [unrolled: 1-line block ×4, first 2 shown]
	s_waitcnt vmcnt(7)
	scratch_store_dwordx4 off, v[20:23], off offset:88 ; 16-byte Folded Spill
	s_waitcnt vmcnt(7)
	scratch_store_dwordx4 off, v[24:27], off offset:104 ; 16-byte Folded Spill
	;; [unrolled: 2-line block ×3, first 2 shown]
	scratch_load_dwordx4 v[0:3], off, off offset:8 ; 16-byte Folded Reload
	s_nop 0
	scratch_load_dwordx4 v[4:7], off, off offset:24 ; 16-byte Folded Reload
	scratch_load_dwordx4 v[8:11], off, off offset:40 ; 16-byte Folded Reload
	;; [unrolled: 1-line block ×7, first 2 shown]
	s_waitcnt vmcnt(2)
	v_mov_b32_e32 v20, v242
	scratch_store_dwordx4 off, v[0:3], off offset:8 ; 16-byte Folded Spill
	s_nop 0
	scratch_store_dwordx4 off, v[4:7], off offset:24 ; 16-byte Folded Spill
	scratch_store_dwordx4 off, v[8:11], off offset:40 ; 16-byte Folded Spill
	;; [unrolled: 1-line block ×5, first 2 shown]
	s_waitcnt vmcnt(7)
	scratch_store_dwordx4 off, v[24:27], off offset:104 ; 16-byte Folded Spill
	s_waitcnt vmcnt(7)
	scratch_store_dwordx4 off, v[28:31], off offset:120 ; 16-byte Folded Spill
	scratch_load_dwordx4 v[0:3], off, off offset:8 ; 16-byte Folded Reload
	s_nop 0
	scratch_load_dwordx4 v[4:7], off, off offset:24 ; 16-byte Folded Reload
	scratch_load_dwordx4 v[8:11], off, off offset:40 ; 16-byte Folded Reload
	;; [unrolled: 1-line block ×7, first 2 shown]
	s_waitcnt vmcnt(2)
	v_mov_b32_e32 v21, v243
	scratch_store_dwordx4 off, v[0:3], off offset:8 ; 16-byte Folded Spill
	s_nop 0
	scratch_store_dwordx4 off, v[4:7], off offset:24 ; 16-byte Folded Spill
	scratch_store_dwordx4 off, v[8:11], off offset:40 ; 16-byte Folded Spill
	;; [unrolled: 1-line block ×5, first 2 shown]
	s_waitcnt vmcnt(7)
	scratch_store_dwordx4 off, v[24:27], off offset:104 ; 16-byte Folded Spill
	s_waitcnt vmcnt(7)
	scratch_store_dwordx4 off, v[28:31], off offset:120 ; 16-byte Folded Spill
	scratch_load_dwordx4 v[0:3], off, off offset:8 ; 16-byte Folded Reload
	s_nop 0
	scratch_load_dwordx4 v[4:7], off, off offset:24 ; 16-byte Folded Reload
	scratch_load_dwordx4 v[8:11], off, off offset:40 ; 16-byte Folded Reload
	;; [unrolled: 1-line block ×15, first 2 shown]
	s_waitcnt vmcnt(0)
	v_mov_b64_e32 v[172:173], v[144:145]
	v_mov_b64_e32 v[170:171], v[142:143]
	;; [unrolled: 1-line block ×3, first 2 shown]
	v_mov_b32_e32 v22, v180
	scratch_store_dwordx4 off, v[0:3], off offset:8 ; 16-byte Folded Spill
	s_nop 0
	scratch_store_dwordx4 off, v[4:7], off offset:24 ; 16-byte Folded Spill
	scratch_store_dwordx4 off, v[8:11], off offset:40 ; 16-byte Folded Spill
	;; [unrolled: 1-line block ×7, first 2 shown]
	scratch_load_dwordx4 v[0:3], off, off offset:8 ; 16-byte Folded Reload
	s_nop 0
	scratch_load_dwordx4 v[4:7], off, off offset:24 ; 16-byte Folded Reload
	scratch_load_dwordx4 v[8:11], off, off offset:40 ; 16-byte Folded Reload
	;; [unrolled: 1-line block ×7, first 2 shown]
	s_waitcnt vmcnt(2)
	v_mov_b32_e32 v23, v181
	scratch_store_dwordx4 off, v[0:3], off offset:8 ; 16-byte Folded Spill
	s_nop 0
	scratch_store_dwordx4 off, v[4:7], off offset:24 ; 16-byte Folded Spill
	scratch_store_dwordx4 off, v[8:11], off offset:40 ; 16-byte Folded Spill
	;; [unrolled: 1-line block ×5, first 2 shown]
	s_waitcnt vmcnt(7)
	scratch_store_dwordx4 off, v[24:27], off offset:104 ; 16-byte Folded Spill
	s_waitcnt vmcnt(7)
	scratch_store_dwordx4 off, v[28:31], off offset:120 ; 16-byte Folded Spill
	scratch_load_dwordx4 v[0:3], off, off offset:8 ; 16-byte Folded Reload
	s_nop 0
	scratch_load_dwordx4 v[4:7], off, off offset:24 ; 16-byte Folded Reload
	scratch_load_dwordx4 v[8:11], off, off offset:40 ; 16-byte Folded Reload
	scratch_load_dwordx4 v[12:15], off, off offset:56 ; 16-byte Folded Reload
	scratch_load_dwordx4 v[16:19], off, off offset:72 ; 16-byte Folded Reload
	scratch_load_dwordx4 v[20:23], off, off offset:88 ; 16-byte Folded Reload
	scratch_load_dwordx4 v[24:27], off, off offset:104 ; 16-byte Folded Reload
	scratch_load_dwordx4 v[28:31], off, off offset:120 ; 16-byte Folded Reload
	s_waitcnt vmcnt(1)
	v_mov_b32_e32 v24, v206
	scratch_store_dwordx4 off, v[0:3], off offset:8 ; 16-byte Folded Spill
	s_nop 0
	scratch_store_dwordx4 off, v[4:7], off offset:24 ; 16-byte Folded Spill
	scratch_store_dwordx4 off, v[8:11], off offset:40 ; 16-byte Folded Spill
	scratch_store_dwordx4 off, v[12:15], off offset:56 ; 16-byte Folded Spill
	scratch_store_dwordx4 off, v[16:19], off offset:72 ; 16-byte Folded Spill
	scratch_store_dwordx4 off, v[20:23], off offset:88 ; 16-byte Folded Spill
	scratch_store_dwordx4 off, v[24:27], off offset:104 ; 16-byte Folded Spill
	s_waitcnt vmcnt(7)
	scratch_store_dwordx4 off, v[28:31], off offset:120 ; 16-byte Folded Spill
	scratch_load_dwordx4 v[0:3], off, off offset:8 ; 16-byte Folded Reload
	s_nop 0
	scratch_load_dwordx4 v[4:7], off, off offset:24 ; 16-byte Folded Reload
	scratch_load_dwordx4 v[8:11], off, off offset:40 ; 16-byte Folded Reload
	scratch_load_dwordx4 v[12:15], off, off offset:56 ; 16-byte Folded Reload
	scratch_load_dwordx4 v[16:19], off, off offset:72 ; 16-byte Folded Reload
	scratch_load_dwordx4 v[20:23], off, off offset:88 ; 16-byte Folded Reload
	scratch_load_dwordx4 v[24:27], off, off offset:104 ; 16-byte Folded Reload
	scratch_load_dwordx4 v[28:31], off, off offset:120 ; 16-byte Folded Reload
	s_waitcnt vmcnt(1)
	v_mov_b32_e32 v25, v207
	scratch_store_dwordx4 off, v[0:3], off offset:8 ; 16-byte Folded Spill
	s_nop 0
	scratch_store_dwordx4 off, v[4:7], off offset:24 ; 16-byte Folded Spill
	scratch_store_dwordx4 off, v[8:11], off offset:40 ; 16-byte Folded Spill
	scratch_store_dwordx4 off, v[12:15], off offset:56 ; 16-byte Folded Spill
	scratch_store_dwordx4 off, v[16:19], off offset:72 ; 16-byte Folded Spill
	scratch_store_dwordx4 off, v[20:23], off offset:88 ; 16-byte Folded Spill
	;; [unrolled: 21-line block ×4, first 2 shown]
	scratch_store_dwordx4 off, v[24:27], off offset:104 ; 16-byte Folded Spill
	s_waitcnt vmcnt(7)
	scratch_store_dwordx4 off, v[28:31], off offset:120 ; 16-byte Folded Spill
	scratch_store_dwordx4 off, v[214:217], s2 ; 16-byte Folded Spill
	s_nop 0
	scratch_store_dwordx4 off, v[218:221], s2 offset:16 ; 16-byte Folded Spill
	scratch_store_dwordx4 off, v[222:225], s2 offset:32 ; 16-byte Folded Spill
	;; [unrolled: 1-line block ×7, first 2 shown]
	scratch_load_dwordx4 v[0:3], off, off offset:8 ; 16-byte Folded Reload
	scratch_load_dwordx4 v[4:7], off, off offset:24 ; 16-byte Folded Reload
	;; [unrolled: 1-line block ×8, first 2 shown]
	v_mov_b64_e32 v[168:169], v[140:141]
	v_mov_b64_e32 v[166:167], v[138:139]
	;; [unrolled: 1-line block ×11, first 2 shown]
	s_movk_i32 s2, 0x1218
	v_mov_b64_e32 v[178:179], v[150:151]
	v_mov_b64_e32 v[176:177], v[148:149]
	;; [unrolled: 1-line block ×3, first 2 shown]
	v_mov_b32_e32 v208, v138
	v_mov_b32_e32 v83, v129
	s_waitcnt vmcnt(0)
	v_mov_b32_e32 v1, v28
	scratch_store_dwordx2 off, v[0:1], off offset:264 ; 8-byte Folded Spill
	scratch_store_dwordx4 off, v[130:133], s2 ; 16-byte Folded Spill
	s_nop 0
	scratch_store_dwordx4 off, v[134:137], s2 offset:16 ; 16-byte Folded Spill
	scratch_store_dwordx4 off, v[138:141], s2 offset:32 ; 16-byte Folded Spill
	;; [unrolled: 1-line block ×7, first 2 shown]
	v_mov_b32_e32 v211, v139
	v_mov_b64_e32 v[140:141], v[44:45]
	v_mov_b64_e32 v[138:139], v[42:43]
	;; [unrolled: 1-line block ×6, first 2 shown]
	v_mov_b32_e32 v90, v140
	scratch_store_dwordx4 off, v[130:133], off offset:3608 ; 16-byte Folded Spill
	s_nop 0
	scratch_store_dwordx4 off, v[134:137], off offset:3624 ; 16-byte Folded Spill
	scratch_store_dwordx4 off, v[138:141], off offset:3640 ; 16-byte Folded Spill
	;; [unrolled: 1-line block ×7, first 2 shown]
	scratch_load_dwordx4 v[0:3], off, off offset:1936 ; 16-byte Folded Reload
	scratch_load_dwordx4 v[4:7], off, off offset:1952 ; 16-byte Folded Reload
	;; [unrolled: 1-line block ×16, first 2 shown]
	s_waitcnt vmcnt(6)
	v_mov_b32_e32 v218, v180
	v_mov_b32_e32 v217, v181
	s_waitcnt vmcnt(3)
	v_mov_b32_e32 v230, v128
	v_mov_b32_e32 v209, v141
	v_mov_b64_e32 v[142:143], v[12:13]
	scratch_load_dwordx4 v[0:3], off, off offset:400 ; 16-byte Folded Reload
	scratch_load_dwordx4 v[4:7], off, off offset:416 ; 16-byte Folded Reload
	;; [unrolled: 1-line block ×8, first 2 shown]
	v_mov_b32_e32 v80, v142
	v_mov_b32_e32 v91, v143
	;; [unrolled: 1-line block ×4, first 2 shown]
	s_waitcnt vmcnt(4)
	v_mov_b64_e32 v[106:107], v[14:15]
	s_waitcnt vmcnt(3)
	v_mov_b64_e32 v[110:111], v[18:19]
	v_mov_b64_e32 v[94:95], v[2:3]
	;; [unrolled: 1-line block ×3, first 2 shown]
	v_mov_b32_e32 v82, v110
	scratch_store_dwordx4 off, v[64:67], off offset:136 ; 16-byte Folded Spill
	s_nop 0
	scratch_store_dwordx4 off, v[68:71], off offset:152 ; 16-byte Folded Spill
	scratch_store_dwordx4 off, v[72:75], off offset:168 ; 16-byte Folded Spill
	;; [unrolled: 1-line block ×7, first 2 shown]
	v_mov_b32_e32 v81, v111
	scratch_store_dwordx4 off, v[62:65], off offset:528 ; 16-byte Folded Spill
	s_nop 0
	scratch_store_dwordx4 off, v[66:69], off offset:544 ; 16-byte Folded Spill
	scratch_store_dwordx4 off, v[70:73], off offset:560 ; 16-byte Folded Spill
	scratch_store_dwordx4 off, v[74:77], off offset:576 ; 16-byte Folded Spill
	scratch_store_dwordx4 off, v[78:81], off offset:592 ; 16-byte Folded Spill
	scratch_store_dwordx4 off, v[82:85], off offset:608 ; 16-byte Folded Spill
	scratch_store_dwordx4 off, v[86:89], off offset:624 ; 16-byte Folded Spill
	scratch_store_dwordx4 off, v[90:93], off offset:640 ; 16-byte Folded Spill
	v_mov_b64_e32 v[104:105], v[12:13]
	v_mov_b64_e32 v[102:103], v[10:11]
	;; [unrolled: 1-line block ×6, first 2 shown]
	scratch_load_dwordx4 v[0:3], off, off offset:272 ; 16-byte Folded Reload
	scratch_load_dwordx4 v[4:7], off, off offset:288 ; 16-byte Folded Reload
	;; [unrolled: 1-line block ×8, first 2 shown]
	v_mov_b64_e32 v[144:145], v[66:67]
	v_mov_b64_e32 v[156:157], v[78:79]
	;; [unrolled: 1-line block ×12, first 2 shown]
	s_waitcnt vmcnt(2)
	v_mov_b64_e32 v[50:51], v[20:21]
	v_mov_b64_e32 v[48:49], v[18:19]
	;; [unrolled: 1-line block ×3, first 2 shown]
	s_waitcnt vmcnt(1)
	v_mov_b64_e32 v[16:17], v[198:199]
	v_mov_b64_e32 v[18:19], v[200:201]
	;; [unrolled: 1-line block ×5, first 2 shown]
	scratch_store_dwordx4 off, v[182:185], off offset:1040 ; 16-byte Folded Spill
	s_nop 0
	scratch_store_dwordx4 off, v[186:189], off offset:1056 ; 16-byte Folded Spill
	scratch_store_dwordx4 off, v[190:193], off offset:1072 ; 16-byte Folded Spill
	;; [unrolled: 1-line block ×7, first 2 shown]
	scratch_load_dwordx4 v[164:167], off, off offset:8 ; 16-byte Folded Reload
	s_nop 0
	scratch_load_dwordx4 v[168:171], off, off offset:24 ; 16-byte Folded Reload
	scratch_load_dwordx4 v[172:175], off, off offset:40 ; 16-byte Folded Reload
	;; [unrolled: 1-line block ×7, first 2 shown]
	v_mov_b32_e32 v244, v50
	v_mov_b32_e32 v229, v51
	;; [unrolled: 1-line block ×3, first 2 shown]
	v_mov_b64_e32 v[148:149], v[70:71]
	v_mov_b64_e32 v[146:147], v[68:69]
	v_mov_b32_e32 v219, v25
	v_mov_b32_e32 v162, v156
	;; [unrolled: 1-line block ×3, first 2 shown]
	s_waitcnt vmcnt(0)
	v_mov_b32_e32 v33, v193
.LBB58_137:
	s_or_b64 exec, exec, s[0:1]
	s_barrier
	scratch_load_dword v0, off, off offset:4 ; 4-byte Folded Reload
	s_cmp_lt_i32 s22, 10
	s_waitcnt vmcnt(0)
	v_lshl_add_u32 v30, v0, 2, v254
	ds_write_b32 v30, v8
	s_waitcnt lgkmcnt(0)
	s_barrier
	ds_read_b32 v32, v254 offset:32
	v_mov_b32_e32 v30, 8
	s_cbranch_scc1 .LBB58_514
; %bb.138:
	scratch_load_dword v0, off, off offset:3348 ; 4-byte Folded Reload
	v_mov_b32_e32 v30, 8
	s_mov_b32 s0, 9
	v_mov_b32_e32 v67, v89
	v_mov_b32_e32 v12, v80
	;; [unrolled: 1-line block ×5, first 2 shown]
	s_waitcnt vmcnt(0)
	v_add3_u32 v31, v0, 0, 36
.LBB58_139:                             ; =>This Inner Loop Header: Depth=1
	ds_read_b32 v62, v31
	v_add_u32_e32 v31, 4, v31
	s_waitcnt lgkmcnt(0)
	v_cmp_lt_f32_e64 vcc, |v32|, |v62|
	s_nop 1
	v_cndmask_b32_e32 v32, v32, v62, vcc
	v_mov_b32_e32 v62, s0
	s_add_i32 s0, s0, 1
	v_cndmask_b32_e32 v30, v30, v62, vcc
	s_cmp_lg_u32 s22, s0
	s_cbranch_scc1 .LBB58_139
; %bb.140:
	v_cmp_eq_f32_e32 vcc, 0, v32
	s_and_saveexec_b64 s[0:1], vcc
	s_xor_b64 s[0:1], exec, s[0:1]
.LBB58_141:
	v_cmp_ne_u32_e32 vcc, 0, v246
	s_nop 1
	v_cndmask_b32_e32 v246, 9, v246, vcc
.LBB58_142:
	s_andn2_saveexec_b64 s[0:1], s[0:1]
	s_cbranch_execz .LBB58_144
; %bb.143:
	v_div_scale_f32 v31, s[2:3], v32, v32, 1.0
	v_rcp_f32_e32 v62, v31
	v_div_scale_f32 v63, vcc, 1.0, v32, 1.0
	v_fma_f32 v64, -v31, v62, 1.0
	v_fmac_f32_e32 v62, v64, v62
	v_mul_f32_e32 v64, v63, v62
	v_fma_f32 v65, -v31, v64, v63
	v_fmac_f32_e32 v64, v65, v62
	v_fma_f32 v31, -v31, v64, v63
	v_div_fmas_f32 v31, v31, v62, v64
	v_div_fixup_f32 v32, v31, v32, 1.0
.LBB58_144:
	s_or_b64 exec, exec, s[0:1]
	scratch_load_dword v0, off, off offset:4 ; 4-byte Folded Reload
	s_waitcnt vmcnt(0)
	v_cmp_ne_u32_e32 vcc, v0, v30
	s_and_saveexec_b64 s[0:1], vcc
	s_xor_b64 s[0:1], exec, s[0:1]
	s_cbranch_execz .LBB58_150
; %bb.145:
	scratch_load_dword v0, off, off offset:4 ; 4-byte Folded Reload
	s_waitcnt vmcnt(0)
	v_cmp_eq_u32_e32 vcc, 8, v0
	s_and_saveexec_b64 s[2:3], vcc
	s_cbranch_execz .LBB58_149
; %bb.146:
	v_cmp_ne_u32_e32 vcc, 8, v30
	s_xor_b64 s[18:19], s[16:17], -1
	s_and_b64 s[20:21], s[18:19], vcc
	s_and_saveexec_b64 s[18:19], s[20:21]
	s_cbranch_execz .LBB58_148
; %bb.147:
	s_movk_i32 s20, 0x1498
	scratch_load_dwordx2 v[0:1], off, s20   ; 8-byte Folded Reload
	v_ashrrev_i32_e32 v31, 31, v30
	s_waitcnt vmcnt(0)
	v_lshl_add_u64 v[62:63], v[30:31], 2, v[0:1]
	global_load_dword v31, v[62:63], off
	global_load_dword v64, v[0:1], off offset:32
	s_waitcnt vmcnt(1)
	global_store_dword v[0:1], v31, off offset:32
	s_waitcnt vmcnt(1)
	global_store_dword v[62:63], v64, off
.LBB58_148:
	s_or_b64 exec, exec, s[18:19]
	v_mov_b32_e32 v0, v30
	scratch_store_dword off, v0, off offset:2704 ; 4-byte Folded Spill
	scratch_store_dword off, v0, off offset:4 ; 4-byte Folded Spill
.LBB58_149:
	s_or_b64 exec, exec, s[2:3]
.LBB58_150:
	s_andn2_saveexec_b64 s[0:1], s[0:1]
	s_cbranch_execz .LBB58_152
; %bb.151:
	v_mov_b32_e32 v0, 8
	ds_write2_b32 v254, v173, v174 offset0:9 offset1:10
	ds_write2_b32 v254, v175, v176 offset0:11 offset1:12
	;; [unrolled: 1-line block ×10, first 2 shown]
	ds_write_b32 v254, v33 offset:116
	scratch_store_dword off, v0, off offset:4 ; 4-byte Folded Spill
.LBB58_152:
	s_or_b64 exec, exec, s[0:1]
	s_waitcnt lgkmcnt(0)
	s_barrier
	scratch_load_dword v0, off, off offset:4 ; 4-byte Folded Reload
	s_waitcnt vmcnt(0)
	v_cmp_lt_i32_e32 vcc, 8, v0
	s_and_saveexec_b64 s[0:1], vcc
	s_cbranch_execz .LBB58_154
; %bb.153:
	s_movk_i32 s2, 0x1520
	scratch_load_dwordx4 v[40:43], off, s2  ; 16-byte Folded Reload
	scratch_load_dwordx4 v[44:47], off, s2 offset:16 ; 16-byte Folded Reload
	scratch_load_dwordx4 v[48:51], off, s2 offset:32 ; 16-byte Folded Reload
	;; [unrolled: 1-line block ×7, first 2 shown]
	ds_read2_b32 v[0:1], v254 offset0:9 offset1:10
	s_waitcnt vmcnt(5)
	v_mul_f32_e32 v48, v8, v32
	ds_read2_b32 v[4:5], v254 offset0:11 offset1:12
	ds_read2_b32 v[6:7], v254 offset0:13 offset1:14
	;; [unrolled: 1-line block ×3, first 2 shown]
	v_mov_b32_e32 v2, v173
	v_mov_b32_e32 v3, v174
	s_movk_i32 s2, 0x1098
	v_mov_b32_e32 v222, v48
	v_mov_b32_e32 v138, v48
	;; [unrolled: 1-line block ×5, first 2 shown]
	s_waitcnt lgkmcnt(3)
	v_pk_fma_f32 v[30:31], v[48:49], v[0:1], v[2:3] op_sel_hi:[0,1,1] neg_lo:[1,0,0] neg_hi:[1,0,0]
	v_mov_b32_e32 v0, v175
	v_mov_b32_e32 v1, v176
	s_waitcnt vmcnt(2) lgkmcnt(2)
	v_pk_fma_f32 v[62:63], v[48:49], v[4:5], v[0:1] op_sel_hi:[0,1,1] neg_lo:[1,0,0] neg_hi:[1,0,0]
	v_mov_b32_e32 v0, v177
	v_mov_b32_e32 v1, v178
	s_waitcnt vmcnt(1) lgkmcnt(1)
	v_pk_fma_f32 v[64:65], v[48:49], v[6:7], v[0:1] op_sel_hi:[0,1,1] neg_lo:[1,0,0] neg_hi:[1,0,0]
	v_mov_b32_e32 v0, v179
	v_mov_b32_e32 v1, v180
	s_waitcnt lgkmcnt(0)
	v_pk_fma_f32 v[92:93], v[48:49], v[8:9], v[0:1] op_sel_hi:[0,1,1] neg_lo:[1,0,0] neg_hi:[1,0,0]
	ds_read2_b32 v[0:1], v254 offset0:17 offset1:18
	ds_read2_b32 v[4:5], v254 offset0:19 offset1:20
	;; [unrolled: 1-line block ×4, first 2 shown]
	v_mov_b32_e32 v2, v181
	v_mov_b32_e32 v3, v182
	;; [unrolled: 1-line block ×3, first 2 shown]
	s_waitcnt lgkmcnt(3)
	v_pk_fma_f32 v[94:95], v[48:49], v[0:1], v[2:3] op_sel_hi:[0,1,1] neg_lo:[1,0,0] neg_hi:[1,0,0]
	v_mov_b32_e32 v0, v183
	v_mov_b32_e32 v1, v184
	s_waitcnt lgkmcnt(2)
	v_pk_fma_f32 v[96:97], v[48:49], v[4:5], v[0:1] op_sel_hi:[0,1,1] neg_lo:[1,0,0] neg_hi:[1,0,0]
	v_mov_b32_e32 v0, v185
	v_mov_b32_e32 v1, v186
	;; [unrolled: 4-line block ×3, first 2 shown]
	s_waitcnt lgkmcnt(0)
	v_pk_fma_f32 v[36:37], v[48:49], v[8:9], v[0:1] op_sel_hi:[0,1,1] neg_lo:[1,0,0] neg_hi:[1,0,0]
	ds_read2_b32 v[0:1], v254 offset0:25 offset1:26
	ds_read2_b32 v[4:5], v254 offset0:27 offset1:28
	ds_read_b32 v6, v254 offset:116
	v_mov_b32_e32 v2, v189
	v_mov_b32_e32 v3, v190
	;; [unrolled: 1-line block ×3, first 2 shown]
	s_waitcnt lgkmcnt(2)
	v_pk_fma_f32 v[38:39], v[48:49], v[0:1], v[2:3] op_sel_hi:[0,1,1] neg_lo:[1,0,0] neg_hi:[1,0,0]
	v_mov_b32_e32 v0, v191
	v_mov_b32_e32 v1, v192
	s_waitcnt lgkmcnt(1)
	v_pk_fma_f32 v[28:29], v[48:49], v[4:5], v[0:1] op_sel_hi:[0,1,1] neg_lo:[1,0,0] neg_hi:[1,0,0]
	s_waitcnt lgkmcnt(0)
	v_fma_f32 v193, -v48, v6, v33
	v_mov_b32_e32 v0, v40
	v_mov_b32_e32 v1, v41
	;; [unrolled: 1-line block ×10, first 2 shown]
	scratch_store_dwordx4 off, v[0:3], off offset:3608 ; 16-byte Folded Spill
	s_nop 0
	scratch_store_dwordx4 off, v[4:7], off offset:3624 ; 16-byte Folded Spill
	scratch_store_dwordx4 off, v[8:11], off offset:3640 ; 16-byte Folded Spill
	;; [unrolled: 1-line block ×7, first 2 shown]
	v_mov_b32_e32 v11, v62
	v_mov_b32_e32 v216, v42
	;; [unrolled: 1-line block ×45, first 2 shown]
	scratch_store_dwordx4 off, v[0:3], s2   ; 16-byte Folded Spill
	s_nop 0
	scratch_store_dwordx4 off, v[4:7], s2 offset:16 ; 16-byte Folded Spill
	scratch_store_dwordx4 off, v[8:11], s2 offset:32 ; 16-byte Folded Spill
	;; [unrolled: 1-line block ×7, first 2 shown]
	v_mov_b32_e32 v12, v63
	s_movk_i32 s2, 0x1298
	v_mov_b32_e32 v155, v38
	v_mov_b32_e32 v156, v39
	;; [unrolled: 1-line block ×17, first 2 shown]
	scratch_store_dwordx4 off, v[0:3], off offset:1936 ; 16-byte Folded Spill
	s_nop 0
	scratch_store_dwordx4 off, v[4:7], off offset:1952 ; 16-byte Folded Spill
	scratch_store_dwordx4 off, v[8:11], off offset:1968 ; 16-byte Folded Spill
	;; [unrolled: 1-line block ×7, first 2 shown]
	v_mov_b32_e32 v13, v64
	scratch_store_dwordx4 off, v[0:3], off offset:3480 ; 16-byte Folded Spill
	s_nop 0
	scratch_store_dwordx4 off, v[4:7], off offset:3496 ; 16-byte Folded Spill
	scratch_store_dwordx4 off, v[8:11], off offset:3512 ; 16-byte Folded Spill
	;; [unrolled: 1-line block ×7, first 2 shown]
	v_mov_b32_e32 v14, v65
	v_mov_b32_e32 v15, v92
	;; [unrolled: 1-line block ×4, first 2 shown]
	scratch_store_dwordx4 off, v[214:217], off offset:656 ; 16-byte Folded Spill
	s_nop 0
	scratch_store_dwordx4 off, v[218:221], off offset:672 ; 16-byte Folded Spill
	scratch_store_dwordx4 off, v[222:225], off offset:688 ; 16-byte Folded Spill
	scratch_store_dwordx4 off, v[226:229], off offset:704 ; 16-byte Folded Spill
	scratch_store_dwordx4 off, v[230:233], off offset:720 ; 16-byte Folded Spill
	scratch_store_dwordx4 off, v[234:237], off offset:736 ; 16-byte Folded Spill
	scratch_store_dwordx4 off, v[238:241], off offset:752 ; 16-byte Folded Spill
	scratch_store_dwordx4 off, v[242:245], off offset:768 ; 16-byte Folded Spill
	scratch_store_dwordx4 off, v[0:3], off offset:2708 ; 16-byte Folded Spill
	s_nop 0
	scratch_store_dwordx4 off, v[4:7], off offset:2724 ; 16-byte Folded Spill
	scratch_store_dwordx4 off, v[8:11], off offset:2740 ; 16-byte Folded Spill
	;; [unrolled: 1-line block ×7, first 2 shown]
	v_mov_b32_e32 v16, v93
	v_mov_b32_e32 v230, v93
	;; [unrolled: 1-line block ×8, first 2 shown]
	scratch_store_dwordx4 off, v[0:3], off offset:1680 ; 16-byte Folded Spill
	s_nop 0
	scratch_store_dwordx4 off, v[4:7], off offset:1696 ; 16-byte Folded Spill
	scratch_store_dwordx4 off, v[8:11], off offset:1712 ; 16-byte Folded Spill
	scratch_store_dwordx4 off, v[12:15], off offset:1728 ; 16-byte Folded Spill
	scratch_store_dwordx4 off, v[16:19], off offset:1744 ; 16-byte Folded Spill
	scratch_store_dwordx4 off, v[20:23], off offset:1760 ; 16-byte Folded Spill
	scratch_store_dwordx4 off, v[24:27], off offset:1776 ; 16-byte Folded Spill
	scratch_store_dwordx4 off, v[28:31], off offset:1792 ; 16-byte Folded Spill
	v_mov_b32_e32 v17, v94
	scratch_store_dwordx4 off, v[0:3], off offset:2192 ; 16-byte Folded Spill
	s_nop 0
	scratch_store_dwordx4 off, v[4:7], off offset:2208 ; 16-byte Folded Spill
	scratch_store_dwordx4 off, v[8:11], off offset:2224 ; 16-byte Folded Spill
	scratch_store_dwordx4 off, v[12:15], off offset:2240 ; 16-byte Folded Spill
	scratch_store_dwordx4 off, v[16:19], off offset:2256 ; 16-byte Folded Spill
	scratch_store_dwordx4 off, v[20:23], off offset:2272 ; 16-byte Folded Spill
	scratch_store_dwordx4 off, v[24:27], off offset:2288 ; 16-byte Folded Spill
	scratch_store_dwordx4 off, v[28:31], off offset:2304 ; 16-byte Folded Spill
	v_mov_b32_e32 v18, v95
	scratch_store_dwordx4 off, v[0:3], off offset:400 ; 16-byte Folded Spill
	s_nop 0
	scratch_store_dwordx4 off, v[4:7], off offset:416 ; 16-byte Folded Spill
	scratch_store_dwordx4 off, v[8:11], off offset:432 ; 16-byte Folded Spill
	scratch_store_dwordx4 off, v[12:15], off offset:448 ; 16-byte Folded Spill
	scratch_store_dwordx4 off, v[16:19], off offset:464 ; 16-byte Folded Spill
	scratch_store_dwordx4 off, v[20:23], off offset:480 ; 16-byte Folded Spill
	scratch_store_dwordx4 off, v[24:27], off offset:496 ; 16-byte Folded Spill
	scratch_store_dwordx4 off, v[28:31], off offset:512 ; 16-byte Folded Spill
	v_mov_b32_e32 v19, v96
	scratch_store_dwordx4 off, v[0:3], off offset:1808 ; 16-byte Folded Spill
	s_nop 0
	scratch_store_dwordx4 off, v[4:7], off offset:1824 ; 16-byte Folded Spill
	scratch_store_dwordx4 off, v[8:11], off offset:1840 ; 16-byte Folded Spill
	scratch_store_dwordx4 off, v[12:15], off offset:1856 ; 16-byte Folded Spill
	scratch_store_dwordx4 off, v[16:19], off offset:1872 ; 16-byte Folded Spill
	scratch_store_dwordx4 off, v[20:23], off offset:1888 ; 16-byte Folded Spill
	scratch_store_dwordx4 off, v[24:27], off offset:1904 ; 16-byte Folded Spill
	scratch_store_dwordx4 off, v[28:31], off offset:1920 ; 16-byte Folded Spill
	v_mov_b32_e32 v20, v97
	scratch_store_dwordx4 off, v[0:3], off offset:272 ; 16-byte Folded Spill
	s_nop 0
	scratch_store_dwordx4 off, v[4:7], off offset:288 ; 16-byte Folded Spill
	scratch_store_dwordx4 off, v[8:11], off offset:304 ; 16-byte Folded Spill
	scratch_store_dwordx4 off, v[12:15], off offset:320 ; 16-byte Folded Spill
	scratch_store_dwordx4 off, v[16:19], off offset:336 ; 16-byte Folded Spill
	scratch_store_dwordx4 off, v[20:23], off offset:352 ; 16-byte Folded Spill
	scratch_store_dwordx4 off, v[24:27], off offset:368 ; 16-byte Folded Spill
	scratch_store_dwordx4 off, v[28:31], off offset:384 ; 16-byte Folded Spill
	v_mov_b32_e32 v21, v34
	scratch_store_dwordx4 off, v[0:3], off offset:1552 ; 16-byte Folded Spill
	s_nop 0
	scratch_store_dwordx4 off, v[4:7], off offset:1568 ; 16-byte Folded Spill
	scratch_store_dwordx4 off, v[8:11], off offset:1584 ; 16-byte Folded Spill
	scratch_store_dwordx4 off, v[12:15], off offset:1600 ; 16-byte Folded Spill
	scratch_store_dwordx4 off, v[16:19], off offset:1616 ; 16-byte Folded Spill
	scratch_store_dwordx4 off, v[20:23], off offset:1632 ; 16-byte Folded Spill
	scratch_store_dwordx4 off, v[24:27], off offset:1648 ; 16-byte Folded Spill
	scratch_store_dwordx4 off, v[28:31], off offset:1664 ; 16-byte Folded Spill
	v_mov_b32_e32 v22, v35
	scratch_store_dwordx4 off, v[0:3], off offset:912 ; 16-byte Folded Spill
	s_nop 0
	scratch_store_dwordx4 off, v[4:7], off offset:928 ; 16-byte Folded Spill
	scratch_store_dwordx4 off, v[8:11], off offset:944 ; 16-byte Folded Spill
	scratch_store_dwordx4 off, v[12:15], off offset:960 ; 16-byte Folded Spill
	scratch_store_dwordx4 off, v[16:19], off offset:976 ; 16-byte Folded Spill
	scratch_store_dwordx4 off, v[20:23], off offset:992 ; 16-byte Folded Spill
	scratch_store_dwordx4 off, v[24:27], off offset:1008 ; 16-byte Folded Spill
	scratch_store_dwordx4 off, v[28:31], off offset:1024 ; 16-byte Folded Spill
	v_mov_b32_e32 v23, v36
	scratch_store_dwordx4 off, v[0:3], off offset:1296 ; 16-byte Folded Spill
	s_nop 0
	scratch_store_dwordx4 off, v[4:7], off offset:1312 ; 16-byte Folded Spill
	scratch_store_dwordx4 off, v[8:11], off offset:1328 ; 16-byte Folded Spill
	scratch_store_dwordx4 off, v[12:15], off offset:1344 ; 16-byte Folded Spill
	scratch_store_dwordx4 off, v[16:19], off offset:1360 ; 16-byte Folded Spill
	scratch_store_dwordx4 off, v[20:23], off offset:1376 ; 16-byte Folded Spill
	scratch_store_dwordx4 off, v[24:27], off offset:1392 ; 16-byte Folded Spill
	scratch_store_dwordx4 off, v[28:31], off offset:1408 ; 16-byte Folded Spill
	s_nop 0
	v_mov_b32_e32 v24, v37
	scratch_store_dwordx4 off, v[0:3], off offset:1040 ; 16-byte Folded Spill
	s_nop 0
	scratch_store_dwordx4 off, v[4:7], off offset:1056 ; 16-byte Folded Spill
	scratch_store_dwordx4 off, v[8:11], off offset:1072 ; 16-byte Folded Spill
	scratch_store_dwordx4 off, v[12:15], off offset:1088 ; 16-byte Folded Spill
	scratch_store_dwordx4 off, v[16:19], off offset:1104 ; 16-byte Folded Spill
	scratch_store_dwordx4 off, v[20:23], off offset:1120 ; 16-byte Folded Spill
	scratch_store_dwordx4 off, v[24:27], off offset:1136 ; 16-byte Folded Spill
	scratch_store_dwordx4 off, v[28:31], off offset:1152 ; 16-byte Folded Spill
	s_nop 0
	v_mov_b32_e32 v25, v38
	;; [unrolled: 11-line block ×3, first 2 shown]
	v_mov_b32_e32 v27, v28
	v_mov_b32_e32 v139, v30
	;; [unrolled: 1-line block ×3, first 2 shown]
	scratch_store_dwordx4 off, v[0:3], off offset:784 ; 16-byte Folded Spill
	s_nop 0
	scratch_store_dwordx4 off, v[4:7], off offset:800 ; 16-byte Folded Spill
	scratch_store_dwordx4 off, v[8:11], off offset:816 ; 16-byte Folded Spill
	;; [unrolled: 1-line block ×7, first 2 shown]
	scratch_store_dwordx4 off, v[40:43], s2 ; 16-byte Folded Spill
	s_nop 0
	scratch_store_dwordx4 off, v[44:47], s2 offset:16 ; 16-byte Folded Spill
	scratch_store_dwordx4 off, v[48:51], s2 offset:32 ; 16-byte Folded Spill
	scratch_store_dwordx4 off, v[52:55], s2 offset:48 ; 16-byte Folded Spill
	scratch_store_dwordx4 off, v[56:59], s2 offset:64 ; 16-byte Folded Spill
	scratch_store_dwordx4 off, v[60:63], s2 offset:80 ; 16-byte Folded Spill
	scratch_store_dwordx4 off, v[64:67], s2 offset:96 ; 16-byte Folded Spill
	s_waitcnt vmcnt(62)
	scratch_store_dwordx4 off, v[68:71], s2 offset:112 ; 16-byte Folded Spill
	s_movk_i32 s2, 0x1218
	scratch_store_dwordx4 off, v[40:43], s2 ; 16-byte Folded Spill
	s_nop 0
	scratch_store_dwordx4 off, v[44:47], s2 offset:16 ; 16-byte Folded Spill
	scratch_store_dwordx4 off, v[48:51], s2 offset:32 ; 16-byte Folded Spill
	;; [unrolled: 1-line block ×7, first 2 shown]
	v_mov_b32_e32 v173, v30
	v_mov_b32_e32 v174, v31
	v_mov_b32_e32 v191, v28
	v_mov_b32_e32 v192, v29
	v_mov_b32_e32 v211, v30
	scratch_store_dwordx4 off, v[0:3], off offset:136 ; 16-byte Folded Spill
	s_nop 0
	scratch_store_dwordx4 off, v[4:7], off offset:152 ; 16-byte Folded Spill
	scratch_store_dwordx4 off, v[8:11], off offset:168 ; 16-byte Folded Spill
	;; [unrolled: 1-line block ×8, first 2 shown]
	s_nop 0
	scratch_store_dwordx4 off, v[4:7], off offset:544 ; 16-byte Folded Spill
	scratch_store_dwordx4 off, v[8:11], off offset:560 ; 16-byte Folded Spill
	;; [unrolled: 1-line block ×7, first 2 shown]
	v_mov_b32_e32 v67, v92
	v_mov_b32_e32 v232, v65
	;; [unrolled: 1-line block ×3, first 2 shown]
	scratch_store_dwordx2 off, v[28:29], off offset:264 ; 8-byte Folded Spill
.LBB58_154:
	s_or_b64 exec, exec, s[0:1]
	s_waitcnt vmcnt(63) expcnt(7) lgkmcnt(15)
	s_barrier
	scratch_load_dword v0, off, off offset:4 ; 4-byte Folded Reload
	s_cmp_lt_i32 s22, 11
	s_waitcnt vmcnt(0)
	v_lshl_add_u32 v30, v0, 2, v254
	ds_write_b32 v30, v211
	s_waitcnt lgkmcnt(0)
	s_barrier
	ds_read_b32 v32, v254 offset:36
	v_mov_b32_e32 v30, 9
	s_cbranch_scc1 .LBB58_157
; %bb.155:
	scratch_load_dword v0, off, off offset:3348 ; 4-byte Folded Reload
	v_mov_b32_e32 v30, 9
	s_mov_b32 s0, 10
	s_waitcnt vmcnt(0)
	v_add3_u32 v31, v0, 0, 40
.LBB58_156:                             ; =>This Inner Loop Header: Depth=1
	ds_read_b32 v62, v31
	v_add_u32_e32 v31, 4, v31
	s_waitcnt lgkmcnt(0)
	v_cmp_lt_f32_e64 vcc, |v32|, |v62|
	s_nop 1
	v_cndmask_b32_e32 v32, v32, v62, vcc
	v_mov_b32_e32 v62, s0
	s_add_i32 s0, s0, 1
	v_cndmask_b32_e32 v30, v30, v62, vcc
	s_cmp_lg_u32 s22, s0
	s_cbranch_scc1 .LBB58_156
.LBB58_157:
	s_waitcnt lgkmcnt(0)
	v_cmp_eq_f32_e32 vcc, 0, v32
	s_and_saveexec_b64 s[0:1], vcc
	s_xor_b64 s[0:1], exec, s[0:1]
; %bb.158:
	v_cmp_ne_u32_e32 vcc, 0, v246
	s_nop 1
	v_cndmask_b32_e32 v246, 10, v246, vcc
; %bb.159:
	s_andn2_saveexec_b64 s[0:1], s[0:1]
	s_cbranch_execz .LBB58_161
; %bb.160:
	v_div_scale_f32 v31, s[2:3], v32, v32, 1.0
	v_rcp_f32_e32 v62, v31
	v_div_scale_f32 v63, vcc, 1.0, v32, 1.0
	v_fma_f32 v64, -v31, v62, 1.0
	v_fmac_f32_e32 v62, v64, v62
	v_mul_f32_e32 v64, v63, v62
	v_fma_f32 v65, -v31, v64, v63
	v_fmac_f32_e32 v64, v65, v62
	v_fma_f32 v31, -v31, v64, v63
	v_div_fmas_f32 v31, v31, v62, v64
	v_div_fixup_f32 v32, v31, v32, 1.0
.LBB58_161:
	s_or_b64 exec, exec, s[0:1]
	scratch_load_dword v0, off, off offset:4 ; 4-byte Folded Reload
	s_waitcnt vmcnt(0)
	v_cmp_ne_u32_e32 vcc, v0, v30
	s_and_saveexec_b64 s[0:1], vcc
	s_xor_b64 s[0:1], exec, s[0:1]
	s_cbranch_execz .LBB58_167
; %bb.162:
	scratch_load_dword v0, off, off offset:4 ; 4-byte Folded Reload
	s_waitcnt vmcnt(0)
	v_cmp_eq_u32_e32 vcc, 9, v0
	s_and_saveexec_b64 s[2:3], vcc
	s_cbranch_execz .LBB58_166
; %bb.163:
	v_cmp_ne_u32_e32 vcc, 9, v30
	s_xor_b64 s[18:19], s[16:17], -1
	s_and_b64 s[20:21], s[18:19], vcc
	s_and_saveexec_b64 s[18:19], s[20:21]
	s_cbranch_execz .LBB58_165
; %bb.164:
	s_movk_i32 s20, 0x1498
	scratch_load_dwordx2 v[0:1], off, s20   ; 8-byte Folded Reload
	v_ashrrev_i32_e32 v31, 31, v30
	s_waitcnt vmcnt(0)
	v_lshl_add_u64 v[62:63], v[30:31], 2, v[0:1]
	global_load_dword v31, v[62:63], off
	global_load_dword v64, v[0:1], off offset:36
	s_waitcnt vmcnt(1)
	global_store_dword v[0:1], v31, off offset:36
	s_waitcnt vmcnt(1)
	global_store_dword v[62:63], v64, off
.LBB58_165:
	s_or_b64 exec, exec, s[18:19]
	v_mov_b32_e32 v0, v30
	scratch_store_dword off, v0, off offset:2704 ; 4-byte Folded Spill
	scratch_store_dword off, v0, off offset:4 ; 4-byte Folded Spill
.LBB58_166:
	s_or_b64 exec, exec, s[2:3]
.LBB58_167:
	s_or_saveexec_b64 s[0:1], s[0:1]
	v_mov_b32_e32 v85, v11
	v_mov_b32_e32 v84, v12
	s_xor_b64 exec, exec, s[0:1]
	s_cbranch_execz .LBB58_169
; %bb.168:
	v_mov_b32_e32 v0, 9
	ds_write2_b32 v254, v174, v175 offset0:10 offset1:11
	ds_write2_b32 v254, v176, v177 offset0:12 offset1:13
	;; [unrolled: 1-line block ×10, first 2 shown]
	scratch_store_dword off, v0, off offset:4 ; 4-byte Folded Spill
.LBB58_169:
	s_or_b64 exec, exec, s[0:1]
	s_waitcnt lgkmcnt(0)
	s_barrier
	scratch_load_dword v0, off, off offset:4 ; 4-byte Folded Reload
	s_waitcnt vmcnt(0)
	v_cmp_lt_i32_e32 vcc, 9, v0
	s_and_saveexec_b64 s[0:1], vcc
	s_cbranch_execz .LBB58_171
; %bb.170:
	v_mul_f32_e32 v0, v211, v32
	ds_read2_b32 v[6:7], v254 offset0:10 offset1:11
	ds_read2_b32 v[8:9], v254 offset0:12 offset1:13
	;; [unrolled: 1-line block ×5, first 2 shown]
	s_movk_i32 s2, 0x1218
	s_waitcnt lgkmcnt(4)
	v_pk_fma_f32 v[224:225], v[0:1], v[6:7], v[174:175] op_sel_hi:[0,1,1] neg_lo:[1,0,0] neg_hi:[1,0,0]
	ds_read2_b32 v[6:7], v254 offset0:26 offset1:27
	scratch_load_dwordx4 v[92:95], off, s2  ; 16-byte Folded Reload
	scratch_load_dwordx4 v[96:99], off, s2 offset:16 ; 16-byte Folded Reload
	scratch_load_dwordx4 v[100:103], off, s2 offset:32 ; 16-byte Folded Reload
	;; [unrolled: 1-line block ×7, first 2 shown]
	s_waitcnt lgkmcnt(3)
	v_pk_fma_f32 v[22:23], v[0:1], v[30:31], v[178:179] op_sel_hi:[0,1,1] neg_lo:[1,0,0] neg_hi:[1,0,0]
	v_mov_b32_e32 v39, v0
	v_mov_b32_e32 v40, v224
	;; [unrolled: 1-line block ×3, first 2 shown]
	s_movk_i32 s2, 0x1098
	v_pk_fma_f32 v[20:21], v[0:1], v[8:9], v[176:177] op_sel_hi:[0,1,1] neg_lo:[1,0,0] neg_hi:[1,0,0]
	v_mov_b32_e32 v18, v224
	v_mov_b32_e32 v19, v225
	;; [unrolled: 1-line block ×3, first 2 shown]
	v_mov_b64_e32 v[64:65], v[20:21]
	s_waitcnt lgkmcnt(1)
	v_pk_fma_f32 v[128:129], v[0:1], v[2:3], v[180:181] op_sel_hi:[0,1,1] neg_lo:[1,0,0] neg_hi:[1,0,0]
	v_pk_fma_f32 v[192:193], v[0:1], v[4:5], v[192:193] op_sel_hi:[0,1,1] neg_lo:[1,0,0] neg_hi:[1,0,0]
	v_mov_b32_e32 v223, v0
	s_waitcnt vmcnt(0)
	v_mov_b32_e32 v122, v224
	v_mov_b32_e32 v123, v225
	;; [unrolled: 1-line block ×21, first 2 shown]
	scratch_store_dwordx4 off, v[30:33], s2 ; 16-byte Folded Spill
	s_nop 0
	scratch_store_dwordx4 off, v[34:37], s2 offset:16 ; 16-byte Folded Spill
	scratch_store_dwordx4 off, v[38:41], s2 offset:32 ; 16-byte Folded Spill
	;; [unrolled: 1-line block ×7, first 2 shown]
	v_mov_b32_e32 v8, v92
	v_mov_b32_e32 v9, v93
	;; [unrolled: 1-line block ×9, first 2 shown]
	v_mov_b64_e32 v[62:63], v[18:19]
	v_mov_b64_e32 v[60:61], v[16:17]
	v_mov_b64_e32 v[58:59], v[14:15]
	v_mov_b64_e32 v[56:57], v[12:13]
	v_mov_b64_e32 v[54:55], v[10:11]
	v_mov_b64_e32 v[52:53], v[8:9]
	v_mov_b32_e32 v42, v64
	v_mov_b32_e32 v43, v65
	v_mov_b64_e32 v[26:27], v[22:23]
	v_mov_b64_e32 v[24:25], v[20:21]
	;; [unrolled: 1-line block ×8, first 2 shown]
	v_mov_b32_e32 v28, v92
	v_mov_b32_e32 v29, v93
	;; [unrolled: 1-line block ×11, first 2 shown]
	v_mov_b64_e32 v[140:141], v[214:215]
	v_mov_b64_e32 v[142:143], v[216:217]
	;; [unrolled: 1-line block ×7, first 2 shown]
	v_mov_b32_e32 v126, v26
	v_mov_b32_e32 v127, v27
	v_mov_b32_e32 v112, v92
	v_mov_b32_e32 v113, v93
	v_mov_b32_e32 v170, v220
	v_mov_b32_e32 v171, v221
	v_mov_b32_e32 v194, v220
	v_mov_b32_e32 v195, v221
	v_mov_b32_e32 v114, v94
	v_mov_b32_e32 v115, v95
	v_mov_b32_e32 v116, v96
	v_mov_b32_e32 v117, v97
	v_mov_b32_e32 v118, v98
	v_mov_b32_e32 v119, v99
	v_mov_b32_e32 v120, v100
	v_mov_b32_e32 v160, v94
	v_mov_b32_e32 v161, v95
	v_mov_b32_e32 v162, v96
	v_mov_b32_e32 v163, v97
	scratch_store_dwordx4 off, v[30:33], off offset:3480 ; 16-byte Folded Spill
	s_nop 0
	scratch_store_dwordx4 off, v[34:37], off offset:3496 ; 16-byte Folded Spill
	scratch_store_dwordx4 off, v[38:41], off offset:3512 ; 16-byte Folded Spill
	;; [unrolled: 1-line block ×7, first 2 shown]
	v_mov_b32_e32 v44, v26
	v_mov_b32_e32 v45, v27
	;; [unrolled: 1-line block ×12, first 2 shown]
	s_movk_i32 s2, 0x1298
	v_mov_b32_e32 v168, v150
	v_mov_b32_e32 v169, v151
	scratch_store_dwordx4 off, v[30:33], off offset:2708 ; 16-byte Folded Spill
	s_nop 0
	scratch_store_dwordx4 off, v[34:37], off offset:2724 ; 16-byte Folded Spill
	scratch_store_dwordx4 off, v[38:41], off offset:2740 ; 16-byte Folded Spill
	;; [unrolled: 1-line block ×7, first 2 shown]
	v_mov_b32_e32 v46, v128
	v_mov_b32_e32 v47, v129
	scratch_store_dwordx4 off, v[30:33], off offset:2192 ; 16-byte Folded Spill
	s_nop 0
	scratch_store_dwordx4 off, v[34:37], off offset:2208 ; 16-byte Folded Spill
	scratch_store_dwordx4 off, v[38:41], off offset:2224 ; 16-byte Folded Spill
	;; [unrolled: 1-line block ×7, first 2 shown]
	ds_read2_b32 v[2:3], v254 offset0:18 offset1:19
	ds_read2_b32 v[4:5], v254 offset0:20 offset1:21
	;; [unrolled: 1-line block ×4, first 2 shown]
	v_mov_b32_e32 v42, v26
	s_waitcnt lgkmcnt(3)
	v_pk_fma_f32 v[46:47], v[0:1], v[2:3], v[182:183] op_sel_hi:[0,1,1] neg_lo:[1,0,0] neg_hi:[1,0,0]
	v_mov_b32_e32 v43, v27
	v_mov_b32_e32 v30, v94
	;; [unrolled: 1-line block ×15, first 2 shown]
	v_mov_b64_e32 v[80:81], v[42:43]
	v_mov_b64_e32 v[84:85], v[46:47]
	;; [unrolled: 1-line block ×10, first 2 shown]
	v_mov_b32_e32 v30, v92
	v_mov_b32_e32 v31, v93
	;; [unrolled: 1-line block ×20, first 2 shown]
	v_mov_b64_e32 v[236:237], v[80:81]
	v_mov_b64_e32 v[240:241], v[84:85]
	;; [unrolled: 1-line block ×10, first 2 shown]
	v_mov_b32_e32 v64, v94
	v_mov_b32_e32 v65, v95
	;; [unrolled: 1-line block ×4, first 2 shown]
	scratch_store_dwordx4 off, v[30:33], off offset:1808 ; 16-byte Folded Spill
	s_nop 0
	scratch_store_dwordx4 off, v[34:37], off offset:1824 ; 16-byte Folded Spill
	scratch_store_dwordx4 off, v[38:41], off offset:1840 ; 16-byte Folded Spill
	;; [unrolled: 1-line block ×7, first 2 shown]
	v_mov_b32_e32 v42, v220
	v_mov_b32_e32 v43, v221
	s_waitcnt lgkmcnt(2)
	v_pk_fma_f32 v[50:51], v[0:1], v[4:5], v[184:185] op_sel_hi:[0,1,1] neg_lo:[1,0,0] neg_hi:[1,0,0]
	v_mov_b32_e32 v68, v98
	v_mov_b32_e32 v69, v99
	;; [unrolled: 1-line block ×26, first 2 shown]
	scratch_store_dwordx4 off, v[12:15], off offset:656 ; 16-byte Folded Spill
	s_nop 0
	scratch_store_dwordx4 off, v[16:19], off offset:672 ; 16-byte Folded Spill
	scratch_store_dwordx4 off, v[20:23], off offset:688 ; 16-byte Folded Spill
	scratch_store_dwordx4 off, v[24:27], off offset:704 ; 16-byte Folded Spill
	scratch_store_dwordx4 off, v[28:31], off offset:720 ; 16-byte Folded Spill
	scratch_store_dwordx4 off, v[32:35], off offset:736 ; 16-byte Folded Spill
	scratch_store_dwordx4 off, v[36:39], off offset:752 ; 16-byte Folded Spill
	scratch_store_dwordx4 off, v[40:43], off offset:768 ; 16-byte Folded Spill
	v_mov_b64_e32 v[218:219], v[62:63]
	v_mov_b64_e32 v[216:217], v[60:61]
	;; [unrolled: 1-line block ×6, first 2 shown]
	v_mov_b32_e32 v62, v92
	v_mov_b32_e32 v63, v93
	;; [unrolled: 1-line block ×4, first 2 shown]
	scratch_store_dwordx4 off, v[62:65], off offset:1552 ; 16-byte Folded Spill
	s_nop 0
	scratch_store_dwordx4 off, v[66:69], off offset:1568 ; 16-byte Folded Spill
	scratch_store_dwordx4 off, v[70:73], off offset:1584 ; 16-byte Folded Spill
	;; [unrolled: 1-line block ×7, first 2 shown]
	scratch_load_dwordx4 v[52:55], off, off offset:656 ; 16-byte Folded Reload
	s_nop 0
	scratch_load_dwordx4 v[56:59], off, off offset:672 ; 16-byte Folded Reload
	scratch_load_dwordx4 v[60:63], off, off offset:688 ; 16-byte Folded Reload
	;; [unrolled: 1-line block ×7, first 2 shown]
	v_mov_b64_e32 v[22:23], v[186:187]
	s_waitcnt lgkmcnt(1)
	v_pk_fma_f32 v[180:181], v[0:1], v[8:9], v[22:23] op_sel_hi:[0,1,1] neg_lo:[1,0,0] neg_hi:[1,0,0]
	s_waitcnt vmcnt(3)
	v_mov_b32_e32 v68, v98
	v_mov_b32_e32 v69, v99
	v_mov_b32_e32 v70, v100
	v_mov_b32_e32 v71, v0
	s_waitcnt vmcnt(2)
	v_mov_b32_e32 v72, v150
	v_mov_b32_e32 v73, v151
	;; [unrolled: 1-line block ×4, first 2 shown]
	v_mov_b64_e32 v[24:25], v[188:189]
	s_waitcnt lgkmcnt(0)
	v_pk_fma_f32 v[206:207], v[0:1], v[10:11], v[24:25] op_sel_hi:[0,1,1] neg_lo:[1,0,0] neg_hi:[1,0,0]
	v_mov_b64_e32 v[26:27], v[190:191]
	v_pk_fma_f32 v[156:157], v[0:1], v[6:7], v[26:27] op_sel_hi:[0,1,1] neg_lo:[1,0,0] neg_hi:[1,0,0]
	v_mov_b64_e32 v[28:29], v[192:193]
	v_mov_b32_e32 v186, v96
	v_mov_b32_e32 v187, v97
	;; [unrolled: 1-line block ×16, first 2 shown]
	s_waitcnt vmcnt(0)
	v_mov_b64_e32 v[90:91], v[66:67]
	v_mov_b64_e32 v[84:85], v[60:61]
	;; [unrolled: 1-line block ×6, first 2 shown]
	v_mov_b32_e32 v172, v66
	v_mov_b32_e32 v173, v67
	v_mov_b64_e32 v[88:89], v[64:65]
	v_mov_b64_e32 v[86:87], v[62:63]
	v_mov_b32_e32 v62, v92
	v_mov_b32_e32 v63, v93
	;; [unrolled: 1-line block ×16, first 2 shown]
	scratch_store_dwordx4 off, v[62:65], off offset:1296 ; 16-byte Folded Spill
	s_nop 0
	scratch_store_dwordx4 off, v[66:69], off offset:1312 ; 16-byte Folded Spill
	scratch_store_dwordx4 off, v[70:73], off offset:1328 ; 16-byte Folded Spill
	;; [unrolled: 1-line block ×7, first 2 shown]
	scratch_load_dwordx4 v[52:55], off, off offset:656 ; 16-byte Folded Reload
	s_nop 0
	scratch_load_dwordx4 v[56:59], off, off offset:672 ; 16-byte Folded Reload
	scratch_load_dwordx4 v[60:63], off, off offset:688 ; 16-byte Folded Reload
	;; [unrolled: 1-line block ×7, first 2 shown]
	s_waitcnt vmcnt(3)
	v_mov_b32_e32 v68, v128
	v_mov_b32_e32 v69, v129
	v_mov_b32_e32 v70, v240
	v_mov_b32_e32 v71, v241
	s_waitcnt vmcnt(2)
	v_mov_b32_e32 v72, v50
	v_mov_b32_e32 v73, v51
	v_mov_b32_e32 v74, v180
	v_mov_b32_e32 v75, v181
	;; [unrolled: 5-line block ×3, first 2 shown]
	v_mov_b32_e32 v130, v92
	v_mov_b32_e32 v131, v93
	v_mov_b64_e32 v[8:9], v[52:53]
	v_mov_b64_e32 v[22:23], v[66:67]
	;; [unrolled: 1-line block ×8, first 2 shown]
	v_mov_b32_e32 v52, v92
	v_mov_b32_e32 v53, v93
	;; [unrolled: 1-line block ×16, first 2 shown]
	scratch_store_dwordx4 off, v[52:55], off offset:1168 ; 16-byte Folded Spill
	s_nop 0
	scratch_store_dwordx4 off, v[56:59], off offset:1184 ; 16-byte Folded Spill
	scratch_store_dwordx4 off, v[60:63], off offset:1200 ; 16-byte Folded Spill
	;; [unrolled: 1-line block ×6, first 2 shown]
	s_waitcnt vmcnt(7)
	scratch_store_dwordx4 off, v[80:83], off offset:1280 ; 16-byte Folded Spill
	v_mov_b64_e32 v[64:65], v[208:209]
	v_mov_b64_e32 v[66:67], v[210:211]
	;; [unrolled: 1-line block ×8, first 2 shown]
	v_mov_b32_e32 v142, v220
	v_mov_b32_e32 v143, v221
	v_mov_b64_e32 v[68:69], v[212:213]
	v_mov_b64_e32 v[70:71], v[214:215]
	v_mov_b64_e32 v[72:73], v[216:217]
	v_mov_b64_e32 v[74:75], v[218:219]
	v_mov_b64_e32 v[76:77], v[220:221]
	v_mov_b64_e32 v[208:209], v[222:223]
	v_mov_b64_e32 v[210:211], v[224:225]
	v_mov_b64_e32 v[212:213], v[226:227]
	v_mov_b64_e32 v[214:215], v[228:229]
	v_mov_b64_e32 v[216:217], v[230:231]
	v_mov_b64_e32 v[218:219], v[232:233]
	v_mov_b64_e32 v[220:221], v[234:235]
	v_mov_b64_e32 v[222:223], v[236:237]
	v_mov_b64_e32 v[224:225], v[238:239]
	v_mov_b64_e32 v[2:3], v[8:9]
	v_mov_b64_e32 v[226:227], v[240:241]
	v_mov_b64_e32 v[4:5], v[10:11]
	v_mov_b64_e32 v[6:7], v[12:13]
	v_mov_b64_e32 v[8:9], v[14:15]
	v_mov_b64_e32 v[10:11], v[16:17]
	v_mov_b64_e32 v[12:13], v[18:19]
	v_mov_b64_e32 v[14:15], v[20:21]
	v_mov_b64_e32 v[16:17], v[22:23]
	v_mov_b32_e32 v148, v226
	v_mov_b32_e32 v149, v227
	v_mov_b64_e32 v[236:237], v[222:223]
	v_mov_b32_e32 v196, v22
	v_mov_b32_e32 v197, v23
	;; [unrolled: 1-line block ×4, first 2 shown]
	v_mov_b64_e32 v[24:25], v[16:17]
	v_mov_b64_e32 v[234:235], v[220:221]
	;; [unrolled: 1-line block ×10, first 2 shown]
	v_mov_b32_e32 v62, v90
	v_mov_b32_e32 v63, v91
	v_mov_b64_e32 v[216:217], v[72:73]
	v_mov_b64_e32 v[214:215], v[70:71]
	;; [unrolled: 1-line block ×5, first 2 shown]
	v_mov_b32_e32 v64, v220
	v_mov_b32_e32 v65, v221
	;; [unrolled: 1-line block ×16, first 2 shown]
	scratch_store_dwordx4 off, v[52:55], off offset:784 ; 16-byte Folded Spill
	s_nop 0
	scratch_store_dwordx4 off, v[56:59], off offset:800 ; 16-byte Folded Spill
	scratch_store_dwordx4 off, v[60:63], off offset:816 ; 16-byte Folded Spill
	;; [unrolled: 1-line block ×7, first 2 shown]
	v_mov_b64_e32 v[22:23], v[14:15]
	v_mov_b64_e32 v[20:21], v[12:13]
	v_mov_b64_e32 v[18:19], v[10:11]
	v_mov_b64_e32 v[16:17], v[8:9]
	v_mov_b64_e32 v[14:15], v[6:7]
	v_mov_b64_e32 v[12:13], v[4:5]
	v_mov_b64_e32 v[10:11], v[2:3]
	v_mov_b32_e32 v140, v90
	v_mov_b32_e32 v141, v91
	;; [unrolled: 1-line block ×16, first 2 shown]
	v_mov_b64_e32 v[10:11], v[80:81]
	v_mov_b64_e32 v[12:13], v[82:83]
	;; [unrolled: 1-line block ×6, first 2 shown]
	scratch_store_dwordx4 off, v[10:13], off offset:3608 ; 16-byte Folded Spill
	s_nop 0
	scratch_store_dwordx4 off, v[14:17], off offset:3624 ; 16-byte Folded Spill
	scratch_store_dwordx4 off, v[18:21], off offset:3640 ; 16-byte Folded Spill
	;; [unrolled: 1-line block ×7, first 2 shown]
	v_mov_b32_e32 v12, v220
	v_mov_b32_e32 v13, v221
	scratch_store_dwordx4 off, v[208:211], off offset:1936 ; 16-byte Folded Spill
	s_nop 0
	scratch_store_dwordx4 off, v[212:215], off offset:1952 ; 16-byte Folded Spill
	scratch_store_dwordx4 off, v[216:219], off offset:1968 ; 16-byte Folded Spill
	;; [unrolled: 1-line block ×7, first 2 shown]
	scratch_load_dwordx4 v[52:55], off, off offset:656 ; 16-byte Folded Reload
	scratch_load_dwordx4 v[56:59], off, off offset:672 ; 16-byte Folded Reload
	;; [unrolled: 1-line block ×8, first 2 shown]
	v_mov_b32_e32 v16, v128
	v_mov_b32_e32 v17, v129
	;; [unrolled: 1-line block ×8, first 2 shown]
	s_waitcnt vmcnt(7)
	v_mov_b32_e32 v53, v28
	v_mov_b32_e32 v10, v20
	;; [unrolled: 1-line block ×3, first 2 shown]
	s_waitcnt vmcnt(0)
	v_mov_b64_e32 v[72:73], v[222:223]
	v_mov_b64_e32 v[88:89], v[238:239]
	;; [unrolled: 1-line block ×10, first 2 shown]
	v_mov_b32_e32 v18, v90
	v_mov_b32_e32 v19, v91
	scratch_store_dwordx4 off, v[72:75], off offset:400 ; 16-byte Folded Spill
	s_nop 0
	scratch_store_dwordx4 off, v[76:79], off offset:416 ; 16-byte Folded Spill
	scratch_store_dwordx4 off, v[80:83], off offset:432 ; 16-byte Folded Spill
	;; [unrolled: 1-line block ×7, first 2 shown]
	v_mov_b32_e32 v14, v66
	scratch_store_dwordx4 off, v[92:95], s2 ; 16-byte Folded Spill
	s_nop 0
	scratch_store_dwordx4 off, v[96:99], s2 offset:16 ; 16-byte Folded Spill
	scratch_store_dwordx4 off, v[100:103], s2 offset:32 ; 16-byte Folded Spill
	;; [unrolled: 1-line block ×7, first 2 shown]
	scratch_store_dwordx2 off, v[52:53], off offset:264 ; 8-byte Folded Spill
	scratch_load_dwordx4 v[208:211], off, off offset:3608 ; 16-byte Folded Reload
	scratch_load_dwordx4 v[212:215], off, off offset:3624 ; 16-byte Folded Reload
	;; [unrolled: 1-line block ×8, first 2 shown]
	v_mov_b32_e32 v15, v67
	v_mov_b32_e32 v20, v50
	;; [unrolled: 1-line block ×3, first 2 shown]
	s_waitcnt vmcnt(5)
	v_mov_b64_e32 v[60:61], v[208:209]
	v_mov_b64_e32 v[62:63], v[210:211]
	;; [unrolled: 1-line block ×6, first 2 shown]
	scratch_load_dwordx4 v[208:211], off, off offset:1936 ; 16-byte Folded Reload
	scratch_load_dwordx4 v[212:215], off, off offset:1952 ; 16-byte Folded Reload
	;; [unrolled: 1-line block ×8, first 2 shown]
	v_mov_b32_e32 v86, v70
	v_mov_b32_e32 v85, v71
	scratch_load_dwordx4 v[52:55], off, off offset:656 ; 16-byte Folded Reload
	scratch_load_dwordx4 v[56:59], off, off offset:672 ; 16-byte Folded Reload
	;; [unrolled: 1-line block ×8, first 2 shown]
	s_waitcnt vmcnt(10)
	v_mov_b32_e32 v230, v128
	scratch_store_dwordx4 off, v[112:115], off offset:1680 ; 16-byte Folded Spill
	s_nop 0
	scratch_store_dwordx4 off, v[116:119], off offset:1696 ; 16-byte Folded Spill
	scratch_store_dwordx4 off, v[120:123], off offset:1712 ; 16-byte Folded Spill
	;; [unrolled: 1-line block ×7, first 2 shown]
	scratch_load_dwordx4 v[92:95], off, off offset:400 ; 16-byte Folded Reload
	s_nop 0
	scratch_load_dwordx4 v[96:99], off, off offset:416 ; 16-byte Folded Reload
	scratch_load_dwordx4 v[100:103], off, off offset:432 ; 16-byte Folded Reload
	;; [unrolled: 1-line block ×7, first 2 shown]
	v_mov_b64_e32 v[226:227], v[220:221]
	v_mov_b64_e32 v[224:225], v[218:219]
	;; [unrolled: 1-line block ×3, first 2 shown]
	s_waitcnt vmcnt(20)
	v_mov_b32_e32 v232, v66
	v_mov_b64_e32 v[220:221], v[214:215]
	v_mov_b64_e32 v[218:219], v[212:213]
	;; [unrolled: 1-line block ×3, first 2 shown]
	s_waitcnt vmcnt(3)
	v_mov_b32_e32 v52, v110
	scratch_store_dwordx4 off, v[34:37], off offset:136 ; 16-byte Folded Spill
	s_nop 0
	scratch_store_dwordx4 off, v[38:41], off offset:152 ; 16-byte Folded Spill
	scratch_store_dwordx4 off, v[42:45], off offset:168 ; 16-byte Folded Spill
	;; [unrolled: 1-line block ×7, first 2 shown]
	v_mov_b32_e32 v57, v111
	scratch_store_dwordx4 off, v[38:41], off offset:528 ; 16-byte Folded Spill
	s_nop 0
	scratch_store_dwordx4 off, v[42:45], off offset:544 ; 16-byte Folded Spill
	scratch_store_dwordx4 off, v[46:49], off offset:560 ; 16-byte Folded Spill
	;; [unrolled: 1-line block ×7, first 2 shown]
	v_mov_b64_e32 v[214:215], v[208:209]
	v_mov_b32_e32 v218, v180
	v_mov_b32_e32 v214, v206
	v_mov_b32_e32 v84, v226
	v_mov_b32_e32 v83, v129
	v_mov_b32_e32 v244, v50
	scratch_store_dwordx4 off, v[30:33], off offset:272 ; 16-byte Folded Spill
	s_nop 0
	scratch_store_dwordx4 off, v[34:37], off offset:288 ; 16-byte Folded Spill
	scratch_store_dwordx4 off, v[38:41], off offset:304 ; 16-byte Folded Spill
	scratch_store_dwordx4 off, v[42:45], off offset:320 ; 16-byte Folded Spill
	scratch_store_dwordx4 off, v[46:49], off offset:336 ; 16-byte Folded Spill
	scratch_store_dwordx4 off, v[50:53], off offset:352 ; 16-byte Folded Spill
	scratch_store_dwordx4 off, v[54:57], off offset:368 ; 16-byte Folded Spill
	scratch_store_dwordx4 off, v[58:61], off offset:384 ; 16-byte Folded Spill
	scratch_store_dwordx4 off, v[158:161], off offset:912 ; 16-byte Folded Spill
	s_nop 0
	scratch_store_dwordx4 off, v[162:165], off offset:928 ; 16-byte Folded Spill
	scratch_store_dwordx4 off, v[166:169], off offset:944 ; 16-byte Folded Spill
	scratch_store_dwordx4 off, v[170:173], off offset:960 ; 16-byte Folded Spill
	scratch_store_dwordx4 off, v[174:177], off offset:976 ; 16-byte Folded Spill
	scratch_store_dwordx4 off, v[178:181], off offset:992 ; 16-byte Folded Spill
	scratch_store_dwordx4 off, v[182:185], off offset:1008 ; 16-byte Folded Spill
	scratch_store_dwordx4 off, v[186:189], off offset:1024 ; 16-byte Folded Spill
	;; [unrolled: 9-line block ×3, first 2 shown]
	v_mov_b32_e32 v217, v181
	v_mov_b64_e32 v[178:179], v[14:15]
	v_mov_b64_e32 v[190:191], v[26:27]
	;; [unrolled: 1-line block ×3, first 2 shown]
	v_mov_b32_e32 v229, v51
	v_mov_b64_e32 v[176:177], v[12:13]
	v_mov_b64_e32 v[174:175], v[10:11]
	;; [unrolled: 1-line block ×12, first 2 shown]
	v_mov_b32_e32 v10, v86
	v_mov_b32_e32 v162, v156
	;; [unrolled: 1-line block ×3, first 2 shown]
                                        ; kill: def $vgpr130_vgpr131_vgpr132_vgpr133_vgpr134_vgpr135_vgpr136_vgpr137_vgpr138_vgpr139_vgpr140_vgpr141_vgpr142_vgpr143_vgpr144_vgpr145 killed $vgpr130_vgpr131_vgpr132_vgpr133_vgpr134_vgpr135_vgpr136_vgpr137_vgpr138_vgpr139_vgpr140_vgpr141_vgpr142_vgpr143_vgpr144_vgpr145 def $vgpr158_vgpr159_vgpr160_vgpr161
	v_mov_b32_e32 v219, v207
.LBB58_171:
	s_or_b64 exec, exec, s[0:1]
	s_barrier
	scratch_load_dword v0, off, off offset:4 ; 4-byte Folded Reload
	s_cmp_lt_i32 s22, 12
	s_waitcnt vmcnt(0)
	v_lshl_add_u32 v30, v0, 2, v254
	ds_write_b32 v30, v10
	s_waitcnt lgkmcnt(0)
	s_barrier
	ds_read_b32 v32, v254 offset:40
	v_mov_b32_e32 v30, 10
	s_cbranch_scc1 .LBB58_515
; %bb.172:
	scratch_load_dword v0, off, off offset:3348 ; 4-byte Folded Reload
	v_mov_b32_e32 v30, 10
	s_mov_b32 s0, 11
	v_mov_b32_e32 v68, v84
	v_mov_b32_e32 v11, v85
	s_waitcnt vmcnt(0)
	v_add3_u32 v31, v0, 0, 44
.LBB58_173:                             ; =>This Inner Loop Header: Depth=1
	ds_read_b32 v62, v31
	v_add_u32_e32 v31, 4, v31
	s_waitcnt lgkmcnt(0)
	v_cmp_lt_f32_e64 vcc, |v32|, |v62|
	s_nop 1
	v_cndmask_b32_e32 v32, v32, v62, vcc
	v_mov_b32_e32 v62, s0
	s_add_i32 s0, s0, 1
	v_cndmask_b32_e32 v30, v30, v62, vcc
	s_cmp_lg_u32 s22, s0
	s_cbranch_scc1 .LBB58_173
; %bb.174:
	v_cmp_eq_f32_e32 vcc, 0, v32
	s_and_saveexec_b64 s[0:1], vcc
	s_xor_b64 s[0:1], exec, s[0:1]
.LBB58_175:
	v_cmp_ne_u32_e32 vcc, 0, v246
	s_nop 1
	v_cndmask_b32_e32 v246, 11, v246, vcc
.LBB58_176:
	s_andn2_saveexec_b64 s[0:1], s[0:1]
	s_cbranch_execz .LBB58_178
; %bb.177:
	v_div_scale_f32 v31, s[2:3], v32, v32, 1.0
	v_rcp_f32_e32 v62, v31
	v_div_scale_f32 v63, vcc, 1.0, v32, 1.0
	v_fma_f32 v64, -v31, v62, 1.0
	v_fmac_f32_e32 v62, v64, v62
	v_mul_f32_e32 v64, v63, v62
	v_fma_f32 v65, -v31, v64, v63
	v_fmac_f32_e32 v64, v65, v62
	v_fma_f32 v31, -v31, v64, v63
	v_div_fmas_f32 v31, v31, v62, v64
	v_div_fixup_f32 v32, v31, v32, 1.0
.LBB58_178:
	s_or_b64 exec, exec, s[0:1]
	scratch_load_dword v0, off, off offset:4 ; 4-byte Folded Reload
	s_waitcnt vmcnt(0)
	v_cmp_ne_u32_e32 vcc, v0, v30
	s_and_saveexec_b64 s[0:1], vcc
	s_xor_b64 s[0:1], exec, s[0:1]
	s_cbranch_execz .LBB58_184
; %bb.179:
	scratch_load_dword v0, off, off offset:4 ; 4-byte Folded Reload
	s_waitcnt vmcnt(0)
	v_cmp_eq_u32_e32 vcc, 10, v0
	s_and_saveexec_b64 s[2:3], vcc
	s_cbranch_execz .LBB58_183
; %bb.180:
	v_cmp_ne_u32_e32 vcc, 10, v30
	s_xor_b64 s[18:19], s[16:17], -1
	s_and_b64 s[20:21], s[18:19], vcc
	s_and_saveexec_b64 s[18:19], s[20:21]
	s_cbranch_execz .LBB58_182
; %bb.181:
	s_movk_i32 s20, 0x1498
	scratch_load_dwordx2 v[0:1], off, s20   ; 8-byte Folded Reload
	v_ashrrev_i32_e32 v31, 31, v30
	s_waitcnt vmcnt(0)
	v_lshl_add_u64 v[62:63], v[30:31], 2, v[0:1]
	global_load_dword v31, v[62:63], off
	global_load_dword v64, v[0:1], off offset:40
	s_waitcnt vmcnt(1)
	global_store_dword v[0:1], v31, off offset:40
	s_waitcnt vmcnt(1)
	global_store_dword v[62:63], v64, off
.LBB58_182:
	s_or_b64 exec, exec, s[18:19]
	v_mov_b32_e32 v0, v30
	scratch_store_dword off, v0, off offset:2704 ; 4-byte Folded Spill
	scratch_store_dword off, v0, off offset:4 ; 4-byte Folded Spill
.LBB58_183:
	s_or_b64 exec, exec, s[2:3]
.LBB58_184:
	s_andn2_saveexec_b64 s[0:1], s[0:1]
	s_cbranch_execz .LBB58_186
; %bb.185:
	v_mov_b32_e32 v0, 10
	ds_write2_b32 v254, v175, v176 offset0:11 offset1:12
	ds_write2_b32 v254, v177, v178 offset0:13 offset1:14
	;; [unrolled: 1-line block ×9, first 2 shown]
	ds_write_b32 v254, v33 offset:116
	scratch_store_dword off, v0, off offset:4 ; 4-byte Folded Spill
.LBB58_186:
	s_or_b64 exec, exec, s[0:1]
	s_waitcnt lgkmcnt(0)
	s_barrier
	scratch_load_dword v0, off, off offset:4 ; 4-byte Folded Reload
	s_waitcnt vmcnt(0)
	v_cmp_lt_i32_e32 vcc, 10, v0
	s_and_saveexec_b64 s[0:1], vcc
	s_cbranch_execz .LBB58_188
; %bb.187:
	s_movk_i32 s2, 0x1298
	scratch_load_dwordx4 v[38:41], off, s2  ; 16-byte Folded Reload
	scratch_load_dwordx4 v[42:45], off, s2 offset:16 ; 16-byte Folded Reload
	scratch_load_dwordx4 v[46:49], off, s2 offset:32 ; 16-byte Folded Reload
	;; [unrolled: 1-line block ×7, first 2 shown]
	ds_read2_b32 v[0:1], v254 offset0:11 offset1:12
	ds_read2_b32 v[4:5], v254 offset0:13 offset1:14
	;; [unrolled: 1-line block ×4, first 2 shown]
	s_waitcnt vmcnt(5)
	v_mul_f32_e32 v48, v10, v32
	v_mov_b32_e32 v2, v175
	v_mov_b32_e32 v3, v176
	;; [unrolled: 1-line block ×4, first 2 shown]
	s_movk_i32 s2, 0x1098
	v_mov_b32_e32 v140, v48
	v_mov_b32_e32 v174, v48
	;; [unrolled: 1-line block ×4, first 2 shown]
	s_waitcnt lgkmcnt(3)
	v_pk_fma_f32 v[30:31], v[48:49], v[0:1], v[2:3] op_sel_hi:[0,1,1] neg_lo:[1,0,0] neg_hi:[1,0,0]
	v_mov_b32_e32 v0, v177
	v_mov_b32_e32 v1, v178
	s_waitcnt vmcnt(1) lgkmcnt(2)
	v_pk_fma_f32 v[62:63], v[48:49], v[4:5], v[0:1] op_sel_hi:[0,1,1] neg_lo:[1,0,0] neg_hi:[1,0,0]
	v_mov_b32_e32 v0, v179
	v_mov_b32_e32 v1, v180
	s_waitcnt lgkmcnt(1)
	v_pk_fma_f32 v[64:65], v[48:49], v[6:7], v[0:1] op_sel_hi:[0,1,1] neg_lo:[1,0,0] neg_hi:[1,0,0]
	v_mov_b32_e32 v0, v181
	v_mov_b32_e32 v1, v182
	s_waitcnt lgkmcnt(0)
	v_pk_fma_f32 v[92:93], v[48:49], v[8:9], v[0:1] op_sel_hi:[0,1,1] neg_lo:[1,0,0] neg_hi:[1,0,0]
	ds_read2_b32 v[0:1], v254 offset0:19 offset1:20
	ds_read2_b32 v[4:5], v254 offset0:21 offset1:22
	;; [unrolled: 1-line block ×4, first 2 shown]
	v_mov_b32_e32 v2, v183
	v_mov_b32_e32 v3, v184
	;; [unrolled: 1-line block ×3, first 2 shown]
	s_waitcnt lgkmcnt(3)
	v_pk_fma_f32 v[94:95], v[48:49], v[0:1], v[2:3] op_sel_hi:[0,1,1] neg_lo:[1,0,0] neg_hi:[1,0,0]
	v_mov_b32_e32 v0, v185
	v_mov_b32_e32 v1, v186
	s_waitcnt lgkmcnt(2)
	v_pk_fma_f32 v[96:97], v[48:49], v[4:5], v[0:1] op_sel_hi:[0,1,1] neg_lo:[1,0,0] neg_hi:[1,0,0]
	ds_read2_b32 v[2:3], v254 offset0:27 offset1:28
	ds_read_b32 v4, v254 offset:116
	v_mov_b32_e32 v0, v187
	v_mov_b32_e32 v1, v188
	s_waitcnt lgkmcnt(3)
	v_pk_fma_f32 v[34:35], v[48:49], v[6:7], v[0:1] op_sel_hi:[0,1,1] neg_lo:[1,0,0] neg_hi:[1,0,0]
	v_mov_b32_e32 v0, v189
	v_mov_b32_e32 v1, v190
	s_waitcnt lgkmcnt(2)
	v_pk_fma_f32 v[36:37], v[48:49], v[8:9], v[0:1] op_sel_hi:[0,1,1] neg_lo:[1,0,0] neg_hi:[1,0,0]
	v_mov_b32_e32 v0, v191
	v_mov_b32_e32 v1, v192
	s_waitcnt lgkmcnt(1)
	v_pk_fma_f32 v[28:29], v[48:49], v[2:3], v[0:1] op_sel_hi:[0,1,1] neg_lo:[1,0,0] neg_hi:[1,0,0]
	s_waitcnt lgkmcnt(0)
	v_fma_f32 v193, -v48, v4, v33
	v_mov_b32_e32 v0, v38
	v_mov_b32_e32 v1, v39
	;; [unrolled: 1-line block ×12, first 2 shown]
	scratch_store_dwordx4 off, v[0:3], off offset:1936 ; 16-byte Folded Spill
	s_nop 0
	scratch_store_dwordx4 off, v[4:7], off offset:1952 ; 16-byte Folded Spill
	scratch_store_dwordx4 off, v[8:11], off offset:1968 ; 16-byte Folded Spill
	;; [unrolled: 1-line block ×7, first 2 shown]
	v_mov_b32_e32 v13, v62
	v_mov_b32_e32 v216, v40
	;; [unrolled: 1-line block ×45, first 2 shown]
	scratch_store_dwordx4 off, v[0:3], off offset:3480 ; 16-byte Folded Spill
	s_nop 0
	scratch_store_dwordx4 off, v[4:7], off offset:3496 ; 16-byte Folded Spill
	scratch_store_dwordx4 off, v[8:11], off offset:3512 ; 16-byte Folded Spill
	;; [unrolled: 1-line block ×7, first 2 shown]
	v_mov_b32_e32 v14, v63
	v_mov_b32_e32 v15, v64
	;; [unrolled: 1-line block ×21, first 2 shown]
	scratch_store_dwordx4 off, v[214:217], off offset:656 ; 16-byte Folded Spill
	s_nop 0
	scratch_store_dwordx4 off, v[218:221], off offset:672 ; 16-byte Folded Spill
	scratch_store_dwordx4 off, v[222:225], off offset:688 ; 16-byte Folded Spill
	;; [unrolled: 1-line block ×8, first 2 shown]
	s_nop 0
	scratch_store_dwordx4 off, v[4:7], off offset:2724 ; 16-byte Folded Spill
	scratch_store_dwordx4 off, v[8:11], off offset:2740 ; 16-byte Folded Spill
	scratch_store_dwordx4 off, v[12:15], off offset:2756 ; 16-byte Folded Spill
	scratch_store_dwordx4 off, v[16:19], off offset:2772 ; 16-byte Folded Spill
	scratch_store_dwordx4 off, v[20:23], off offset:2788 ; 16-byte Folded Spill
	scratch_store_dwordx4 off, v[24:27], off offset:2804 ; 16-byte Folded Spill
	scratch_store_dwordx4 off, v[28:31], off offset:2820 ; 16-byte Folded Spill
	v_mov_b32_e32 v16, v65
	v_mov_b32_e32 v244, v95
	;; [unrolled: 1-line block ×7, first 2 shown]
	scratch_store_dwordx4 off, v[0:3], off offset:1680 ; 16-byte Folded Spill
	s_nop 0
	scratch_store_dwordx4 off, v[4:7], off offset:1696 ; 16-byte Folded Spill
	scratch_store_dwordx4 off, v[8:11], off offset:1712 ; 16-byte Folded Spill
	scratch_store_dwordx4 off, v[12:15], off offset:1728 ; 16-byte Folded Spill
	scratch_store_dwordx4 off, v[16:19], off offset:1744 ; 16-byte Folded Spill
	scratch_store_dwordx4 off, v[20:23], off offset:1760 ; 16-byte Folded Spill
	scratch_store_dwordx4 off, v[24:27], off offset:1776 ; 16-byte Folded Spill
	scratch_store_dwordx4 off, v[28:31], off offset:1792 ; 16-byte Folded Spill
	v_mov_b32_e32 v17, v92
	scratch_store_dwordx4 off, v[0:3], off offset:2192 ; 16-byte Folded Spill
	s_nop 0
	scratch_store_dwordx4 off, v[4:7], off offset:2208 ; 16-byte Folded Spill
	scratch_store_dwordx4 off, v[8:11], off offset:2224 ; 16-byte Folded Spill
	scratch_store_dwordx4 off, v[12:15], off offset:2240 ; 16-byte Folded Spill
	scratch_store_dwordx4 off, v[16:19], off offset:2256 ; 16-byte Folded Spill
	scratch_store_dwordx4 off, v[20:23], off offset:2272 ; 16-byte Folded Spill
	scratch_store_dwordx4 off, v[24:27], off offset:2288 ; 16-byte Folded Spill
	scratch_store_dwordx4 off, v[28:31], off offset:2304 ; 16-byte Folded Spill
	v_mov_b32_e32 v18, v93
	scratch_store_dwordx4 off, v[0:3], off offset:400 ; 16-byte Folded Spill
	s_nop 0
	scratch_store_dwordx4 off, v[4:7], off offset:416 ; 16-byte Folded Spill
	scratch_store_dwordx4 off, v[8:11], off offset:432 ; 16-byte Folded Spill
	scratch_store_dwordx4 off, v[12:15], off offset:448 ; 16-byte Folded Spill
	scratch_store_dwordx4 off, v[16:19], off offset:464 ; 16-byte Folded Spill
	scratch_store_dwordx4 off, v[20:23], off offset:480 ; 16-byte Folded Spill
	scratch_store_dwordx4 off, v[24:27], off offset:496 ; 16-byte Folded Spill
	scratch_store_dwordx4 off, v[28:31], off offset:512 ; 16-byte Folded Spill
	v_mov_b32_e32 v19, v94
	scratch_store_dwordx4 off, v[0:3], off offset:1808 ; 16-byte Folded Spill
	s_nop 0
	scratch_store_dwordx4 off, v[4:7], off offset:1824 ; 16-byte Folded Spill
	scratch_store_dwordx4 off, v[8:11], off offset:1840 ; 16-byte Folded Spill
	scratch_store_dwordx4 off, v[12:15], off offset:1856 ; 16-byte Folded Spill
	scratch_store_dwordx4 off, v[16:19], off offset:1872 ; 16-byte Folded Spill
	scratch_store_dwordx4 off, v[20:23], off offset:1888 ; 16-byte Folded Spill
	scratch_store_dwordx4 off, v[24:27], off offset:1904 ; 16-byte Folded Spill
	scratch_store_dwordx4 off, v[28:31], off offset:1920 ; 16-byte Folded Spill
	v_mov_b32_e32 v20, v95
	scratch_store_dwordx4 off, v[0:3], off offset:272 ; 16-byte Folded Spill
	s_nop 0
	scratch_store_dwordx4 off, v[4:7], off offset:288 ; 16-byte Folded Spill
	scratch_store_dwordx4 off, v[8:11], off offset:304 ; 16-byte Folded Spill
	scratch_store_dwordx4 off, v[12:15], off offset:320 ; 16-byte Folded Spill
	scratch_store_dwordx4 off, v[16:19], off offset:336 ; 16-byte Folded Spill
	scratch_store_dwordx4 off, v[20:23], off offset:352 ; 16-byte Folded Spill
	scratch_store_dwordx4 off, v[24:27], off offset:368 ; 16-byte Folded Spill
	scratch_store_dwordx4 off, v[28:31], off offset:384 ; 16-byte Folded Spill
	v_mov_b32_e32 v21, v96
	scratch_store_dwordx4 off, v[0:3], off offset:1552 ; 16-byte Folded Spill
	s_nop 0
	scratch_store_dwordx4 off, v[4:7], off offset:1568 ; 16-byte Folded Spill
	scratch_store_dwordx4 off, v[8:11], off offset:1584 ; 16-byte Folded Spill
	scratch_store_dwordx4 off, v[12:15], off offset:1600 ; 16-byte Folded Spill
	scratch_store_dwordx4 off, v[16:19], off offset:1616 ; 16-byte Folded Spill
	scratch_store_dwordx4 off, v[20:23], off offset:1632 ; 16-byte Folded Spill
	scratch_store_dwordx4 off, v[24:27], off offset:1648 ; 16-byte Folded Spill
	scratch_store_dwordx4 off, v[28:31], off offset:1664 ; 16-byte Folded Spill
	v_mov_b32_e32 v22, v97
	scratch_store_dwordx4 off, v[0:3], off offset:912 ; 16-byte Folded Spill
	s_nop 0
	scratch_store_dwordx4 off, v[4:7], off offset:928 ; 16-byte Folded Spill
	scratch_store_dwordx4 off, v[8:11], off offset:944 ; 16-byte Folded Spill
	scratch_store_dwordx4 off, v[12:15], off offset:960 ; 16-byte Folded Spill
	scratch_store_dwordx4 off, v[16:19], off offset:976 ; 16-byte Folded Spill
	scratch_store_dwordx4 off, v[20:23], off offset:992 ; 16-byte Folded Spill
	scratch_store_dwordx4 off, v[24:27], off offset:1008 ; 16-byte Folded Spill
	scratch_store_dwordx4 off, v[28:31], off offset:1024 ; 16-byte Folded Spill
	v_mov_b32_e32 v23, v34
	scratch_store_dwordx4 off, v[0:3], off offset:1296 ; 16-byte Folded Spill
	s_nop 0
	scratch_store_dwordx4 off, v[4:7], off offset:1312 ; 16-byte Folded Spill
	scratch_store_dwordx4 off, v[8:11], off offset:1328 ; 16-byte Folded Spill
	scratch_store_dwordx4 off, v[12:15], off offset:1344 ; 16-byte Folded Spill
	scratch_store_dwordx4 off, v[16:19], off offset:1360 ; 16-byte Folded Spill
	scratch_store_dwordx4 off, v[20:23], off offset:1376 ; 16-byte Folded Spill
	scratch_store_dwordx4 off, v[24:27], off offset:1392 ; 16-byte Folded Spill
	scratch_store_dwordx4 off, v[28:31], off offset:1408 ; 16-byte Folded Spill
	s_nop 0
	v_mov_b32_e32 v24, v35
	scratch_store_dwordx4 off, v[0:3], off offset:1040 ; 16-byte Folded Spill
	s_nop 0
	scratch_store_dwordx4 off, v[4:7], off offset:1056 ; 16-byte Folded Spill
	scratch_store_dwordx4 off, v[8:11], off offset:1072 ; 16-byte Folded Spill
	scratch_store_dwordx4 off, v[12:15], off offset:1088 ; 16-byte Folded Spill
	scratch_store_dwordx4 off, v[16:19], off offset:1104 ; 16-byte Folded Spill
	scratch_store_dwordx4 off, v[20:23], off offset:1120 ; 16-byte Folded Spill
	scratch_store_dwordx4 off, v[24:27], off offset:1136 ; 16-byte Folded Spill
	scratch_store_dwordx4 off, v[28:31], off offset:1152 ; 16-byte Folded Spill
	s_nop 0
	v_mov_b32_e32 v25, v36
	;; [unrolled: 11-line block ×3, first 2 shown]
	v_mov_b32_e32 v27, v28
	v_mov_b32_e32 v141, v30
	;; [unrolled: 1-line block ×3, first 2 shown]
	scratch_store_dwordx4 off, v[0:3], off offset:784 ; 16-byte Folded Spill
	s_nop 0
	scratch_store_dwordx4 off, v[4:7], off offset:800 ; 16-byte Folded Spill
	scratch_store_dwordx4 off, v[8:11], off offset:816 ; 16-byte Folded Spill
	;; [unrolled: 1-line block ×7, first 2 shown]
	scratch_store_dwordx4 off, v[38:41], s2 ; 16-byte Folded Spill
	s_nop 0
	scratch_store_dwordx4 off, v[42:45], s2 offset:16 ; 16-byte Folded Spill
	scratch_store_dwordx4 off, v[46:49], s2 offset:32 ; 16-byte Folded Spill
	;; [unrolled: 1-line block ×6, first 2 shown]
	s_waitcnt vmcnt(62)
	scratch_store_dwordx4 off, v[66:69], s2 offset:112 ; 16-byte Folded Spill
	scratch_store_dwordx4 off, v[38:41], off offset:3608 ; 16-byte Folded Spill
	s_nop 0
	scratch_store_dwordx4 off, v[42:45], off offset:3624 ; 16-byte Folded Spill
	scratch_store_dwordx4 off, v[46:49], off offset:3640 ; 16-byte Folded Spill
	;; [unrolled: 1-line block ×7, first 2 shown]
	v_mov_b32_e32 v175, v30
	v_mov_b32_e32 v176, v31
	;; [unrolled: 1-line block ×5, first 2 shown]
	scratch_store_dwordx4 off, v[0:3], off offset:136 ; 16-byte Folded Spill
	s_nop 0
	scratch_store_dwordx4 off, v[4:7], off offset:152 ; 16-byte Folded Spill
	scratch_store_dwordx4 off, v[8:11], off offset:168 ; 16-byte Folded Spill
	;; [unrolled: 1-line block ×8, first 2 shown]
	s_nop 0
	scratch_store_dwordx4 off, v[4:7], off offset:544 ; 16-byte Folded Spill
	scratch_store_dwordx4 off, v[8:11], off offset:560 ; 16-byte Folded Spill
	;; [unrolled: 1-line block ×7, first 2 shown]
	v_mov_b32_e32 v232, v63
	v_mov_b32_e32 v67, v64
	;; [unrolled: 1-line block ×4, first 2 shown]
	scratch_store_dwordx2 off, v[28:29], off offset:264 ; 8-byte Folded Spill
.LBB58_188:
	s_or_b64 exec, exec, s[0:1]
	s_waitcnt vmcnt(63) expcnt(7) lgkmcnt(15)
	s_barrier
	scratch_load_dword v0, off, off offset:4 ; 4-byte Folded Reload
	s_cmp_lt_i32 s22, 13
	s_waitcnt vmcnt(0)
	v_lshl_add_u32 v30, v0, 2, v254
	ds_write_b32 v30, v11
	s_waitcnt lgkmcnt(0)
	s_barrier
	ds_read_b32 v32, v254 offset:44
	v_mov_b32_e32 v30, 11
	s_cbranch_scc1 .LBB58_191
; %bb.189:
	scratch_load_dword v0, off, off offset:3348 ; 4-byte Folded Reload
	v_mov_b32_e32 v30, 11
	s_mov_b32 s0, 12
	s_waitcnt vmcnt(0)
	v_add3_u32 v31, v0, 0, 48
.LBB58_190:                             ; =>This Inner Loop Header: Depth=1
	ds_read_b32 v62, v31
	v_add_u32_e32 v31, 4, v31
	s_waitcnt lgkmcnt(0)
	v_cmp_lt_f32_e64 vcc, |v32|, |v62|
	s_nop 1
	v_cndmask_b32_e32 v32, v32, v62, vcc
	v_mov_b32_e32 v62, s0
	s_add_i32 s0, s0, 1
	v_cndmask_b32_e32 v30, v30, v62, vcc
	s_cmp_lg_u32 s22, s0
	s_cbranch_scc1 .LBB58_190
.LBB58_191:
	s_waitcnt lgkmcnt(0)
	v_cmp_eq_f32_e32 vcc, 0, v32
	s_and_saveexec_b64 s[0:1], vcc
	s_xor_b64 s[0:1], exec, s[0:1]
; %bb.192:
	v_cmp_ne_u32_e32 vcc, 0, v246
	s_nop 1
	v_cndmask_b32_e32 v246, 12, v246, vcc
; %bb.193:
	s_andn2_saveexec_b64 s[0:1], s[0:1]
	s_cbranch_execz .LBB58_195
; %bb.194:
	v_div_scale_f32 v31, s[2:3], v32, v32, 1.0
	v_rcp_f32_e32 v62, v31
	v_div_scale_f32 v63, vcc, 1.0, v32, 1.0
	v_fma_f32 v64, -v31, v62, 1.0
	v_fmac_f32_e32 v62, v64, v62
	v_mul_f32_e32 v64, v63, v62
	v_fma_f32 v65, -v31, v64, v63
	v_fmac_f32_e32 v64, v65, v62
	v_fma_f32 v31, -v31, v64, v63
	v_div_fmas_f32 v31, v31, v62, v64
	v_div_fixup_f32 v32, v31, v32, 1.0
.LBB58_195:
	s_or_b64 exec, exec, s[0:1]
	scratch_load_dword v0, off, off offset:4 ; 4-byte Folded Reload
	s_waitcnt vmcnt(0)
	v_cmp_ne_u32_e32 vcc, v0, v30
	s_and_saveexec_b64 s[0:1], vcc
	s_xor_b64 s[0:1], exec, s[0:1]
	s_cbranch_execz .LBB58_201
; %bb.196:
	scratch_load_dword v0, off, off offset:4 ; 4-byte Folded Reload
	s_waitcnt vmcnt(0)
	v_cmp_eq_u32_e32 vcc, 11, v0
	s_and_saveexec_b64 s[2:3], vcc
	s_cbranch_execz .LBB58_200
; %bb.197:
	v_cmp_ne_u32_e32 vcc, 11, v30
	s_xor_b64 s[18:19], s[16:17], -1
	s_and_b64 s[20:21], s[18:19], vcc
	s_and_saveexec_b64 s[18:19], s[20:21]
	s_cbranch_execz .LBB58_199
; %bb.198:
	s_movk_i32 s20, 0x1498
	scratch_load_dwordx2 v[0:1], off, s20   ; 8-byte Folded Reload
	v_ashrrev_i32_e32 v31, 31, v30
	s_waitcnt vmcnt(0)
	v_lshl_add_u64 v[62:63], v[30:31], 2, v[0:1]
	global_load_dword v31, v[62:63], off
	global_load_dword v64, v[0:1], off offset:44
	s_waitcnt vmcnt(1)
	global_store_dword v[0:1], v31, off offset:44
	s_waitcnt vmcnt(1)
	global_store_dword v[62:63], v64, off
.LBB58_199:
	s_or_b64 exec, exec, s[18:19]
	v_mov_b32_e32 v0, v30
	scratch_store_dword off, v0, off offset:2704 ; 4-byte Folded Spill
	scratch_store_dword off, v0, off offset:4 ; 4-byte Folded Spill
.LBB58_200:
	s_or_b64 exec, exec, s[2:3]
.LBB58_201:
	s_or_saveexec_b64 s[0:1], s[0:1]
	v_mov_b32_e32 v53, v83
	s_xor_b64 exec, exec, s[0:1]
	s_cbranch_execz .LBB58_203
; %bb.202:
	v_mov_b32_e32 v0, 11
	ds_write2_b32 v254, v176, v177 offset0:12 offset1:13
	ds_write2_b32 v254, v178, v179 offset0:14 offset1:15
	;; [unrolled: 1-line block ×9, first 2 shown]
	scratch_store_dword off, v0, off offset:4 ; 4-byte Folded Spill
.LBB58_203:
	s_or_b64 exec, exec, s[0:1]
	s_waitcnt lgkmcnt(0)
	s_barrier
	scratch_load_dword v0, off, off offset:4 ; 4-byte Folded Reload
	s_waitcnt vmcnt(0)
	v_cmp_lt_i32_e32 vcc, 11, v0
	s_and_saveexec_b64 s[0:1], vcc
	s_cbranch_execz .LBB58_205
; %bb.204:
	v_mul_f32_e32 v0, v11, v32
	ds_read2_b32 v[2:3], v254 offset0:12 offset1:13
	ds_read2_b32 v[4:5], v254 offset0:14 offset1:15
	;; [unrolled: 1-line block ×5, first 2 shown]
	s_waitcnt lgkmcnt(4)
	v_pk_fma_f32 v[226:227], v[0:1], v[2:3], v[176:177] op_sel_hi:[0,1,1] neg_lo:[1,0,0] neg_hi:[1,0,0]
	s_waitcnt lgkmcnt(3)
	v_pk_fma_f32 v[26:27], v[0:1], v[4:5], v[178:179] op_sel_hi:[0,1,1] neg_lo:[1,0,0] neg_hi:[1,0,0]
	;; [unrolled: 2-line block ×4, first 2 shown]
	scratch_store_dwordx4 off, v[164:167], off offset:8 ; 16-byte Folded Spill
	s_nop 0
	scratch_store_dwordx4 off, v[168:171], off offset:24 ; 16-byte Folded Spill
	scratch_store_dwordx4 off, v[172:175], off offset:40 ; 16-byte Folded Spill
	;; [unrolled: 1-line block ×7, first 2 shown]
	scratch_load_dwordx4 v[92:95], off, off offset:3608 ; 16-byte Folded Reload
	scratch_load_dwordx4 v[96:99], off, off offset:3624 ; 16-byte Folded Reload
	;; [unrolled: 1-line block ×8, first 2 shown]
	v_mov_b32_e32 v41, v0
	v_mov_b32_e32 v42, v226
	;; [unrolled: 1-line block ×13, first 2 shown]
	s_waitcnt vmcnt(5)
	v_mov_b32_e32 v103, v0
	v_mov_b32_e32 v225, v0
	s_waitcnt vmcnt(0)
	v_mov_b32_e32 v123, v0
	v_mov_b32_e32 v169, v0
	;; [unrolled: 1-line block ×3, first 2 shown]
	s_movk_i32 s2, 0x1098
	v_mov_b32_e32 v124, v226
	v_mov_b32_e32 v125, v227
	;; [unrolled: 1-line block ×17, first 2 shown]
	scratch_store_dwordx4 off, v[30:33], off offset:3480 ; 16-byte Folded Spill
	s_nop 0
	scratch_store_dwordx4 off, v[34:37], off offset:3496 ; 16-byte Folded Spill
	scratch_store_dwordx4 off, v[38:41], off offset:3512 ; 16-byte Folded Spill
	;; [unrolled: 1-line block ×7, first 2 shown]
	v_mov_b32_e32 v44, v26
	v_mov_b32_e32 v45, v27
	;; [unrolled: 1-line block ×54, first 2 shown]
	scratch_store_dwordx4 off, v[30:33], off offset:2708 ; 16-byte Folded Spill
	s_nop 0
	scratch_store_dwordx4 off, v[34:37], off offset:2724 ; 16-byte Folded Spill
	scratch_store_dwordx4 off, v[38:41], off offset:2740 ; 16-byte Folded Spill
	;; [unrolled: 1-line block ×7, first 2 shown]
	v_mov_b32_e32 v46, v128
	v_mov_b32_e32 v47, v129
	scratch_store_dwordx4 off, v[30:33], off offset:2192 ; 16-byte Folded Spill
	s_nop 0
	scratch_store_dwordx4 off, v[34:37], off offset:2208 ; 16-byte Folded Spill
	scratch_store_dwordx4 off, v[38:41], off offset:2224 ; 16-byte Folded Spill
	;; [unrolled: 1-line block ×7, first 2 shown]
	s_waitcnt lgkmcnt(0)
	v_pk_fma_f32 v[46:47], v[0:1], v[10:11], v[182:183] op_sel_hi:[0,1,1] neg_lo:[1,0,0] neg_hi:[1,0,0]
	v_mov_b32_e32 v42, v26
	v_mov_b32_e32 v43, v27
	;; [unrolled: 1-line block ×16, first 2 shown]
	v_mov_b64_e32 v[66:67], v[42:43]
	v_mov_b64_e32 v[70:71], v[46:47]
	;; [unrolled: 1-line block ×10, first 2 shown]
	v_mov_b32_e32 v30, v92
	v_mov_b32_e32 v31, v93
	;; [unrolled: 1-line block ×20, first 2 shown]
	v_mov_b64_e32 v[10:11], v[12:13]
	v_mov_b64_e32 v[12:13], v[14:15]
	;; [unrolled: 1-line block ×11, first 2 shown]
	v_mov_b32_e32 v68, v98
	v_mov_b32_e32 v69, v99
	;; [unrolled: 1-line block ×5, first 2 shown]
	scratch_store_dwordx4 off, v[30:33], off offset:1808 ; 16-byte Folded Spill
	s_nop 0
	scratch_store_dwordx4 off, v[34:37], off offset:1824 ; 16-byte Folded Spill
	scratch_store_dwordx4 off, v[38:41], off offset:1840 ; 16-byte Folded Spill
	;; [unrolled: 1-line block ×7, first 2 shown]
	ds_read2_b32 v[2:3], v254 offset0:20 offset1:21
	ds_read2_b32 v[4:5], v254 offset0:22 offset1:23
	;; [unrolled: 1-line block ×4, first 2 shown]
	v_mov_b32_e32 v30, v94
	s_waitcnt lgkmcnt(3)
	v_pk_fma_f32 v[48:49], v[0:1], v[2:3], v[184:185] op_sel_hi:[0,1,1] neg_lo:[1,0,0] neg_hi:[1,0,0]
	v_mov_b32_e32 v31, v95
	v_mov_b32_e32 v32, v96
	;; [unrolled: 1-line block ×22, first 2 shown]
	v_mov_b64_e32 v[206:207], v[22:23]
	v_mov_b64_e32 v[204:205], v[20:21]
	;; [unrolled: 1-line block ×7, first 2 shown]
	v_mov_b32_e32 v176, v148
	v_mov_b32_e32 v177, v149
	;; [unrolled: 1-line block ×6, first 2 shown]
	v_mov_b64_e32 v[144:145], v[66:67]
	v_mov_b64_e32 v[142:143], v[64:65]
	;; [unrolled: 1-line block ×8, first 2 shown]
	v_mov_b32_e32 v62, v92
	v_mov_b32_e32 v63, v93
	;; [unrolled: 1-line block ×6, first 2 shown]
	scratch_store_dwordx4 off, v[28:31], off offset:272 ; 16-byte Folded Spill
	s_nop 0
	scratch_store_dwordx4 off, v[32:35], off offset:288 ; 16-byte Folded Spill
	scratch_store_dwordx4 off, v[36:39], off offset:304 ; 16-byte Folded Spill
	;; [unrolled: 1-line block ×8, first 2 shown]
	s_nop 0
	scratch_store_dwordx4 off, v[66:69], off offset:1568 ; 16-byte Folded Spill
	scratch_store_dwordx4 off, v[70:73], off offset:1584 ; 16-byte Folded Spill
	;; [unrolled: 1-line block ×7, first 2 shown]
	scratch_load_dwordx4 v[10:13], off, off offset:8 ; 16-byte Folded Reload
	scratch_load_dwordx4 v[14:17], off, off offset:24 ; 16-byte Folded Reload
	;; [unrolled: 1-line block ×8, first 2 shown]
	v_mov_b64_e32 v[42:43], v[194:195]
	v_mov_b64_e32 v[56:57], v[208:209]
	v_mov_b32_e32 v64, v94
	v_mov_b32_e32 v65, v95
	;; [unrolled: 1-line block ×9, first 2 shown]
	v_mov_b64_e32 v[44:45], v[196:197]
	v_mov_b64_e32 v[46:47], v[198:199]
	;; [unrolled: 1-line block ×6, first 2 shown]
	v_mov_b32_e32 v58, v98
	v_mov_b32_e32 v59, v99
	;; [unrolled: 1-line block ×14, first 2 shown]
	s_waitcnt vmcnt(2) lgkmcnt(2)
	v_pk_fma_f32 v[180:181], v[0:1], v[4:5], v[32:33] op_sel_hi:[0,1,1] neg_lo:[1,0,0] neg_hi:[1,0,0]
	scratch_load_dwordx4 v[10:13], off, off offset:272 ; 16-byte Folded Reload
	scratch_load_dwordx4 v[14:17], off, off offset:288 ; 16-byte Folded Reload
	;; [unrolled: 1-line block ×8, first 2 shown]
	v_mov_b32_e32 v84, v180
	v_mov_b32_e32 v85, v181
	;; [unrolled: 1-line block ×4, first 2 shown]
	s_waitcnt vmcnt(2)
	v_mov_b32_e32 v82, v30
	v_mov_b32_e32 v83, v31
	scratch_store_dwordx4 off, v[62:65], off offset:1296 ; 16-byte Folded Spill
	s_nop 0
	scratch_store_dwordx4 off, v[66:69], off offset:1312 ; 16-byte Folded Spill
	scratch_store_dwordx4 off, v[70:73], off offset:1328 ; 16-byte Folded Spill
	scratch_store_dwordx4 off, v[74:77], off offset:1344 ; 16-byte Folded Spill
	scratch_store_dwordx4 off, v[78:81], off offset:1360 ; 16-byte Folded Spill
	scratch_store_dwordx4 off, v[82:85], off offset:1376 ; 16-byte Folded Spill
	scratch_store_dwordx4 off, v[86:89], off offset:1392 ; 16-byte Folded Spill
	scratch_store_dwordx4 off, v[90:93], off offset:1408 ; 16-byte Folded Spill
	v_mov_b32_e32 v178, v30
	v_mov_b32_e32 v179, v31
	scratch_load_dwordx4 v[10:13], off, off offset:8 ; 16-byte Folded Reload
	scratch_load_dwordx4 v[14:17], off, off offset:24 ; 16-byte Folded Reload
	;; [unrolled: 1-line block ×8, first 2 shown]
	s_waitcnt vmcnt(4)
	v_mov_b64_e32 v[10:11], v[42:43]
	v_mov_b64_e32 v[12:13], v[44:45]
	;; [unrolled: 1-line block ×8, first 2 shown]
	v_mov_b32_e32 v62, v102
	v_mov_b32_e32 v63, v0
	;; [unrolled: 1-line block ×16, first 2 shown]
	s_waitcnt vmcnt(1) lgkmcnt(1)
	v_pk_fma_f32 v[206:207], v[0:1], v[6:7], v[34:35] op_sel_hi:[0,1,1] neg_lo:[1,0,0] neg_hi:[1,0,0]
	scratch_load_dwordx4 v[26:29], off, off offset:272 ; 16-byte Folded Reload
	scratch_load_dwordx4 v[30:33], off, off offset:288 ; 16-byte Folded Reload
	;; [unrolled: 1-line block ×8, first 2 shown]
	s_waitcnt vmcnt(1)
	v_mov_b32_e32 v52, v92
	v_mov_b32_e32 v53, v93
	s_waitcnt vmcnt(0)
	v_mov_b32_e32 v54, v94
	v_mov_b32_e32 v55, v95
	;; [unrolled: 1-line block ×6, first 2 shown]
	scratch_store_dwordx4 off, v[130:133], off offset:400 ; 16-byte Folded Spill
	s_nop 0
	scratch_store_dwordx4 off, v[134:137], off offset:416 ; 16-byte Folded Spill
	scratch_store_dwordx4 off, v[138:141], off offset:432 ; 16-byte Folded Spill
	scratch_store_dwordx4 off, v[142:145], off offset:448 ; 16-byte Folded Spill
	scratch_store_dwordx4 off, v[146:149], off offset:464 ; 16-byte Folded Spill
	scratch_store_dwordx4 off, v[150:153], off offset:480 ; 16-byte Folded Spill
	scratch_store_dwordx4 off, v[154:157], off offset:496 ; 16-byte Folded Spill
	scratch_store_dwordx4 off, v[158:161], off offset:512 ; 16-byte Folded Spill
	v_mov_b32_e32 v141, v0
	v_mov_b32_e32 v130, v92
	;; [unrolled: 1-line block ×22, first 2 shown]
	scratch_store_dwordx4 off, v[52:55], off offset:1168 ; 16-byte Folded Spill
	s_nop 0
	scratch_store_dwordx4 off, v[56:59], off offset:1184 ; 16-byte Folded Spill
	scratch_store_dwordx4 off, v[60:63], off offset:1200 ; 16-byte Folded Spill
	;; [unrolled: 1-line block ×7, first 2 shown]
	v_mov_b32_e32 v202, v46
	v_mov_b32_e32 v203, v47
	scratch_load_dwordx4 v[26:29], off, off offset:8 ; 16-byte Folded Reload
	scratch_load_dwordx4 v[30:33], off, off offset:24 ; 16-byte Folded Reload
	;; [unrolled: 1-line block ×8, first 2 shown]
	s_waitcnt vmcnt(0)
	v_mov_b32_e32 v54, v94
	v_mov_b32_e32 v55, v95
	;; [unrolled: 1-line block ×7, first 2 shown]
	s_waitcnt lgkmcnt(0)
	v_pk_fma_f32 v[156:157], v[0:1], v[8:9], v[52:53] op_sel_hi:[0,1,1] neg_lo:[1,0,0] neg_hi:[1,0,0]
	v_mov_b64_e32 v[2:3], v[10:11]
	v_mov_b64_e32 v[4:5], v[12:13]
	;; [unrolled: 1-line block ×8, first 2 shown]
	scratch_store_dwordx4 off, v[2:5], off offset:656 ; 16-byte Folded Spill
	s_nop 0
	scratch_store_dwordx4 off, v[6:9], off offset:672 ; 16-byte Folded Spill
	scratch_store_dwordx4 off, v[10:13], off offset:688 ; 16-byte Folded Spill
	;; [unrolled: 1-line block ×7, first 2 shown]
	v_mov_b32_e32 v52, v92
	v_mov_b32_e32 v53, v93
	;; [unrolled: 1-line block ×4, first 2 shown]
	scratch_load_dwordx4 v[2:5], off, off offset:400 ; 16-byte Folded Reload
	scratch_load_dwordx4 v[6:9], off, off offset:416 ; 16-byte Folded Reload
	;; [unrolled: 1-line block ×8, first 2 shown]
	s_waitcnt vmcnt(4)
	v_mov_b64_e32 v[84:85], v[16:17]
	s_waitcnt vmcnt(3)
	v_mov_b64_e32 v[88:89], v[20:21]
	v_mov_b32_e32 v148, v20
	v_mov_b32_e32 v149, v21
	v_mov_b64_e32 v[82:83], v[14:15]
	v_mov_b64_e32 v[80:81], v[12:13]
	;; [unrolled: 1-line block ×8, first 2 shown]
	scratch_load_dwordx4 v[2:5], off, off offset:272 ; 16-byte Folded Reload
	scratch_load_dwordx4 v[6:9], off, off offset:288 ; 16-byte Folded Reload
	;; [unrolled: 1-line block ×8, first 2 shown]
	v_mov_b64_e32 v[90:91], v[88:89]
	v_mov_b64_e32 v[88:89], v[86:87]
	;; [unrolled: 1-line block ×10, first 2 shown]
	v_mov_b32_e32 v70, v90
	v_mov_b32_e32 v71, v91
	;; [unrolled: 1-line block ×8, first 2 shown]
	s_waitcnt vmcnt(2)
	v_mov_b32_e32 v150, v22
	v_mov_b32_e32 v151, v23
	scratch_load_dwordx4 v[2:5], off, off offset:8 ; 16-byte Folded Reload
	scratch_load_dwordx4 v[6:9], off, off offset:24 ; 16-byte Folded Reload
	;; [unrolled: 1-line block ×8, first 2 shown]
	s_waitcnt vmcnt(5)
	v_mov_b32_e32 v13, v0
	scratch_store_dwordx4 off, v[2:5], off offset:8 ; 16-byte Folded Spill
	s_nop 0
	scratch_store_dwordx4 off, v[6:9], off offset:24 ; 16-byte Folded Spill
	scratch_store_dwordx4 off, v[10:13], off offset:40 ; 16-byte Folded Spill
	s_waitcnt vmcnt(7)
	scratch_store_dwordx4 off, v[14:17], off offset:56 ; 16-byte Folded Spill
	s_waitcnt vmcnt(7)
	;; [unrolled: 2-line block ×5, first 2 shown]
	scratch_store_dwordx4 off, v[30:33], off offset:120 ; 16-byte Folded Spill
	scratch_load_dwordx4 v[12:15], off, off offset:656 ; 16-byte Folded Reload
	s_nop 0
	scratch_load_dwordx4 v[16:19], off, off offset:672 ; 16-byte Folded Reload
	scratch_load_dwordx4 v[20:23], off, off offset:688 ; 16-byte Folded Reload
	;; [unrolled: 1-line block ×7, first 2 shown]
	s_waitcnt vmcnt(0)
	v_mov_b64_e32 v[46:47], v[26:27]
	v_mov_b32_e32 v66, v26
	v_mov_b32_e32 v67, v27
	v_mov_b64_e32 v[44:45], v[24:25]
	v_mov_b64_e32 v[42:43], v[22:23]
	;; [unrolled: 1-line block ×7, first 2 shown]
	scratch_load_dwordx4 v[0:3], off, off offset:272 ; 16-byte Folded Reload
	scratch_load_dwordx4 v[4:7], off, off offset:288 ; 16-byte Folded Reload
	;; [unrolled: 1-line block ×8, first 2 shown]
	s_waitcnt vmcnt(2)
	v_mov_b32_e32 v72, v20
	v_mov_b32_e32 v73, v21
	scratch_store_dwordx4 off, v[52:55], off offset:784 ; 16-byte Folded Spill
	s_nop 0
	scratch_store_dwordx4 off, v[56:59], off offset:800 ; 16-byte Folded Spill
	scratch_store_dwordx4 off, v[60:63], off offset:816 ; 16-byte Folded Spill
	;; [unrolled: 1-line block ×7, first 2 shown]
	scratch_load_dwordx4 v[0:3], off, off offset:8 ; 16-byte Folded Reload
	scratch_load_dwordx4 v[4:7], off, off offset:24 ; 16-byte Folded Reload
	;; [unrolled: 1-line block ×8, first 2 shown]
	s_waitcnt vmcnt(7)
	v_mov_b32_e32 v0, v92
	v_mov_b32_e32 v68, v226
	scratch_store_dwordx4 off, v[0:3], off offset:8 ; 16-byte Folded Spill
	s_waitcnt vmcnt(7)
	scratch_store_dwordx4 off, v[4:7], off offset:24 ; 16-byte Folded Spill
	s_waitcnt vmcnt(7)
	scratch_store_dwordx4 off, v[8:11], off offset:40 ; 16-byte Folded Spill
	s_waitcnt vmcnt(7)
	scratch_store_dwordx4 off, v[12:15], off offset:56 ; 16-byte Folded Spill
	s_waitcnt vmcnt(7)
	scratch_store_dwordx4 off, v[16:19], off offset:72 ; 16-byte Folded Spill
	s_waitcnt vmcnt(7)
	scratch_store_dwordx4 off, v[20:23], off offset:88 ; 16-byte Folded Spill
	s_waitcnt vmcnt(7)
	scratch_store_dwordx4 off, v[24:27], off offset:104 ; 16-byte Folded Spill
	s_waitcnt vmcnt(7)
	scratch_store_dwordx4 off, v[28:31], off offset:120 ; 16-byte Folded Spill
	scratch_load_dwordx4 v[0:3], off, off offset:8 ; 16-byte Folded Reload
	s_nop 0
	scratch_load_dwordx4 v[4:7], off, off offset:24 ; 16-byte Folded Reload
	scratch_load_dwordx4 v[8:11], off, off offset:40 ; 16-byte Folded Reload
	scratch_load_dwordx4 v[12:15], off, off offset:56 ; 16-byte Folded Reload
	scratch_load_dwordx4 v[16:19], off, off offset:72 ; 16-byte Folded Reload
	scratch_load_dwordx4 v[20:23], off, off offset:88 ; 16-byte Folded Reload
	scratch_load_dwordx4 v[24:27], off, off offset:104 ; 16-byte Folded Reload
	scratch_load_dwordx4 v[28:31], off, off offset:120 ; 16-byte Folded Reload
	s_waitcnt vmcnt(7)
	v_mov_b32_e32 v1, v93
	scratch_store_dwordx4 off, v[0:3], off offset:8 ; 16-byte Folded Spill
	s_waitcnt vmcnt(7)
	scratch_store_dwordx4 off, v[4:7], off offset:24 ; 16-byte Folded Spill
	s_waitcnt vmcnt(7)
	scratch_store_dwordx4 off, v[8:11], off offset:40 ; 16-byte Folded Spill
	s_waitcnt vmcnt(7)
	scratch_store_dwordx4 off, v[12:15], off offset:56 ; 16-byte Folded Spill
	s_waitcnt vmcnt(7)
	scratch_store_dwordx4 off, v[16:19], off offset:72 ; 16-byte Folded Spill
	s_waitcnt vmcnt(7)
	scratch_store_dwordx4 off, v[20:23], off offset:88 ; 16-byte Folded Spill
	s_waitcnt vmcnt(7)
	scratch_store_dwordx4 off, v[24:27], off offset:104 ; 16-byte Folded Spill
	s_waitcnt vmcnt(7)
	scratch_store_dwordx4 off, v[28:31], off offset:120 ; 16-byte Folded Spill
	scratch_load_dwordx4 v[0:3], off, off offset:8 ; 16-byte Folded Reload
	s_nop 0
	scratch_load_dwordx4 v[4:7], off, off offset:24 ; 16-byte Folded Reload
	scratch_load_dwordx4 v[8:11], off, off offset:40 ; 16-byte Folded Reload
	scratch_load_dwordx4 v[12:15], off, off offset:56 ; 16-byte Folded Reload
	scratch_load_dwordx4 v[16:19], off, off offset:72 ; 16-byte Folded Reload
	scratch_load_dwordx4 v[20:23], off, off offset:88 ; 16-byte Folded Reload
	scratch_load_dwordx4 v[24:27], off, off offset:104 ; 16-byte Folded Reload
	scratch_load_dwordx4 v[28:31], off, off offset:120 ; 16-byte Folded Reload
	s_waitcnt vmcnt(7)
	;; [unrolled: 26-line block ×4, first 2 shown]
	v_mov_b32_e32 v4, v96
	scratch_store_dwordx4 off, v[0:3], off offset:8 ; 16-byte Folded Spill
	s_nop 0
	scratch_store_dwordx4 off, v[4:7], off offset:24 ; 16-byte Folded Spill
	s_waitcnt vmcnt(7)
	scratch_store_dwordx4 off, v[8:11], off offset:40 ; 16-byte Folded Spill
	s_waitcnt vmcnt(7)
	scratch_store_dwordx4 off, v[12:15], off offset:56 ; 16-byte Folded Spill
	s_waitcnt vmcnt(7)
	scratch_store_dwordx4 off, v[16:19], off offset:72 ; 16-byte Folded Spill
	s_waitcnt vmcnt(7)
	scratch_store_dwordx4 off, v[20:23], off offset:88 ; 16-byte Folded Spill
	s_waitcnt vmcnt(7)
	scratch_store_dwordx4 off, v[24:27], off offset:104 ; 16-byte Folded Spill
	s_waitcnt vmcnt(7)
	scratch_store_dwordx4 off, v[28:31], off offset:120 ; 16-byte Folded Spill
	scratch_load_dwordx4 v[0:3], off, off offset:8 ; 16-byte Folded Reload
	s_nop 0
	scratch_load_dwordx4 v[4:7], off, off offset:24 ; 16-byte Folded Reload
	scratch_load_dwordx4 v[8:11], off, off offset:40 ; 16-byte Folded Reload
	scratch_load_dwordx4 v[12:15], off, off offset:56 ; 16-byte Folded Reload
	scratch_load_dwordx4 v[16:19], off, off offset:72 ; 16-byte Folded Reload
	scratch_load_dwordx4 v[20:23], off, off offset:88 ; 16-byte Folded Reload
	scratch_load_dwordx4 v[24:27], off, off offset:104 ; 16-byte Folded Reload
	scratch_load_dwordx4 v[28:31], off, off offset:120 ; 16-byte Folded Reload
	s_waitcnt vmcnt(6)
	v_mov_b32_e32 v5, v97
	scratch_store_dwordx4 off, v[0:3], off offset:8 ; 16-byte Folded Spill
	s_nop 0
	scratch_store_dwordx4 off, v[4:7], off offset:24 ; 16-byte Folded Spill
	s_waitcnt vmcnt(7)
	scratch_store_dwordx4 off, v[8:11], off offset:40 ; 16-byte Folded Spill
	s_waitcnt vmcnt(7)
	scratch_store_dwordx4 off, v[12:15], off offset:56 ; 16-byte Folded Spill
	s_waitcnt vmcnt(7)
	scratch_store_dwordx4 off, v[16:19], off offset:72 ; 16-byte Folded Spill
	s_waitcnt vmcnt(7)
	scratch_store_dwordx4 off, v[20:23], off offset:88 ; 16-byte Folded Spill
	s_waitcnt vmcnt(7)
	scratch_store_dwordx4 off, v[24:27], off offset:104 ; 16-byte Folded Spill
	s_waitcnt vmcnt(7)
	scratch_store_dwordx4 off, v[28:31], off offset:120 ; 16-byte Folded Spill
	scratch_load_dwordx4 v[0:3], off, off offset:8 ; 16-byte Folded Reload
	s_nop 0
	scratch_load_dwordx4 v[4:7], off, off offset:24 ; 16-byte Folded Reload
	scratch_load_dwordx4 v[8:11], off, off offset:40 ; 16-byte Folded Reload
	scratch_load_dwordx4 v[12:15], off, off offset:56 ; 16-byte Folded Reload
	scratch_load_dwordx4 v[16:19], off, off offset:72 ; 16-byte Folded Reload
	scratch_load_dwordx4 v[20:23], off, off offset:88 ; 16-byte Folded Reload
	scratch_load_dwordx4 v[24:27], off, off offset:104 ; 16-byte Folded Reload
	scratch_load_dwordx4 v[28:31], off, off offset:120 ; 16-byte Folded Reload
	s_waitcnt vmcnt(6)
	;; [unrolled: 26-line block ×4, first 2 shown]
	v_mov_b32_e32 v8, v100
	scratch_store_dwordx4 off, v[0:3], off offset:8 ; 16-byte Folded Spill
	s_nop 0
	scratch_store_dwordx4 off, v[4:7], off offset:24 ; 16-byte Folded Spill
	scratch_store_dwordx4 off, v[8:11], off offset:40 ; 16-byte Folded Spill
	s_waitcnt vmcnt(7)
	scratch_store_dwordx4 off, v[12:15], off offset:56 ; 16-byte Folded Spill
	s_waitcnt vmcnt(7)
	scratch_store_dwordx4 off, v[16:19], off offset:72 ; 16-byte Folded Spill
	s_waitcnt vmcnt(7)
	scratch_store_dwordx4 off, v[20:23], off offset:88 ; 16-byte Folded Spill
	s_waitcnt vmcnt(7)
	scratch_store_dwordx4 off, v[24:27], off offset:104 ; 16-byte Folded Spill
	s_waitcnt vmcnt(7)
	scratch_store_dwordx4 off, v[28:31], off offset:120 ; 16-byte Folded Spill
	scratch_load_dwordx4 v[0:3], off, off offset:8 ; 16-byte Folded Reload
	s_nop 0
	scratch_load_dwordx4 v[4:7], off, off offset:24 ; 16-byte Folded Reload
	scratch_load_dwordx4 v[8:11], off, off offset:40 ; 16-byte Folded Reload
	scratch_load_dwordx4 v[12:15], off, off offset:56 ; 16-byte Folded Reload
	scratch_load_dwordx4 v[16:19], off, off offset:72 ; 16-byte Folded Reload
	scratch_load_dwordx4 v[20:23], off, off offset:88 ; 16-byte Folded Reload
	scratch_load_dwordx4 v[24:27], off, off offset:104 ; 16-byte Folded Reload
	scratch_load_dwordx4 v[28:31], off, off offset:120 ; 16-byte Folded Reload
	s_waitcnt vmcnt(5)
	v_mov_b32_e32 v9, v101
	scratch_store_dwordx4 off, v[0:3], off offset:8 ; 16-byte Folded Spill
	s_nop 0
	scratch_store_dwordx4 off, v[4:7], off offset:24 ; 16-byte Folded Spill
	scratch_store_dwordx4 off, v[8:11], off offset:40 ; 16-byte Folded Spill
	s_waitcnt vmcnt(7)
	scratch_store_dwordx4 off, v[12:15], off offset:56 ; 16-byte Folded Spill
	s_waitcnt vmcnt(7)
	scratch_store_dwordx4 off, v[16:19], off offset:72 ; 16-byte Folded Spill
	s_waitcnt vmcnt(7)
	scratch_store_dwordx4 off, v[20:23], off offset:88 ; 16-byte Folded Spill
	s_waitcnt vmcnt(7)
	scratch_store_dwordx4 off, v[24:27], off offset:104 ; 16-byte Folded Spill
	s_waitcnt vmcnt(7)
	scratch_store_dwordx4 off, v[28:31], off offset:120 ; 16-byte Folded Spill
	scratch_load_dwordx4 v[0:3], off, off offset:8 ; 16-byte Folded Reload
	s_nop 0
	scratch_load_dwordx4 v[4:7], off, off offset:24 ; 16-byte Folded Reload
	scratch_load_dwordx4 v[8:11], off, off offset:40 ; 16-byte Folded Reload
	scratch_load_dwordx4 v[12:15], off, off offset:56 ; 16-byte Folded Reload
	scratch_load_dwordx4 v[16:19], off, off offset:72 ; 16-byte Folded Reload
	scratch_load_dwordx4 v[20:23], off, off offset:88 ; 16-byte Folded Reload
	scratch_load_dwordx4 v[24:27], off, off offset:104 ; 16-byte Folded Reload
	scratch_load_dwordx4 v[28:31], off, off offset:120 ; 16-byte Folded Reload
	s_waitcnt vmcnt(5)
	;; [unrolled: 25-line block ×3, first 2 shown]
	v_mov_b32_e32 v12, v226
	scratch_store_dwordx4 off, v[0:3], off offset:8 ; 16-byte Folded Spill
	s_nop 0
	scratch_store_dwordx4 off, v[4:7], off offset:24 ; 16-byte Folded Spill
	scratch_store_dwordx4 off, v[8:11], off offset:40 ; 16-byte Folded Spill
	;; [unrolled: 1-line block ×3, first 2 shown]
	s_waitcnt vmcnt(7)
	scratch_store_dwordx4 off, v[16:19], off offset:72 ; 16-byte Folded Spill
	s_waitcnt vmcnt(7)
	scratch_store_dwordx4 off, v[20:23], off offset:88 ; 16-byte Folded Spill
	;; [unrolled: 2-line block ×4, first 2 shown]
	scratch_load_dwordx4 v[0:3], off, off offset:8 ; 16-byte Folded Reload
	s_nop 0
	scratch_load_dwordx4 v[4:7], off, off offset:24 ; 16-byte Folded Reload
	scratch_load_dwordx4 v[8:11], off, off offset:40 ; 16-byte Folded Reload
	scratch_load_dwordx4 v[12:15], off, off offset:56 ; 16-byte Folded Reload
	scratch_load_dwordx4 v[16:19], off, off offset:72 ; 16-byte Folded Reload
	scratch_load_dwordx4 v[20:23], off, off offset:88 ; 16-byte Folded Reload
	scratch_load_dwordx4 v[24:27], off, off offset:104 ; 16-byte Folded Reload
	scratch_load_dwordx4 v[28:31], off, off offset:120 ; 16-byte Folded Reload
	s_waitcnt vmcnt(4)
	v_mov_b32_e32 v13, v227
	scratch_store_dwordx4 off, v[0:3], off offset:8 ; 16-byte Folded Spill
	s_nop 0
	scratch_store_dwordx4 off, v[4:7], off offset:24 ; 16-byte Folded Spill
	scratch_store_dwordx4 off, v[8:11], off offset:40 ; 16-byte Folded Spill
	;; [unrolled: 1-line block ×3, first 2 shown]
	s_waitcnt vmcnt(7)
	scratch_store_dwordx4 off, v[16:19], off offset:72 ; 16-byte Folded Spill
	s_waitcnt vmcnt(7)
	scratch_store_dwordx4 off, v[20:23], off offset:88 ; 16-byte Folded Spill
	;; [unrolled: 2-line block ×4, first 2 shown]
	v_mov_b64_e32 v[18:19], v[32:33]
	v_mov_b64_e32 v[20:21], v[34:35]
	;; [unrolled: 1-line block ×7, first 2 shown]
	scratch_load_dwordx4 v[0:3], off, off offset:8 ; 16-byte Folded Reload
	scratch_load_dwordx4 v[4:7], off, off offset:24 ; 16-byte Folded Reload
	;; [unrolled: 1-line block ×8, first 2 shown]
	v_mov_b64_e32 v[32:33], v[46:47]
	s_waitcnt vmcnt(4)
	v_mov_b32_e32 v14, v32
	scratch_store_dwordx4 off, v[0:3], off offset:8 ; 16-byte Folded Spill
	s_nop 0
	scratch_store_dwordx4 off, v[4:7], off offset:24 ; 16-byte Folded Spill
	scratch_store_dwordx4 off, v[8:11], off offset:40 ; 16-byte Folded Spill
	;; [unrolled: 1-line block ×3, first 2 shown]
	s_waitcnt vmcnt(7)
	scratch_store_dwordx4 off, v[16:19], off offset:72 ; 16-byte Folded Spill
	s_waitcnt vmcnt(7)
	scratch_store_dwordx4 off, v[20:23], off offset:88 ; 16-byte Folded Spill
	;; [unrolled: 2-line block ×4, first 2 shown]
	scratch_load_dwordx4 v[0:3], off, off offset:8 ; 16-byte Folded Reload
	s_nop 0
	scratch_load_dwordx4 v[4:7], off, off offset:24 ; 16-byte Folded Reload
	scratch_load_dwordx4 v[8:11], off, off offset:40 ; 16-byte Folded Reload
	;; [unrolled: 1-line block ×7, first 2 shown]
	s_waitcnt vmcnt(4)
	v_mov_b32_e32 v15, v33
	scratch_store_dwordx4 off, v[0:3], off offset:8 ; 16-byte Folded Spill
	s_nop 0
	scratch_store_dwordx4 off, v[4:7], off offset:24 ; 16-byte Folded Spill
	scratch_store_dwordx4 off, v[8:11], off offset:40 ; 16-byte Folded Spill
	;; [unrolled: 1-line block ×3, first 2 shown]
	s_waitcnt vmcnt(7)
	scratch_store_dwordx4 off, v[16:19], off offset:72 ; 16-byte Folded Spill
	s_waitcnt vmcnt(7)
	scratch_store_dwordx4 off, v[20:23], off offset:88 ; 16-byte Folded Spill
	s_waitcnt vmcnt(7)
	scratch_store_dwordx4 off, v[24:27], off offset:104 ; 16-byte Folded Spill
	s_waitcnt vmcnt(7)
	scratch_store_dwordx4 off, v[28:31], off offset:120 ; 16-byte Folded Spill
	scratch_load_dwordx4 v[0:3], off, off offset:8 ; 16-byte Folded Reload
	s_nop 0
	scratch_load_dwordx4 v[4:7], off, off offset:24 ; 16-byte Folded Reload
	scratch_load_dwordx4 v[8:11], off, off offset:40 ; 16-byte Folded Reload
	;; [unrolled: 1-line block ×7, first 2 shown]
	s_waitcnt vmcnt(3)
	v_mov_b32_e32 v16, v128
	scratch_store_dwordx4 off, v[0:3], off offset:8 ; 16-byte Folded Spill
	s_nop 0
	scratch_store_dwordx4 off, v[4:7], off offset:24 ; 16-byte Folded Spill
	scratch_store_dwordx4 off, v[8:11], off offset:40 ; 16-byte Folded Spill
	scratch_store_dwordx4 off, v[12:15], off offset:56 ; 16-byte Folded Spill
	scratch_store_dwordx4 off, v[16:19], off offset:72 ; 16-byte Folded Spill
	s_waitcnt vmcnt(7)
	scratch_store_dwordx4 off, v[20:23], off offset:88 ; 16-byte Folded Spill
	s_waitcnt vmcnt(7)
	scratch_store_dwordx4 off, v[24:27], off offset:104 ; 16-byte Folded Spill
	;; [unrolled: 2-line block ×3, first 2 shown]
	scratch_load_dwordx4 v[0:3], off, off offset:8 ; 16-byte Folded Reload
	s_nop 0
	scratch_load_dwordx4 v[4:7], off, off offset:24 ; 16-byte Folded Reload
	scratch_load_dwordx4 v[8:11], off, off offset:40 ; 16-byte Folded Reload
	;; [unrolled: 1-line block ×7, first 2 shown]
	s_waitcnt vmcnt(3)
	v_mov_b32_e32 v17, v129
	scratch_store_dwordx4 off, v[0:3], off offset:8 ; 16-byte Folded Spill
	s_nop 0
	scratch_store_dwordx4 off, v[4:7], off offset:24 ; 16-byte Folded Spill
	scratch_store_dwordx4 off, v[8:11], off offset:40 ; 16-byte Folded Spill
	;; [unrolled: 1-line block ×4, first 2 shown]
	s_waitcnt vmcnt(7)
	scratch_store_dwordx4 off, v[20:23], off offset:88 ; 16-byte Folded Spill
	s_waitcnt vmcnt(7)
	scratch_store_dwordx4 off, v[24:27], off offset:104 ; 16-byte Folded Spill
	;; [unrolled: 2-line block ×3, first 2 shown]
	scratch_load_dwordx4 v[0:3], off, off offset:400 ; 16-byte Folded Reload
	s_nop 0
	scratch_load_dwordx4 v[4:7], off, off offset:416 ; 16-byte Folded Reload
	scratch_load_dwordx4 v[8:11], off, off offset:432 ; 16-byte Folded Reload
	;; [unrolled: 1-line block ×7, first 2 shown]
	s_waitcnt vmcnt(3)
	v_mov_b64_e32 v[88:89], v[18:19]
	v_mov_b64_e32 v[86:87], v[16:17]
	scratch_load_dwordx4 v[0:3], off, off offset:8 ; 16-byte Folded Reload
	scratch_load_dwordx4 v[4:7], off, off offset:24 ; 16-byte Folded Reload
	scratch_load_dwordx4 v[8:11], off, off offset:40 ; 16-byte Folded Reload
	scratch_load_dwordx4 v[12:15], off, off offset:56 ; 16-byte Folded Reload
	scratch_load_dwordx4 v[16:19], off, off offset:72 ; 16-byte Folded Reload
	scratch_load_dwordx4 v[20:23], off, off offset:88 ; 16-byte Folded Reload
	scratch_load_dwordx4 v[24:27], off, off offset:104 ; 16-byte Folded Reload
	scratch_load_dwordx4 v[28:31], off, off offset:120 ; 16-byte Folded Reload
	s_waitcnt vmcnt(3)
	v_mov_b32_e32 v18, v88
	scratch_store_dwordx4 off, v[0:3], off offset:8 ; 16-byte Folded Spill
	s_nop 0
	scratch_store_dwordx4 off, v[4:7], off offset:24 ; 16-byte Folded Spill
	scratch_store_dwordx4 off, v[8:11], off offset:40 ; 16-byte Folded Spill
	;; [unrolled: 1-line block ×4, first 2 shown]
	s_waitcnt vmcnt(7)
	scratch_store_dwordx4 off, v[20:23], off offset:88 ; 16-byte Folded Spill
	s_waitcnt vmcnt(7)
	scratch_store_dwordx4 off, v[24:27], off offset:104 ; 16-byte Folded Spill
	;; [unrolled: 2-line block ×3, first 2 shown]
	scratch_load_dwordx4 v[0:3], off, off offset:8 ; 16-byte Folded Reload
	s_nop 0
	scratch_load_dwordx4 v[4:7], off, off offset:24 ; 16-byte Folded Reload
	scratch_load_dwordx4 v[8:11], off, off offset:40 ; 16-byte Folded Reload
	;; [unrolled: 1-line block ×7, first 2 shown]
	s_waitcnt vmcnt(3)
	v_mov_b32_e32 v19, v89
	scratch_store_dwordx4 off, v[0:3], off offset:8 ; 16-byte Folded Spill
	s_nop 0
	scratch_store_dwordx4 off, v[4:7], off offset:24 ; 16-byte Folded Spill
	scratch_store_dwordx4 off, v[8:11], off offset:40 ; 16-byte Folded Spill
	;; [unrolled: 1-line block ×4, first 2 shown]
	s_waitcnt vmcnt(7)
	scratch_store_dwordx4 off, v[20:23], off offset:88 ; 16-byte Folded Spill
	s_waitcnt vmcnt(7)
	scratch_store_dwordx4 off, v[24:27], off offset:104 ; 16-byte Folded Spill
	;; [unrolled: 2-line block ×3, first 2 shown]
	scratch_load_dwordx4 v[0:3], off, off offset:8 ; 16-byte Folded Reload
	s_nop 0
	scratch_load_dwordx4 v[4:7], off, off offset:24 ; 16-byte Folded Reload
	scratch_load_dwordx4 v[8:11], off, off offset:40 ; 16-byte Folded Reload
	;; [unrolled: 1-line block ×15, first 2 shown]
	s_waitcnt vmcnt(2)
	v_mov_b32_e32 v20, v52
	scratch_store_dwordx4 off, v[0:3], off offset:8 ; 16-byte Folded Spill
	s_nop 0
	scratch_store_dwordx4 off, v[4:7], off offset:24 ; 16-byte Folded Spill
	scratch_store_dwordx4 off, v[8:11], off offset:40 ; 16-byte Folded Spill
	;; [unrolled: 1-line block ×7, first 2 shown]
	scratch_load_dwordx4 v[0:3], off, off offset:8 ; 16-byte Folded Reload
	s_nop 0
	scratch_load_dwordx4 v[4:7], off, off offset:24 ; 16-byte Folded Reload
	scratch_load_dwordx4 v[8:11], off, off offset:40 ; 16-byte Folded Reload
	scratch_load_dwordx4 v[12:15], off, off offset:56 ; 16-byte Folded Reload
	scratch_load_dwordx4 v[16:19], off, off offset:72 ; 16-byte Folded Reload
	scratch_load_dwordx4 v[20:23], off, off offset:88 ; 16-byte Folded Reload
	scratch_load_dwordx4 v[24:27], off, off offset:104 ; 16-byte Folded Reload
	scratch_load_dwordx4 v[28:31], off, off offset:120 ; 16-byte Folded Reload
	s_waitcnt vmcnt(2)
	v_mov_b32_e32 v21, v53
	scratch_store_dwordx4 off, v[0:3], off offset:8 ; 16-byte Folded Spill
	s_nop 0
	scratch_store_dwordx4 off, v[4:7], off offset:24 ; 16-byte Folded Spill
	scratch_store_dwordx4 off, v[8:11], off offset:40 ; 16-byte Folded Spill
	scratch_store_dwordx4 off, v[12:15], off offset:56 ; 16-byte Folded Spill
	scratch_store_dwordx4 off, v[16:19], off offset:72 ; 16-byte Folded Spill
	scratch_store_dwordx4 off, v[20:23], off offset:88 ; 16-byte Folded Spill
	s_waitcnt vmcnt(7)
	scratch_store_dwordx4 off, v[24:27], off offset:104 ; 16-byte Folded Spill
	s_waitcnt vmcnt(7)
	scratch_store_dwordx4 off, v[28:31], off offset:120 ; 16-byte Folded Spill
	scratch_load_dwordx4 v[0:3], off, off offset:8 ; 16-byte Folded Reload
	s_nop 0
	scratch_load_dwordx4 v[4:7], off, off offset:24 ; 16-byte Folded Reload
	scratch_load_dwordx4 v[8:11], off, off offset:40 ; 16-byte Folded Reload
	scratch_load_dwordx4 v[12:15], off, off offset:56 ; 16-byte Folded Reload
	scratch_load_dwordx4 v[16:19], off, off offset:72 ; 16-byte Folded Reload
	scratch_load_dwordx4 v[20:23], off, off offset:88 ; 16-byte Folded Reload
	scratch_load_dwordx4 v[24:27], off, off offset:104 ; 16-byte Folded Reload
	scratch_load_dwordx4 v[28:31], off, off offset:120 ; 16-byte Folded Reload
	s_waitcnt vmcnt(2)
	v_mov_b32_e32 v22, v180
	scratch_store_dwordx4 off, v[0:3], off offset:8 ; 16-byte Folded Spill
	s_nop 0
	scratch_store_dwordx4 off, v[4:7], off offset:24 ; 16-byte Folded Spill
	scratch_store_dwordx4 off, v[8:11], off offset:40 ; 16-byte Folded Spill
	scratch_store_dwordx4 off, v[12:15], off offset:56 ; 16-byte Folded Spill
	scratch_store_dwordx4 off, v[16:19], off offset:72 ; 16-byte Folded Spill
	scratch_store_dwordx4 off, v[20:23], off offset:88 ; 16-byte Folded Spill
	s_waitcnt vmcnt(7)
	scratch_store_dwordx4 off, v[24:27], off offset:104 ; 16-byte Folded Spill
	s_waitcnt vmcnt(7)
	scratch_store_dwordx4 off, v[28:31], off offset:120 ; 16-byte Folded Spill
	;; [unrolled: 22-line block ×3, first 2 shown]
	scratch_load_dwordx4 v[0:3], off, off offset:8 ; 16-byte Folded Reload
	s_nop 0
	scratch_load_dwordx4 v[4:7], off, off offset:24 ; 16-byte Folded Reload
	scratch_load_dwordx4 v[8:11], off, off offset:40 ; 16-byte Folded Reload
	scratch_load_dwordx4 v[12:15], off, off offset:56 ; 16-byte Folded Reload
	scratch_load_dwordx4 v[16:19], off, off offset:72 ; 16-byte Folded Reload
	scratch_load_dwordx4 v[20:23], off, off offset:88 ; 16-byte Folded Reload
	scratch_load_dwordx4 v[24:27], off, off offset:104 ; 16-byte Folded Reload
	scratch_load_dwordx4 v[28:31], off, off offset:120 ; 16-byte Folded Reload
	s_waitcnt vmcnt(1)
	v_mov_b32_e32 v24, v206
	scratch_store_dwordx4 off, v[0:3], off offset:8 ; 16-byte Folded Spill
	s_nop 0
	scratch_store_dwordx4 off, v[4:7], off offset:24 ; 16-byte Folded Spill
	scratch_store_dwordx4 off, v[8:11], off offset:40 ; 16-byte Folded Spill
	scratch_store_dwordx4 off, v[12:15], off offset:56 ; 16-byte Folded Spill
	scratch_store_dwordx4 off, v[16:19], off offset:72 ; 16-byte Folded Spill
	scratch_store_dwordx4 off, v[20:23], off offset:88 ; 16-byte Folded Spill
	scratch_store_dwordx4 off, v[24:27], off offset:104 ; 16-byte Folded Spill
	s_waitcnt vmcnt(7)
	scratch_store_dwordx4 off, v[28:31], off offset:120 ; 16-byte Folded Spill
	scratch_load_dwordx4 v[0:3], off, off offset:8 ; 16-byte Folded Reload
	s_nop 0
	scratch_load_dwordx4 v[4:7], off, off offset:24 ; 16-byte Folded Reload
	scratch_load_dwordx4 v[8:11], off, off offset:40 ; 16-byte Folded Reload
	scratch_load_dwordx4 v[12:15], off, off offset:56 ; 16-byte Folded Reload
	scratch_load_dwordx4 v[16:19], off, off offset:72 ; 16-byte Folded Reload
	scratch_load_dwordx4 v[20:23], off, off offset:88 ; 16-byte Folded Reload
	scratch_load_dwordx4 v[24:27], off, off offset:104 ; 16-byte Folded Reload
	scratch_load_dwordx4 v[28:31], off, off offset:120 ; 16-byte Folded Reload
	s_waitcnt vmcnt(1)
	v_mov_b32_e32 v25, v207
	scratch_store_dwordx4 off, v[0:3], off offset:8 ; 16-byte Folded Spill
	s_nop 0
	scratch_store_dwordx4 off, v[4:7], off offset:24 ; 16-byte Folded Spill
	scratch_store_dwordx4 off, v[8:11], off offset:40 ; 16-byte Folded Spill
	scratch_store_dwordx4 off, v[12:15], off offset:56 ; 16-byte Folded Spill
	scratch_store_dwordx4 off, v[16:19], off offset:72 ; 16-byte Folded Spill
	scratch_store_dwordx4 off, v[20:23], off offset:88 ; 16-byte Folded Spill
	scratch_store_dwordx4 off, v[24:27], off offset:104 ; 16-byte Folded Spill
	s_waitcnt vmcnt(7)
	scratch_store_dwordx4 off, v[28:31], off offset:120 ; 16-byte Folded Spill
	;; [unrolled: 21-line block ×4, first 2 shown]
	scratch_store_dwordx4 off, v[92:95], s2 ; 16-byte Folded Spill
	s_nop 0
	scratch_store_dwordx4 off, v[96:99], s2 offset:16 ; 16-byte Folded Spill
	scratch_store_dwordx4 off, v[100:103], s2 offset:32 ; 16-byte Folded Spill
	;; [unrolled: 1-line block ×7, first 2 shown]
	scratch_load_dwordx4 v[0:3], off, off offset:8 ; 16-byte Folded Reload
	scratch_load_dwordx4 v[4:7], off, off offset:24 ; 16-byte Folded Reload
	;; [unrolled: 1-line block ×8, first 2 shown]
	s_waitcnt vmcnt(0)
	v_mov_b32_e32 v1, v28
	scratch_store_dwordx2 off, v[0:1], off offset:264 ; 8-byte Folded Spill
	scratch_store_dwordx4 off, v[214:217], off offset:1936 ; 16-byte Folded Spill
	s_nop 0
	scratch_store_dwordx4 off, v[218:221], off offset:1952 ; 16-byte Folded Spill
	scratch_store_dwordx4 off, v[222:225], off offset:1968 ; 16-byte Folded Spill
	;; [unrolled: 1-line block ×7, first 2 shown]
	scratch_load_dwordx4 v[0:3], off, off offset:656 ; 16-byte Folded Reload
	scratch_load_dwordx4 v[4:7], off, off offset:672 ; 16-byte Folded Reload
	;; [unrolled: 1-line block ×8, first 2 shown]
	v_mov_b32_e32 v230, v128
	scratch_store_dwordx4 off, v[112:115], off offset:1680 ; 16-byte Folded Spill
	s_nop 0
	scratch_store_dwordx4 off, v[116:119], off offset:1696 ; 16-byte Folded Spill
	scratch_store_dwordx4 off, v[120:123], off offset:1712 ; 16-byte Folded Spill
	;; [unrolled: 1-line block ×7, first 2 shown]
	v_mov_b32_e32 v218, v180
	v_mov_b32_e32 v214, v206
	s_waitcnt vmcnt(12)
	v_mov_b64_e32 v[66:67], v[14:15]
	v_mov_b64_e32 v[52:53], v[0:1]
	;; [unrolled: 1-line block ×8, first 2 shown]
	v_mov_b32_e32 v53, v129
	v_mov_b32_e32 v52, v88
	scratch_store_dwordx4 off, v[34:37], off offset:136 ; 16-byte Folded Spill
	s_nop 0
	scratch_store_dwordx4 off, v[38:41], off offset:152 ; 16-byte Folded Spill
	scratch_store_dwordx4 off, v[42:45], off offset:168 ; 16-byte Folded Spill
	;; [unrolled: 1-line block ×7, first 2 shown]
	v_mov_b32_e32 v57, v89
	v_mov_b32_e32 v232, v66
	scratch_store_dwordx4 off, v[38:41], off offset:528 ; 16-byte Folded Spill
	s_nop 0
	scratch_store_dwordx4 off, v[42:45], off offset:544 ; 16-byte Folded Spill
	scratch_store_dwordx4 off, v[46:49], off offset:560 ; 16-byte Folded Spill
	;; [unrolled: 1-line block ×7, first 2 shown]
	scratch_load_dwordx4 v[0:3], off, off offset:272 ; 16-byte Folded Reload
	scratch_load_dwordx4 v[4:7], off, off offset:288 ; 16-byte Folded Reload
	scratch_load_dwordx4 v[8:11], off, off offset:304 ; 16-byte Folded Reload
	scratch_load_dwordx4 v[12:15], off, off offset:320 ; 16-byte Folded Reload
	scratch_load_dwordx4 v[16:19], off, off offset:336 ; 16-byte Folded Reload
	scratch_load_dwordx4 v[20:23], off, off offset:352 ; 16-byte Folded Reload
	scratch_load_dwordx4 v[24:27], off, off offset:368 ; 16-byte Folded Reload
	scratch_load_dwordx4 v[28:31], off, off offset:384 ; 16-byte Folded Reload
	s_nop 0
	scratch_store_dwordx4 off, v[158:161], off offset:912 ; 16-byte Folded Spill
	s_nop 0
	scratch_store_dwordx4 off, v[162:165], off offset:928 ; 16-byte Folded Spill
	scratch_store_dwordx4 off, v[166:169], off offset:944 ; 16-byte Folded Spill
	;; [unrolled: 1-line block ×8, first 2 shown]
	s_nop 0
	scratch_store_dwordx4 off, v[186:189], off offset:1056 ; 16-byte Folded Spill
	scratch_store_dwordx4 off, v[190:193], off offset:1072 ; 16-byte Folded Spill
	;; [unrolled: 1-line block ×7, first 2 shown]
	v_mov_b32_e32 v217, v181
	scratch_load_dwordx4 v[164:167], off, off offset:8 ; 16-byte Folded Reload
	scratch_load_dwordx4 v[168:171], off, off offset:24 ; 16-byte Folded Reload
	;; [unrolled: 1-line block ×8, first 2 shown]
	v_mov_b32_e32 v162, v156
	s_waitcnt vmcnt(26)
	v_mov_b64_e32 v[50:51], v[20:21]
	v_mov_b32_e32 v244, v50
	v_mov_b32_e32 v229, v51
	v_mov_b64_e32 v[48:49], v[18:19]
	v_mov_b64_e32 v[46:47], v[16:17]
                                        ; kill: def $vgpr130_vgpr131_vgpr132_vgpr133_vgpr134_vgpr135_vgpr136_vgpr137_vgpr138_vgpr139_vgpr140_vgpr141_vgpr142_vgpr143_vgpr144_vgpr145 killed $vgpr130_vgpr131_vgpr132_vgpr133_vgpr134_vgpr135_vgpr136_vgpr137_vgpr138_vgpr139_vgpr140_vgpr141_vgpr142_vgpr143_vgpr144_vgpr145 def $vgpr158_vgpr159_vgpr160_vgpr161
	v_mov_b32_e32 v219, v207
	s_waitcnt vmcnt(0)
	v_mov_b32_e32 v33, v193
.LBB58_205:
	s_or_b64 exec, exec, s[0:1]
	s_barrier
	scratch_load_dword v0, off, off offset:4 ; 4-byte Folded Reload
	s_cmp_lt_i32 s22, 14
	s_waitcnt vmcnt(0)
	v_lshl_add_u32 v30, v0, 2, v254
	ds_write_b32 v30, v68
	s_waitcnt lgkmcnt(0)
	s_barrier
	ds_read_b32 v32, v254 offset:48
	v_mov_b32_e32 v30, 12
	s_cbranch_scc1 .LBB58_516
; %bb.206:
	scratch_load_dword v0, off, off offset:3348 ; 4-byte Folded Reload
	v_mov_b32_e32 v30, 12
	s_mov_b32 s0, 13
	v_mov_b32_e32 v17, v53
	s_waitcnt vmcnt(0)
	v_add3_u32 v31, v0, 0, 52
.LBB58_207:                             ; =>This Inner Loop Header: Depth=1
	ds_read_b32 v62, v31
	v_add_u32_e32 v31, 4, v31
	s_waitcnt lgkmcnt(0)
	v_cmp_lt_f32_e64 vcc, |v32|, |v62|
	s_nop 1
	v_cndmask_b32_e32 v32, v32, v62, vcc
	v_mov_b32_e32 v62, s0
	s_add_i32 s0, s0, 1
	v_cndmask_b32_e32 v30, v30, v62, vcc
	s_cmp_lg_u32 s22, s0
	s_cbranch_scc1 .LBB58_207
; %bb.208:
	v_cmp_eq_f32_e32 vcc, 0, v32
	s_and_saveexec_b64 s[0:1], vcc
	s_xor_b64 s[0:1], exec, s[0:1]
.LBB58_209:
	v_cmp_ne_u32_e32 vcc, 0, v246
	s_nop 1
	v_cndmask_b32_e32 v246, 13, v246, vcc
.LBB58_210:
	s_andn2_saveexec_b64 s[0:1], s[0:1]
	s_cbranch_execz .LBB58_212
; %bb.211:
	v_div_scale_f32 v31, s[2:3], v32, v32, 1.0
	v_rcp_f32_e32 v62, v31
	v_div_scale_f32 v63, vcc, 1.0, v32, 1.0
	v_fma_f32 v64, -v31, v62, 1.0
	v_fmac_f32_e32 v62, v64, v62
	v_mul_f32_e32 v64, v63, v62
	v_fma_f32 v65, -v31, v64, v63
	v_fmac_f32_e32 v64, v65, v62
	v_fma_f32 v31, -v31, v64, v63
	v_div_fmas_f32 v31, v31, v62, v64
	v_div_fixup_f32 v32, v31, v32, 1.0
.LBB58_212:
	s_or_b64 exec, exec, s[0:1]
	scratch_load_dword v0, off, off offset:4 ; 4-byte Folded Reload
	s_waitcnt vmcnt(0)
	v_cmp_ne_u32_e32 vcc, v0, v30
	s_and_saveexec_b64 s[0:1], vcc
	s_xor_b64 s[0:1], exec, s[0:1]
	s_cbranch_execz .LBB58_218
; %bb.213:
	scratch_load_dword v0, off, off offset:4 ; 4-byte Folded Reload
	s_waitcnt vmcnt(0)
	v_cmp_eq_u32_e32 vcc, 12, v0
	s_and_saveexec_b64 s[2:3], vcc
	s_cbranch_execz .LBB58_217
; %bb.214:
	v_cmp_ne_u32_e32 vcc, 12, v30
	s_xor_b64 s[18:19], s[16:17], -1
	s_and_b64 s[20:21], s[18:19], vcc
	s_and_saveexec_b64 s[18:19], s[20:21]
	s_cbranch_execz .LBB58_216
; %bb.215:
	s_movk_i32 s20, 0x1498
	scratch_load_dwordx2 v[0:1], off, s20   ; 8-byte Folded Reload
	v_ashrrev_i32_e32 v31, 31, v30
	s_waitcnt vmcnt(0)
	v_lshl_add_u64 v[62:63], v[30:31], 2, v[0:1]
	global_load_dword v31, v[62:63], off
	global_load_dword v64, v[0:1], off offset:48
	s_waitcnt vmcnt(1)
	global_store_dword v[0:1], v31, off offset:48
	s_waitcnt vmcnt(1)
	global_store_dword v[62:63], v64, off
.LBB58_216:
	s_or_b64 exec, exec, s[18:19]
	v_mov_b32_e32 v0, v30
	scratch_store_dword off, v0, off offset:2704 ; 4-byte Folded Spill
	scratch_store_dword off, v0, off offset:4 ; 4-byte Folded Spill
.LBB58_217:
	s_or_b64 exec, exec, s[2:3]
.LBB58_218:
	s_andn2_saveexec_b64 s[0:1], s[0:1]
	s_cbranch_execz .LBB58_220
; %bb.219:
	v_mov_b32_e32 v0, 12
	ds_write2_b32 v254, v177, v178 offset0:13 offset1:14
	ds_write2_b32 v254, v179, v180 offset0:15 offset1:16
	;; [unrolled: 1-line block ×8, first 2 shown]
	ds_write_b32 v254, v33 offset:116
	scratch_store_dword off, v0, off offset:4 ; 4-byte Folded Spill
.LBB58_220:
	s_or_b64 exec, exec, s[0:1]
	s_waitcnt lgkmcnt(0)
	s_barrier
	scratch_load_dword v0, off, off offset:4 ; 4-byte Folded Reload
	s_waitcnt vmcnt(0)
	v_cmp_lt_i32_e32 vcc, 12, v0
	s_and_saveexec_b64 s[0:1], vcc
	s_cbranch_execz .LBB58_222
; %bb.221:
	s_movk_i32 s2, 0x1098
	scratch_load_dwordx4 v[36:39], off, s2  ; 16-byte Folded Reload
	scratch_load_dwordx4 v[40:43], off, s2 offset:16 ; 16-byte Folded Reload
	scratch_load_dwordx4 v[44:47], off, s2 offset:32 ; 16-byte Folded Reload
	;; [unrolled: 1-line block ×7, first 2 shown]
	ds_read2_b32 v[0:1], v254 offset0:13 offset1:14
	ds_read2_b32 v[4:5], v254 offset0:15 offset1:16
	;; [unrolled: 1-line block ×4, first 2 shown]
	s_waitcnt vmcnt(4)
	v_mul_f32_e32 v48, v68, v32
	v_mov_b32_e32 v2, v177
	v_mov_b32_e32 v3, v178
	;; [unrolled: 1-line block ×9, first 2 shown]
	s_waitcnt lgkmcnt(3)
	v_pk_fma_f32 v[30:31], v[48:49], v[0:1], v[2:3] op_sel_hi:[0,1,1] neg_lo:[1,0,0] neg_hi:[1,0,0]
	v_mov_b32_e32 v0, v179
	v_mov_b32_e32 v1, v180
	s_waitcnt vmcnt(1) lgkmcnt(2)
	v_pk_fma_f32 v[62:63], v[48:49], v[4:5], v[0:1] op_sel_hi:[0,1,1] neg_lo:[1,0,0] neg_hi:[1,0,0]
	v_mov_b32_e32 v0, v181
	v_mov_b32_e32 v1, v182
	s_waitcnt vmcnt(0) lgkmcnt(1)
	v_pk_fma_f32 v[64:65], v[48:49], v[6:7], v[0:1] op_sel_hi:[0,1,1] neg_lo:[1,0,0] neg_hi:[1,0,0]
	v_mov_b32_e32 v0, v183
	v_mov_b32_e32 v1, v184
	s_waitcnt lgkmcnt(0)
	v_pk_fma_f32 v[92:93], v[48:49], v[8:9], v[0:1] op_sel_hi:[0,1,1] neg_lo:[1,0,0] neg_hi:[1,0,0]
	ds_read2_b32 v[0:1], v254 offset0:21 offset1:22
	v_mov_b32_e32 v2, v185
	v_mov_b32_e32 v3, v186
	ds_read2_b32 v[4:5], v254 offset0:23 offset1:24
	ds_read2_b32 v[6:7], v254 offset0:25 offset1:26
	ds_read2_b32 v[8:9], v254 offset0:27 offset1:28
	v_mov_b32_e32 v217, v39
	s_waitcnt lgkmcnt(3)
	v_pk_fma_f32 v[94:95], v[48:49], v[0:1], v[2:3] op_sel_hi:[0,1,1] neg_lo:[1,0,0] neg_hi:[1,0,0]
	ds_read_b32 v2, v254 offset:116
	v_mov_b32_e32 v0, v187
	v_mov_b32_e32 v1, v188
	s_waitcnt lgkmcnt(3)
	v_pk_fma_f32 v[96:97], v[48:49], v[4:5], v[0:1] op_sel_hi:[0,1,1] neg_lo:[1,0,0] neg_hi:[1,0,0]
	v_mov_b32_e32 v0, v189
	v_mov_b32_e32 v1, v190
	s_waitcnt lgkmcnt(2)
	v_pk_fma_f32 v[34:35], v[48:49], v[6:7], v[0:1] op_sel_hi:[0,1,1] neg_lo:[1,0,0] neg_hi:[1,0,0]
	;; [unrolled: 4-line block ×3, first 2 shown]
	s_waitcnt lgkmcnt(0)
	v_fma_f32 v193, -v48, v2, v33
	v_mov_b32_e32 v218, v40
	v_mov_b32_e32 v219, v41
	;; [unrolled: 1-line block ×26, first 2 shown]
	scratch_store_dwordx4 off, v[214:217], off offset:656 ; 16-byte Folded Spill
	s_nop 0
	scratch_store_dwordx4 off, v[218:221], off offset:672 ; 16-byte Folded Spill
	scratch_store_dwordx4 off, v[222:225], off offset:688 ; 16-byte Folded Spill
	;; [unrolled: 1-line block ×8, first 2 shown]
	s_nop 0
	scratch_store_dwordx4 off, v[4:7], off offset:2724 ; 16-byte Folded Spill
	scratch_store_dwordx4 off, v[8:11], off offset:2740 ; 16-byte Folded Spill
	;; [unrolled: 1-line block ×7, first 2 shown]
	v_mov_b32_e32 v16, v63
	v_mov_b32_e32 v130, v36
	;; [unrolled: 1-line block ×32, first 2 shown]
	scratch_store_dwordx4 off, v[0:3], off offset:1680 ; 16-byte Folded Spill
	s_nop 0
	scratch_store_dwordx4 off, v[4:7], off offset:1696 ; 16-byte Folded Spill
	scratch_store_dwordx4 off, v[8:11], off offset:1712 ; 16-byte Folded Spill
	;; [unrolled: 1-line block ×7, first 2 shown]
	v_mov_b32_e32 v17, v64
	v_mov_b32_e32 v182, v65
	;; [unrolled: 1-line block ×26, first 2 shown]
	scratch_store_dwordx4 off, v[0:3], off offset:2192 ; 16-byte Folded Spill
	s_nop 0
	scratch_store_dwordx4 off, v[4:7], off offset:2208 ; 16-byte Folded Spill
	scratch_store_dwordx4 off, v[8:11], off offset:2224 ; 16-byte Folded Spill
	scratch_store_dwordx4 off, v[12:15], off offset:2240 ; 16-byte Folded Spill
	scratch_store_dwordx4 off, v[16:19], off offset:2256 ; 16-byte Folded Spill
	scratch_store_dwordx4 off, v[20:23], off offset:2272 ; 16-byte Folded Spill
	scratch_store_dwordx4 off, v[24:27], off offset:2288 ; 16-byte Folded Spill
	scratch_store_dwordx4 off, v[28:31], off offset:2304 ; 16-byte Folded Spill
	v_mov_b32_e32 v18, v65
	scratch_store_dwordx4 off, v[0:3], off offset:400 ; 16-byte Folded Spill
	s_nop 0
	scratch_store_dwordx4 off, v[4:7], off offset:416 ; 16-byte Folded Spill
	scratch_store_dwordx4 off, v[8:11], off offset:432 ; 16-byte Folded Spill
	scratch_store_dwordx4 off, v[12:15], off offset:448 ; 16-byte Folded Spill
	scratch_store_dwordx4 off, v[16:19], off offset:464 ; 16-byte Folded Spill
	scratch_store_dwordx4 off, v[20:23], off offset:480 ; 16-byte Folded Spill
	scratch_store_dwordx4 off, v[24:27], off offset:496 ; 16-byte Folded Spill
	scratch_store_dwordx4 off, v[28:31], off offset:512 ; 16-byte Folded Spill
	v_mov_b32_e32 v19, v92
	;; [unrolled: 10-line block ×6, first 2 shown]
	scratch_store_dwordx4 off, v[0:3], off offset:1296 ; 16-byte Folded Spill
	s_nop 0
	scratch_store_dwordx4 off, v[4:7], off offset:1312 ; 16-byte Folded Spill
	scratch_store_dwordx4 off, v[8:11], off offset:1328 ; 16-byte Folded Spill
	scratch_store_dwordx4 off, v[12:15], off offset:1344 ; 16-byte Folded Spill
	scratch_store_dwordx4 off, v[16:19], off offset:1360 ; 16-byte Folded Spill
	scratch_store_dwordx4 off, v[20:23], off offset:1376 ; 16-byte Folded Spill
	scratch_store_dwordx4 off, v[24:27], off offset:1392 ; 16-byte Folded Spill
	scratch_store_dwordx4 off, v[28:31], off offset:1408 ; 16-byte Folded Spill
	s_nop 0
	v_mov_b32_e32 v24, v97
	scratch_store_dwordx4 off, v[0:3], off offset:1040 ; 16-byte Folded Spill
	s_nop 0
	scratch_store_dwordx4 off, v[4:7], off offset:1056 ; 16-byte Folded Spill
	scratch_store_dwordx4 off, v[8:11], off offset:1072 ; 16-byte Folded Spill
	scratch_store_dwordx4 off, v[12:15], off offset:1088 ; 16-byte Folded Spill
	scratch_store_dwordx4 off, v[16:19], off offset:1104 ; 16-byte Folded Spill
	scratch_store_dwordx4 off, v[20:23], off offset:1120 ; 16-byte Folded Spill
	scratch_store_dwordx4 off, v[24:27], off offset:1136 ; 16-byte Folded Spill
	scratch_store_dwordx4 off, v[28:31], off offset:1152 ; 16-byte Folded Spill
	s_nop 0
	v_mov_b32_e32 v25, v34
	;; [unrolled: 11-line block ×3, first 2 shown]
	v_mov_b32_e32 v27, v28
	v_mov_b32_e32 v143, v30
	;; [unrolled: 1-line block ×3, first 2 shown]
	scratch_store_dwordx4 off, v[0:3], off offset:784 ; 16-byte Folded Spill
	s_nop 0
	scratch_store_dwordx4 off, v[4:7], off offset:800 ; 16-byte Folded Spill
	scratch_store_dwordx4 off, v[8:11], off offset:816 ; 16-byte Folded Spill
	scratch_store_dwordx4 off, v[12:15], off offset:832 ; 16-byte Folded Spill
	scratch_store_dwordx4 off, v[16:19], off offset:848 ; 16-byte Folded Spill
	scratch_store_dwordx4 off, v[20:23], off offset:864 ; 16-byte Folded Spill
	scratch_store_dwordx4 off, v[24:27], off offset:880 ; 16-byte Folded Spill
	scratch_store_dwordx4 off, v[28:31], off offset:896 ; 16-byte Folded Spill
	scratch_store_dwordx4 off, v[36:39], off offset:3480 ; 16-byte Folded Spill
	s_nop 0
	scratch_store_dwordx4 off, v[40:43], off offset:3496 ; 16-byte Folded Spill
	scratch_store_dwordx4 off, v[44:47], off offset:3512 ; 16-byte Folded Spill
	scratch_store_dwordx4 off, v[48:51], off offset:3528 ; 16-byte Folded Spill
	scratch_store_dwordx4 off, v[52:55], off offset:3544 ; 16-byte Folded Spill
	scratch_store_dwordx4 off, v[56:59], off offset:3560 ; 16-byte Folded Spill
	scratch_store_dwordx4 off, v[60:63], off offset:3576 ; 16-byte Folded Spill
	scratch_store_dwordx4 off, v[64:67], off offset:3592 ; 16-byte Folded Spill
	;; [unrolled: 9-line block ×3, first 2 shown]
	v_mov_b32_e32 v177, v30
	v_mov_b32_e32 v178, v31
	;; [unrolled: 1-line block ×5, first 2 shown]
	scratch_store_dwordx4 off, v[0:3], off offset:136 ; 16-byte Folded Spill
	s_nop 0
	scratch_store_dwordx4 off, v[4:7], off offset:152 ; 16-byte Folded Spill
	scratch_store_dwordx4 off, v[8:11], off offset:168 ; 16-byte Folded Spill
	;; [unrolled: 1-line block ×8, first 2 shown]
	s_nop 0
	scratch_store_dwordx4 off, v[4:7], off offset:544 ; 16-byte Folded Spill
	scratch_store_dwordx4 off, v[8:11], off offset:560 ; 16-byte Folded Spill
	;; [unrolled: 1-line block ×7, first 2 shown]
	v_mov_b32_e32 v67, v62
	v_mov_b32_e32 v230, v63
	v_mov_b32_e32 v157, v28
	scratch_store_dwordx2 off, v[28:29], off offset:264 ; 8-byte Folded Spill
.LBB58_222:
	s_or_b64 exec, exec, s[0:1]
	s_waitcnt vmcnt(63) expcnt(7) lgkmcnt(15)
	s_barrier
	scratch_load_dword v0, off, off offset:4 ; 4-byte Folded Reload
	s_cmp_lt_i32 s22, 15
	s_waitcnt vmcnt(0)
	v_lshl_add_u32 v30, v0, 2, v254
	ds_write_b32 v30, v227
	s_waitcnt lgkmcnt(0)
	s_barrier
	ds_read_b32 v32, v254 offset:52
	v_mov_b32_e32 v30, 13
	s_cbranch_scc1 .LBB58_225
; %bb.223:
	scratch_load_dword v0, off, off offset:3348 ; 4-byte Folded Reload
	v_mov_b32_e32 v30, 13
	s_mov_b32 s0, 14
	s_waitcnt vmcnt(0)
	v_add3_u32 v31, v0, 0, 56
.LBB58_224:                             ; =>This Inner Loop Header: Depth=1
	ds_read_b32 v62, v31
	v_add_u32_e32 v31, 4, v31
	s_waitcnt lgkmcnt(0)
	v_cmp_lt_f32_e64 vcc, |v32|, |v62|
	s_nop 1
	v_cndmask_b32_e32 v32, v32, v62, vcc
	v_mov_b32_e32 v62, s0
	s_add_i32 s0, s0, 1
	v_cndmask_b32_e32 v30, v30, v62, vcc
	s_cmp_lg_u32 s22, s0
	s_cbranch_scc1 .LBB58_224
.LBB58_225:
	v_mov_b32_e32 v54, v232
	s_waitcnt lgkmcnt(0)
	v_cmp_eq_f32_e32 vcc, 0, v32
	s_and_saveexec_b64 s[0:1], vcc
	s_xor_b64 s[0:1], exec, s[0:1]
; %bb.226:
	v_cmp_ne_u32_e32 vcc, 0, v246
	s_nop 1
	v_cndmask_b32_e32 v246, 14, v246, vcc
; %bb.227:
	s_andn2_saveexec_b64 s[0:1], s[0:1]
	s_cbranch_execz .LBB58_229
; %bb.228:
	v_div_scale_f32 v31, s[2:3], v32, v32, 1.0
	v_rcp_f32_e32 v62, v31
	v_div_scale_f32 v63, vcc, 1.0, v32, 1.0
	v_mov_b32_e32 v54, v232
	v_fma_f32 v64, -v31, v62, 1.0
	v_fmac_f32_e32 v62, v64, v62
	v_mul_f32_e32 v64, v63, v62
	v_fma_f32 v65, -v31, v64, v63
	v_fmac_f32_e32 v64, v65, v62
	v_fma_f32 v31, -v31, v64, v63
	v_div_fmas_f32 v31, v31, v62, v64
	v_div_fixup_f32 v32, v31, v32, 1.0
.LBB58_229:
	s_or_b64 exec, exec, s[0:1]
	scratch_load_dword v0, off, off offset:4 ; 4-byte Folded Reload
	s_waitcnt vmcnt(0)
	v_cmp_ne_u32_e32 vcc, v0, v30
	s_and_saveexec_b64 s[0:1], vcc
	s_xor_b64 s[0:1], exec, s[0:1]
	s_cbranch_execz .LBB58_235
; %bb.230:
	scratch_load_dword v0, off, off offset:4 ; 4-byte Folded Reload
	s_waitcnt vmcnt(0)
	v_cmp_eq_u32_e32 vcc, 13, v0
	s_and_saveexec_b64 s[2:3], vcc
	s_cbranch_execz .LBB58_234
; %bb.231:
	v_cmp_ne_u32_e32 vcc, 13, v30
	s_xor_b64 s[18:19], s[16:17], -1
	s_and_b64 s[20:21], s[18:19], vcc
	s_and_saveexec_b64 s[18:19], s[20:21]
	s_cbranch_execz .LBB58_233
; %bb.232:
	s_movk_i32 s20, 0x1498
	scratch_load_dwordx2 v[0:1], off, s20   ; 8-byte Folded Reload
	v_ashrrev_i32_e32 v31, 31, v30
	v_mov_b32_e32 v54, v232
	s_waitcnt vmcnt(0)
	v_lshl_add_u64 v[62:63], v[30:31], 2, v[0:1]
	global_load_dword v31, v[62:63], off
	global_load_dword v64, v[0:1], off offset:52
	s_waitcnt vmcnt(1)
	global_store_dword v[0:1], v31, off offset:52
	s_waitcnt vmcnt(1)
	global_store_dword v[62:63], v64, off
.LBB58_233:
	s_or_b64 exec, exec, s[18:19]
	v_mov_b32_e32 v0, v30
	scratch_store_dword off, v0, off offset:2704 ; 4-byte Folded Spill
	scratch_store_dword off, v0, off offset:4 ; 4-byte Folded Spill
.LBB58_234:
	s_or_b64 exec, exec, s[2:3]
.LBB58_235:
	s_or_saveexec_b64 s[0:1], s[0:1]
	v_mov_b32_e32 v55, v67
	s_xor_b64 exec, exec, s[0:1]
	s_cbranch_execz .LBB58_237
; %bb.236:
	v_mov_b32_e32 v0, 13
	ds_write2_b32 v254, v178, v179 offset0:14 offset1:15
	ds_write2_b32 v254, v180, v181 offset0:16 offset1:17
	;; [unrolled: 1-line block ×8, first 2 shown]
	scratch_store_dword off, v0, off offset:4 ; 4-byte Folded Spill
.LBB58_237:
	s_or_b64 exec, exec, s[0:1]
	s_waitcnt lgkmcnt(0)
	s_barrier
	scratch_load_dword v0, off, off offset:4 ; 4-byte Folded Reload
	s_waitcnt vmcnt(0)
	v_cmp_lt_i32_e32 vcc, 13, v0
	s_and_saveexec_b64 s[0:1], vcc
	s_cbranch_execz .LBB58_239
; %bb.238:
	v_mul_f32_e32 v0, v227, v32
	ds_read2_b32 v[4:5], v254 offset0:14 offset1:15
	ds_read2_b32 v[6:7], v254 offset0:16 offset1:17
	;; [unrolled: 1-line block ×5, first 2 shown]
	s_waitcnt lgkmcnt(4)
	v_pk_fma_f32 v[20:21], v[0:1], v[4:5], v[178:179] op_sel_hi:[0,1,1] neg_lo:[1,0,0] neg_hi:[1,0,0]
	ds_read2_b32 v[4:5], v254 offset0:26 offset1:27
	scratch_load_dwordx4 v[130:133], off, off offset:1936 ; 16-byte Folded Reload
	scratch_load_dwordx4 v[134:137], off, off offset:1952 ; 16-byte Folded Reload
	;; [unrolled: 1-line block ×8, first 2 shown]
	s_waitcnt lgkmcnt(4)
	v_pk_fma_f32 v[128:129], v[0:1], v[6:7], v[180:181] op_sel_hi:[0,1,1] neg_lo:[1,0,0] neg_hi:[1,0,0]
	s_waitcnt lgkmcnt(3)
	v_pk_fma_f32 v[24:25], v[0:1], v[8:9], v[182:183] op_sel_hi:[0,1,1] neg_lo:[1,0,0] neg_hi:[1,0,0]
	;; [unrolled: 2-line block ×3, first 2 shown]
	v_mov_b32_e32 v19, v0
	v_mov_b32_e32 v43, v0
	;; [unrolled: 1-line block ×4, first 2 shown]
	v_mov_b64_e32 v[26:27], v[24:25]
	s_waitcnt lgkmcnt(1)
	v_pk_fma_f32 v[228:229], v[0:1], v[2:3], v[184:185] op_sel_hi:[0,1,1] neg_lo:[1,0,0] neg_hi:[1,0,0]
	v_mov_b32_e32 v75, v0
	v_mov_b32_e32 v78, v128
	;; [unrolled: 1-line block ×7, first 2 shown]
	v_mov_b64_e32 v[24:25], v[22:23]
	s_waitcnt vmcnt(0)
	v_mov_b64_e32 v[162:163], v[26:27]
	v_mov_b64_e32 v[160:161], v[24:25]
	v_mov_b32_e32 v226, v26
	v_mov_b32_e32 v227, v27
	;; [unrolled: 1-line block ×31, first 2 shown]
	v_mov_b64_e32 v[98:99], v[20:21]
	v_mov_b32_e32 v30, v130
	v_mov_b32_e32 v31, v131
	;; [unrolled: 1-line block ×15, first 2 shown]
	scratch_store_dwordx4 off, v[30:33], off offset:2708 ; 16-byte Folded Spill
	s_nop 0
	scratch_store_dwordx4 off, v[34:37], off offset:2724 ; 16-byte Folded Spill
	scratch_store_dwordx4 off, v[38:41], off offset:2740 ; 16-byte Folded Spill
	;; [unrolled: 1-line block ×7, first 2 shown]
	v_mov_b32_e32 v46, v128
	v_mov_b32_e32 v47, v129
	v_mov_b64_e32 v[92:93], v[14:15]
	v_mov_b64_e32 v[90:91], v[12:13]
	;; [unrolled: 1-line block ×5, first 2 shown]
	v_mov_b32_e32 v62, v130
	v_mov_b32_e32 v63, v131
	;; [unrolled: 1-line block ×15, first 2 shown]
	v_mov_b64_e32 v[96:97], v[18:19]
	v_mov_b64_e32 v[94:95], v[16:17]
	;; [unrolled: 1-line block ×10, first 2 shown]
	v_mov_b32_e32 v126, v98
	v_mov_b32_e32 v127, v99
	;; [unrolled: 1-line block ×4, first 2 shown]
	v_mov_b64_e32 v[158:159], v[22:23]
	v_mov_b64_e32 v[144:145], v[8:9]
	;; [unrolled: 1-line block ×9, first 2 shown]
	scratch_store_dwordx4 off, v[30:33], off offset:2192 ; 16-byte Folded Spill
	s_nop 0
	scratch_store_dwordx4 off, v[34:37], off offset:2208 ; 16-byte Folded Spill
	scratch_store_dwordx4 off, v[38:41], off offset:2224 ; 16-byte Folded Spill
	;; [unrolled: 1-line block ×7, first 2 shown]
	v_mov_b32_e32 v48, v26
	v_mov_b32_e32 v49, v27
	v_mov_b64_e32 v[24:25], v[162:163]
	v_mov_b32_e32 v112, v130
	v_mov_b32_e32 v113, v131
	;; [unrolled: 1-line block ×12, first 2 shown]
	v_mov_b64_e32 v[26:27], v[190:191]
	s_waitcnt lgkmcnt(0)
	v_pk_fma_f32 v[170:171], v[0:1], v[4:5], v[26:27] op_sel_hi:[0,1,1] neg_lo:[1,0,0] neg_hi:[1,0,0]
	v_mov_b64_e32 v[28:29], v[192:193]
	v_mov_b32_e32 v160, v128
	v_mov_b32_e32 v161, v129
	;; [unrolled: 1-line block ×27, first 2 shown]
	scratch_store_dwordx4 off, v[30:33], off offset:1808 ; 16-byte Folded Spill
	s_nop 0
	scratch_store_dwordx4 off, v[34:37], off offset:1824 ; 16-byte Folded Spill
	scratch_store_dwordx4 off, v[38:41], off offset:1840 ; 16-byte Folded Spill
	;; [unrolled: 1-line block ×8, first 2 shown]
	s_nop 0
	scratch_store_dwordx4 off, v[66:69], off offset:1568 ; 16-byte Folded Spill
	scratch_store_dwordx4 off, v[70:73], off offset:1584 ; 16-byte Folded Spill
	scratch_store_dwordx4 off, v[74:77], off offset:1600 ; 16-byte Folded Spill
	scratch_store_dwordx4 off, v[78:81], off offset:1616 ; 16-byte Folded Spill
	scratch_store_dwordx4 off, v[82:85], off offset:1632 ; 16-byte Folded Spill
	scratch_store_dwordx4 off, v[86:89], off offset:1648 ; 16-byte Folded Spill
	scratch_store_dwordx4 off, v[90:93], off offset:1664 ; 16-byte Folded Spill
	ds_read2_b32 v[2:3], v254 offset0:22 offset1:23
	ds_read2_b32 v[6:7], v254 offset0:24 offset1:25
	v_mov_b32_e32 v80, v162
	v_mov_b32_e32 v81, v163
	;; [unrolled: 1-line block ×3, first 2 shown]
	s_waitcnt lgkmcnt(1)
	v_pk_fma_f32 v[52:53], v[0:1], v[2:3], v[186:187] op_sel_hi:[0,1,1] neg_lo:[1,0,0] neg_hi:[1,0,0]
	s_waitcnt lgkmcnt(0)
	v_pk_fma_f32 v[206:207], v[0:1], v[6:7], v[188:189] op_sel_hi:[0,1,1] neg_lo:[1,0,0] neg_hi:[1,0,0]
	v_mov_b64_e32 v[6:7], v[144:145]
	v_mov_b64_e32 v[8:9], v[146:147]
	;; [unrolled: 1-line block ×8, first 2 shown]
	v_mov_b32_e32 v55, v131
	v_mov_b32_e32 v56, v132
	;; [unrolled: 1-line block ×7, first 2 shown]
	v_mov_b64_e32 v[2:3], v[6:7]
	v_mov_b64_e32 v[4:5], v[8:9]
	;; [unrolled: 1-line block ×8, first 2 shown]
	v_mov_b32_e32 v144, v130
	v_mov_b32_e32 v145, v131
	;; [unrolled: 1-line block ×18, first 2 shown]
	v_mov_b64_e32 v[18:19], v[22:23]
	v_mov_b32_e32 v1, v131
	v_mov_b32_e32 v50, v228
	;; [unrolled: 1-line block ×5, first 2 shown]
	v_mov_b64_e32 v[20:21], v[24:25]
	v_mov_b32_e32 v166, v52
	v_mov_b32_e32 v167, v53
	;; [unrolled: 1-line block ×8, first 2 shown]
	v_mov_b64_e32 v[100:101], v[98:99]
	v_mov_b64_e32 v[98:99], v[96:97]
	;; [unrolled: 1-line block ×8, first 2 shown]
	v_mov_b32_e32 v76, v100
	v_mov_b32_e32 v77, v101
	;; [unrolled: 1-line block ×4, first 2 shown]
	scratch_store_dwordx4 off, v[62:65], off offset:1296 ; 16-byte Folded Spill
	s_nop 0
	scratch_store_dwordx4 off, v[66:69], off offset:1312 ; 16-byte Folded Spill
	scratch_store_dwordx4 off, v[70:73], off offset:1328 ; 16-byte Folded Spill
	;; [unrolled: 1-line block ×7, first 2 shown]
	v_mov_b32_e32 v196, v100
	v_mov_b32_e32 v197, v101
	;; [unrolled: 1-line block ×22, first 2 shown]
	scratch_store_dwordx4 off, v[54:57], off offset:1168 ; 16-byte Folded Spill
	s_nop 0
	scratch_store_dwordx4 off, v[58:61], off offset:1184 ; 16-byte Folded Spill
	scratch_store_dwordx4 off, v[62:65], off offset:1200 ; 16-byte Folded Spill
	;; [unrolled: 1-line block ×7, first 2 shown]
	v_mov_b64_e32 v[106:107], v[100:101]
	v_mov_b64_e32 v[104:105], v[98:99]
	;; [unrolled: 1-line block ×8, first 2 shown]
	scratch_store_dwordx4 off, v[92:95], off offset:656 ; 16-byte Folded Spill
	s_nop 0
	scratch_store_dwordx4 off, v[96:99], off offset:672 ; 16-byte Folded Spill
	scratch_store_dwordx4 off, v[100:103], off offset:688 ; 16-byte Folded Spill
	;; [unrolled: 1-line block ×7, first 2 shown]
	v_mov_b64_e32 v[86:87], v[16:17]
	v_mov_b64_e32 v[84:85], v[14:15]
	;; [unrolled: 1-line block ×18, first 2 shown]
	v_mov_b32_e32 v72, v100
	v_mov_b32_e32 v73, v101
	v_mov_b64_e32 v[100:101], v[96:97]
	v_mov_b32_e32 v74, v228
	v_mov_b32_e32 v75, v229
	;; [unrolled: 1-line block ×8, first 2 shown]
	v_mov_b64_e32 v[98:99], v[94:95]
	v_mov_b64_e32 v[96:97], v[92:93]
	;; [unrolled: 1-line block ×8, first 2 shown]
	v_mov_b32_e32 v13, v0
	v_mov_b64_e32 v[102:103], v[22:23]
	v_mov_b32_e32 v0, v130
	v_mov_b32_e32 v2, v132
	;; [unrolled: 1-line block ×18, first 2 shown]
	scratch_store_dwordx4 off, v[54:57], off offset:784 ; 16-byte Folded Spill
	s_nop 0
	scratch_store_dwordx4 off, v[58:61], off offset:800 ; 16-byte Folded Spill
	scratch_store_dwordx4 off, v[62:65], off offset:816 ; 16-byte Folded Spill
	scratch_store_dwordx4 off, v[66:69], off offset:832 ; 16-byte Folded Spill
	scratch_store_dwordx4 off, v[70:73], off offset:848 ; 16-byte Folded Spill
	scratch_store_dwordx4 off, v[74:77], off offset:864 ; 16-byte Folded Spill
	scratch_store_dwordx4 off, v[78:81], off offset:880 ; 16-byte Folded Spill
	scratch_store_dwordx4 off, v[82:85], off offset:896 ; 16-byte Folded Spill
	scratch_load_dwordx4 v[54:57], off, off offset:656 ; 16-byte Folded Reload
	s_nop 0
	scratch_load_dwordx4 v[58:61], off, off offset:672 ; 16-byte Folded Reload
	scratch_load_dwordx4 v[62:65], off, off offset:688 ; 16-byte Folded Reload
	;; [unrolled: 1-line block ×7, first 2 shown]
	s_waitcnt vmcnt(7)
	v_mov_b32_e32 v55, v28
	scratch_store_dwordx4 off, v[130:133], off offset:3480 ; 16-byte Folded Spill
	s_nop 0
	scratch_store_dwordx4 off, v[134:137], off offset:3496 ; 16-byte Folded Spill
	scratch_store_dwordx4 off, v[138:141], off offset:3512 ; 16-byte Folded Spill
	;; [unrolled: 1-line block ×7, first 2 shown]
	s_waitcnt vmcnt(10)
	v_mov_b64_e32 v[76:77], v[24:25]
	v_mov_b32_e32 v56, v76
	v_mov_b64_e32 v[74:75], v[22:23]
	v_mov_b32_e32 v22, v52
	v_mov_b32_e32 v23, v53
	;; [unrolled: 1-line block ×4, first 2 shown]
	scratch_store_dwordx2 off, v[54:55], off offset:264 ; 8-byte Folded Spill
	v_mov_b32_e32 v14, v68
	v_mov_b32_e32 v15, v69
	v_mov_b64_e32 v[58:59], v[86:87]
	v_mov_b64_e32 v[60:61], v[88:89]
	;; [unrolled: 1-line block ×8, first 2 shown]
	scratch_load_dwordx4 v[78:81], off, off offset:656 ; 16-byte Folded Reload
	scratch_load_dwordx4 v[82:85], off, off offset:672 ; 16-byte Folded Reload
	scratch_load_dwordx4 v[86:89], off, off offset:688 ; 16-byte Folded Reload
	scratch_load_dwordx4 v[90:93], off, off offset:704 ; 16-byte Folded Reload
	scratch_load_dwordx4 v[94:97], off, off offset:720 ; 16-byte Folded Reload
	scratch_load_dwordx4 v[98:101], off, off offset:736 ; 16-byte Folded Reload
	scratch_load_dwordx4 v[102:105], off, off offset:752 ; 16-byte Folded Reload
	scratch_load_dwordx4 v[106:109], off, off offset:768 ; 16-byte Folded Reload
	s_nop 0
	scratch_store_dwordx4 off, v[112:115], off offset:1680 ; 16-byte Folded Spill
	s_nop 0
	scratch_store_dwordx4 off, v[116:119], off offset:1696 ; 16-byte Folded Spill
	scratch_store_dwordx4 off, v[120:123], off offset:1712 ; 16-byte Folded Spill
	;; [unrolled: 1-line block ×7, first 2 shown]
	s_waitcnt vmcnt(8)
	v_mov_b32_e32 v110, v76
	v_mov_b32_e32 v109, v75
	;; [unrolled: 1-line block ×3, first 2 shown]
	v_mov_b64_e32 v[130:131], v[144:145]
	v_mov_b64_e32 v[132:133], v[146:147]
	;; [unrolled: 1-line block ×22, first 2 shown]
	v_mov_b32_e32 v162, v156
	v_mov_b64_e32 v[106:107], v[92:93]
	v_mov_b32_e32 v54, v106
	v_mov_b32_e32 v55, v107
	scratch_store_dwordx4 off, v[38:41], off offset:136 ; 16-byte Folded Spill
	s_nop 0
	scratch_store_dwordx4 off, v[42:45], off offset:152 ; 16-byte Folded Spill
	scratch_store_dwordx4 off, v[46:49], off offset:168 ; 16-byte Folded Spill
	;; [unrolled: 1-line block ×7, first 2 shown]
	v_mov_b64_e32 v[104:105], v[90:91]
	v_mov_b64_e32 v[102:103], v[88:89]
	;; [unrolled: 1-line block ×7, first 2 shown]
	v_mov_b32_e32 v57, v77
	v_mov_b64_e32 v[106:107], v[72:73]
	v_mov_b64_e32 v[104:105], v[70:71]
	;; [unrolled: 1-line block ×8, first 2 shown]
	scratch_store_dwordx4 off, v[92:95], off offset:400 ; 16-byte Folded Spill
	s_nop 0
	scratch_store_dwordx4 off, v[96:99], off offset:416 ; 16-byte Folded Spill
	scratch_store_dwordx4 off, v[100:103], off offset:432 ; 16-byte Folded Spill
	scratch_store_dwordx4 off, v[104:107], off offset:448 ; 16-byte Folded Spill
	scratch_store_dwordx4 off, v[108:111], off offset:464 ; 16-byte Folded Spill
	scratch_store_dwordx4 off, v[112:115], off offset:480 ; 16-byte Folded Spill
	scratch_store_dwordx4 off, v[116:119], off offset:496 ; 16-byte Folded Spill
	scratch_store_dwordx4 off, v[120:123], off offset:512 ; 16-byte Folded Spill
	scratch_store_dwordx4 off, v[38:41], off offset:528 ; 16-byte Folded Spill
	s_nop 0
	scratch_store_dwordx4 off, v[42:45], off offset:544 ; 16-byte Folded Spill
	scratch_store_dwordx4 off, v[46:49], off offset:560 ; 16-byte Folded Spill
	scratch_store_dwordx4 off, v[50:53], off offset:576 ; 16-byte Folded Spill
	scratch_store_dwordx4 off, v[54:57], off offset:592 ; 16-byte Folded Spill
	scratch_store_dwordx4 off, v[58:61], off offset:608 ; 16-byte Folded Spill
	scratch_store_dwordx4 off, v[62:65], off offset:624 ; 16-byte Folded Spill
	scratch_store_dwordx4 off, v[66:69], off offset:640 ; 16-byte Folded Spill
	;; [unrolled: 9-line block ×3, first 2 shown]
	v_mov_b32_e32 v214, v206
	v_mov_b64_e32 v[70:71], v[44:45]
	v_mov_b64_e32 v[78:79], v[52:53]
	v_mov_b64_e32 v[68:69], v[42:43]
	v_mov_b64_e32 v[66:67], v[40:41]
	v_mov_b64_e32 v[64:65], v[38:39]
	v_mov_b64_e32 v[62:63], v[36:37]
	v_mov_b64_e32 v[60:61], v[34:35]
	v_mov_b64_e32 v[58:59], v[32:33]
	v_mov_b64_e32 v[56:57], v[30:31]
	v_mov_b64_e32 v[76:77], v[50:51]
	v_mov_b64_e32 v[74:75], v[48:49]
	v_mov_b64_e32 v[72:73], v[46:47]
	v_mov_b32_e32 v218, v78
	scratch_store_dwordx4 off, v[56:59], off offset:912 ; 16-byte Folded Spill
	s_nop 0
	scratch_store_dwordx4 off, v[60:63], off offset:928 ; 16-byte Folded Spill
	scratch_store_dwordx4 off, v[64:67], off offset:944 ; 16-byte Folded Spill
	;; [unrolled: 1-line block ×8, first 2 shown]
	s_nop 0
	scratch_store_dwordx4 off, v[186:189], off offset:1056 ; 16-byte Folded Spill
	scratch_store_dwordx4 off, v[190:193], off offset:1072 ; 16-byte Folded Spill
	;; [unrolled: 1-line block ×7, first 2 shown]
	v_mov_b64_e32 v[190:191], v[26:27]
	v_mov_b64_e32 v[192:193], v[28:29]
	;; [unrolled: 1-line block ×7, first 2 shown]
	v_mov_b32_e32 v33, v193
	v_mov_b32_e32 v217, v79
	;; [unrolled: 1-line block ×3, first 2 shown]
.LBB58_239:
	s_or_b64 exec, exec, s[0:1]
	s_barrier
	scratch_load_dword v0, off, off offset:4 ; 4-byte Folded Reload
	s_cmp_lt_i32 s22, 16
	s_waitcnt vmcnt(0)
	v_lshl_add_u32 v30, v0, 2, v254
	ds_write_b32 v30, v54
	s_waitcnt lgkmcnt(0)
	s_barrier
	ds_read_b32 v32, v254 offset:56
	v_mov_b32_e32 v30, 14
	s_cbranch_scc1 .LBB58_517
; %bb.240:
	scratch_load_dword v0, off, off offset:3348 ; 4-byte Folded Reload
	v_mov_b32_e32 v30, 14
	s_mov_b32 s0, 15
	v_mov_b32_e32 v15, v55
	s_waitcnt vmcnt(0)
	v_add3_u32 v31, v0, 0, 60
.LBB58_241:                             ; =>This Inner Loop Header: Depth=1
	ds_read_b32 v62, v31
	v_add_u32_e32 v31, 4, v31
	s_waitcnt lgkmcnt(0)
	v_cmp_lt_f32_e64 vcc, |v32|, |v62|
	s_nop 1
	v_cndmask_b32_e32 v32, v32, v62, vcc
	v_mov_b32_e32 v62, s0
	s_add_i32 s0, s0, 1
	v_cndmask_b32_e32 v30, v30, v62, vcc
	s_cmp_lg_u32 s22, s0
	s_cbranch_scc1 .LBB58_241
; %bb.242:
	v_cmp_eq_f32_e32 vcc, 0, v32
	s_and_saveexec_b64 s[0:1], vcc
	s_xor_b64 s[0:1], exec, s[0:1]
.LBB58_243:
	v_cmp_ne_u32_e32 vcc, 0, v246
	s_nop 1
	v_cndmask_b32_e32 v246, 15, v246, vcc
.LBB58_244:
	s_andn2_saveexec_b64 s[0:1], s[0:1]
	s_cbranch_execz .LBB58_246
; %bb.245:
	v_div_scale_f32 v31, s[2:3], v32, v32, 1.0
	v_rcp_f32_e32 v62, v31
	v_div_scale_f32 v63, vcc, 1.0, v32, 1.0
	v_fma_f32 v64, -v31, v62, 1.0
	v_fmac_f32_e32 v62, v64, v62
	v_mul_f32_e32 v64, v63, v62
	v_fma_f32 v65, -v31, v64, v63
	v_fmac_f32_e32 v64, v65, v62
	v_fma_f32 v31, -v31, v64, v63
	v_div_fmas_f32 v31, v31, v62, v64
	v_div_fixup_f32 v32, v31, v32, 1.0
.LBB58_246:
	s_or_b64 exec, exec, s[0:1]
	scratch_load_dword v0, off, off offset:4 ; 4-byte Folded Reload
	s_waitcnt vmcnt(0)
	v_cmp_ne_u32_e32 vcc, v0, v30
	s_and_saveexec_b64 s[0:1], vcc
	s_xor_b64 s[0:1], exec, s[0:1]
	s_cbranch_execz .LBB58_252
; %bb.247:
	scratch_load_dword v0, off, off offset:4 ; 4-byte Folded Reload
	s_waitcnt vmcnt(0)
	v_cmp_eq_u32_e32 vcc, 14, v0
	s_and_saveexec_b64 s[2:3], vcc
	s_cbranch_execz .LBB58_251
; %bb.248:
	v_cmp_ne_u32_e32 vcc, 14, v30
	s_xor_b64 s[18:19], s[16:17], -1
	s_and_b64 s[20:21], s[18:19], vcc
	s_and_saveexec_b64 s[18:19], s[20:21]
	s_cbranch_execz .LBB58_250
; %bb.249:
	s_movk_i32 s20, 0x1498
	scratch_load_dwordx2 v[0:1], off, s20   ; 8-byte Folded Reload
	v_ashrrev_i32_e32 v31, 31, v30
	s_waitcnt vmcnt(0)
	v_lshl_add_u64 v[62:63], v[30:31], 2, v[0:1]
	global_load_dword v31, v[62:63], off
	global_load_dword v64, v[0:1], off offset:56
	s_waitcnt vmcnt(1)
	global_store_dword v[0:1], v31, off offset:56
	s_waitcnt vmcnt(1)
	global_store_dword v[62:63], v64, off
.LBB58_250:
	s_or_b64 exec, exec, s[18:19]
	v_mov_b32_e32 v0, v30
	scratch_store_dword off, v0, off offset:2704 ; 4-byte Folded Spill
	scratch_store_dword off, v0, off offset:4 ; 4-byte Folded Spill
.LBB58_251:
	s_or_b64 exec, exec, s[2:3]
.LBB58_252:
	s_andn2_saveexec_b64 s[0:1], s[0:1]
	s_cbranch_execz .LBB58_254
; %bb.253:
	v_mov_b32_e32 v0, 14
	ds_write2_b32 v254, v179, v180 offset0:15 offset1:16
	ds_write2_b32 v254, v181, v182 offset0:17 offset1:18
	;; [unrolled: 1-line block ×7, first 2 shown]
	ds_write_b32 v254, v33 offset:116
	scratch_store_dword off, v0, off offset:4 ; 4-byte Folded Spill
.LBB58_254:
	s_or_b64 exec, exec, s[0:1]
	s_waitcnt lgkmcnt(0)
	s_barrier
	scratch_load_dword v0, off, off offset:4 ; 4-byte Folded Reload
	s_waitcnt vmcnt(0)
	v_cmp_lt_i32_e32 vcc, 14, v0
	s_and_saveexec_b64 s[0:1], vcc
	s_cbranch_execz .LBB58_256
; %bb.255:
	v_mov_b32_e32 v14, v54
	scratch_load_dwordx4 v[34:37], off, off offset:3480 ; 16-byte Folded Reload
	scratch_load_dwordx4 v[38:41], off, off offset:3496 ; 16-byte Folded Reload
	;; [unrolled: 1-line block ×8, first 2 shown]
	ds_read2_b32 v[0:1], v254 offset0:15 offset1:16
	ds_read2_b32 v[4:5], v254 offset0:17 offset1:18
	;; [unrolled: 1-line block ×4, first 2 shown]
	s_waitcnt vmcnt(4)
	v_mul_f32_e32 v48, v14, v32
	v_mov_b32_e32 v2, v179
	v_mov_b32_e32 v3, v180
	;; [unrolled: 1-line block ×7, first 2 shown]
	s_waitcnt lgkmcnt(3)
	v_pk_fma_f32 v[0:1], v[48:49], v[0:1], v[2:3] op_sel_hi:[0,1,1] neg_lo:[1,0,0] neg_hi:[1,0,0]
	v_mov_b32_e32 v2, v181
	v_mov_b32_e32 v3, v182
	s_waitcnt lgkmcnt(2)
	v_pk_fma_f32 v[2:3], v[48:49], v[4:5], v[2:3] op_sel_hi:[0,1,1] neg_lo:[1,0,0] neg_hi:[1,0,0]
	v_mov_b32_e32 v4, v183
	v_mov_b32_e32 v5, v184
	s_waitcnt vmcnt(0) lgkmcnt(1)
	v_pk_fma_f32 v[62:63], v[48:49], v[6:7], v[4:5] op_sel_hi:[0,1,1] neg_lo:[1,0,0] neg_hi:[1,0,0]
	v_mov_b32_e32 v4, v185
	v_mov_b32_e32 v5, v186
	s_waitcnt lgkmcnt(0)
	v_pk_fma_f32 v[64:65], v[48:49], v[8:9], v[4:5] op_sel_hi:[0,1,1] neg_lo:[1,0,0] neg_hi:[1,0,0]
	ds_read2_b32 v[4:5], v254 offset0:23 offset1:24
	ds_read2_b32 v[8:9], v254 offset0:25 offset1:26
	;; [unrolled: 1-line block ×3, first 2 shown]
	ds_read_b32 v12, v254 offset:116
	v_mov_b32_e32 v6, v187
	v_mov_b32_e32 v7, v188
	;; [unrolled: 1-line block ×3, first 2 shown]
	s_waitcnt lgkmcnt(3)
	v_pk_fma_f32 v[92:93], v[48:49], v[4:5], v[6:7] op_sel_hi:[0,1,1] neg_lo:[1,0,0] neg_hi:[1,0,0]
	v_mov_b32_e32 v4, v189
	v_mov_b32_e32 v5, v190
	s_waitcnt lgkmcnt(2)
	v_pk_fma_f32 v[94:95], v[48:49], v[8:9], v[4:5] op_sel_hi:[0,1,1] neg_lo:[1,0,0] neg_hi:[1,0,0]
	v_mov_b32_e32 v4, v191
	v_mov_b32_e32 v5, v192
	s_waitcnt lgkmcnt(1)
	v_pk_fma_f32 v[50:51], v[48:49], v[10:11], v[4:5] op_sel_hi:[0,1,1] neg_lo:[1,0,0] neg_hi:[1,0,0]
	s_waitcnt lgkmcnt(0)
	v_fma_f32 v33, -v48, v12, v33
	v_mov_b32_e32 v4, v34
	v_mov_b32_e32 v5, v35
	;; [unrolled: 1-line block ×14, first 2 shown]
	scratch_store_dwordx4 off, v[4:7], off offset:1680 ; 16-byte Folded Spill
	s_nop 0
	scratch_store_dwordx4 off, v[8:11], off offset:1696 ; 16-byte Folded Spill
	scratch_store_dwordx4 off, v[12:15], off offset:1712 ; 16-byte Folded Spill
	;; [unrolled: 1-line block ×7, first 2 shown]
	v_mov_b32_e32 v21, v2
	v_mov_b32_e32 v49, v0
	;; [unrolled: 1-line block ×29, first 2 shown]
	scratch_store_dwordx4 off, v[4:7], off offset:2192 ; 16-byte Folded Spill
	s_nop 0
	scratch_store_dwordx4 off, v[8:11], off offset:2208 ; 16-byte Folded Spill
	scratch_store_dwordx4 off, v[12:15], off offset:2224 ; 16-byte Folded Spill
	scratch_store_dwordx4 off, v[16:19], off offset:2240 ; 16-byte Folded Spill
	scratch_store_dwordx4 off, v[20:23], off offset:2256 ; 16-byte Folded Spill
	scratch_store_dwordx4 off, v[24:27], off offset:2272 ; 16-byte Folded Spill
	scratch_store_dwordx4 off, v[28:31], off offset:2288 ; 16-byte Folded Spill
	scratch_store_dwordx4 off, v[32:35], off offset:2304 ; 16-byte Folded Spill
	v_mov_b32_e32 v22, v3
	scratch_store_dwordx4 off, v[4:7], off offset:400 ; 16-byte Folded Spill
	s_nop 0
	scratch_store_dwordx4 off, v[8:11], off offset:416 ; 16-byte Folded Spill
	scratch_store_dwordx4 off, v[12:15], off offset:432 ; 16-byte Folded Spill
	scratch_store_dwordx4 off, v[16:19], off offset:448 ; 16-byte Folded Spill
	scratch_store_dwordx4 off, v[20:23], off offset:464 ; 16-byte Folded Spill
	scratch_store_dwordx4 off, v[24:27], off offset:480 ; 16-byte Folded Spill
	scratch_store_dwordx4 off, v[28:31], off offset:496 ; 16-byte Folded Spill
	scratch_store_dwordx4 off, v[32:35], off offset:512 ; 16-byte Folded Spill
	v_mov_b32_e32 v23, v62
	;; [unrolled: 10-line block ×6, first 2 shown]
	scratch_store_dwordx4 off, v[4:7], off offset:1296 ; 16-byte Folded Spill
	s_nop 0
	scratch_store_dwordx4 off, v[8:11], off offset:1312 ; 16-byte Folded Spill
	scratch_store_dwordx4 off, v[12:15], off offset:1328 ; 16-byte Folded Spill
	scratch_store_dwordx4 off, v[16:19], off offset:1344 ; 16-byte Folded Spill
	scratch_store_dwordx4 off, v[20:23], off offset:1360 ; 16-byte Folded Spill
	scratch_store_dwordx4 off, v[24:27], off offset:1376 ; 16-byte Folded Spill
	scratch_store_dwordx4 off, v[28:31], off offset:1392 ; 16-byte Folded Spill
	scratch_store_dwordx4 off, v[32:35], off offset:1408 ; 16-byte Folded Spill
	s_nop 0
	v_mov_b32_e32 v28, v93
	scratch_store_dwordx4 off, v[4:7], off offset:1040 ; 16-byte Folded Spill
	s_nop 0
	scratch_store_dwordx4 off, v[8:11], off offset:1056 ; 16-byte Folded Spill
	scratch_store_dwordx4 off, v[12:15], off offset:1072 ; 16-byte Folded Spill
	scratch_store_dwordx4 off, v[16:19], off offset:1088 ; 16-byte Folded Spill
	scratch_store_dwordx4 off, v[20:23], off offset:1104 ; 16-byte Folded Spill
	scratch_store_dwordx4 off, v[24:27], off offset:1120 ; 16-byte Folded Spill
	scratch_store_dwordx4 off, v[28:31], off offset:1136 ; 16-byte Folded Spill
	scratch_store_dwordx4 off, v[32:35], off offset:1152 ; 16-byte Folded Spill
	s_nop 0
	v_mov_b32_e32 v29, v94
	;; [unrolled: 11-line block ×3, first 2 shown]
	v_mov_b32_e32 v31, v50
	v_mov_b32_e32 v130, v34
	;; [unrolled: 1-line block ×3, first 2 shown]
	scratch_store_dwordx4 off, v[4:7], off offset:784 ; 16-byte Folded Spill
	s_nop 0
	scratch_store_dwordx4 off, v[8:11], off offset:800 ; 16-byte Folded Spill
	scratch_store_dwordx4 off, v[12:15], off offset:816 ; 16-byte Folded Spill
	;; [unrolled: 1-line block ×7, first 2 shown]
	s_nop 1
	v_mov_b32_e32 v32, v51
	scratch_store_dwordx4 off, v[34:37], off offset:2708 ; 16-byte Folded Spill
	s_nop 0
	scratch_store_dwordx4 off, v[38:41], off offset:2724 ; 16-byte Folded Spill
	scratch_store_dwordx4 off, v[42:45], off offset:2740 ; 16-byte Folded Spill
	;; [unrolled: 1-line block ×8, first 2 shown]
	s_nop 0
	scratch_store_dwordx4 off, v[38:41], off offset:672 ; 16-byte Folded Spill
	scratch_store_dwordx4 off, v[42:45], off offset:688 ; 16-byte Folded Spill
	;; [unrolled: 1-line block ×7, first 2 shown]
	v_mov_b32_e32 v37, v0
	v_mov_b32_e32 v35, v2
	;; [unrolled: 1-line block ×3, first 2 shown]
	scratch_store_dwordx4 off, v[16:19], off offset:136 ; 16-byte Folded Spill
	s_nop 0
	scratch_store_dwordx4 off, v[20:23], off offset:152 ; 16-byte Folded Spill
	scratch_store_dwordx4 off, v[24:27], off offset:168 ; 16-byte Folded Spill
	;; [unrolled: 1-line block ×7, first 2 shown]
	v_mov_b32_e32 v39, v62
	v_mov_b32_e32 v244, v63
	;; [unrolled: 1-line block ×4, first 2 shown]
	scratch_store_dwordx4 off, v[20:23], off offset:528 ; 16-byte Folded Spill
	s_nop 0
	scratch_store_dwordx4 off, v[24:27], off offset:544 ; 16-byte Folded Spill
	scratch_store_dwordx4 off, v[28:31], off offset:560 ; 16-byte Folded Spill
	;; [unrolled: 1-line block ×7, first 2 shown]
	v_mov_b64_e32 v[194:195], v[34:35]
	v_mov_b64_e32 v[192:193], v[32:33]
	;; [unrolled: 1-line block ×16, first 2 shown]
	v_mov_b32_e32 v15, v0
	v_mov_b32_e32 v17, v2
	v_mov_b32_e32 v157, v50
	scratch_store_dwordx2 off, v[50:51], off offset:264 ; 8-byte Folded Spill
.LBB58_256:
	s_or_b64 exec, exec, s[0:1]
	s_waitcnt vmcnt(63) expcnt(7) lgkmcnt(15)
	s_barrier
	scratch_load_dword v0, off, off offset:4 ; 4-byte Folded Reload
	s_cmp_lt_i32 s22, 17
	s_waitcnt vmcnt(0)
	v_lshl_add_u32 v30, v0, 2, v254
	ds_write_b32 v30, v15
	s_waitcnt lgkmcnt(0)
	s_barrier
	ds_read_b32 v32, v254 offset:60
	v_mov_b32_e32 v30, 15
	s_cbranch_scc1 .LBB58_259
; %bb.257:
	scratch_load_dword v0, off, off offset:3348 ; 4-byte Folded Reload
	v_mov_b32_e32 v30, 15
	s_mov_b32 s0, 16
	s_waitcnt vmcnt(0)
	v_add3_u32 v31, v0, 0, 64
.LBB58_258:                             ; =>This Inner Loop Header: Depth=1
	ds_read_b32 v62, v31
	v_add_u32_e32 v31, 4, v31
	s_waitcnt lgkmcnt(0)
	v_cmp_lt_f32_e64 vcc, |v32|, |v62|
	s_nop 1
	v_cndmask_b32_e32 v32, v32, v62, vcc
	v_mov_b32_e32 v62, s0
	s_add_i32 s0, s0, 1
	v_cndmask_b32_e32 v30, v30, v62, vcc
	s_cmp_lg_u32 s22, s0
	s_cbranch_scc1 .LBB58_258
.LBB58_259:
	v_mov_b32_e32 v34, v230
	s_waitcnt lgkmcnt(0)
	v_cmp_eq_f32_e32 vcc, 0, v32
	s_and_saveexec_b64 s[0:1], vcc
	s_xor_b64 s[0:1], exec, s[0:1]
; %bb.260:
	v_cmp_ne_u32_e32 vcc, 0, v246
	s_nop 1
	v_cndmask_b32_e32 v246, 16, v246, vcc
; %bb.261:
	s_andn2_saveexec_b64 s[0:1], s[0:1]
	s_cbranch_execz .LBB58_263
; %bb.262:
	v_div_scale_f32 v31, s[2:3], v32, v32, 1.0
	v_rcp_f32_e32 v62, v31
	v_div_scale_f32 v63, vcc, 1.0, v32, 1.0
	v_mov_b32_e32 v34, v230
	v_fma_f32 v64, -v31, v62, 1.0
	v_fmac_f32_e32 v62, v64, v62
	v_mul_f32_e32 v64, v63, v62
	v_fma_f32 v65, -v31, v64, v63
	v_fmac_f32_e32 v64, v65, v62
	v_fma_f32 v31, -v31, v64, v63
	v_div_fmas_f32 v31, v31, v62, v64
	v_div_fixup_f32 v32, v31, v32, 1.0
.LBB58_263:
	s_or_b64 exec, exec, s[0:1]
	scratch_load_dword v0, off, off offset:4 ; 4-byte Folded Reload
	s_waitcnt vmcnt(0)
	v_cmp_ne_u32_e32 vcc, v0, v30
	s_and_saveexec_b64 s[0:1], vcc
	s_xor_b64 s[0:1], exec, s[0:1]
	s_cbranch_execz .LBB58_269
; %bb.264:
	scratch_load_dword v0, off, off offset:4 ; 4-byte Folded Reload
	s_waitcnt vmcnt(0)
	v_cmp_eq_u32_e32 vcc, 15, v0
	s_and_saveexec_b64 s[2:3], vcc
	s_cbranch_execz .LBB58_268
; %bb.265:
	v_cmp_ne_u32_e32 vcc, 15, v30
	s_xor_b64 s[18:19], s[16:17], -1
	s_and_b64 s[20:21], s[18:19], vcc
	s_and_saveexec_b64 s[18:19], s[20:21]
	s_cbranch_execz .LBB58_267
; %bb.266:
	s_movk_i32 s20, 0x1498
	scratch_load_dwordx2 v[0:1], off, s20   ; 8-byte Folded Reload
	v_ashrrev_i32_e32 v31, 31, v30
	v_mov_b32_e32 v34, v230
	s_waitcnt vmcnt(0)
	v_lshl_add_u64 v[62:63], v[30:31], 2, v[0:1]
	global_load_dword v31, v[62:63], off
	global_load_dword v64, v[0:1], off offset:60
	s_waitcnt vmcnt(1)
	global_store_dword v[0:1], v31, off offset:60
	s_waitcnt vmcnt(1)
	global_store_dword v[62:63], v64, off
.LBB58_267:
	s_or_b64 exec, exec, s[18:19]
	v_mov_b32_e32 v0, v30
	scratch_store_dword off, v0, off offset:2704 ; 4-byte Folded Spill
	scratch_store_dword off, v0, off offset:4 ; 4-byte Folded Spill
.LBB58_268:
	s_or_b64 exec, exec, s[2:3]
.LBB58_269:
	s_andn2_saveexec_b64 s[0:1], s[0:1]
	s_cbranch_execz .LBB58_271
; %bb.270:
	v_mov_b32_e32 v0, 15
	ds_write2_b32 v254, v180, v181 offset0:16 offset1:17
	ds_write2_b32 v254, v182, v183 offset0:18 offset1:19
	;; [unrolled: 1-line block ×7, first 2 shown]
	scratch_store_dword off, v0, off offset:4 ; 4-byte Folded Spill
.LBB58_271:
	s_or_b64 exec, exec, s[0:1]
	s_waitcnt lgkmcnt(0)
	s_barrier
	scratch_load_dword v0, off, off offset:4 ; 4-byte Folded Reload
	s_waitcnt vmcnt(0)
	v_cmp_lt_i32_e32 vcc, 15, v0
	s_and_saveexec_b64 s[0:1], vcc
	s_cbranch_execz .LBB58_273
; %bb.272:
	v_mul_f32_e32 v0, v15, v32
	ds_read2_b32 v[2:3], v254 offset0:16 offset1:17
	ds_read2_b32 v[6:7], v254 offset0:18 offset1:19
	ds_read2_b32 v[8:9], v254 offset0:20 offset1:21
	ds_read2_b32 v[10:11], v254 offset0:22 offset1:23
	scratch_load_dwordx4 v[12:15], off, off offset:656 ; 16-byte Folded Reload
	scratch_load_dwordx4 v[16:19], off, off offset:672 ; 16-byte Folded Reload
	;; [unrolled: 1-line block ×8, first 2 shown]
	v_mov_b32_e32 v4, v180
	v_mov_b32_e32 v5, v181
	s_waitcnt lgkmcnt(3)
	v_pk_fma_f32 v[128:129], v[0:1], v[2:3], v[4:5] op_sel_hi:[0,1,1] neg_lo:[1,0,0] neg_hi:[1,0,0]
	s_waitcnt vmcnt(4)
	v_mov_b32_e32 v27, v0
	s_waitcnt vmcnt(3)
	v_mov_b32_e32 v28, v128
	v_mov_b32_e32 v29, v129
	;; [unrolled: 1-line block ×4, first 2 shown]
	s_waitcnt lgkmcnt(2)
	v_pk_fma_f32 v[110:111], v[0:1], v[6:7], v[2:3] op_sel_hi:[0,1,1] neg_lo:[1,0,0] neg_hi:[1,0,0]
	v_mov_b32_e32 v2, v184
	v_mov_b32_e32 v3, v185
	s_waitcnt lgkmcnt(1)
	v_pk_fma_f32 v[54:55], v[0:1], v[8:9], v[2:3] op_sel_hi:[0,1,1] neg_lo:[1,0,0] neg_hi:[1,0,0]
	v_mov_b32_e32 v6, v186
	v_mov_b32_e32 v7, v187
	;; [unrolled: 4-line block ×3, first 2 shown]
	v_mov_b32_e32 v71, v0
	v_mov_b32_e32 v72, v128
	;; [unrolled: 1-line block ×48, first 2 shown]
	v_mov_b64_e32 v[228:229], v[22:23]
	v_mov_b32_e32 v232, v26
	v_mov_b64_e32 v[226:227], v[20:21]
	v_mov_b64_e32 v[224:225], v[18:19]
	;; [unrolled: 1-line block ×5, first 2 shown]
	v_mov_b32_e32 v231, v25
	v_mov_b32_e32 v230, v24
	scratch_store_dwordx4 off, v[12:15], off offset:2192 ; 16-byte Folded Spill
	s_nop 0
	scratch_store_dwordx4 off, v[16:19], off offset:2208 ; 16-byte Folded Spill
	scratch_store_dwordx4 off, v[20:23], off offset:2224 ; 16-byte Folded Spill
	;; [unrolled: 1-line block ×4, first 2 shown]
	s_waitcnt vmcnt(7)
	scratch_store_dwordx4 off, v[32:35], off offset:2272 ; 16-byte Folded Spill
	s_waitcnt vmcnt(7)
	scratch_store_dwordx4 off, v[36:39], off offset:2288 ; 16-byte Folded Spill
	s_waitcnt vmcnt(7)
	scratch_store_dwordx4 off, v[40:43], off offset:2304 ; 16-byte Folded Spill
	v_mov_b32_e32 v30, v110
	v_mov_b32_e32 v31, v111
	;; [unrolled: 1-line block ×65, first 2 shown]
	scratch_store_dwordx4 off, v[12:15], off offset:1808 ; 16-byte Folded Spill
	s_nop 0
	scratch_store_dwordx4 off, v[16:19], off offset:1824 ; 16-byte Folded Spill
	scratch_store_dwordx4 off, v[20:23], off offset:1840 ; 16-byte Folded Spill
	;; [unrolled: 1-line block ×7, first 2 shown]
	v_mov_b32_e32 v34, v218
	v_mov_b32_e32 v35, v219
	;; [unrolled: 1-line block ×46, first 2 shown]
	scratch_store_dwordx4 off, v[12:15], off offset:1552 ; 16-byte Folded Spill
	s_nop 0
	scratch_store_dwordx4 off, v[16:19], off offset:1568 ; 16-byte Folded Spill
	scratch_store_dwordx4 off, v[20:23], off offset:1584 ; 16-byte Folded Spill
	;; [unrolled: 1-line block ×7, first 2 shown]
	v_mov_b32_e32 v12, v220
	v_mov_b32_e32 v13, v221
	;; [unrolled: 1-line block ×22, first 2 shown]
	scratch_store_dwordx4 off, v[10:13], off offset:1296 ; 16-byte Folded Spill
	s_nop 0
	scratch_store_dwordx4 off, v[14:17], off offset:1312 ; 16-byte Folded Spill
	scratch_store_dwordx4 off, v[18:21], off offset:1328 ; 16-byte Folded Spill
	;; [unrolled: 1-line block ×7, first 2 shown]
	ds_read2_b32 v[6:7], v254 offset0:24 offset1:25
	ds_read2_b32 v[10:11], v254 offset0:26 offset1:27
	;; [unrolled: 1-line block ×3, first 2 shown]
	v_mov_b32_e32 v19, v0
	v_mov_b32_e32 v14, v228
	s_waitcnt lgkmcnt(2)
	v_pk_fma_f32 v[206:207], v[0:1], v[6:7], v[8:9] op_sel_hi:[0,1,1] neg_lo:[1,0,0] neg_hi:[1,0,0]
	v_mov_b32_e32 v80, v206
	v_mov_b32_e32 v81, v207
	scratch_store_dwordx4 off, v[56:59], off offset:1168 ; 16-byte Folded Spill
	s_nop 0
	scratch_store_dwordx4 off, v[60:63], off offset:1184 ; 16-byte Folded Spill
	scratch_store_dwordx4 off, v[64:67], off offset:1200 ; 16-byte Folded Spill
	;; [unrolled: 1-line block ×7, first 2 shown]
	s_waitcnt lgkmcnt(1)
	v_pk_fma_f32 v[156:157], v[0:1], v[10:11], v[4:5] op_sel_hi:[0,1,1] neg_lo:[1,0,0] neg_hi:[1,0,0]
	s_waitcnt lgkmcnt(0)
	v_pk_fma_f32 v[32:33], v[0:1], v[12:13], v[2:3] op_sel_hi:[0,1,1] neg_lo:[1,0,0] neg_hi:[1,0,0]
	v_mov_b32_e32 v4, v218
	v_mov_b32_e32 v5, v219
	v_mov_b32_e32 v6, v220
	v_mov_b32_e32 v7, v221
	v_mov_b32_e32 v8, v222
	v_mov_b32_e32 v9, v223
	v_mov_b32_e32 v10, v224
	v_mov_b32_e32 v11, v225
	v_mov_b32_e32 v12, v226
	v_mov_b32_e32 v13, v227
	v_mov_b32_e32 v15, v229
	v_mov_b32_e32 v16, v230
	v_mov_b32_e32 v17, v231
	v_mov_b32_e32 v18, v232
	v_mov_b32_e32 v20, v128
	v_mov_b32_e32 v21, v129
	v_mov_b32_e32 v22, v110
	v_mov_b32_e32 v23, v111
	v_mov_b32_e32 v24, v54
	v_mov_b32_e32 v25, v55
	v_mov_b32_e32 v26, v180
	v_mov_b32_e32 v27, v181
	v_mov_b32_e32 v28, v206
	v_mov_b32_e32 v29, v207
	v_mov_b32_e32 v30, v156
	v_mov_b32_e32 v82, v156
	v_mov_b32_e32 v83, v157
	v_mov_b32_e32 v31, v157
	v_mov_b32_e32 v1, v32
	v_mov_b32_e32 v154, v206
	v_mov_b32_e32 v155, v207
	v_mov_b32_e32 v214, v206
	scratch_store_dwordx4 off, v[56:59], off offset:784 ; 16-byte Folded Spill
	s_nop 0
	scratch_store_dwordx4 off, v[60:63], off offset:800 ; 16-byte Folded Spill
	scratch_store_dwordx4 off, v[64:67], off offset:816 ; 16-byte Folded Spill
	;; [unrolled: 1-line block ×8, first 2 shown]
	s_nop 0
	scratch_store_dwordx4 off, v[222:225], off offset:2724 ; 16-byte Folded Spill
	scratch_store_dwordx4 off, v[226:229], off offset:2740 ; 16-byte Folded Spill
	scratch_store_dwordx4 off, v[230:233], off offset:2756 ; 16-byte Folded Spill
	scratch_store_dwordx4 off, v[234:237], off offset:2772 ; 16-byte Folded Spill
	scratch_store_dwordx4 off, v[238:241], off offset:2788 ; 16-byte Folded Spill
	scratch_store_dwordx4 off, v[242:245], off offset:2804 ; 16-byte Folded Spill
	scratch_store_dwordx4 off, v[246:249], off offset:2820 ; 16-byte Folded Spill
	scratch_store_dwordx2 off, v[0:1], off offset:264 ; 8-byte Folded Spill
	v_mov_b64_e32 v[0:1], v[4:5]
	v_mov_b64_e32 v[2:3], v[6:7]
	;; [unrolled: 1-line block ×16, first 2 shown]
	v_mov_b32_e32 v30, v128
	scratch_store_dwordx4 off, v[112:115], off offset:1680 ; 16-byte Folded Spill
	s_nop 0
	scratch_store_dwordx4 off, v[116:119], off offset:1696 ; 16-byte Folded Spill
	scratch_store_dwordx4 off, v[120:123], off offset:1712 ; 16-byte Folded Spill
	;; [unrolled: 1-line block ×7, first 2 shown]
	v_mov_b32_e32 v32, v110
	v_mov_b32_e32 v244, v54
	v_mov_b32_e32 v218, v180
	scratch_store_dwordx4 off, v[14:17], off offset:136 ; 16-byte Folded Spill
	s_nop 0
	scratch_store_dwordx4 off, v[18:21], off offset:152 ; 16-byte Folded Spill
	scratch_store_dwordx4 off, v[22:25], off offset:168 ; 16-byte Folded Spill
	scratch_store_dwordx4 off, v[26:29], off offset:184 ; 16-byte Folded Spill
	scratch_store_dwordx4 off, v[30:33], off offset:200 ; 16-byte Folded Spill
	scratch_store_dwordx4 off, v[34:37], off offset:216 ; 16-byte Folded Spill
	scratch_store_dwordx4 off, v[38:41], off offset:232 ; 16-byte Folded Spill
	scratch_store_dwordx4 off, v[42:45], off offset:248 ; 16-byte Folded Spill
	scratch_store_dwordx4 off, v[92:95], off offset:400 ; 16-byte Folded Spill
	s_nop 0
	scratch_store_dwordx4 off, v[96:99], off offset:416 ; 16-byte Folded Spill
	scratch_store_dwordx4 off, v[100:103], off offset:432 ; 16-byte Folded Spill
	scratch_store_dwordx4 off, v[104:107], off offset:448 ; 16-byte Folded Spill
	scratch_store_dwordx4 off, v[108:111], off offset:464 ; 16-byte Folded Spill
	scratch_store_dwordx4 off, v[112:115], off offset:480 ; 16-byte Folded Spill
	scratch_store_dwordx4 off, v[116:119], off offset:496 ; 16-byte Folded Spill
	scratch_store_dwordx4 off, v[120:123], off offset:512 ; 16-byte Folded Spill
	;; [unrolled: 9-line block ×5, first 2 shown]
	v_mov_b64_e32 v[178:179], v[14:15]
	v_mov_b32_e32 v34, v128
	v_mov_b64_e32 v[176:177], v[12:13]
	v_mov_b64_e32 v[174:175], v[10:11]
	v_mov_b64_e32 v[172:173], v[8:9]
	v_mov_b64_e32 v[170:171], v[6:7]
	v_mov_b64_e32 v[168:169], v[4:5]
	v_mov_b64_e32 v[166:167], v[2:3]
	v_mov_b64_e32 v[164:165], v[0:1]
	v_mov_b32_e32 v162, v156
                                        ; kill: def $vgpr130_vgpr131_vgpr132_vgpr133_vgpr134_vgpr135_vgpr136_vgpr137_vgpr138_vgpr139_vgpr140_vgpr141_vgpr142_vgpr143_vgpr144_vgpr145 killed $vgpr130_vgpr131_vgpr132_vgpr133_vgpr134_vgpr135_vgpr136_vgpr137_vgpr138_vgpr139_vgpr140_vgpr141_vgpr142_vgpr143_vgpr144_vgpr145 def $vgpr158_vgpr159_vgpr160_vgpr161
	scratch_store_dwordx4 off, v[182:185], off offset:1040 ; 16-byte Folded Spill
	s_nop 0
	scratch_store_dwordx4 off, v[186:189], off offset:1056 ; 16-byte Folded Spill
	scratch_store_dwordx4 off, v[190:193], off offset:1072 ; 16-byte Folded Spill
	scratch_store_dwordx4 off, v[194:197], off offset:1088 ; 16-byte Folded Spill
	scratch_store_dwordx4 off, v[198:201], off offset:1104 ; 16-byte Folded Spill
	scratch_store_dwordx4 off, v[202:205], off offset:1120 ; 16-byte Folded Spill
	scratch_store_dwordx4 off, v[206:209], off offset:1136 ; 16-byte Folded Spill
	scratch_store_dwordx4 off, v[210:213], off offset:1152 ; 16-byte Folded Spill
	v_mov_b32_e32 v217, v181
	v_mov_b64_e32 v[190:191], v[26:27]
	v_mov_b32_e32 v229, v55
	v_mov_b64_e32 v[188:189], v[24:25]
	v_mov_b64_e32 v[186:187], v[22:23]
	;; [unrolled: 1-line block ×6, first 2 shown]
	v_mov_b32_e32 v17, v129
	v_mov_b32_e32 v219, v207
.LBB58_273:
	s_or_b64 exec, exec, s[0:1]
	s_waitcnt vmcnt(63) expcnt(7) lgkmcnt(15)
	s_barrier
	scratch_load_dword v0, off, off offset:4 ; 4-byte Folded Reload
	s_cmp_lt_i32 s22, 18
	s_waitcnt vmcnt(0)
	v_lshl_add_u32 v30, v0, 2, v254
	ds_write_b32 v30, v34
	s_waitcnt lgkmcnt(0)
	s_barrier
	ds_read_b32 v32, v254 offset:64
	v_mov_b32_e32 v30, 16
	s_cbranch_scc1 .LBB58_276
; %bb.274:
	v_add_u32_e32 v31, 0x44, v254
	v_mov_b32_e32 v30, 16
	s_mov_b32 s0, 17
.LBB58_275:                             ; =>This Inner Loop Header: Depth=1
	ds_read_b32 v62, v31
	v_add_u32_e32 v31, 4, v31
	s_waitcnt lgkmcnt(0)
	v_cmp_lt_f32_e64 vcc, |v32|, |v62|
	s_nop 1
	v_cndmask_b32_e32 v32, v32, v62, vcc
	v_mov_b32_e32 v62, s0
	s_add_i32 s0, s0, 1
	v_cndmask_b32_e32 v30, v30, v62, vcc
	s_cmp_lg_u32 s22, s0
	s_cbranch_scc1 .LBB58_275
.LBB58_276:
	s_waitcnt lgkmcnt(0)
	v_cmp_eq_f32_e32 vcc, 0, v32
	s_and_saveexec_b64 s[0:1], vcc
	s_xor_b64 s[0:1], exec, s[0:1]
; %bb.277:
	v_cmp_ne_u32_e32 vcc, 0, v246
	s_nop 1
	v_cndmask_b32_e32 v246, 17, v246, vcc
; %bb.278:
	s_andn2_saveexec_b64 s[0:1], s[0:1]
	s_cbranch_execz .LBB58_280
; %bb.279:
	v_div_scale_f32 v31, s[2:3], v32, v32, 1.0
	v_rcp_f32_e32 v62, v31
	v_div_scale_f32 v63, vcc, 1.0, v32, 1.0
	v_fma_f32 v64, -v31, v62, 1.0
	v_fmac_f32_e32 v62, v64, v62
	v_mul_f32_e32 v64, v63, v62
	v_fma_f32 v65, -v31, v64, v63
	v_fmac_f32_e32 v64, v65, v62
	v_fma_f32 v31, -v31, v64, v63
	v_div_fmas_f32 v31, v31, v62, v64
	v_div_fixup_f32 v32, v31, v32, 1.0
.LBB58_280:
	s_or_b64 exec, exec, s[0:1]
	scratch_load_dword v0, off, off offset:4 ; 4-byte Folded Reload
	s_waitcnt vmcnt(0)
	v_cmp_ne_u32_e32 vcc, v0, v30
	s_and_saveexec_b64 s[0:1], vcc
	s_xor_b64 s[0:1], exec, s[0:1]
	s_cbranch_execz .LBB58_286
; %bb.281:
	scratch_load_dword v0, off, off offset:4 ; 4-byte Folded Reload
	s_waitcnt vmcnt(0)
	v_cmp_eq_u32_e32 vcc, 16, v0
	s_and_saveexec_b64 s[2:3], vcc
	s_cbranch_execz .LBB58_285
; %bb.282:
	v_cmp_ne_u32_e32 vcc, 16, v30
	s_xor_b64 s[18:19], s[16:17], -1
	s_and_b64 s[20:21], s[18:19], vcc
	s_and_saveexec_b64 s[18:19], s[20:21]
	s_cbranch_execz .LBB58_284
; %bb.283:
	s_movk_i32 s20, 0x1498
	scratch_load_dwordx2 v[0:1], off, s20   ; 8-byte Folded Reload
	v_ashrrev_i32_e32 v31, 31, v30
	s_waitcnt vmcnt(0)
	v_lshl_add_u64 v[62:63], v[30:31], 2, v[0:1]
	global_load_dword v31, v[62:63], off
	global_load_dword v64, v[0:1], off offset:64
	s_waitcnt vmcnt(1)
	global_store_dword v[0:1], v31, off offset:64
	s_waitcnt vmcnt(1)
	global_store_dword v[62:63], v64, off
.LBB58_284:
	s_or_b64 exec, exec, s[18:19]
	v_mov_b32_e32 v0, v30
	scratch_store_dword off, v0, off offset:2704 ; 4-byte Folded Spill
	scratch_store_dword off, v0, off offset:4 ; 4-byte Folded Spill
.LBB58_285:
	s_or_b64 exec, exec, s[2:3]
.LBB58_286:
	s_andn2_saveexec_b64 s[0:1], s[0:1]
	s_cbranch_execz .LBB58_288
; %bb.287:
	v_mov_b32_e32 v0, 16
	ds_write2_b32 v254, v181, v182 offset0:17 offset1:18
	ds_write2_b32 v254, v183, v184 offset0:19 offset1:20
	;; [unrolled: 1-line block ×6, first 2 shown]
	ds_write_b32 v254, v33 offset:116
	scratch_store_dword off, v0, off offset:4 ; 4-byte Folded Spill
.LBB58_288:
	s_or_b64 exec, exec, s[0:1]
	s_waitcnt lgkmcnt(0)
	s_barrier
	scratch_load_dword v0, off, off offset:4 ; 4-byte Folded Reload
	s_waitcnt vmcnt(0)
	v_cmp_lt_i32_e32 vcc, 16, v0
	s_and_saveexec_b64 s[0:1], vcc
	s_cbranch_execz .LBB58_290
; %bb.289:
	scratch_load_dwordx4 v[62:65], off, off offset:2708 ; 16-byte Folded Reload
	scratch_load_dwordx4 v[66:69], off, off offset:2724 ; 16-byte Folded Reload
	;; [unrolled: 1-line block ×8, first 2 shown]
	ds_read2_b32 v[0:1], v254 offset0:17 offset1:18
	v_mov_b32_e32 v16, v34
	ds_read2_b32 v[4:5], v254 offset0:19 offset1:20
	ds_read2_b32 v[6:7], v254 offset0:21 offset1:22
	;; [unrolled: 1-line block ×3, first 2 shown]
	v_mul_f32_e32 v50, v16, v32
	v_mov_b32_e32 v3, v182
	v_mov_b32_e32 v2, v181
	s_waitcnt lgkmcnt(3)
	v_pk_fma_f32 v[0:1], v[50:51], v[0:1], v[2:3] op_sel_hi:[0,1,1] neg_lo:[1,0,0] neg_hi:[1,0,0]
	v_mov_b32_e32 v3, v184
	v_mov_b32_e32 v2, v183
	s_waitcnt lgkmcnt(2)
	v_pk_fma_f32 v[2:3], v[50:51], v[4:5], v[2:3] op_sel_hi:[0,1,1] neg_lo:[1,0,0] neg_hi:[1,0,0]
	v_mov_b32_e32 v5, v186
	v_mov_b32_e32 v4, v185
	;; [unrolled: 1-line block ×11, first 2 shown]
	s_waitcnt vmcnt(4)
	v_mov_b64_e32 v[34:35], v[62:63]
	v_mov_b64_e32 v[36:37], v[64:65]
	;; [unrolled: 1-line block ×8, first 2 shown]
	s_waitcnt lgkmcnt(1)
	v_pk_fma_f32 v[62:63], v[50:51], v[6:7], v[4:5] op_sel_hi:[0,1,1] neg_lo:[1,0,0] neg_hi:[1,0,0]
	v_mov_b32_e32 v5, v188
	v_mov_b32_e32 v4, v187
	s_waitcnt lgkmcnt(0)
	v_pk_fma_f32 v[64:65], v[50:51], v[8:9], v[4:5] op_sel_hi:[0,1,1] neg_lo:[1,0,0] neg_hi:[1,0,0]
	ds_read2_b32 v[4:5], v254 offset0:25 offset1:26
	ds_read2_b32 v[8:9], v254 offset0:27 offset1:28
	ds_read_b32 v10, v254 offset:116
	v_mov_b32_e32 v7, v190
	v_mov_b32_e32 v6, v189
	v_mov_b32_e32 v11, v41
	s_waitcnt vmcnt(0) lgkmcnt(2)
	v_pk_fma_f32 v[92:93], v[50:51], v[4:5], v[6:7] op_sel_hi:[0,1,1] neg_lo:[1,0,0] neg_hi:[1,0,0]
	v_mov_b32_e32 v5, v192
	v_mov_b32_e32 v4, v191
	s_waitcnt lgkmcnt(1)
	v_pk_fma_f32 v[52:53], v[50:51], v[8:9], v[4:5] op_sel_hi:[0,1,1] neg_lo:[1,0,0] neg_hi:[1,0,0]
	s_waitcnt lgkmcnt(0)
	v_fma_f32 v33, -v50, v10, v33
	v_mov_b32_e32 v4, v34
	v_mov_b32_e32 v5, v35
	;; [unrolled: 1-line block ×15, first 2 shown]
	scratch_store_dwordx4 off, v[4:7], off offset:400 ; 16-byte Folded Spill
	s_nop 0
	scratch_store_dwordx4 off, v[8:11], off offset:416 ; 16-byte Folded Spill
	scratch_store_dwordx4 off, v[12:15], off offset:432 ; 16-byte Folded Spill
	scratch_store_dwordx4 off, v[16:19], off offset:448 ; 16-byte Folded Spill
	scratch_store_dwordx4 off, v[20:23], off offset:464 ; 16-byte Folded Spill
	scratch_store_dwordx4 off, v[24:27], off offset:480 ; 16-byte Folded Spill
	scratch_store_dwordx4 off, v[28:31], off offset:496 ; 16-byte Folded Spill
	scratch_store_dwordx4 off, v[32:35], off offset:512 ; 16-byte Folded Spill
	v_mov_b32_e32 v23, v2
	v_mov_b32_e32 v51, v0
	;; [unrolled: 1-line block ×24, first 2 shown]
	scratch_store_dwordx4 off, v[4:7], off offset:1808 ; 16-byte Folded Spill
	s_nop 0
	scratch_store_dwordx4 off, v[8:11], off offset:1824 ; 16-byte Folded Spill
	scratch_store_dwordx4 off, v[12:15], off offset:1840 ; 16-byte Folded Spill
	scratch_store_dwordx4 off, v[16:19], off offset:1856 ; 16-byte Folded Spill
	scratch_store_dwordx4 off, v[20:23], off offset:1872 ; 16-byte Folded Spill
	scratch_store_dwordx4 off, v[24:27], off offset:1888 ; 16-byte Folded Spill
	scratch_store_dwordx4 off, v[28:31], off offset:1904 ; 16-byte Folded Spill
	scratch_store_dwordx4 off, v[32:35], off offset:1920 ; 16-byte Folded Spill
	v_mov_b32_e32 v24, v3
	scratch_store_dwordx4 off, v[4:7], off offset:272 ; 16-byte Folded Spill
	s_nop 0
	scratch_store_dwordx4 off, v[8:11], off offset:288 ; 16-byte Folded Spill
	scratch_store_dwordx4 off, v[12:15], off offset:304 ; 16-byte Folded Spill
	scratch_store_dwordx4 off, v[16:19], off offset:320 ; 16-byte Folded Spill
	scratch_store_dwordx4 off, v[20:23], off offset:336 ; 16-byte Folded Spill
	scratch_store_dwordx4 off, v[24:27], off offset:352 ; 16-byte Folded Spill
	scratch_store_dwordx4 off, v[28:31], off offset:368 ; 16-byte Folded Spill
	scratch_store_dwordx4 off, v[32:35], off offset:384 ; 16-byte Folded Spill
	v_mov_b32_e32 v25, v62
	;; [unrolled: 10-line block ×4, first 2 shown]
	scratch_store_dwordx4 off, v[4:7], off offset:1296 ; 16-byte Folded Spill
	s_nop 0
	scratch_store_dwordx4 off, v[8:11], off offset:1312 ; 16-byte Folded Spill
	scratch_store_dwordx4 off, v[12:15], off offset:1328 ; 16-byte Folded Spill
	scratch_store_dwordx4 off, v[16:19], off offset:1344 ; 16-byte Folded Spill
	scratch_store_dwordx4 off, v[20:23], off offset:1360 ; 16-byte Folded Spill
	scratch_store_dwordx4 off, v[24:27], off offset:1376 ; 16-byte Folded Spill
	scratch_store_dwordx4 off, v[28:31], off offset:1392 ; 16-byte Folded Spill
	scratch_store_dwordx4 off, v[32:35], off offset:1408 ; 16-byte Folded Spill
	s_nop 0
	v_mov_b32_e32 v28, v65
	scratch_store_dwordx4 off, v[4:7], off offset:1040 ; 16-byte Folded Spill
	s_nop 0
	scratch_store_dwordx4 off, v[8:11], off offset:1056 ; 16-byte Folded Spill
	scratch_store_dwordx4 off, v[12:15], off offset:1072 ; 16-byte Folded Spill
	scratch_store_dwordx4 off, v[16:19], off offset:1088 ; 16-byte Folded Spill
	scratch_store_dwordx4 off, v[20:23], off offset:1104 ; 16-byte Folded Spill
	scratch_store_dwordx4 off, v[24:27], off offset:1120 ; 16-byte Folded Spill
	scratch_store_dwordx4 off, v[28:31], off offset:1136 ; 16-byte Folded Spill
	scratch_store_dwordx4 off, v[32:35], off offset:1152 ; 16-byte Folded Spill
	s_nop 0
	v_mov_b32_e32 v29, v92
	;; [unrolled: 11-line block ×3, first 2 shown]
	v_mov_b32_e32 v31, v52
	v_mov_b32_e32 v130, v34
	;; [unrolled: 1-line block ×3, first 2 shown]
	scratch_store_dwordx4 off, v[4:7], off offset:784 ; 16-byte Folded Spill
	s_nop 0
	scratch_store_dwordx4 off, v[8:11], off offset:800 ; 16-byte Folded Spill
	scratch_store_dwordx4 off, v[12:15], off offset:816 ; 16-byte Folded Spill
	;; [unrolled: 1-line block ×7, first 2 shown]
	s_nop 1
	v_mov_b32_e32 v32, v53
	scratch_store_dwordx4 off, v[34:37], off offset:2192 ; 16-byte Folded Spill
	s_nop 0
	scratch_store_dwordx4 off, v[38:41], off offset:2208 ; 16-byte Folded Spill
	scratch_store_dwordx4 off, v[42:45], off offset:2224 ; 16-byte Folded Spill
	;; [unrolled: 1-line block ×8, first 2 shown]
	s_nop 0
	scratch_store_dwordx4 off, v[38:41], off offset:1696 ; 16-byte Folded Spill
	scratch_store_dwordx4 off, v[42:45], off offset:1712 ; 16-byte Folded Spill
	;; [unrolled: 1-line block ×7, first 2 shown]
	v_mov_b32_e32 v35, v0
	v_mov_b32_e32 v34, v1
	scratch_store_dwordx4 off, v[16:19], off offset:136 ; 16-byte Folded Spill
	s_nop 0
	scratch_store_dwordx4 off, v[20:23], off offset:152 ; 16-byte Folded Spill
	scratch_store_dwordx4 off, v[24:27], off offset:168 ; 16-byte Folded Spill
	;; [unrolled: 1-line block ×7, first 2 shown]
	v_mov_b32_e32 v37, v2
	v_mov_b32_e32 v229, v62
	;; [unrolled: 1-line block ×6, first 2 shown]
	scratch_store_dwordx4 off, v[18:21], off offset:528 ; 16-byte Folded Spill
	s_nop 0
	scratch_store_dwordx4 off, v[22:25], off offset:544 ; 16-byte Folded Spill
	scratch_store_dwordx4 off, v[26:29], off offset:560 ; 16-byte Folded Spill
	;; [unrolled: 1-line block ×7, first 2 shown]
	scratch_store_dwordx2 off, v[52:53], off offset:264 ; 8-byte Folded Spill
	v_mov_b64_e32 v[194:195], v[34:35]
	v_mov_b64_e32 v[192:193], v[32:33]
	;; [unrolled: 1-line block ×16, first 2 shown]
	v_mov_b32_e32 v17, v35
.LBB58_290:
	s_or_b64 exec, exec, s[0:1]
	s_waitcnt vmcnt(63) expcnt(7) lgkmcnt(15)
	s_barrier
	scratch_load_dword v0, off, off offset:4 ; 4-byte Folded Reload
	s_cmp_lt_i32 s22, 19
	s_waitcnt vmcnt(0)
	v_lshl_add_u32 v30, v0, 2, v254
	ds_write_b32 v30, v17
	s_waitcnt lgkmcnt(0)
	s_barrier
	ds_read_b32 v32, v254 offset:68
	v_mov_b32_e32 v30, 17
	s_cbranch_scc1 .LBB58_293
; %bb.291:
	v_add_u32_e32 v31, 0x48, v254
	v_mov_b32_e32 v30, 17
	s_mov_b32 s0, 18
.LBB58_292:                             ; =>This Inner Loop Header: Depth=1
	ds_read_b32 v62, v31
	v_add_u32_e32 v31, 4, v31
	s_waitcnt lgkmcnt(0)
	v_cmp_lt_f32_e64 vcc, |v32|, |v62|
	s_nop 1
	v_cndmask_b32_e32 v32, v32, v62, vcc
	v_mov_b32_e32 v62, s0
	s_add_i32 s0, s0, 1
	v_cndmask_b32_e32 v30, v30, v62, vcc
	s_cmp_lg_u32 s22, s0
	s_cbranch_scc1 .LBB58_292
.LBB58_293:
	s_waitcnt lgkmcnt(0)
	v_cmp_eq_f32_e32 vcc, 0, v32
	s_and_saveexec_b64 s[0:1], vcc
	s_xor_b64 s[0:1], exec, s[0:1]
; %bb.294:
	v_cmp_ne_u32_e32 vcc, 0, v246
	s_nop 1
	v_cndmask_b32_e32 v246, 18, v246, vcc
; %bb.295:
	s_andn2_saveexec_b64 s[0:1], s[0:1]
	s_cbranch_execz .LBB58_297
; %bb.296:
	v_div_scale_f32 v31, s[2:3], v32, v32, 1.0
	v_rcp_f32_e32 v62, v31
	v_div_scale_f32 v63, vcc, 1.0, v32, 1.0
	v_fma_f32 v64, -v31, v62, 1.0
	v_fmac_f32_e32 v62, v64, v62
	v_mul_f32_e32 v64, v63, v62
	v_fma_f32 v65, -v31, v64, v63
	v_fmac_f32_e32 v64, v65, v62
	v_fma_f32 v31, -v31, v64, v63
	v_div_fmas_f32 v31, v31, v62, v64
	v_div_fixup_f32 v32, v31, v32, 1.0
.LBB58_297:
	s_or_b64 exec, exec, s[0:1]
	scratch_load_dword v0, off, off offset:4 ; 4-byte Folded Reload
	s_waitcnt vmcnt(0)
	v_cmp_ne_u32_e32 vcc, v0, v30
	s_and_saveexec_b64 s[0:1], vcc
	s_xor_b64 s[0:1], exec, s[0:1]
	s_cbranch_execz .LBB58_303
; %bb.298:
	scratch_load_dword v0, off, off offset:4 ; 4-byte Folded Reload
	s_waitcnt vmcnt(0)
	v_cmp_eq_u32_e32 vcc, 17, v0
	s_and_saveexec_b64 s[2:3], vcc
	s_cbranch_execz .LBB58_302
; %bb.299:
	v_cmp_ne_u32_e32 vcc, 17, v30
	s_xor_b64 s[18:19], s[16:17], -1
	s_and_b64 s[20:21], s[18:19], vcc
	s_and_saveexec_b64 s[18:19], s[20:21]
	s_cbranch_execz .LBB58_301
; %bb.300:
	s_movk_i32 s20, 0x1498
	scratch_load_dwordx2 v[0:1], off, s20   ; 8-byte Folded Reload
	v_ashrrev_i32_e32 v31, 31, v30
	s_waitcnt vmcnt(0)
	v_lshl_add_u64 v[62:63], v[30:31], 2, v[0:1]
	global_load_dword v31, v[62:63], off
	global_load_dword v64, v[0:1], off offset:68
	s_waitcnt vmcnt(1)
	global_store_dword v[0:1], v31, off offset:68
	s_waitcnt vmcnt(1)
	global_store_dword v[62:63], v64, off
.LBB58_301:
	s_or_b64 exec, exec, s[18:19]
	v_mov_b32_e32 v0, v30
	scratch_store_dword off, v0, off offset:2704 ; 4-byte Folded Spill
	scratch_store_dword off, v0, off offset:4 ; 4-byte Folded Spill
.LBB58_302:
	s_or_b64 exec, exec, s[2:3]
.LBB58_303:
	s_andn2_saveexec_b64 s[0:1], s[0:1]
	s_cbranch_execz .LBB58_305
; %bb.304:
	v_mov_b32_e32 v0, 17
	ds_write2_b32 v254, v182, v183 offset0:18 offset1:19
	ds_write2_b32 v254, v184, v185 offset0:20 offset1:21
	;; [unrolled: 1-line block ×6, first 2 shown]
	scratch_store_dword off, v0, off offset:4 ; 4-byte Folded Spill
.LBB58_305:
	s_or_b64 exec, exec, s[0:1]
	s_waitcnt lgkmcnt(0)
	s_barrier
	scratch_load_dword v0, off, off offset:4 ; 4-byte Folded Reload
	s_waitcnt vmcnt(0)
	v_cmp_lt_i32_e32 vcc, 17, v0
	s_and_saveexec_b64 s[0:1], vcc
	s_cbranch_execz .LBB58_307
; %bb.306:
	ds_read2_b32 v[2:3], v254 offset0:18 offset1:19
	ds_read2_b32 v[6:7], v254 offset0:20 offset1:21
	;; [unrolled: 1-line block ×4, first 2 shown]
	scratch_load_dwordx4 v[112:115], off, off offset:1680 ; 16-byte Folded Reload
	scratch_load_dwordx4 v[116:119], off, off offset:1696 ; 16-byte Folded Reload
	;; [unrolled: 1-line block ×8, first 2 shown]
	v_mul_f32_e32 v0, v17, v32
	v_mov_b32_e32 v4, v182
	v_mov_b32_e32 v5, v183
	s_waitcnt lgkmcnt(3)
	v_pk_fma_f32 v[110:111], v[0:1], v[2:3], v[4:5] op_sel_hi:[0,1,1] neg_lo:[1,0,0] neg_hi:[1,0,0]
	v_mov_b32_e32 v29, v0
	v_mov_b32_e32 v30, v110
	;; [unrolled: 1-line block ×5, first 2 shown]
	s_waitcnt lgkmcnt(2)
	v_pk_fma_f32 v[54:55], v[0:1], v[6:7], v[2:3] op_sel_hi:[0,1,1] neg_lo:[1,0,0] neg_hi:[1,0,0]
	v_mov_b32_e32 v2, v186
	v_mov_b32_e32 v3, v187
	s_waitcnt lgkmcnt(1)
	v_pk_fma_f32 v[180:181], v[0:1], v[8:9], v[2:3] op_sel_hi:[0,1,1] neg_lo:[1,0,0] neg_hi:[1,0,0]
	v_mov_b32_e32 v79, v0
	v_mov_b32_e32 v80, v110
	;; [unrolled: 1-line block ×9, first 2 shown]
	s_waitcnt lgkmcnt(0)
	v_pk_fma_f32 v[206:207], v[0:1], v[10:11], v[2:3] op_sel_hi:[0,1,1] neg_lo:[1,0,0] neg_hi:[1,0,0]
	v_mov_b32_e32 v4, v190
	v_mov_b32_e32 v5, v191
	;; [unrolled: 1-line block ×4, first 2 shown]
	s_waitcnt vmcnt(3)
	v_mov_b32_e32 v129, v0
	v_mov_b32_e32 v109, v0
	;; [unrolled: 1-line block ×46, first 2 shown]
	scratch_store_dwordx4 off, v[12:15], off offset:1808 ; 16-byte Folded Spill
	s_nop 0
	scratch_store_dwordx4 off, v[16:19], off offset:1824 ; 16-byte Folded Spill
	scratch_store_dwordx4 off, v[20:23], off offset:1840 ; 16-byte Folded Spill
	;; [unrolled: 1-line block ×7, first 2 shown]
	v_mov_b32_e32 v34, v112
	v_mov_b32_e32 v35, v113
	;; [unrolled: 1-line block ×37, first 2 shown]
	s_waitcnt vmcnt(10)
	v_mov_b32_e32 v132, v114
	v_mov_b32_e32 v133, v115
	v_mov_b32_e32 v134, v116
	v_mov_b32_e32 v135, v117
	s_waitcnt vmcnt(9)
	v_mov_b32_e32 v136, v118
	v_mov_b32_e32 v137, v119
	v_mov_b32_e32 v138, v120
	v_mov_b32_e32 v139, v121
	;; [unrolled: 5-line block ×3, first 2 shown]
	v_mov_b32_e32 v56, v112
	v_mov_b32_e32 v57, v113
	v_mov_b32_e32 v58, v114
	v_mov_b32_e32 v59, v115
	v_mov_b32_e32 v60, v116
	v_mov_b32_e32 v61, v117
	v_mov_b32_e32 v94, v114
	v_mov_b32_e32 v95, v115
	v_mov_b32_e32 v96, v116
	scratch_store_dwordx4 off, v[12:15], off offset:1552 ; 16-byte Folded Spill
	s_nop 0
	scratch_store_dwordx4 off, v[16:19], off offset:1568 ; 16-byte Folded Spill
	scratch_store_dwordx4 off, v[20:23], off offset:1584 ; 16-byte Folded Spill
	;; [unrolled: 1-line block ×8, first 2 shown]
	s_nop 0
	scratch_store_dwordx4 off, v[66:69], off offset:1312 ; 16-byte Folded Spill
	scratch_store_dwordx4 off, v[70:73], off offset:1328 ; 16-byte Folded Spill
	;; [unrolled: 1-line block ×7, first 2 shown]
	v_mov_b32_e32 v12, v116
	v_mov_b32_e32 v13, v117
	;; [unrolled: 1-line block ×57, first 2 shown]
	scratch_store_dwordx4 off, v[8:11], off offset:1168 ; 16-byte Folded Spill
	s_nop 0
	scratch_store_dwordx4 off, v[12:15], off offset:1184 ; 16-byte Folded Spill
	scratch_store_dwordx4 off, v[16:19], off offset:1200 ; 16-byte Folded Spill
	;; [unrolled: 1-line block ×7, first 2 shown]
	ds_read2_b32 v[2:3], v254 offset0:26 offset1:27
	ds_read2_b32 v[8:9], v254 offset0:28 offset1:29
	v_mov_b32_e32 v47, v125
	v_mov_b32_e32 v48, v126
	;; [unrolled: 1-line block ×3, first 2 shown]
	s_waitcnt lgkmcnt(1)
	v_pk_fma_f32 v[156:157], v[0:1], v[2:3], v[4:5] op_sel_hi:[0,1,1] neg_lo:[1,0,0] neg_hi:[1,0,0]
	v_mov_b32_e32 v82, v156
	v_mov_b32_e32 v83, v157
	;; [unrolled: 1-line block ×40, first 2 shown]
	s_waitcnt lgkmcnt(0)
	v_pk_fma_f32 v[32:33], v[0:1], v[8:9], v[6:7] op_sel_hi:[0,1,1] neg_lo:[1,0,0] neg_hi:[1,0,0]
	scratch_store_dwordx4 off, v[56:59], off offset:784 ; 16-byte Folded Spill
	s_nop 0
	scratch_store_dwordx4 off, v[60:63], off offset:800 ; 16-byte Folded Spill
	scratch_store_dwordx4 off, v[64:67], off offset:816 ; 16-byte Folded Spill
	;; [unrolled: 1-line block ×7, first 2 shown]
	v_mov_b32_e32 v4, v112
	v_mov_b32_e32 v5, v113
	;; [unrolled: 1-line block ×17, first 2 shown]
	scratch_store_dwordx4 off, v[112:115], off offset:2192 ; 16-byte Folded Spill
	s_nop 0
	scratch_store_dwordx4 off, v[116:119], off offset:2208 ; 16-byte Folded Spill
	scratch_store_dwordx4 off, v[120:123], off offset:2224 ; 16-byte Folded Spill
	scratch_store_dwordx4 off, v[124:127], off offset:2240 ; 16-byte Folded Spill
	scratch_store_dwordx4 off, v[128:131], off offset:2256 ; 16-byte Folded Spill
	scratch_store_dwordx4 off, v[132:135], off offset:2272 ; 16-byte Folded Spill
	scratch_store_dwordx4 off, v[136:139], off offset:2288 ; 16-byte Folded Spill
	scratch_store_dwordx4 off, v[140:143], off offset:2304 ; 16-byte Folded Spill
	v_mov_b32_e32 v21, v0
	v_mov_b32_e32 v22, v110
	;; [unrolled: 1-line block ×12, first 2 shown]
	scratch_store_dwordx2 off, v[0:1], off offset:264 ; 8-byte Folded Spill
	v_mov_b64_e32 v[0:1], v[4:5]
	v_mov_b64_e32 v[2:3], v[6:7]
	v_mov_b64_e32 v[4:5], v[8:9]
	v_mov_b64_e32 v[6:7], v[10:11]
	v_mov_b64_e32 v[8:9], v[12:13]
	v_mov_b64_e32 v[10:11], v[14:15]
	v_mov_b64_e32 v[12:13], v[16:17]
	v_mov_b64_e32 v[14:15], v[18:19]
	v_mov_b64_e32 v[16:17], v[20:21]
	v_mov_b64_e32 v[18:19], v[22:23]
	v_mov_b64_e32 v[20:21], v[24:25]
	v_mov_b64_e32 v[22:23], v[26:27]
	v_mov_b64_e32 v[24:25], v[28:29]
	v_mov_b64_e32 v[26:27], v[30:31]
	v_mov_b64_e32 v[28:29], v[32:33]
	v_mov_b64_e32 v[30:31], v[34:35]
	v_mov_b32_e32 v30, v110
	scratch_store_dwordx4 off, v[12:15], off offset:136 ; 16-byte Folded Spill
	s_nop 0
	scratch_store_dwordx4 off, v[16:19], off offset:152 ; 16-byte Folded Spill
	scratch_store_dwordx4 off, v[20:23], off offset:168 ; 16-byte Folded Spill
	scratch_store_dwordx4 off, v[24:27], off offset:184 ; 16-byte Folded Spill
	scratch_store_dwordx4 off, v[28:31], off offset:200 ; 16-byte Folded Spill
	scratch_store_dwordx4 off, v[32:35], off offset:216 ; 16-byte Folded Spill
	scratch_store_dwordx4 off, v[36:39], off offset:232 ; 16-byte Folded Spill
	scratch_store_dwordx4 off, v[40:43], off offset:248 ; 16-byte Folded Spill
	scratch_store_dwordx4 off, v[92:95], off offset:400 ; 16-byte Folded Spill
	s_nop 0
	scratch_store_dwordx4 off, v[96:99], off offset:416 ; 16-byte Folded Spill
	scratch_store_dwordx4 off, v[100:103], off offset:432 ; 16-byte Folded Spill
	scratch_store_dwordx4 off, v[104:107], off offset:448 ; 16-byte Folded Spill
	scratch_store_dwordx4 off, v[108:111], off offset:464 ; 16-byte Folded Spill
	scratch_store_dwordx4 off, v[112:115], off offset:480 ; 16-byte Folded Spill
	scratch_store_dwordx4 off, v[116:119], off offset:496 ; 16-byte Folded Spill
	scratch_store_dwordx4 off, v[120:123], off offset:512 ; 16-byte Folded Spill
	;; [unrolled: 9-line block ×6, first 2 shown]
	v_mov_b32_e32 v217, v181
	v_mov_b64_e32 v[178:179], v[14:15]
	v_mov_b64_e32 v[190:191], v[26:27]
	v_mov_b32_e32 v229, v55
	v_mov_b64_e32 v[176:177], v[12:13]
	v_mov_b64_e32 v[174:175], v[10:11]
	;; [unrolled: 1-line block ×13, first 2 shown]
	v_mov_b32_e32 v162, v156
                                        ; kill: def $vgpr130_vgpr131_vgpr132_vgpr133_vgpr134_vgpr135_vgpr136_vgpr137_vgpr138_vgpr139_vgpr140_vgpr141_vgpr142_vgpr143_vgpr144_vgpr145 killed $vgpr130_vgpr131_vgpr132_vgpr133_vgpr134_vgpr135_vgpr136_vgpr137_vgpr138_vgpr139_vgpr140_vgpr141_vgpr142_vgpr143_vgpr144_vgpr145 def $vgpr158_vgpr159_vgpr160_vgpr161
	v_mov_b32_e32 v219, v207
.LBB58_307:
	s_or_b64 exec, exec, s[0:1]
	s_waitcnt vmcnt(63) expcnt(7) lgkmcnt(15)
	s_barrier
	scratch_load_dword v0, off, off offset:4 ; 4-byte Folded Reload
	scratch_load_dwordx4 v[34:37], off, off offset:136 ; 16-byte Folded Reload
	scratch_load_dwordx4 v[38:41], off, off offset:152 ; 16-byte Folded Reload
	;; [unrolled: 1-line block ×8, first 2 shown]
	s_cmp_lt_i32 s22, 20
	s_waitcnt vmcnt(8)
	v_lshl_add_u32 v30, v0, 2, v254
	s_waitcnt vmcnt(3)
	ds_write_b32 v30, v52
	s_waitcnt lgkmcnt(0)
	s_barrier
	ds_read_b32 v32, v254 offset:72
	v_mov_b32_e32 v30, 18
	s_cbranch_scc1 .LBB58_310
; %bb.308:
	v_add_u32_e32 v31, 0x4c, v254
	v_mov_b32_e32 v30, 18
	s_mov_b32 s0, 19
.LBB58_309:                             ; =>This Inner Loop Header: Depth=1
	s_waitcnt vmcnt(0)
	ds_read_b32 v62, v31
	v_add_u32_e32 v31, 4, v31
	s_waitcnt lgkmcnt(0)
	v_cmp_lt_f32_e64 vcc, |v32|, |v62|
	s_nop 1
	v_cndmask_b32_e32 v32, v32, v62, vcc
	v_mov_b32_e32 v62, s0
	s_add_i32 s0, s0, 1
	v_cndmask_b32_e32 v30, v30, v62, vcc
	s_cmp_lg_u32 s22, s0
	s_cbranch_scc1 .LBB58_309
.LBB58_310:
	scratch_load_dwordx4 v[34:37], off, off offset:528 ; 16-byte Folded Reload
	scratch_load_dwordx4 v[38:41], off, off offset:544 ; 16-byte Folded Reload
	;; [unrolled: 1-line block ×8, first 2 shown]
	s_waitcnt lgkmcnt(0)
	v_cmp_eq_f32_e32 vcc, 0, v32
	s_waitcnt vmcnt(3)
	v_mov_b32_e32 v35, v53
	s_and_saveexec_b64 s[0:1], vcc
	s_xor_b64 s[0:1], exec, s[0:1]
; %bb.311:
	v_cmp_ne_u32_e32 vcc, 0, v246
	s_nop 1
	v_cndmask_b32_e32 v246, 19, v246, vcc
; %bb.312:
	s_andn2_saveexec_b64 s[0:1], s[0:1]
	s_cbranch_execz .LBB58_314
; %bb.313:
	v_div_scale_f32 v31, s[2:3], v32, v32, 1.0
	s_waitcnt vmcnt(0)
	v_rcp_f32_e32 v62, v31
	v_div_scale_f32 v63, vcc, 1.0, v32, 1.0
	v_fma_f32 v64, -v31, v62, 1.0
	v_fmac_f32_e32 v62, v64, v62
	v_mul_f32_e32 v64, v63, v62
	v_fma_f32 v65, -v31, v64, v63
	v_fmac_f32_e32 v64, v65, v62
	v_fma_f32 v31, -v31, v64, v63
	v_div_fmas_f32 v31, v31, v62, v64
	scratch_load_dwordx4 v[34:37], off, off offset:528 ; 16-byte Folded Reload
	scratch_load_dwordx4 v[38:41], off, off offset:544 ; 16-byte Folded Reload
	;; [unrolled: 1-line block ×8, first 2 shown]
	v_div_fixup_f32 v32, v31, v32, 1.0
	s_waitcnt vmcnt(3)
	v_mov_b32_e32 v35, v53
.LBB58_314:
	s_or_b64 exec, exec, s[0:1]
	scratch_load_dword v0, off, off offset:4 ; 4-byte Folded Reload
	s_waitcnt vmcnt(0)
	v_cmp_ne_u32_e32 vcc, v0, v30
	s_and_saveexec_b64 s[0:1], vcc
	s_xor_b64 s[0:1], exec, s[0:1]
	s_cbranch_execz .LBB58_320
; %bb.315:
	scratch_load_dword v0, off, off offset:4 ; 4-byte Folded Reload
	s_waitcnt vmcnt(0)
	v_cmp_eq_u32_e32 vcc, 18, v0
	s_and_saveexec_b64 s[2:3], vcc
	s_cbranch_execz .LBB58_319
; %bb.316:
	v_cmp_ne_u32_e32 vcc, 18, v30
	s_xor_b64 s[18:19], s[16:17], -1
	s_and_b64 s[20:21], s[18:19], vcc
	s_and_saveexec_b64 s[18:19], s[20:21]
	s_cbranch_execz .LBB58_318
; %bb.317:
	s_movk_i32 s20, 0x1498
	scratch_load_dwordx2 v[0:1], off, s20   ; 8-byte Folded Reload
	v_ashrrev_i32_e32 v31, 31, v30
	s_waitcnt vmcnt(0)
	v_lshl_add_u64 v[62:63], v[30:31], 2, v[0:1]
	global_load_dword v31, v[62:63], off
	global_load_dword v64, v[0:1], off offset:72
	s_waitcnt vmcnt(1)
	global_store_dword v[0:1], v31, off offset:72
	s_waitcnt vmcnt(1)
	global_store_dword v[62:63], v64, off
	scratch_load_dwordx4 v[34:37], off, off offset:528 ; 16-byte Folded Reload
	s_nop 0
	scratch_load_dwordx4 v[38:41], off, off offset:544 ; 16-byte Folded Reload
	scratch_load_dwordx4 v[42:45], off, off offset:560 ; 16-byte Folded Reload
	;; [unrolled: 1-line block ×7, first 2 shown]
	s_waitcnt vmcnt(3)
	v_mov_b32_e32 v35, v53
.LBB58_318:
	s_or_b64 exec, exec, s[18:19]
	v_mov_b32_e32 v0, v30
	scratch_store_dword off, v0, off offset:2704 ; 4-byte Folded Spill
	scratch_store_dword off, v0, off offset:4 ; 4-byte Folded Spill
.LBB58_319:
	s_or_b64 exec, exec, s[2:3]
.LBB58_320:
	s_andn2_saveexec_b64 s[0:1], s[0:1]
	s_cbranch_execz .LBB58_322
; %bb.321:
	v_mov_b32_e32 v0, 18
	ds_write2_b32 v254, v183, v184 offset0:19 offset1:20
	ds_write2_b32 v254, v185, v186 offset0:21 offset1:22
	;; [unrolled: 1-line block ×5, first 2 shown]
	ds_write_b32 v254, v33 offset:116
	scratch_store_dword off, v0, off offset:4 ; 4-byte Folded Spill
.LBB58_322:
	s_or_b64 exec, exec, s[0:1]
	s_waitcnt lgkmcnt(0)
	s_barrier
	scratch_load_dword v0, off, off offset:4 ; 4-byte Folded Reload
	s_waitcnt vmcnt(0)
	v_cmp_lt_i32_e32 vcc, 18, v0
	s_and_saveexec_b64 s[0:1], vcc
	s_cbranch_execz .LBB58_324
; %bb.323:
	scratch_load_dwordx4 v[62:65], off, off offset:2192 ; 16-byte Folded Reload
	scratch_load_dwordx4 v[66:69], off, off offset:2208 ; 16-byte Folded Reload
	;; [unrolled: 1-line block ×16, first 2 shown]
	s_waitcnt vmcnt(7)
	ds_read2_b32 v[0:1], v254 offset0:19 offset1:20
	s_waitcnt vmcnt(6)
	ds_read2_b32 v[4:5], v254 offset0:21 offset1:22
	ds_read2_b32 v[6:7], v254 offset0:23 offset1:24
	s_waitcnt vmcnt(5)
	ds_read2_b32 v[8:9], v254 offset0:25 offset1:26
	v_mov_b32_e32 v3, v184
	v_mov_b32_e32 v2, v183
	v_mov_b64_e32 v[34:35], v[62:63]
	v_mov_b64_e32 v[36:37], v[64:65]
	s_waitcnt vmcnt(3)
	v_mul_f32_e32 v52, v18, v32
	s_waitcnt lgkmcnt(3)
	v_pk_fma_f32 v[0:1], v[52:53], v[0:1], v[2:3] op_sel_hi:[0,1,1] neg_lo:[1,0,0] neg_hi:[1,0,0]
	v_mov_b32_e32 v3, v186
	v_mov_b32_e32 v2, v185
	s_waitcnt lgkmcnt(2)
	v_pk_fma_f32 v[2:3], v[52:53], v[4:5], v[2:3] op_sel_hi:[0,1,1] neg_lo:[1,0,0] neg_hi:[1,0,0]
	v_mov_b32_e32 v5, v188
	v_mov_b32_e32 v4, v187
	v_mov_b64_e32 v[38:39], v[66:67]
	v_mov_b64_e32 v[40:41], v[68:69]
	;; [unrolled: 1-line block ×6, first 2 shown]
	s_waitcnt lgkmcnt(1)
	v_pk_fma_f32 v[62:63], v[52:53], v[6:7], v[4:5] op_sel_hi:[0,1,1] neg_lo:[1,0,0] neg_hi:[1,0,0]
	ds_read2_b32 v[6:7], v254 offset0:27 offset1:28
	ds_read_b32 v10, v254 offset:116
	v_mov_b32_e32 v5, v190
	v_mov_b32_e32 v4, v189
	v_mov_b64_e32 v[50:51], v[78:79]
	s_waitcnt lgkmcnt(2)
	v_pk_fma_f32 v[64:65], v[52:53], v[8:9], v[4:5] op_sel_hi:[0,1,1] neg_lo:[1,0,0] neg_hi:[1,0,0]
	v_mov_b32_e32 v5, v192
	v_mov_b32_e32 v4, v191
	s_waitcnt lgkmcnt(1)
	v_pk_fma_f32 v[54:55], v[52:53], v[6:7], v[4:5] op_sel_hi:[0,1,1] neg_lo:[1,0,0] neg_hi:[1,0,0]
	s_waitcnt lgkmcnt(0)
	v_fma_f32 v33, -v52, v10, v33
	v_mov_b32_e32 v4, v34
	v_mov_b32_e32 v5, v35
	;; [unrolled: 1-line block ×16, first 2 shown]
	s_waitcnt vmcnt(2)
	v_mov_b32_e32 v20, v50
	v_mov_b32_e32 v21, v51
	;; [unrolled: 1-line block ×4, first 2 shown]
	s_waitcnt vmcnt(1)
	v_mov_b32_e32 v24, v1
	scratch_store_dwordx4 off, v[4:7], off offset:272 ; 16-byte Folded Spill
	s_nop 0
	scratch_store_dwordx4 off, v[8:11], off offset:288 ; 16-byte Folded Spill
	scratch_store_dwordx4 off, v[12:15], off offset:304 ; 16-byte Folded Spill
	;; [unrolled: 1-line block ×5, first 2 shown]
	s_waitcnt vmcnt(6)
	scratch_store_dwordx4 off, v[28:31], off offset:368 ; 16-byte Folded Spill
	scratch_store_dwordx4 off, v[32:35], off offset:384 ; 16-byte Folded Spill
	v_mov_b32_e32 v25, v2
	v_mov_b32_e32 v53, v0
	;; [unrolled: 1-line block ×30, first 2 shown]
	scratch_store_dwordx4 off, v[4:7], off offset:1552 ; 16-byte Folded Spill
	s_nop 0
	scratch_store_dwordx4 off, v[8:11], off offset:1568 ; 16-byte Folded Spill
	scratch_store_dwordx4 off, v[12:15], off offset:1584 ; 16-byte Folded Spill
	;; [unrolled: 1-line block ×7, first 2 shown]
	v_mov_b32_e32 v26, v3
	scratch_store_dwordx4 off, v[4:7], off offset:912 ; 16-byte Folded Spill
	s_nop 0
	scratch_store_dwordx4 off, v[8:11], off offset:928 ; 16-byte Folded Spill
	scratch_store_dwordx4 off, v[12:15], off offset:944 ; 16-byte Folded Spill
	;; [unrolled: 1-line block ×7, first 2 shown]
	v_mov_b32_e32 v27, v62
	scratch_store_dwordx4 off, v[4:7], off offset:1296 ; 16-byte Folded Spill
	s_nop 0
	scratch_store_dwordx4 off, v[8:11], off offset:1312 ; 16-byte Folded Spill
	scratch_store_dwordx4 off, v[12:15], off offset:1328 ; 16-byte Folded Spill
	scratch_store_dwordx4 off, v[16:19], off offset:1344 ; 16-byte Folded Spill
	scratch_store_dwordx4 off, v[20:23], off offset:1360 ; 16-byte Folded Spill
	scratch_store_dwordx4 off, v[24:27], off offset:1376 ; 16-byte Folded Spill
	scratch_store_dwordx4 off, v[28:31], off offset:1392 ; 16-byte Folded Spill
	scratch_store_dwordx4 off, v[32:35], off offset:1408 ; 16-byte Folded Spill
	s_nop 0
	v_mov_b32_e32 v28, v63
	scratch_store_dwordx4 off, v[4:7], off offset:1040 ; 16-byte Folded Spill
	s_nop 0
	scratch_store_dwordx4 off, v[8:11], off offset:1056 ; 16-byte Folded Spill
	scratch_store_dwordx4 off, v[12:15], off offset:1072 ; 16-byte Folded Spill
	scratch_store_dwordx4 off, v[16:19], off offset:1088 ; 16-byte Folded Spill
	scratch_store_dwordx4 off, v[20:23], off offset:1104 ; 16-byte Folded Spill
	scratch_store_dwordx4 off, v[24:27], off offset:1120 ; 16-byte Folded Spill
	scratch_store_dwordx4 off, v[28:31], off offset:1136 ; 16-byte Folded Spill
	scratch_store_dwordx4 off, v[32:35], off offset:1152 ; 16-byte Folded Spill
	s_nop 0
	;; [unrolled: 11-line block ×3, first 2 shown]
	v_mov_b32_e32 v30, v65
	v_mov_b32_e32 v31, v54
	;; [unrolled: 1-line block ×4, first 2 shown]
	scratch_store_dwordx4 off, v[4:7], off offset:784 ; 16-byte Folded Spill
	s_nop 0
	scratch_store_dwordx4 off, v[8:11], off offset:800 ; 16-byte Folded Spill
	scratch_store_dwordx4 off, v[12:15], off offset:816 ; 16-byte Folded Spill
	;; [unrolled: 1-line block ×7, first 2 shown]
	s_nop 1
	v_mov_b32_e32 v32, v55
	scratch_store_dwordx4 off, v[34:37], off offset:1808 ; 16-byte Folded Spill
	s_nop 0
	scratch_store_dwordx4 off, v[38:41], off offset:1824 ; 16-byte Folded Spill
	scratch_store_dwordx4 off, v[42:45], off offset:1840 ; 16-byte Folded Spill
	;; [unrolled: 1-line block ×8, first 2 shown]
	s_nop 0
	scratch_store_dwordx4 off, v[38:41], off offset:416 ; 16-byte Folded Spill
	scratch_store_dwordx4 off, v[42:45], off offset:432 ; 16-byte Folded Spill
	;; [unrolled: 1-line block ×7, first 2 shown]
	v_mov_b32_e32 v35, v0
	v_mov_b64_e32 v[194:195], v[34:35]
	v_mov_b32_e32 v217, v62
	v_mov_b32_e32 v214, v63
	;; [unrolled: 1-line block ×4, first 2 shown]
	v_mov_b64_e32 v[192:193], v[32:33]
	v_mov_b64_e32 v[190:191], v[30:31]
	v_mov_b64_e32 v[188:189], v[28:29]
	v_mov_b64_e32 v[186:187], v[26:27]
	v_mov_b64_e32 v[184:185], v[24:25]
	v_mov_b64_e32 v[182:183], v[22:23]
	v_mov_b64_e32 v[180:181], v[20:21]
	v_mov_b64_e32 v[178:179], v[18:19]
	v_mov_b64_e32 v[176:177], v[16:17]
	v_mov_b64_e32 v[174:175], v[14:15]
	v_mov_b64_e32 v[172:173], v[12:13]
	v_mov_b64_e32 v[170:171], v[10:11]
	v_mov_b64_e32 v[168:169], v[8:9]
	v_mov_b64_e32 v[166:167], v[6:7]
	v_mov_b64_e32 v[164:165], v[4:5]
	v_mov_b32_e32 v157, v54
	scratch_store_dwordx2 off, v[54:55], off offset:264 ; 8-byte Folded Spill
.LBB58_324:
	s_or_b64 exec, exec, s[0:1]
	s_waitcnt vmcnt(63) expcnt(7) lgkmcnt(15)
	s_barrier
	scratch_load_dword v0, off, off offset:4 ; 4-byte Folded Reload
	s_cmp_lt_i32 s22, 21
	s_waitcnt vmcnt(0)
	v_lshl_add_u32 v30, v0, 2, v254
	ds_write_b32 v30, v35
	s_waitcnt lgkmcnt(0)
	s_barrier
	ds_read_b32 v32, v254 offset:76
	v_mov_b32_e32 v30, 19
	s_cbranch_scc1 .LBB58_327
; %bb.325:
	v_add_u32_e32 v31, 0x50, v254
	v_mov_b32_e32 v30, 19
	s_mov_b32 s0, 20
.LBB58_326:                             ; =>This Inner Loop Header: Depth=1
	ds_read_b32 v62, v31
	v_add_u32_e32 v31, 4, v31
	s_waitcnt lgkmcnt(0)
	v_cmp_lt_f32_e64 vcc, |v32|, |v62|
	s_nop 1
	v_cndmask_b32_e32 v32, v32, v62, vcc
	v_mov_b32_e32 v62, s0
	s_add_i32 s0, s0, 1
	v_cndmask_b32_e32 v30, v30, v62, vcc
	s_cmp_lg_u32 s22, s0
	s_cbranch_scc1 .LBB58_326
.LBB58_327:
	s_waitcnt lgkmcnt(0)
	v_cmp_eq_f32_e32 vcc, 0, v32
	s_and_saveexec_b64 s[0:1], vcc
	s_xor_b64 s[0:1], exec, s[0:1]
; %bb.328:
	v_cmp_ne_u32_e32 vcc, 0, v246
	s_nop 1
	v_cndmask_b32_e32 v246, 20, v246, vcc
; %bb.329:
	s_andn2_saveexec_b64 s[0:1], s[0:1]
	s_cbranch_execz .LBB58_331
; %bb.330:
	v_div_scale_f32 v31, s[2:3], v32, v32, 1.0
	v_rcp_f32_e32 v62, v31
	v_div_scale_f32 v63, vcc, 1.0, v32, 1.0
	v_fma_f32 v64, -v31, v62, 1.0
	v_fmac_f32_e32 v62, v64, v62
	v_mul_f32_e32 v64, v63, v62
	v_fma_f32 v65, -v31, v64, v63
	v_fmac_f32_e32 v64, v65, v62
	v_fma_f32 v31, -v31, v64, v63
	v_div_fmas_f32 v31, v31, v62, v64
	v_div_fixup_f32 v32, v31, v32, 1.0
.LBB58_331:
	s_or_b64 exec, exec, s[0:1]
	scratch_load_dword v0, off, off offset:4 ; 4-byte Folded Reload
	s_waitcnt vmcnt(0)
	v_cmp_ne_u32_e32 vcc, v0, v30
	s_and_saveexec_b64 s[0:1], vcc
	s_xor_b64 s[0:1], exec, s[0:1]
	s_cbranch_execz .LBB58_337
; %bb.332:
	scratch_load_dword v0, off, off offset:4 ; 4-byte Folded Reload
	s_waitcnt vmcnt(0)
	v_cmp_eq_u32_e32 vcc, 19, v0
	s_and_saveexec_b64 s[2:3], vcc
	s_cbranch_execz .LBB58_336
; %bb.333:
	v_cmp_ne_u32_e32 vcc, 19, v30
	s_xor_b64 s[18:19], s[16:17], -1
	s_and_b64 s[20:21], s[18:19], vcc
	s_and_saveexec_b64 s[18:19], s[20:21]
	s_cbranch_execz .LBB58_335
; %bb.334:
	s_movk_i32 s20, 0x1498
	scratch_load_dwordx2 v[0:1], off, s20   ; 8-byte Folded Reload
	v_ashrrev_i32_e32 v31, 31, v30
	s_waitcnt vmcnt(0)
	v_lshl_add_u64 v[62:63], v[30:31], 2, v[0:1]
	global_load_dword v31, v[62:63], off
	global_load_dword v64, v[0:1], off offset:76
	s_waitcnt vmcnt(1)
	global_store_dword v[0:1], v31, off offset:76
	s_waitcnt vmcnt(1)
	global_store_dword v[62:63], v64, off
.LBB58_335:
	s_or_b64 exec, exec, s[18:19]
	v_mov_b32_e32 v0, v30
	scratch_store_dword off, v0, off offset:2704 ; 4-byte Folded Spill
	scratch_store_dword off, v0, off offset:4 ; 4-byte Folded Spill
.LBB58_336:
	s_or_b64 exec, exec, s[2:3]
.LBB58_337:
	s_andn2_saveexec_b64 s[0:1], s[0:1]
	s_cbranch_execz .LBB58_339
; %bb.338:
	v_mov_b32_e32 v0, 19
	ds_write2_b32 v254, v184, v185 offset0:20 offset1:21
	ds_write2_b32 v254, v186, v187 offset0:22 offset1:23
	;; [unrolled: 1-line block ×5, first 2 shown]
	scratch_store_dword off, v0, off offset:4 ; 4-byte Folded Spill
.LBB58_339:
	s_or_b64 exec, exec, s[0:1]
	s_waitcnt lgkmcnt(0)
	s_barrier
	scratch_load_dword v0, off, off offset:4 ; 4-byte Folded Reload
	s_waitcnt vmcnt(0)
	v_cmp_lt_i32_e32 vcc, 19, v0
	s_and_saveexec_b64 s[0:1], vcc
	s_cbranch_execz .LBB58_341
; %bb.340:
	ds_read2_b32 v[2:3], v254 offset0:20 offset1:21
	ds_read2_b32 v[6:7], v254 offset0:22 offset1:23
	;; [unrolled: 1-line block ×4, first 2 shown]
	scratch_load_dwordx4 v[98:101], off, off offset:400 ; 16-byte Folded Reload
	scratch_load_dwordx4 v[102:105], off, off offset:416 ; 16-byte Folded Reload
	;; [unrolled: 1-line block ×8, first 2 shown]
	v_mul_f32_e32 v0, v35, v32
	v_mov_b32_e32 v4, v184
	v_mov_b32_e32 v5, v185
	s_waitcnt lgkmcnt(3)
	v_pk_fma_f32 v[54:55], v[0:1], v[2:3], v[4:5] op_sel_hi:[0,1,1] neg_lo:[1,0,0] neg_hi:[1,0,0]
	v_mov_b32_e32 v2, v186
	v_mov_b32_e32 v3, v187
	s_waitcnt lgkmcnt(2)
	v_pk_fma_f32 v[216:217], v[0:1], v[6:7], v[2:3] op_sel_hi:[0,1,1] neg_lo:[1,0,0] neg_hi:[1,0,0]
	v_mov_b32_e32 v31, v0
	v_mov_b32_e32 v32, v54
	;; [unrolled: 1-line block ×10, first 2 shown]
	s_waitcnt lgkmcnt(1)
	v_pk_fma_f32 v[186:187], v[0:1], v[8:9], v[2:3] op_sel_hi:[0,1,1] neg_lo:[1,0,0] neg_hi:[1,0,0]
	v_mov_b32_e32 v2, v190
	v_mov_b32_e32 v3, v191
	s_waitcnt lgkmcnt(0)
	v_pk_fma_f32 v[156:157], v[0:1], v[10:11], v[2:3] op_sel_hi:[0,1,1] neg_lo:[1,0,0] neg_hi:[1,0,0]
	v_mov_b32_e32 v4, v192
	v_mov_b32_e32 v5, v193
	s_waitcnt vmcnt(3)
	v_mov_b32_e32 v117, v0
	v_mov_b32_e32 v53, v0
	;; [unrolled: 1-line block ×67, first 2 shown]
	scratch_store_dwordx4 off, v[12:15], off offset:1552 ; 16-byte Folded Spill
	s_nop 0
	scratch_store_dwordx4 off, v[16:19], off offset:1568 ; 16-byte Folded Spill
	scratch_store_dwordx4 off, v[20:23], off offset:1584 ; 16-byte Folded Spill
	;; [unrolled: 1-line block ×8, first 2 shown]
	s_nop 0
	scratch_store_dwordx4 off, v[66:69], off offset:1312 ; 16-byte Folded Spill
	scratch_store_dwordx4 off, v[70:73], off offset:1328 ; 16-byte Folded Spill
	;; [unrolled: 1-line block ×7, first 2 shown]
	v_mov_b32_e32 v58, v98
	v_mov_b32_e32 v59, v99
	;; [unrolled: 1-line block ×26, first 2 shown]
	scratch_store_dwordx4 off, v[58:61], off offset:1168 ; 16-byte Folded Spill
	s_nop 0
	scratch_store_dwordx4 off, v[62:65], off offset:1184 ; 16-byte Folded Spill
	scratch_store_dwordx4 off, v[66:69], off offset:1200 ; 16-byte Folded Spill
	;; [unrolled: 1-line block ×7, first 2 shown]
	s_nop 0
	v_mov_b32_e32 v84, v156
	v_mov_b32_e32 v85, v157
	ds_read2_b32 v[2:3], v254 offset0:28 offset1:29
	v_mov_b32_e32 v23, v0
	v_mov_b32_e32 v6, v100
	;; [unrolled: 1-line block ×4, first 2 shown]
	s_waitcnt lgkmcnt(0)
	v_pk_fma_f32 v[32:33], v[0:1], v[2:3], v[4:5] op_sel_hi:[0,1,1] neg_lo:[1,0,0] neg_hi:[1,0,0]
	v_mov_b32_e32 v4, v98
	v_mov_b32_e32 v5, v99
	;; [unrolled: 1-line block ×18, first 2 shown]
	scratch_store_dwordx4 off, v[58:61], off offset:784 ; 16-byte Folded Spill
	s_nop 0
	scratch_store_dwordx4 off, v[62:65], off offset:800 ; 16-byte Folded Spill
	scratch_store_dwordx4 off, v[66:69], off offset:816 ; 16-byte Folded Spill
	;; [unrolled: 1-line block ×7, first 2 shown]
	v_mov_b32_e32 v26, v216
	v_mov_b32_e32 v27, v217
	;; [unrolled: 1-line block ×73, first 2 shown]
	scratch_store_dwordx4 off, v[98:101], off offset:1808 ; 16-byte Folded Spill
	s_nop 0
	scratch_store_dwordx4 off, v[102:105], off offset:1824 ; 16-byte Folded Spill
	scratch_store_dwordx4 off, v[106:109], off offset:1840 ; 16-byte Folded Spill
	;; [unrolled: 1-line block ×4, first 2 shown]
	s_waitcnt vmcnt(39)
	scratch_store_dwordx4 off, v[118:121], off offset:1888 ; 16-byte Folded Spill
	s_waitcnt vmcnt(39)
	scratch_store_dwordx4 off, v[122:125], off offset:1904 ; 16-byte Folded Spill
	;; [unrolled: 2-line block ×3, first 2 shown]
	scratch_store_dwordx2 off, v[0:1], off offset:264 ; 8-byte Folded Spill
	v_mov_b64_e32 v[0:1], v[4:5]
	v_mov_b64_e32 v[2:3], v[6:7]
	v_mov_b64_e32 v[4:5], v[8:9]
	v_mov_b64_e32 v[6:7], v[10:11]
	v_mov_b64_e32 v[8:9], v[12:13]
	v_mov_b64_e32 v[10:11], v[14:15]
	v_mov_b64_e32 v[12:13], v[16:17]
	v_mov_b64_e32 v[14:15], v[18:19]
	v_mov_b64_e32 v[16:17], v[20:21]
	v_mov_b64_e32 v[18:19], v[22:23]
	v_mov_b64_e32 v[20:21], v[24:25]
	v_mov_b64_e32 v[22:23], v[26:27]
	v_mov_b64_e32 v[24:25], v[28:29]
	v_mov_b64_e32 v[26:27], v[30:31]
	v_mov_b64_e32 v[28:29], v[32:33]
	v_mov_b64_e32 v[30:31], v[34:35]
	scratch_store_dwordx4 off, v[34:37], off offset:272 ; 16-byte Folded Spill
	s_nop 0
	scratch_store_dwordx4 off, v[38:41], off offset:288 ; 16-byte Folded Spill
	scratch_store_dwordx4 off, v[42:45], off offset:304 ; 16-byte Folded Spill
	scratch_store_dwordx4 off, v[46:49], off offset:320 ; 16-byte Folded Spill
	scratch_store_dwordx4 off, v[50:53], off offset:336 ; 16-byte Folded Spill
	scratch_store_dwordx4 off, v[54:57], off offset:352 ; 16-byte Folded Spill
	scratch_store_dwordx4 off, v[58:61], off offset:368 ; 16-byte Folded Spill
	scratch_store_dwordx4 off, v[62:65], off offset:384 ; 16-byte Folded Spill
	scratch_store_dwordx4 off, v[194:197], off offset:912 ; 16-byte Folded Spill
	s_nop 0
	scratch_store_dwordx4 off, v[198:201], off offset:928 ; 16-byte Folded Spill
	scratch_store_dwordx4 off, v[202:205], off offset:944 ; 16-byte Folded Spill
	;; [unrolled: 1-line block ×7, first 2 shown]
	v_mov_b32_e32 v214, v186
	scratch_store_dwordx4 off, v[162:165], off offset:1040 ; 16-byte Folded Spill
	s_nop 0
	scratch_store_dwordx4 off, v[166:169], off offset:1056 ; 16-byte Folded Spill
	scratch_store_dwordx4 off, v[170:173], off offset:1072 ; 16-byte Folded Spill
	;; [unrolled: 1-line block ×7, first 2 shown]
	v_mov_b64_e32 v[178:179], v[14:15]
	v_mov_b64_e32 v[176:177], v[12:13]
	;; [unrolled: 1-line block ×9, first 2 shown]
	v_mov_b32_e32 v162, v156
                                        ; kill: def $vgpr130_vgpr131_vgpr132_vgpr133_vgpr134_vgpr135_vgpr136_vgpr137_vgpr138_vgpr139_vgpr140_vgpr141_vgpr142_vgpr143_vgpr144_vgpr145 killed $vgpr130_vgpr131_vgpr132_vgpr133_vgpr134_vgpr135_vgpr136_vgpr137_vgpr138_vgpr139_vgpr140_vgpr141_vgpr142_vgpr143_vgpr144_vgpr145 def $vgpr158_vgpr159_vgpr160_vgpr161
	v_mov_b32_e32 v229, v55
	v_mov_b32_e32 v219, v187
	v_mov_b64_e32 v[190:191], v[26:27]
	v_mov_b64_e32 v[188:189], v[24:25]
	;; [unrolled: 1-line block ×6, first 2 shown]
.LBB58_341:
	s_or_b64 exec, exec, s[0:1]
	s_waitcnt vmcnt(63) expcnt(7) lgkmcnt(15)
	s_barrier
	scratch_load_dword v0, off, off offset:4 ; 4-byte Folded Reload
	s_cmp_lt_i32 s22, 22
	s_waitcnt vmcnt(0)
	v_lshl_add_u32 v30, v0, 2, v254
	ds_write_b32 v30, v244
	s_waitcnt lgkmcnt(0)
	s_barrier
	ds_read_b32 v32, v254 offset:80
	v_mov_b32_e32 v30, 20
	s_cbranch_scc1 .LBB58_344
; %bb.342:
	v_add_u32_e32 v31, 0x54, v254
	v_mov_b32_e32 v30, 20
	s_mov_b32 s0, 21
.LBB58_343:                             ; =>This Inner Loop Header: Depth=1
	ds_read_b32 v62, v31
	v_add_u32_e32 v31, 4, v31
	s_waitcnt lgkmcnt(0)
	v_cmp_lt_f32_e64 vcc, |v32|, |v62|
	s_nop 1
	v_cndmask_b32_e32 v32, v32, v62, vcc
	v_mov_b32_e32 v62, s0
	s_add_i32 s0, s0, 1
	v_cndmask_b32_e32 v30, v30, v62, vcc
	s_cmp_lg_u32 s22, s0
	s_cbranch_scc1 .LBB58_343
.LBB58_344:
	s_waitcnt lgkmcnt(0)
	v_cmp_eq_f32_e32 vcc, 0, v32
	s_and_saveexec_b64 s[0:1], vcc
	s_xor_b64 s[0:1], exec, s[0:1]
; %bb.345:
	v_cmp_ne_u32_e32 vcc, 0, v246
	s_nop 1
	v_cndmask_b32_e32 v246, 21, v246, vcc
; %bb.346:
	s_andn2_saveexec_b64 s[0:1], s[0:1]
	s_cbranch_execz .LBB58_348
; %bb.347:
	v_div_scale_f32 v31, s[2:3], v32, v32, 1.0
	v_rcp_f32_e32 v62, v31
	v_div_scale_f32 v63, vcc, 1.0, v32, 1.0
	v_fma_f32 v64, -v31, v62, 1.0
	v_fmac_f32_e32 v62, v64, v62
	v_mul_f32_e32 v64, v63, v62
	v_fma_f32 v65, -v31, v64, v63
	v_fmac_f32_e32 v64, v65, v62
	v_fma_f32 v31, -v31, v64, v63
	v_div_fmas_f32 v31, v31, v62, v64
	v_div_fixup_f32 v32, v31, v32, 1.0
.LBB58_348:
	s_or_b64 exec, exec, s[0:1]
	scratch_load_dword v0, off, off offset:4 ; 4-byte Folded Reload
	s_waitcnt vmcnt(0)
	v_cmp_ne_u32_e32 vcc, v0, v30
	s_and_saveexec_b64 s[0:1], vcc
	s_xor_b64 s[0:1], exec, s[0:1]
	s_cbranch_execz .LBB58_354
; %bb.349:
	scratch_load_dword v0, off, off offset:4 ; 4-byte Folded Reload
	s_waitcnt vmcnt(0)
	v_cmp_eq_u32_e32 vcc, 20, v0
	s_and_saveexec_b64 s[2:3], vcc
	s_cbranch_execz .LBB58_353
; %bb.350:
	v_cmp_ne_u32_e32 vcc, 20, v30
	s_xor_b64 s[18:19], s[16:17], -1
	s_and_b64 s[20:21], s[18:19], vcc
	s_and_saveexec_b64 s[18:19], s[20:21]
	s_cbranch_execz .LBB58_352
; %bb.351:
	s_movk_i32 s20, 0x1498
	scratch_load_dwordx2 v[0:1], off, s20   ; 8-byte Folded Reload
	v_ashrrev_i32_e32 v31, 31, v30
	s_waitcnt vmcnt(0)
	v_lshl_add_u64 v[62:63], v[30:31], 2, v[0:1]
	global_load_dword v31, v[62:63], off
	global_load_dword v64, v[0:1], off offset:80
	s_waitcnt vmcnt(1)
	global_store_dword v[0:1], v31, off offset:80
	s_waitcnt vmcnt(1)
	global_store_dword v[62:63], v64, off
.LBB58_352:
	s_or_b64 exec, exec, s[18:19]
	v_mov_b32_e32 v0, v30
	scratch_store_dword off, v0, off offset:2704 ; 4-byte Folded Spill
	scratch_store_dword off, v0, off offset:4 ; 4-byte Folded Spill
.LBB58_353:
	s_or_b64 exec, exec, s[2:3]
.LBB58_354:
	s_andn2_saveexec_b64 s[0:1], s[0:1]
	s_cbranch_execz .LBB58_356
; %bb.355:
	v_mov_b32_e32 v0, 20
	ds_write2_b32 v254, v185, v186 offset0:21 offset1:22
	ds_write2_b32 v254, v187, v188 offset0:23 offset1:24
	;; [unrolled: 1-line block ×4, first 2 shown]
	ds_write_b32 v254, v33 offset:116
	scratch_store_dword off, v0, off offset:4 ; 4-byte Folded Spill
.LBB58_356:
	s_or_b64 exec, exec, s[0:1]
	s_waitcnt lgkmcnt(0)
	s_barrier
	scratch_load_dword v0, off, off offset:4 ; 4-byte Folded Reload
	s_waitcnt vmcnt(0)
	v_cmp_lt_i32_e32 vcc, 20, v0
	s_and_saveexec_b64 s[0:1], vcc
	s_cbranch_execz .LBB58_358
; %bb.357:
	scratch_load_dwordx4 v[62:65], off, off offset:1808 ; 16-byte Folded Reload
	scratch_load_dwordx4 v[66:69], off, off offset:1824 ; 16-byte Folded Reload
	scratch_load_dwordx4 v[70:73], off, off offset:1840 ; 16-byte Folded Reload
	scratch_load_dwordx4 v[74:77], off, off offset:1856 ; 16-byte Folded Reload
	scratch_load_dwordx4 v[78:81], off, off offset:1872 ; 16-byte Folded Reload
	scratch_load_dwordx4 v[82:85], off, off offset:1888 ; 16-byte Folded Reload
	scratch_load_dwordx4 v[86:89], off, off offset:1904 ; 16-byte Folded Reload
	scratch_load_dwordx4 v[90:93], off, off offset:1920 ; 16-byte Folded Reload
	ds_read2_b32 v[0:1], v254 offset0:21 offset1:22
	ds_read2_b32 v[4:5], v254 offset0:23 offset1:24
	;; [unrolled: 1-line block ×4, first 2 shown]
	ds_read_b32 v10, v254 offset:116
	v_mul_f32_e32 v54, v244, v32
	v_mov_b32_e32 v3, v186
	v_mov_b32_e32 v2, v185
	s_waitcnt lgkmcnt(4)
	v_pk_fma_f32 v[0:1], v[54:55], v[0:1], v[2:3] op_sel_hi:[0,1,1] neg_lo:[1,0,0] neg_hi:[1,0,0]
	v_mov_b32_e32 v3, v188
	v_mov_b32_e32 v2, v187
	s_waitcnt lgkmcnt(3)
	v_pk_fma_f32 v[2:3], v[54:55], v[4:5], v[2:3] op_sel_hi:[0,1,1] neg_lo:[1,0,0] neg_hi:[1,0,0]
	v_mov_b32_e32 v5, v190
	v_mov_b32_e32 v4, v189
	s_waitcnt lgkmcnt(0)
	v_fma_f32 v33, -v54, v10, v33
	v_mov_b32_e32 v24, v54
	v_mov_b32_e32 v25, v0
	;; [unrolled: 1-line block ×12, first 2 shown]
	s_waitcnt vmcnt(4)
	v_mov_b64_e32 v[34:35], v[62:63]
	s_waitcnt vmcnt(3)
	v_mov_b64_e32 v[50:51], v[78:79]
	v_mov_b64_e32 v[36:37], v[64:65]
	;; [unrolled: 1-line block ×9, first 2 shown]
	v_pk_fma_f32 v[62:63], v[54:55], v[6:7], v[4:5] op_sel_hi:[0,1,1] neg_lo:[1,0,0] neg_hi:[1,0,0]
	v_mov_b32_e32 v5, v192
	v_mov_b32_e32 v4, v191
	v_pk_fma_f32 v[56:57], v[54:55], v[8:9], v[4:5] op_sel_hi:[0,1,1] neg_lo:[1,0,0] neg_hi:[1,0,0]
	v_mov_b32_e32 v4, v34
	v_mov_b32_e32 v5, v35
	;; [unrolled: 1-line block ×20, first 2 shown]
	scratch_store_dwordx4 off, v[4:7], off offset:912 ; 16-byte Folded Spill
	s_nop 0
	scratch_store_dwordx4 off, v[8:11], off offset:928 ; 16-byte Folded Spill
	scratch_store_dwordx4 off, v[12:15], off offset:944 ; 16-byte Folded Spill
	;; [unrolled: 1-line block ×7, first 2 shown]
	v_mov_b32_e32 v27, v2
	v_mov_b32_e32 v55, v0
	v_mov_b32_e32 v132, v36
	v_mov_b32_e32 v133, v37
	v_mov_b32_e32 v134, v38
	v_mov_b32_e32 v135, v39
	v_mov_b32_e32 v136, v40
	v_mov_b32_e32 v137, v41
	v_mov_b32_e32 v138, v42
	v_mov_b32_e32 v139, v43
	v_mov_b32_e32 v140, v44
	v_mov_b32_e32 v141, v45
	v_mov_b32_e32 v142, v46
	v_mov_b32_e32 v143, v47
	v_mov_b32_e32 v144, v48
	v_mov_b32_e32 v145, v49
	v_mov_b32_e32 v146, v50
	v_mov_b32_e32 v147, v51
	v_mov_b32_e32 v148, v52
	v_mov_b32_e32 v149, v53
	v_mov_b32_e32 v155, v62
	v_mov_b32_e32 v156, v63
	scratch_store_dwordx4 off, v[4:7], off offset:1296 ; 16-byte Folded Spill
	s_nop 0
	scratch_store_dwordx4 off, v[8:11], off offset:1312 ; 16-byte Folded Spill
	scratch_store_dwordx4 off, v[12:15], off offset:1328 ; 16-byte Folded Spill
	scratch_store_dwordx4 off, v[16:19], off offset:1344 ; 16-byte Folded Spill
	scratch_store_dwordx4 off, v[20:23], off offset:1360 ; 16-byte Folded Spill
	scratch_store_dwordx4 off, v[24:27], off offset:1376 ; 16-byte Folded Spill
	scratch_store_dwordx4 off, v[28:31], off offset:1392 ; 16-byte Folded Spill
	scratch_store_dwordx4 off, v[32:35], off offset:1408 ; 16-byte Folded Spill
	s_nop 0
	v_mov_b32_e32 v28, v3
	scratch_store_dwordx4 off, v[4:7], off offset:1040 ; 16-byte Folded Spill
	s_nop 0
	scratch_store_dwordx4 off, v[8:11], off offset:1056 ; 16-byte Folded Spill
	scratch_store_dwordx4 off, v[12:15], off offset:1072 ; 16-byte Folded Spill
	scratch_store_dwordx4 off, v[16:19], off offset:1088 ; 16-byte Folded Spill
	scratch_store_dwordx4 off, v[20:23], off offset:1104 ; 16-byte Folded Spill
	scratch_store_dwordx4 off, v[24:27], off offset:1120 ; 16-byte Folded Spill
	scratch_store_dwordx4 off, v[28:31], off offset:1136 ; 16-byte Folded Spill
	scratch_store_dwordx4 off, v[32:35], off offset:1152 ; 16-byte Folded Spill
	s_nop 0
	v_mov_b32_e32 v29, v62
	scratch_store_dwordx4 off, v[4:7], off offset:1168 ; 16-byte Folded Spill
	s_nop 0
	scratch_store_dwordx4 off, v[8:11], off offset:1184 ; 16-byte Folded Spill
	scratch_store_dwordx4 off, v[12:15], off offset:1200 ; 16-byte Folded Spill
	scratch_store_dwordx4 off, v[16:19], off offset:1216 ; 16-byte Folded Spill
	scratch_store_dwordx4 off, v[20:23], off offset:1232 ; 16-byte Folded Spill
	scratch_store_dwordx4 off, v[24:27], off offset:1248 ; 16-byte Folded Spill
	scratch_store_dwordx4 off, v[28:31], off offset:1264 ; 16-byte Folded Spill
	scratch_store_dwordx4 off, v[32:35], off offset:1280 ; 16-byte Folded Spill
	s_nop 0
	v_mov_b32_e32 v30, v63
	v_mov_b32_e32 v31, v56
	v_mov_b32_e32 v130, v34
	;; [unrolled: 1-line block ×3, first 2 shown]
	scratch_store_dwordx4 off, v[4:7], off offset:784 ; 16-byte Folded Spill
	s_nop 0
	scratch_store_dwordx4 off, v[8:11], off offset:800 ; 16-byte Folded Spill
	scratch_store_dwordx4 off, v[12:15], off offset:816 ; 16-byte Folded Spill
	scratch_store_dwordx4 off, v[16:19], off offset:832 ; 16-byte Folded Spill
	scratch_store_dwordx4 off, v[20:23], off offset:848 ; 16-byte Folded Spill
	scratch_store_dwordx4 off, v[24:27], off offset:864 ; 16-byte Folded Spill
	scratch_store_dwordx4 off, v[28:31], off offset:880 ; 16-byte Folded Spill
	scratch_store_dwordx4 off, v[32:35], off offset:896 ; 16-byte Folded Spill
	s_nop 1
	v_mov_b32_e32 v32, v57
	scratch_store_dwordx4 off, v[34:37], off offset:1552 ; 16-byte Folded Spill
	s_nop 0
	scratch_store_dwordx4 off, v[38:41], off offset:1568 ; 16-byte Folded Spill
	scratch_store_dwordx4 off, v[42:45], off offset:1584 ; 16-byte Folded Spill
	;; [unrolled: 1-line block ×8, first 2 shown]
	s_nop 0
	scratch_store_dwordx4 off, v[38:41], off offset:288 ; 16-byte Folded Spill
	scratch_store_dwordx4 off, v[42:45], off offset:304 ; 16-byte Folded Spill
	;; [unrolled: 1-line block ×7, first 2 shown]
	v_mov_b64_e32 v[194:195], v[34:35]
	v_mov_b32_e32 v219, v62
	v_mov_b32_e32 v162, v63
	v_mov_b64_e32 v[192:193], v[32:33]
	v_mov_b64_e32 v[190:191], v[30:31]
	v_mov_b64_e32 v[188:189], v[28:29]
	v_mov_b64_e32 v[186:187], v[26:27]
	v_mov_b64_e32 v[184:185], v[24:25]
	v_mov_b64_e32 v[182:183], v[22:23]
	v_mov_b64_e32 v[180:181], v[20:21]
	v_mov_b64_e32 v[178:179], v[18:19]
	v_mov_b64_e32 v[176:177], v[16:17]
	v_mov_b64_e32 v[174:175], v[14:15]
	v_mov_b64_e32 v[172:173], v[12:13]
	v_mov_b64_e32 v[170:171], v[10:11]
	v_mov_b64_e32 v[168:169], v[8:9]
	v_mov_b64_e32 v[166:167], v[6:7]
	v_mov_b64_e32 v[164:165], v[4:5]
	v_mov_b32_e32 v157, v56
	scratch_store_dwordx2 off, v[56:57], off offset:264 ; 8-byte Folded Spill
.LBB58_358:
	s_or_b64 exec, exec, s[0:1]
	s_barrier
	scratch_load_dword v0, off, off offset:4 ; 4-byte Folded Reload
	s_cmp_lt_i32 s22, 23
	s_waitcnt vmcnt(0)
	v_lshl_add_u32 v30, v0, 2, v254
	ds_write_b32 v30, v229
	s_waitcnt lgkmcnt(0)
	s_barrier
	ds_read_b32 v32, v254 offset:84
	v_mov_b32_e32 v30, 21
	s_cbranch_scc1 .LBB58_361
; %bb.359:
	v_add_u32_e32 v31, 0x58, v254
	v_mov_b32_e32 v30, 21
	s_mov_b32 s0, 22
.LBB58_360:                             ; =>This Inner Loop Header: Depth=1
	ds_read_b32 v62, v31
	v_mov_b32_e32 v63, s0
	s_add_i32 s0, s0, 1
	v_add_u32_e32 v31, 4, v31
	s_cmp_lg_u32 s22, s0
	s_waitcnt lgkmcnt(0)
	v_cmp_lt_f32_e64 vcc, |v32|, |v62|
	s_nop 1
	v_cndmask_b32_e32 v32, v32, v62, vcc
	v_cndmask_b32_e32 v30, v30, v63, vcc
	s_cbranch_scc1 .LBB58_360
.LBB58_361:
	s_waitcnt lgkmcnt(0)
	v_cmp_eq_f32_e32 vcc, 0, v32
	s_and_saveexec_b64 s[0:1], vcc
	s_xor_b64 s[0:1], exec, s[0:1]
; %bb.362:
	v_cmp_ne_u32_e32 vcc, 0, v246
	s_nop 1
	v_cndmask_b32_e32 v246, 22, v246, vcc
; %bb.363:
	s_andn2_saveexec_b64 s[0:1], s[0:1]
	s_cbranch_execz .LBB58_365
; %bb.364:
	v_div_scale_f32 v31, s[2:3], v32, v32, 1.0
	v_rcp_f32_e32 v62, v31
	v_div_scale_f32 v63, vcc, 1.0, v32, 1.0
	v_fma_f32 v64, -v31, v62, 1.0
	v_fmac_f32_e32 v62, v64, v62
	v_mul_f32_e32 v64, v63, v62
	v_fma_f32 v65, -v31, v64, v63
	v_fmac_f32_e32 v64, v65, v62
	v_fma_f32 v31, -v31, v64, v63
	v_div_fmas_f32 v31, v31, v62, v64
	v_div_fixup_f32 v32, v31, v32, 1.0
.LBB58_365:
	s_or_b64 exec, exec, s[0:1]
	scratch_load_dword v0, off, off offset:4 ; 4-byte Folded Reload
	s_waitcnt vmcnt(0)
	v_cmp_ne_u32_e32 vcc, v0, v30
	s_and_saveexec_b64 s[0:1], vcc
	s_xor_b64 s[0:1], exec, s[0:1]
	s_cbranch_execz .LBB58_371
; %bb.366:
	scratch_load_dword v0, off, off offset:4 ; 4-byte Folded Reload
	s_waitcnt vmcnt(0)
	v_cmp_eq_u32_e32 vcc, 21, v0
	s_and_saveexec_b64 s[2:3], vcc
	s_cbranch_execz .LBB58_370
; %bb.367:
	v_cmp_ne_u32_e32 vcc, 21, v30
	s_xor_b64 s[18:19], s[16:17], -1
	s_and_b64 s[20:21], s[18:19], vcc
	s_and_saveexec_b64 s[18:19], s[20:21]
	s_cbranch_execz .LBB58_369
; %bb.368:
	s_movk_i32 s20, 0x1498
	scratch_load_dwordx2 v[0:1], off, s20   ; 8-byte Folded Reload
	v_ashrrev_i32_e32 v31, 31, v30
	s_waitcnt vmcnt(0)
	v_lshl_add_u64 v[62:63], v[30:31], 2, v[0:1]
	global_load_dword v31, v[62:63], off
	global_load_dword v64, v[0:1], off offset:84
	s_waitcnt vmcnt(1)
	global_store_dword v[0:1], v31, off offset:84
	s_waitcnt vmcnt(1)
	global_store_dword v[62:63], v64, off
.LBB58_369:
	s_or_b64 exec, exec, s[18:19]
	v_mov_b32_e32 v0, v30
	scratch_store_dword off, v0, off offset:2704 ; 4-byte Folded Spill
	scratch_store_dword off, v0, off offset:4 ; 4-byte Folded Spill
.LBB58_370:
	s_or_b64 exec, exec, s[2:3]
.LBB58_371:
	s_andn2_saveexec_b64 s[0:1], s[0:1]
	s_cbranch_execz .LBB58_373
; %bb.372:
	v_mov_b32_e32 v0, 21
	ds_write2_b32 v254, v186, v187 offset0:22 offset1:23
	ds_write2_b32 v254, v188, v189 offset0:24 offset1:25
	;; [unrolled: 1-line block ×4, first 2 shown]
	scratch_store_dword off, v0, off offset:4 ; 4-byte Folded Spill
.LBB58_373:
	s_or_b64 exec, exec, s[0:1]
	s_waitcnt lgkmcnt(0)
	s_barrier
	scratch_load_dword v0, off, off offset:4 ; 4-byte Folded Reload
	s_waitcnt vmcnt(0)
	v_cmp_lt_i32_e32 vcc, 21, v0
	s_and_saveexec_b64 s[0:1], vcc
	s_cbranch_execz .LBB58_375
; %bb.374:
	ds_read2_b32 v[2:3], v254 offset0:22 offset1:23
	ds_read2_b32 v[6:7], v254 offset0:24 offset1:25
	;; [unrolled: 1-line block ×4, first 2 shown]
	scratch_load_dwordx4 v[34:37], off, off offset:272 ; 16-byte Folded Reload
	scratch_load_dwordx4 v[38:41], off, off offset:288 ; 16-byte Folded Reload
	;; [unrolled: 1-line block ×8, first 2 shown]
	v_mul_f32_e32 v0, v229, v32
	v_mov_b32_e32 v4, v186
	v_mov_b32_e32 v5, v187
	s_waitcnt lgkmcnt(3)
	v_pk_fma_f32 v[106:107], v[0:1], v[2:3], v[4:5] op_sel_hi:[0,1,1] neg_lo:[1,0,0] neg_hi:[1,0,0]
	v_mov_b32_e32 v2, v188
	v_mov_b32_e32 v3, v189
	s_waitcnt lgkmcnt(2)
	v_pk_fma_f32 v[182:183], v[0:1], v[6:7], v[2:3] op_sel_hi:[0,1,1] neg_lo:[1,0,0] neg_hi:[1,0,0]
	v_mov_b32_e32 v2, v190
	v_mov_b32_e32 v3, v191
	s_waitcnt lgkmcnt(1)
	v_pk_fma_f32 v[156:157], v[0:1], v[8:9], v[2:3] op_sel_hi:[0,1,1] neg_lo:[1,0,0] neg_hi:[1,0,0]
	v_mov_b32_e32 v2, v192
	v_mov_b32_e32 v3, v193
	s_waitcnt lgkmcnt(0)
	v_pk_fma_f32 v[32:33], v[0:1], v[10:11], v[2:3] op_sel_hi:[0,1,1] neg_lo:[1,0,0] neg_hi:[1,0,0]
	v_mov_b32_e32 v23, v0
	v_mov_b32_e32 v24, v106
	;; [unrolled: 1-line block ×10, first 2 shown]
	s_waitcnt vmcnt(2)
	v_mov_b32_e32 v55, v0
	v_mov_b32_e32 v105, v0
	;; [unrolled: 1-line block ×33, first 2 shown]
	scratch_store_dwordx4 off, v[2:5], off offset:1296 ; 16-byte Folded Spill
	s_nop 0
	scratch_store_dwordx4 off, v[6:9], off offset:1312 ; 16-byte Folded Spill
	scratch_store_dwordx4 off, v[10:13], off offset:1328 ; 16-byte Folded Spill
	;; [unrolled: 1-line block ×7, first 2 shown]
	v_mov_b32_e32 v84, v34
	v_mov_b32_e32 v85, v35
	;; [unrolled: 1-line block ×8, first 2 shown]
	s_waitcnt vmcnt(9)
	v_mov_b32_e32 v58, v36
	v_mov_b32_e32 v59, v37
	;; [unrolled: 1-line block ×4, first 2 shown]
	s_waitcnt vmcnt(8)
	v_mov_b32_e32 v62, v40
	v_mov_b32_e32 v63, v41
	;; [unrolled: 1-line block ×43, first 2 shown]
	scratch_store_dwordx4 off, v[2:5], off offset:1168 ; 16-byte Folded Spill
	s_nop 0
	scratch_store_dwordx4 off, v[6:9], off offset:1184 ; 16-byte Folded Spill
	scratch_store_dwordx4 off, v[10:13], off offset:1200 ; 16-byte Folded Spill
	;; [unrolled: 1-line block ×8, first 2 shown]
	s_nop 0
	scratch_store_dwordx4 off, v[60:63], off offset:800 ; 16-byte Folded Spill
	scratch_store_dwordx4 off, v[64:67], off offset:816 ; 16-byte Folded Spill
	;; [unrolled: 1-line block ×7, first 2 shown]
	v_mov_b32_e32 v169, v45
	v_mov_b32_e32 v170, v46
	;; [unrolled: 1-line block ×54, first 2 shown]
	scratch_store_dwordx4 off, v[34:37], off offset:1552 ; 16-byte Folded Spill
	s_nop 0
	scratch_store_dwordx4 off, v[38:41], off offset:1568 ; 16-byte Folded Spill
	scratch_store_dwordx4 off, v[42:45], off offset:1584 ; 16-byte Folded Spill
	;; [unrolled: 1-line block ×7, first 2 shown]
	v_mov_b32_e32 v1, v32
	v_mov_b32_e32 v28, v182
	;; [unrolled: 1-line block ×3, first 2 shown]
	scratch_store_dwordx2 off, v[0:1], off offset:264 ; 8-byte Folded Spill
	scratch_store_dwordx4 off, v[84:87], off offset:912 ; 16-byte Folded Spill
	s_nop 0
	scratch_store_dwordx4 off, v[88:91], off offset:928 ; 16-byte Folded Spill
	scratch_store_dwordx4 off, v[92:95], off offset:944 ; 16-byte Folded Spill
	;; [unrolled: 1-line block ×8, first 2 shown]
	s_nop 0
	scratch_store_dwordx4 off, v[162:165], off offset:1056 ; 16-byte Folded Spill
	scratch_store_dwordx4 off, v[166:169], off offset:1072 ; 16-byte Folded Spill
	;; [unrolled: 1-line block ×7, first 2 shown]
	v_mov_b32_e32 v25, v0
	v_mov_b32_e32 v30, v156
	;; [unrolled: 1-line block ×4, first 2 shown]
                                        ; kill: def $vgpr130_vgpr131_vgpr132_vgpr133_vgpr134_vgpr135_vgpr136_vgpr137_vgpr138_vgpr139_vgpr140_vgpr141_vgpr142_vgpr143_vgpr144_vgpr145 killed $vgpr130_vgpr131_vgpr132_vgpr133_vgpr134_vgpr135_vgpr136_vgpr137_vgpr138_vgpr139_vgpr140_vgpr141_vgpr142_vgpr143_vgpr144_vgpr145 def $vgpr158_vgpr159_vgpr160_vgpr161
	v_mov_b64_e32 v[0:1], v[4:5]
	v_mov_b64_e32 v[2:3], v[6:7]
	;; [unrolled: 1-line block ×15, first 2 shown]
	v_mov_b32_e32 v219, v183
	v_mov_b64_e32 v[178:179], v[14:15]
	v_mov_b64_e32 v[190:191], v[26:27]
	v_mov_b32_e32 v217, v107
	v_mov_b64_e32 v[176:177], v[12:13]
	v_mov_b64_e32 v[174:175], v[10:11]
	;; [unrolled: 1-line block ×14, first 2 shown]
.LBB58_375:
	s_or_b64 exec, exec, s[0:1]
	s_barrier
	scratch_load_dword v0, off, off offset:4 ; 4-byte Folded Reload
	s_cmp_lt_i32 s22, 24
	s_waitcnt vmcnt(0)
	v_lshl_add_u32 v30, v0, 2, v254
	ds_write_b32 v30, v218
	s_waitcnt lgkmcnt(0)
	s_barrier
	ds_read_b32 v32, v254 offset:88
	v_mov_b32_e32 v30, 22
	s_cbranch_scc1 .LBB58_378
; %bb.376:
	v_add_u32_e32 v31, 0x5c, v254
	v_mov_b32_e32 v30, 22
	s_mov_b32 s0, 23
.LBB58_377:                             ; =>This Inner Loop Header: Depth=1
	ds_read_b32 v62, v31
	v_mov_b32_e32 v63, s0
	s_add_i32 s0, s0, 1
	v_add_u32_e32 v31, 4, v31
	s_cmp_lg_u32 s22, s0
	s_waitcnt lgkmcnt(0)
	v_cmp_lt_f32_e64 vcc, |v32|, |v62|
	s_nop 1
	v_cndmask_b32_e32 v32, v32, v62, vcc
	v_cndmask_b32_e32 v30, v30, v63, vcc
	s_cbranch_scc1 .LBB58_377
.LBB58_378:
	s_waitcnt lgkmcnt(0)
	v_cmp_eq_f32_e32 vcc, 0, v32
	s_and_saveexec_b64 s[0:1], vcc
	s_xor_b64 s[0:1], exec, s[0:1]
; %bb.379:
	v_cmp_ne_u32_e32 vcc, 0, v246
	s_nop 1
	v_cndmask_b32_e32 v246, 23, v246, vcc
; %bb.380:
	s_andn2_saveexec_b64 s[0:1], s[0:1]
	s_cbranch_execz .LBB58_382
; %bb.381:
	v_div_scale_f32 v31, s[2:3], v32, v32, 1.0
	v_rcp_f32_e32 v62, v31
	v_div_scale_f32 v63, vcc, 1.0, v32, 1.0
	v_fma_f32 v64, -v31, v62, 1.0
	v_fmac_f32_e32 v62, v64, v62
	v_mul_f32_e32 v64, v63, v62
	v_fma_f32 v65, -v31, v64, v63
	v_fmac_f32_e32 v64, v65, v62
	v_fma_f32 v31, -v31, v64, v63
	v_div_fmas_f32 v31, v31, v62, v64
	v_div_fixup_f32 v32, v31, v32, 1.0
.LBB58_382:
	s_or_b64 exec, exec, s[0:1]
	scratch_load_dword v0, off, off offset:4 ; 4-byte Folded Reload
	s_waitcnt vmcnt(0)
	v_cmp_ne_u32_e32 vcc, v0, v30
	s_and_saveexec_b64 s[0:1], vcc
	s_xor_b64 s[0:1], exec, s[0:1]
	s_cbranch_execz .LBB58_388
; %bb.383:
	scratch_load_dword v0, off, off offset:4 ; 4-byte Folded Reload
	s_waitcnt vmcnt(0)
	v_cmp_eq_u32_e32 vcc, 22, v0
	s_and_saveexec_b64 s[2:3], vcc
	s_cbranch_execz .LBB58_387
; %bb.384:
	v_cmp_ne_u32_e32 vcc, 22, v30
	s_xor_b64 s[18:19], s[16:17], -1
	s_and_b64 s[20:21], s[18:19], vcc
	s_and_saveexec_b64 s[18:19], s[20:21]
	s_cbranch_execz .LBB58_386
; %bb.385:
	s_movk_i32 s20, 0x1498
	scratch_load_dwordx2 v[0:1], off, s20   ; 8-byte Folded Reload
	v_ashrrev_i32_e32 v31, 31, v30
	s_waitcnt vmcnt(0)
	v_lshl_add_u64 v[62:63], v[30:31], 2, v[0:1]
	global_load_dword v31, v[62:63], off
	global_load_dword v64, v[0:1], off offset:88
	s_waitcnt vmcnt(1)
	global_store_dword v[0:1], v31, off offset:88
	s_waitcnt vmcnt(1)
	global_store_dword v[62:63], v64, off
.LBB58_386:
	s_or_b64 exec, exec, s[18:19]
	v_mov_b32_e32 v0, v30
	scratch_store_dword off, v0, off offset:2704 ; 4-byte Folded Spill
	scratch_store_dword off, v0, off offset:4 ; 4-byte Folded Spill
.LBB58_387:
	s_or_b64 exec, exec, s[2:3]
.LBB58_388:
	s_andn2_saveexec_b64 s[0:1], s[0:1]
	s_cbranch_execz .LBB58_390
; %bb.389:
	v_mov_b32_e32 v0, 22
	ds_write2_b32 v254, v187, v188 offset0:23 offset1:24
	ds_write2_b32 v254, v189, v190 offset0:25 offset1:26
	;; [unrolled: 1-line block ×3, first 2 shown]
	ds_write_b32 v254, v33 offset:116
	scratch_store_dword off, v0, off offset:4 ; 4-byte Folded Spill
.LBB58_390:
	s_or_b64 exec, exec, s[0:1]
	s_waitcnt lgkmcnt(0)
	s_barrier
	scratch_load_dword v0, off, off offset:4 ; 4-byte Folded Reload
	s_waitcnt vmcnt(0)
	v_cmp_lt_i32_e32 vcc, 22, v0
	s_and_saveexec_b64 s[0:1], vcc
	s_cbranch_execz .LBB58_392
; %bb.391:
	scratch_load_dwordx4 v[98:101], off, off offset:1552 ; 16-byte Folded Reload
	scratch_load_dwordx4 v[102:105], off, off offset:1568 ; 16-byte Folded Reload
	;; [unrolled: 1-line block ×8, first 2 shown]
	ds_read2_b32 v[0:1], v254 offset0:23 offset1:24
	ds_read2_b32 v[4:5], v254 offset0:25 offset1:26
	;; [unrolled: 1-line block ×3, first 2 shown]
	ds_read_b32 v8, v254 offset:116
	s_waitcnt vmcnt(2)
	v_mul_f32_e32 v120, v218, v32
	v_mov_b32_e32 v3, v188
	v_mov_b32_e32 v2, v187
	;; [unrolled: 1-line block ×3, first 2 shown]
	s_waitcnt lgkmcnt(0)
	v_fma_f32 v33, -v120, v8, v33
	v_mov_b32_e32 v152, v120
	v_mov_b32_e32 v130, v98
	;; [unrolled: 1-line block ×6, first 2 shown]
	v_pk_fma_f32 v[0:1], v[120:121], v[0:1], v[2:3] op_sel_hi:[0,1,1] neg_lo:[1,0,0] neg_hi:[1,0,0]
	v_mov_b32_e32 v3, v190
	v_mov_b32_e32 v2, v189
	v_pk_fma_f32 v[2:3], v[120:121], v[4:5], v[2:3] op_sel_hi:[0,1,1] neg_lo:[1,0,0] neg_hi:[1,0,0]
	v_mov_b32_e32 v5, v192
	v_mov_b32_e32 v4, v191
	;; [unrolled: 3-line block ×3, first 2 shown]
	v_mov_b32_e32 v6, v100
	v_mov_b32_e32 v7, v101
	;; [unrolled: 1-line block ×18, first 2 shown]
	scratch_store_dwordx4 off, v[4:7], off offset:1040 ; 16-byte Folded Spill
	s_nop 0
	scratch_store_dwordx4 off, v[8:11], off offset:1056 ; 16-byte Folded Spill
	scratch_store_dwordx4 off, v[12:15], off offset:1072 ; 16-byte Folded Spill
	;; [unrolled: 1-line block ×7, first 2 shown]
	v_mov_b32_e32 v121, v0
	v_mov_b32_e32 v29, v2
	;; [unrolled: 1-line block ×31, first 2 shown]
	scratch_store_dwordx4 off, v[4:7], off offset:1168 ; 16-byte Folded Spill
	s_nop 0
	scratch_store_dwordx4 off, v[8:11], off offset:1184 ; 16-byte Folded Spill
	scratch_store_dwordx4 off, v[12:15], off offset:1200 ; 16-byte Folded Spill
	;; [unrolled: 1-line block ×7, first 2 shown]
	s_nop 0
	v_mov_b32_e32 v30, v3
	v_mov_b32_e32 v31, v34
	scratch_store_dwordx4 off, v[4:7], off offset:784 ; 16-byte Folded Spill
	s_nop 0
	scratch_store_dwordx4 off, v[8:11], off offset:800 ; 16-byte Folded Spill
	scratch_store_dwordx4 off, v[12:15], off offset:816 ; 16-byte Folded Spill
	;; [unrolled: 1-line block ×8, first 2 shown]
	s_nop 0
	scratch_store_dwordx4 off, v[102:105], off offset:1312 ; 16-byte Folded Spill
	scratch_store_dwordx4 off, v[106:109], off offset:1328 ; 16-byte Folded Spill
	scratch_store_dwordx4 off, v[110:113], off offset:1344 ; 16-byte Folded Spill
	scratch_store_dwordx4 off, v[114:117], off offset:1360 ; 16-byte Folded Spill
	scratch_store_dwordx4 off, v[118:121], off offset:1376 ; 16-byte Folded Spill
	s_waitcnt vmcnt(31)
	scratch_store_dwordx4 off, v[122:125], off offset:1392 ; 16-byte Folded Spill
	s_waitcnt vmcnt(31)
	scratch_store_dwordx4 off, v[126:129], off offset:1408 ; 16-byte Folded Spill
	scratch_store_dwordx4 off, v[98:101], off offset:912 ; 16-byte Folded Spill
	s_nop 0
	scratch_store_dwordx4 off, v[102:105], off offset:928 ; 16-byte Folded Spill
	scratch_store_dwordx4 off, v[106:109], off offset:944 ; 16-byte Folded Spill
	;; [unrolled: 1-line block ×7, first 2 shown]
	v_mov_b32_e32 v32, v35
	v_mov_b64_e32 v[194:195], v[34:35]
	v_mov_b64_e32 v[192:193], v[32:33]
	;; [unrolled: 1-line block ×16, first 2 shown]
	v_mov_b32_e32 v1, v35
	v_mov_b32_e32 v157, v34
	scratch_store_dwordx2 off, v[0:1], off offset:264 ; 8-byte Folded Spill
.LBB58_392:
	s_or_b64 exec, exec, s[0:1]
	s_barrier
	scratch_load_dword v0, off, off offset:4 ; 4-byte Folded Reload
	s_cmp_lt_i32 s22, 25
	s_waitcnt vmcnt(0)
	v_lshl_add_u32 v30, v0, 2, v254
	ds_write_b32 v30, v217
	s_waitcnt lgkmcnt(0)
	s_barrier
	ds_read_b32 v32, v254 offset:92
	v_mov_b32_e32 v30, 23
	s_cbranch_scc1 .LBB58_395
; %bb.393:
	v_add_u32_e32 v31, 0x60, v254
	v_mov_b32_e32 v30, 23
	s_mov_b32 s0, 24
.LBB58_394:                             ; =>This Inner Loop Header: Depth=1
	ds_read_b32 v62, v31
	v_mov_b32_e32 v63, s0
	s_add_i32 s0, s0, 1
	v_add_u32_e32 v31, 4, v31
	s_cmp_lg_u32 s22, s0
	s_waitcnt lgkmcnt(0)
	v_cmp_lt_f32_e64 vcc, |v32|, |v62|
	s_nop 1
	v_cndmask_b32_e32 v32, v32, v62, vcc
	v_cndmask_b32_e32 v30, v30, v63, vcc
	s_cbranch_scc1 .LBB58_394
.LBB58_395:
	s_waitcnt lgkmcnt(0)
	v_cmp_eq_f32_e32 vcc, 0, v32
	s_and_saveexec_b64 s[0:1], vcc
	s_xor_b64 s[0:1], exec, s[0:1]
; %bb.396:
	v_cmp_ne_u32_e32 vcc, 0, v246
	s_nop 1
	v_cndmask_b32_e32 v246, 24, v246, vcc
; %bb.397:
	s_andn2_saveexec_b64 s[0:1], s[0:1]
	s_cbranch_execz .LBB58_399
; %bb.398:
	v_div_scale_f32 v31, s[2:3], v32, v32, 1.0
	v_rcp_f32_e32 v62, v31
	v_div_scale_f32 v63, vcc, 1.0, v32, 1.0
	v_fma_f32 v64, -v31, v62, 1.0
	v_fmac_f32_e32 v62, v64, v62
	v_mul_f32_e32 v64, v63, v62
	v_fma_f32 v65, -v31, v64, v63
	v_fmac_f32_e32 v64, v65, v62
	v_fma_f32 v31, -v31, v64, v63
	v_div_fmas_f32 v31, v31, v62, v64
	v_div_fixup_f32 v32, v31, v32, 1.0
.LBB58_399:
	s_or_b64 exec, exec, s[0:1]
	scratch_load_dword v0, off, off offset:4 ; 4-byte Folded Reload
	s_waitcnt vmcnt(0)
	v_cmp_ne_u32_e32 vcc, v0, v30
	s_and_saveexec_b64 s[0:1], vcc
	s_xor_b64 s[0:1], exec, s[0:1]
	s_cbranch_execz .LBB58_405
; %bb.400:
	scratch_load_dword v0, off, off offset:4 ; 4-byte Folded Reload
	s_waitcnt vmcnt(0)
	v_cmp_eq_u32_e32 vcc, 23, v0
	s_and_saveexec_b64 s[2:3], vcc
	s_cbranch_execz .LBB58_404
; %bb.401:
	v_cmp_ne_u32_e32 vcc, 23, v30
	s_xor_b64 s[18:19], s[16:17], -1
	s_and_b64 s[20:21], s[18:19], vcc
	s_and_saveexec_b64 s[18:19], s[20:21]
	s_cbranch_execz .LBB58_403
; %bb.402:
	s_movk_i32 s20, 0x1498
	scratch_load_dwordx2 v[0:1], off, s20   ; 8-byte Folded Reload
	v_ashrrev_i32_e32 v31, 31, v30
	s_waitcnt vmcnt(0)
	v_lshl_add_u64 v[62:63], v[30:31], 2, v[0:1]
	global_load_dword v31, v[62:63], off
	global_load_dword v64, v[0:1], off offset:92
	s_waitcnt vmcnt(1)
	global_store_dword v[0:1], v31, off offset:92
	s_waitcnt vmcnt(1)
	global_store_dword v[62:63], v64, off
.LBB58_403:
	s_or_b64 exec, exec, s[18:19]
	v_mov_b32_e32 v0, v30
	scratch_store_dword off, v0, off offset:2704 ; 4-byte Folded Spill
	scratch_store_dword off, v0, off offset:4 ; 4-byte Folded Spill
.LBB58_404:
	s_or_b64 exec, exec, s[2:3]
.LBB58_405:
	s_andn2_saveexec_b64 s[0:1], s[0:1]
	s_cbranch_execz .LBB58_407
; %bb.406:
	v_mov_b32_e32 v0, 23
	ds_write2_b32 v254, v188, v189 offset0:24 offset1:25
	ds_write2_b32 v254, v190, v191 offset0:26 offset1:27
	;; [unrolled: 1-line block ×3, first 2 shown]
	scratch_store_dword off, v0, off offset:4 ; 4-byte Folded Spill
.LBB58_407:
	s_or_b64 exec, exec, s[0:1]
	s_waitcnt lgkmcnt(0)
	s_barrier
	scratch_load_dword v0, off, off offset:4 ; 4-byte Folded Reload
	s_waitcnt vmcnt(0)
	v_cmp_lt_i32_e32 vcc, 23, v0
	s_and_saveexec_b64 s[0:1], vcc
	s_cbranch_execz .LBB58_409
; %bb.408:
	ds_read2_b32 v[2:3], v254 offset0:24 offset1:25
	ds_read2_b32 v[6:7], v254 offset0:26 offset1:27
	;; [unrolled: 1-line block ×3, first 2 shown]
	scratch_load_dwordx4 v[60:63], off, off offset:912 ; 16-byte Folded Reload
	scratch_load_dwordx4 v[64:67], off, off offset:928 ; 16-byte Folded Reload
	;; [unrolled: 1-line block ×8, first 2 shown]
	v_mul_f32_e32 v0, v217, v32
	v_mov_b32_e32 v4, v188
	v_mov_b32_e32 v5, v189
	s_waitcnt lgkmcnt(2)
	v_pk_fma_f32 v[58:59], v[0:1], v[2:3], v[4:5] op_sel_hi:[0,1,1] neg_lo:[1,0,0] neg_hi:[1,0,0]
	v_mov_b32_e32 v2, v190
	v_mov_b32_e32 v3, v191
	s_waitcnt lgkmcnt(1)
	v_pk_fma_f32 v[156:157], v[0:1], v[6:7], v[2:3] op_sel_hi:[0,1,1] neg_lo:[1,0,0] neg_hi:[1,0,0]
	;; [unrolled: 4-line block ×3, first 2 shown]
	v_mov_b32_e32 v25, v0
	v_mov_b32_e32 v26, v58
	;; [unrolled: 1-line block ×3, first 2 shown]
	s_waitcnt vmcnt(2)
	v_mov_b32_e32 v83, v0
	v_mov_b32_e32 v57, v0
	;; [unrolled: 1-line block ×30, first 2 shown]
	scratch_store_dwordx4 off, v[2:5], off offset:1168 ; 16-byte Folded Spill
	s_nop 0
	scratch_store_dwordx4 off, v[6:9], off offset:1184 ; 16-byte Folded Spill
	scratch_store_dwordx4 off, v[10:13], off offset:1200 ; 16-byte Folded Spill
	;; [unrolled: 1-line block ×7, first 2 shown]
	v_mov_b32_e32 v34, v60
	v_mov_b32_e32 v28, v156
	;; [unrolled: 1-line block ×48, first 2 shown]
	scratch_store_dwordx4 off, v[2:5], off offset:784 ; 16-byte Folded Spill
	s_nop 0
	scratch_store_dwordx4 off, v[6:9], off offset:800 ; 16-byte Folded Spill
	scratch_store_dwordx4 off, v[10:13], off offset:816 ; 16-byte Folded Spill
	;; [unrolled: 1-line block ×7, first 2 shown]
	v_mov_b32_e32 v4, v60
	v_mov_b32_e32 v5, v61
	;; [unrolled: 1-line block ×23, first 2 shown]
	scratch_store_dwordx4 off, v[60:63], off offset:1296 ; 16-byte Folded Spill
	s_nop 0
	scratch_store_dwordx4 off, v[64:67], off offset:1312 ; 16-byte Folded Spill
	scratch_store_dwordx4 off, v[68:71], off offset:1328 ; 16-byte Folded Spill
	;; [unrolled: 1-line block ×5, first 2 shown]
	s_waitcnt vmcnt(23)
	scratch_store_dwordx4 off, v[84:87], off offset:1392 ; 16-byte Folded Spill
	s_waitcnt vmcnt(23)
	scratch_store_dwordx4 off, v[88:91], off offset:1408 ; 16-byte Folded Spill
	v_mov_b32_e32 v27, v0
	v_mov_b32_e32 v28, v58
	;; [unrolled: 1-line block ×5, first 2 shown]
	v_mov_b64_e32 v[194:195], v[34:35]
	v_mov_b32_e32 v1, v32
	v_mov_b64_e32 v[192:193], v[32:33]
	v_mov_b64_e32 v[190:191], v[30:31]
	;; [unrolled: 1-line block ×15, first 2 shown]
	scratch_store_dwordx2 off, v[0:1], off offset:264 ; 8-byte Folded Spill
	scratch_store_dwordx4 off, v[34:37], off offset:1040 ; 16-byte Folded Spill
	s_nop 0
	scratch_store_dwordx4 off, v[38:41], off offset:1056 ; 16-byte Folded Spill
	scratch_store_dwordx4 off, v[42:45], off offset:1072 ; 16-byte Folded Spill
	;; [unrolled: 1-line block ×7, first 2 shown]
	v_mov_b32_e32 v219, v59
.LBB58_409:
	s_or_b64 exec, exec, s[0:1]
	s_barrier
	scratch_load_dword v0, off, off offset:4 ; 4-byte Folded Reload
	s_cmp_lt_i32 s22, 26
	s_waitcnt vmcnt(0)
	v_lshl_add_u32 v30, v0, 2, v254
	ds_write_b32 v30, v214
	s_waitcnt lgkmcnt(0)
	s_barrier
	ds_read_b32 v32, v254 offset:96
	v_mov_b32_e32 v30, 24
	s_cbranch_scc1 .LBB58_518
; %bb.410:
	scratch_load_dwordx4 v[82:85], off, off offset:1168 ; 16-byte Folded Reload
	scratch_load_dwordx4 v[86:89], off, off offset:1184 ; 16-byte Folded Reload
	;; [unrolled: 1-line block ×8, first 2 shown]
	v_add_u32_e32 v31, 0x64, v254
	v_mov_b32_e32 v30, 24
	s_mov_b32 s0, 25
.LBB58_411:                             ; =>This Inner Loop Header: Depth=1
	ds_read_b32 v62, v31
	v_mov_b32_e32 v63, s0
	s_add_i32 s0, s0, 1
	v_add_u32_e32 v31, 4, v31
	s_cmp_lg_u32 s22, s0
	s_waitcnt lgkmcnt(0)
	v_cmp_lt_f32_e64 vcc, |v32|, |v62|
	s_nop 1
	v_cndmask_b32_e32 v32, v32, v62, vcc
	v_cndmask_b32_e32 v30, v30, v63, vcc
	s_cbranch_scc1 .LBB58_411
; %bb.412:
	v_cmp_eq_f32_e32 vcc, 0, v32
	s_and_saveexec_b64 s[0:1], vcc
	s_xor_b64 s[0:1], exec, s[0:1]
.LBB58_413:
	v_cmp_ne_u32_e32 vcc, 0, v246
	s_nop 1
	v_cndmask_b32_e32 v246, 25, v246, vcc
.LBB58_414:
	s_andn2_saveexec_b64 s[0:1], s[0:1]
	s_cbranch_execz .LBB58_416
; %bb.415:
	v_div_scale_f32 v31, s[2:3], v32, v32, 1.0
	v_rcp_f32_e32 v62, v31
	v_div_scale_f32 v63, vcc, 1.0, v32, 1.0
	v_fma_f32 v64, -v31, v62, 1.0
	v_fmac_f32_e32 v62, v64, v62
	v_mul_f32_e32 v64, v63, v62
	v_fma_f32 v65, -v31, v64, v63
	v_fmac_f32_e32 v64, v65, v62
	v_fma_f32 v31, -v31, v64, v63
	v_div_fmas_f32 v31, v31, v62, v64
	v_div_fixup_f32 v32, v31, v32, 1.0
.LBB58_416:
	s_or_b64 exec, exec, s[0:1]
	scratch_load_dword v0, off, off offset:4 ; 4-byte Folded Reload
	s_waitcnt vmcnt(0)
	v_cmp_ne_u32_e32 vcc, v0, v30
	s_and_saveexec_b64 s[0:1], vcc
	s_xor_b64 s[0:1], exec, s[0:1]
	s_cbranch_execz .LBB58_422
; %bb.417:
	scratch_load_dword v0, off, off offset:4 ; 4-byte Folded Reload
	s_waitcnt vmcnt(0)
	v_cmp_eq_u32_e32 vcc, 24, v0
	s_and_saveexec_b64 s[2:3], vcc
	s_cbranch_execz .LBB58_421
; %bb.418:
	v_cmp_ne_u32_e32 vcc, 24, v30
	s_xor_b64 s[18:19], s[16:17], -1
	s_and_b64 s[20:21], s[18:19], vcc
	s_and_saveexec_b64 s[18:19], s[20:21]
	s_cbranch_execz .LBB58_420
; %bb.419:
	s_movk_i32 s20, 0x1498
	scratch_load_dwordx2 v[0:1], off, s20   ; 8-byte Folded Reload
	v_ashrrev_i32_e32 v31, 31, v30
	s_waitcnt vmcnt(0)
	v_lshl_add_u64 v[62:63], v[30:31], 2, v[0:1]
	global_load_dword v31, v[62:63], off
	global_load_dword v64, v[0:1], off offset:96
	s_waitcnt vmcnt(1)
	global_store_dword v[0:1], v31, off offset:96
	s_waitcnt vmcnt(1)
	global_store_dword v[62:63], v64, off
.LBB58_420:
	s_or_b64 exec, exec, s[18:19]
	v_mov_b32_e32 v0, v30
	scratch_store_dword off, v0, off offset:2704 ; 4-byte Folded Spill
	scratch_store_dword off, v0, off offset:4 ; 4-byte Folded Spill
.LBB58_421:
	s_or_b64 exec, exec, s[2:3]
.LBB58_422:
	s_andn2_saveexec_b64 s[0:1], s[0:1]
	s_cbranch_execz .LBB58_424
; %bb.423:
	v_mov_b32_e32 v0, 24
	ds_write2_b32 v254, v189, v190 offset0:25 offset1:26
	ds_write2_b32 v254, v191, v192 offset0:27 offset1:28
	ds_write_b32 v254, v33 offset:116
	scratch_store_dword off, v0, off offset:4 ; 4-byte Folded Spill
.LBB58_424:
	s_or_b64 exec, exec, s[0:1]
	s_waitcnt lgkmcnt(0)
	s_barrier
	scratch_load_dword v0, off, off offset:4 ; 4-byte Folded Reload
	s_waitcnt vmcnt(0)
	v_cmp_lt_i32_e32 vcc, 24, v0
	s_and_saveexec_b64 s[0:1], vcc
	s_cbranch_execz .LBB58_426
; %bb.425:
	scratch_load_dwordx4 v[62:65], off, off offset:1296 ; 16-byte Folded Reload
	scratch_load_dwordx4 v[66:69], off, off offset:1312 ; 16-byte Folded Reload
	;; [unrolled: 1-line block ×8, first 2 shown]
	ds_read2_b32 v[0:1], v254 offset0:25 offset1:26
	ds_read2_b32 v[4:5], v254 offset0:27 offset1:28
	ds_read_b32 v6, v254 offset:116
	v_mul_f32_e32 v58, v214, v32
	v_mov_b32_e32 v3, v190
	v_mov_b32_e32 v2, v189
	;; [unrolled: 1-line block ×3, first 2 shown]
	s_waitcnt lgkmcnt(0)
	v_fma_f32 v193, -v58, v6, v193
	v_mov_b32_e32 v24, v58
	v_mov_b32_e32 v154, v58
	;; [unrolled: 1-line block ×4, first 2 shown]
	s_waitcnt vmcnt(4)
	v_mov_b64_e32 v[34:35], v[62:63]
	v_mov_b64_e32 v[36:37], v[64:65]
	;; [unrolled: 1-line block ×8, first 2 shown]
	s_waitcnt vmcnt(2)
	v_mov_b64_e32 v[50:51], v[78:79]
	v_pk_fma_f32 v[62:63], v[58:59], v[0:1], v[2:3] op_sel_hi:[0,1,1] neg_lo:[1,0,0] neg_hi:[1,0,0]
	v_mov_b32_e32 v1, v192
	v_mov_b32_e32 v0, v191
	v_mov_b64_e32 v[52:53], v[80:81]
	v_mov_b64_e32 v[54:55], v[82:83]
	;; [unrolled: 1-line block ×3, first 2 shown]
	v_pk_fma_f32 v[28:29], v[58:59], v[4:5], v[0:1] op_sel_hi:[0,1,1] neg_lo:[1,0,0] neg_hi:[1,0,0]
	v_mov_b32_e32 v59, v62
	v_mov_b32_e32 v0, v34
	;; [unrolled: 1-line block ×28, first 2 shown]
	s_waitcnt vmcnt(0)
	v_mov_b64_e32 v[112:113], v[64:65]
	v_mov_b32_e32 v130, v34
	v_mov_b32_e32 v131, v35
	;; [unrolled: 1-line block ×26, first 2 shown]
	scratch_store_dwordx4 off, v[0:3], off offset:784 ; 16-byte Folded Spill
	s_nop 0
	scratch_store_dwordx4 off, v[4:7], off offset:800 ; 16-byte Folded Spill
	scratch_store_dwordx4 off, v[8:11], off offset:816 ; 16-byte Folded Spill
	;; [unrolled: 1-line block ×7, first 2 shown]
	v_mov_b32_e32 v164, v34
	v_mov_b32_e32 v165, v35
	;; [unrolled: 1-line block ×26, first 2 shown]
	v_mov_b64_e32 v[110:111], v[62:63]
	v_mov_b64_e32 v[108:109], v[60:61]
	;; [unrolled: 1-line block ×15, first 2 shown]
	scratch_store_dwordx4 off, v[34:37], off offset:1040 ; 16-byte Folded Spill
	s_nop 0
	scratch_store_dwordx4 off, v[38:41], off offset:1056 ; 16-byte Folded Spill
	scratch_store_dwordx4 off, v[42:45], off offset:1072 ; 16-byte Folded Spill
	;; [unrolled: 1-line block ×7, first 2 shown]
	v_mov_b32_e32 v191, v28
	v_mov_b32_e32 v192, v29
	;; [unrolled: 1-line block ×4, first 2 shown]
	scratch_store_dwordx2 off, v[0:1], off offset:264 ; 8-byte Folded Spill
	v_mov_b32_e32 v219, v62
	v_mov_b32_e32 v162, v63
.LBB58_426:
	s_or_b64 exec, exec, s[0:1]
	s_barrier
	scratch_load_dword v0, off, off offset:4 ; 4-byte Folded Reload
	s_cmp_lt_i32 s22, 27
	s_waitcnt vmcnt(0)
	v_lshl_add_u32 v30, v0, 2, v254
	ds_write_b32 v30, v219
	s_waitcnt lgkmcnt(0)
	s_barrier
	ds_read_b32 v32, v254 offset:100
	v_mov_b32_e32 v30, 25
	s_cbranch_scc1 .LBB58_429
; %bb.427:
	v_add_u32_e32 v31, 0x68, v254
	v_mov_b32_e32 v30, 25
	s_mov_b32 s0, 26
.LBB58_428:                             ; =>This Inner Loop Header: Depth=1
	ds_read_b32 v62, v31
	v_mov_b32_e32 v63, s0
	s_add_i32 s0, s0, 1
	v_add_u32_e32 v31, 4, v31
	s_cmp_lg_u32 s22, s0
	s_waitcnt lgkmcnt(0)
	v_cmp_lt_f32_e64 vcc, |v32|, |v62|
	s_nop 1
	v_cndmask_b32_e32 v32, v32, v62, vcc
	v_cndmask_b32_e32 v30, v30, v63, vcc
	s_cbranch_scc1 .LBB58_428
.LBB58_429:
	s_waitcnt lgkmcnt(0)
	v_cmp_eq_f32_e32 vcc, 0, v32
	s_and_saveexec_b64 s[0:1], vcc
	s_xor_b64 s[0:1], exec, s[0:1]
; %bb.430:
	v_cmp_ne_u32_e32 vcc, 0, v246
	s_nop 1
	v_cndmask_b32_e32 v246, 26, v246, vcc
; %bb.431:
	s_andn2_saveexec_b64 s[0:1], s[0:1]
	s_cbranch_execz .LBB58_433
; %bb.432:
	v_div_scale_f32 v31, s[2:3], v32, v32, 1.0
	v_rcp_f32_e32 v62, v31
	v_div_scale_f32 v63, vcc, 1.0, v32, 1.0
	v_fma_f32 v64, -v31, v62, 1.0
	v_fmac_f32_e32 v62, v64, v62
	v_mul_f32_e32 v64, v63, v62
	v_fma_f32 v65, -v31, v64, v63
	v_fmac_f32_e32 v64, v65, v62
	v_fma_f32 v31, -v31, v64, v63
	v_div_fmas_f32 v31, v31, v62, v64
	v_div_fixup_f32 v32, v31, v32, 1.0
.LBB58_433:
	s_or_b64 exec, exec, s[0:1]
	scratch_load_dword v0, off, off offset:4 ; 4-byte Folded Reload
	s_waitcnt vmcnt(0)
	v_cmp_ne_u32_e32 vcc, v0, v30
	s_and_saveexec_b64 s[0:1], vcc
	s_xor_b64 s[0:1], exec, s[0:1]
	s_cbranch_execz .LBB58_439
; %bb.434:
	scratch_load_dword v0, off, off offset:4 ; 4-byte Folded Reload
	s_waitcnt vmcnt(0)
	v_cmp_eq_u32_e32 vcc, 25, v0
	s_and_saveexec_b64 s[2:3], vcc
	s_cbranch_execz .LBB58_438
; %bb.435:
	v_cmp_ne_u32_e32 vcc, 25, v30
	s_xor_b64 s[18:19], s[16:17], -1
	s_and_b64 s[20:21], s[18:19], vcc
	s_and_saveexec_b64 s[18:19], s[20:21]
	s_cbranch_execz .LBB58_437
; %bb.436:
	s_movk_i32 s20, 0x1498
	scratch_load_dwordx2 v[0:1], off, s20   ; 8-byte Folded Reload
	v_ashrrev_i32_e32 v31, 31, v30
	s_waitcnt vmcnt(0)
	v_lshl_add_u64 v[62:63], v[30:31], 2, v[0:1]
	global_load_dword v31, v[62:63], off
	global_load_dword v64, v[0:1], off offset:100
	s_waitcnt vmcnt(1)
	global_store_dword v[0:1], v31, off offset:100
	s_waitcnt vmcnt(1)
	global_store_dword v[62:63], v64, off
.LBB58_437:
	s_or_b64 exec, exec, s[18:19]
	v_mov_b32_e32 v0, v30
	scratch_store_dword off, v0, off offset:2704 ; 4-byte Folded Spill
	scratch_store_dword off, v0, off offset:4 ; 4-byte Folded Spill
.LBB58_438:
	s_or_b64 exec, exec, s[2:3]
.LBB58_439:
	s_andn2_saveexec_b64 s[0:1], s[0:1]
	s_cbranch_execz .LBB58_441
; %bb.440:
	v_mov_b32_e32 v0, 25
	ds_write2_b32 v254, v190, v191 offset0:26 offset1:27
	ds_write2_b32 v254, v192, v193 offset0:28 offset1:29
	scratch_store_dword off, v0, off offset:4 ; 4-byte Folded Spill
.LBB58_441:
	s_or_b64 exec, exec, s[0:1]
	s_waitcnt lgkmcnt(0)
	s_barrier
	scratch_load_dword v0, off, off offset:4 ; 4-byte Folded Reload
	s_waitcnt vmcnt(0)
	v_cmp_lt_i32_e32 vcc, 25, v0
	s_and_saveexec_b64 s[0:1], vcc
	s_cbranch_execz .LBB58_443
; %bb.442:
	ds_read2_b32 v[0:1], v254 offset0:26 offset1:27
	ds_read2_b32 v[6:7], v254 offset0:28 offset1:29
	scratch_load_dwordx4 v[66:69], off, off offset:1040 ; 16-byte Folded Reload
	scratch_load_dwordx4 v[70:73], off, off offset:1056 ; 16-byte Folded Reload
	;; [unrolled: 1-line block ×8, first 2 shown]
	v_mul_f32_e32 v2, v219, v32
	v_mov_b32_e32 v4, v190
	v_mov_b32_e32 v5, v191
	s_waitcnt lgkmcnt(1)
	v_pk_fma_f32 v[156:157], v[2:3], v[0:1], v[4:5] op_sel_hi:[0,1,1] neg_lo:[1,0,0] neg_hi:[1,0,0]
	v_mov_b32_e32 v0, v192
	v_mov_b32_e32 v1, v193
	s_waitcnt lgkmcnt(0)
	v_pk_fma_f32 v[32:33], v[2:3], v[6:7], v[0:1] op_sel_hi:[0,1,1] neg_lo:[1,0,0] neg_hi:[1,0,0]
	v_mov_b32_e32 v29, v2
	v_mov_b32_e32 v30, v156
	;; [unrolled: 1-line block ×3, first 2 shown]
	s_waitcnt vmcnt(1)
	v_mov_b32_e32 v91, v2
	v_mov_b32_e32 v155, v2
	v_mov_b32_e32 v162, v156
	v_mov_b32_e32 v4, v66
	v_mov_b32_e32 v5, v67
	v_mov_b32_e32 v6, v68
	v_mov_b32_e32 v7, v69
	v_mov_b32_e32 v8, v70
	v_mov_b32_e32 v9, v71
	v_mov_b32_e32 v10, v72
	v_mov_b32_e32 v11, v73
	v_mov_b32_e32 v12, v74
	v_mov_b32_e32 v13, v75
	v_mov_b32_e32 v14, v76
	v_mov_b32_e32 v15, v77
	v_mov_b32_e32 v16, v78
	v_mov_b32_e32 v17, v79
	v_mov_b32_e32 v18, v80
	v_mov_b32_e32 v19, v81
	v_mov_b32_e32 v20, v82
	v_mov_b32_e32 v21, v83
	v_mov_b32_e32 v22, v84
	v_mov_b32_e32 v23, v85
	v_mov_b32_e32 v24, v86
	v_mov_b32_e32 v25, v87
	v_mov_b32_e32 v26, v88
	v_mov_b32_e32 v27, v89
	v_mov_b32_e32 v28, v90
	scratch_store_dwordx4 off, v[4:7], off offset:784 ; 16-byte Folded Spill
	s_nop 0
	scratch_store_dwordx4 off, v[8:11], off offset:800 ; 16-byte Folded Spill
	scratch_store_dwordx4 off, v[12:15], off offset:816 ; 16-byte Folded Spill
	;; [unrolled: 1-line block ×7, first 2 shown]
	v_mov_b32_e32 v146, v82
	v_mov_b32_e32 v147, v83
	v_mov_b32_e32 v148, v84
	v_mov_b32_e32 v149, v85
	v_mov_b32_e32 v150, v86
	v_mov_b32_e32 v151, v87
	v_mov_b32_e32 v152, v88
	v_mov_b32_e32 v153, v89
	v_mov_b32_e32 v154, v90
	s_waitcnt vmcnt(8)
	v_mov_b64_e32 v[112:113], v[96:97]
	v_mov_b32_e32 v130, v66
	v_mov_b32_e32 v131, v67
	;; [unrolled: 1-line block ×16, first 2 shown]
	v_mov_b64_e32 v[110:111], v[94:95]
	v_mov_b64_e32 v[108:109], v[92:93]
	;; [unrolled: 1-line block ×31, first 2 shown]
	v_mov_b32_e32 v1, v32
	scratch_store_dwordx2 off, v[0:1], off offset:264 ; 8-byte Folded Spill
.LBB58_443:
	s_or_b64 exec, exec, s[0:1]
	s_barrier
	scratch_load_dword v0, off, off offset:4 ; 4-byte Folded Reload
	s_cmp_lt_i32 s22, 28
	s_waitcnt vmcnt(0)
	v_lshl_add_u32 v30, v0, 2, v254
	ds_write_b32 v30, v162
	s_waitcnt lgkmcnt(0)
	s_barrier
	ds_read_b32 v32, v254 offset:104
	v_mov_b32_e32 v30, 26
	s_cbranch_scc1 .LBB58_446
; %bb.444:
	v_add_u32_e32 v31, 0x6c, v254
	v_mov_b32_e32 v30, 26
	s_mov_b32 s0, 27
.LBB58_445:                             ; =>This Inner Loop Header: Depth=1
	ds_read_b32 v62, v31
	v_mov_b32_e32 v63, s0
	s_add_i32 s0, s0, 1
	v_add_u32_e32 v31, 4, v31
	s_cmp_lg_u32 s22, s0
	s_waitcnt lgkmcnt(0)
	v_cmp_lt_f32_e64 vcc, |v32|, |v62|
	s_nop 1
	v_cndmask_b32_e32 v32, v32, v62, vcc
	v_cndmask_b32_e32 v30, v30, v63, vcc
	s_cbranch_scc1 .LBB58_445
.LBB58_446:
	s_waitcnt lgkmcnt(0)
	v_cmp_eq_f32_e32 vcc, 0, v32
	s_and_saveexec_b64 s[0:1], vcc
	s_xor_b64 s[0:1], exec, s[0:1]
; %bb.447:
	v_cmp_ne_u32_e32 vcc, 0, v246
	s_nop 1
	v_cndmask_b32_e32 v246, 27, v246, vcc
; %bb.448:
	s_andn2_saveexec_b64 s[0:1], s[0:1]
	s_cbranch_execz .LBB58_450
; %bb.449:
	v_div_scale_f32 v31, s[2:3], v32, v32, 1.0
	v_rcp_f32_e32 v62, v31
	v_div_scale_f32 v63, vcc, 1.0, v32, 1.0
	v_fma_f32 v64, -v31, v62, 1.0
	v_fmac_f32_e32 v62, v64, v62
	v_mul_f32_e32 v64, v63, v62
	v_fma_f32 v65, -v31, v64, v63
	v_fmac_f32_e32 v64, v65, v62
	v_fma_f32 v31, -v31, v64, v63
	v_div_fmas_f32 v31, v31, v62, v64
	v_div_fixup_f32 v32, v31, v32, 1.0
.LBB58_450:
	s_or_b64 exec, exec, s[0:1]
	scratch_load_dword v0, off, off offset:4 ; 4-byte Folded Reload
	s_waitcnt vmcnt(0)
	v_cmp_ne_u32_e32 vcc, v0, v30
	s_and_saveexec_b64 s[0:1], vcc
	s_xor_b64 s[0:1], exec, s[0:1]
	s_cbranch_execz .LBB58_456
; %bb.451:
	scratch_load_dword v0, off, off offset:4 ; 4-byte Folded Reload
	s_waitcnt vmcnt(0)
	v_cmp_eq_u32_e32 vcc, 26, v0
	s_and_saveexec_b64 s[2:3], vcc
	s_cbranch_execz .LBB58_455
; %bb.452:
	v_cmp_ne_u32_e32 vcc, 26, v30
	s_xor_b64 s[18:19], s[16:17], -1
	s_and_b64 s[20:21], s[18:19], vcc
	s_and_saveexec_b64 s[18:19], s[20:21]
	s_cbranch_execz .LBB58_454
; %bb.453:
	s_movk_i32 s20, 0x1498
	scratch_load_dwordx2 v[0:1], off, s20   ; 8-byte Folded Reload
	v_ashrrev_i32_e32 v31, 31, v30
	s_waitcnt vmcnt(0)
	v_lshl_add_u64 v[62:63], v[30:31], 2, v[0:1]
	global_load_dword v31, v[62:63], off
	global_load_dword v64, v[0:1], off offset:104
	s_waitcnt vmcnt(1)
	global_store_dword v[0:1], v31, off offset:104
	s_waitcnt vmcnt(1)
	global_store_dword v[62:63], v64, off
.LBB58_454:
	s_or_b64 exec, exec, s[18:19]
	v_mov_b32_e32 v0, v30
	scratch_store_dword off, v0, off offset:2704 ; 4-byte Folded Spill
	scratch_store_dword off, v0, off offset:4 ; 4-byte Folded Spill
.LBB58_455:
	s_or_b64 exec, exec, s[2:3]
.LBB58_456:
	s_andn2_saveexec_b64 s[0:1], s[0:1]
	s_cbranch_execz .LBB58_458
; %bb.457:
	v_mov_b32_e32 v0, 26
	ds_write2_b32 v254, v191, v192 offset0:27 offset1:28
	ds_write_b32 v254, v33 offset:116
	scratch_store_dword off, v0, off offset:4 ; 4-byte Folded Spill
.LBB58_458:
	s_or_b64 exec, exec, s[0:1]
	s_waitcnt lgkmcnt(0)
	s_barrier
	scratch_load_dword v0, off, off offset:4 ; 4-byte Folded Reload
	s_waitcnt vmcnt(0)
	v_cmp_lt_i32_e32 vcc, 26, v0
	s_and_saveexec_b64 s[0:1], vcc
	s_cbranch_execz .LBB58_460
; %bb.459:
	ds_read2_b32 v[0:1], v254 offset0:27 offset1:28
	ds_read_b32 v4, v254 offset:116
	v_mul_f32_e32 v108, v162, v32
	v_mov_b32_e32 v3, v192
	v_mov_b32_e32 v2, v191
	s_waitcnt lgkmcnt(1)
	v_pk_fma_f32 v[0:1], v[108:109], v[0:1], v[2:3] op_sel_hi:[0,1,1] neg_lo:[1,0,0] neg_hi:[1,0,0]
	v_mov_b32_e32 v193, v33
	v_mov_b32_e32 v109, v0
	s_waitcnt lgkmcnt(0)
	v_fma_f32 v193, -v108, v4, v193
	v_mov_b32_e32 v164, v82
	v_mov_b32_e32 v165, v83
	;; [unrolled: 1-line block ×27, first 2 shown]
	scratch_store_dwordx4 off, v[82:85], off offset:784 ; 16-byte Folded Spill
	s_nop 0
	scratch_store_dwordx4 off, v[86:89], off offset:800 ; 16-byte Folded Spill
	scratch_store_dwordx4 off, v[90:93], off offset:816 ; 16-byte Folded Spill
	;; [unrolled: 1-line block ×7, first 2 shown]
	v_mov_b32_e32 v191, v0
	v_mov_b32_e32 v192, v1
	;; [unrolled: 1-line block ×3, first 2 shown]
	scratch_store_dwordx2 off, v[0:1], off offset:264 ; 8-byte Folded Spill
	v_mov_b64_e32 v[160:161], v[112:113]
	v_mov_b64_e32 v[156:157], v[108:109]
	v_mov_b64_e32 v[158:159], v[110:111]
	v_mov_b64_e32 v[154:155], v[106:107]
	v_mov_b64_e32 v[152:153], v[104:105]
	v_mov_b64_e32 v[150:151], v[102:103]
	v_mov_b64_e32 v[148:149], v[100:101]
	v_mov_b64_e32 v[146:147], v[98:99]
	v_mov_b64_e32 v[144:145], v[96:97]
	v_mov_b64_e32 v[142:143], v[94:95]
	v_mov_b64_e32 v[140:141], v[92:93]
	v_mov_b64_e32 v[138:139], v[90:91]
	v_mov_b64_e32 v[136:137], v[88:89]
	v_mov_b64_e32 v[134:135], v[86:87]
	v_mov_b64_e32 v[132:133], v[84:85]
	v_mov_b64_e32 v[130:131], v[82:83]
	v_mov_b32_e32 v157, v0
.LBB58_460:
	s_or_b64 exec, exec, s[0:1]
	s_barrier
	scratch_load_dword v0, off, off offset:4 ; 4-byte Folded Reload
	s_cmp_lt_i32 s22, 29
	s_waitcnt vmcnt(0)
	v_lshl_add_u32 v30, v0, 2, v254
	ds_write_b32 v30, v157
	s_waitcnt lgkmcnt(0)
	s_barrier
	ds_read_b32 v32, v254 offset:108
	v_mov_b32_e32 v30, 27
	s_cbranch_scc1 .LBB58_463
; %bb.461:
	v_add_u32_e32 v31, 0x70, v254
	v_mov_b32_e32 v30, 27
	s_mov_b32 s0, 28
.LBB58_462:                             ; =>This Inner Loop Header: Depth=1
	ds_read_b32 v62, v31
	v_mov_b32_e32 v63, s0
	s_add_i32 s0, s0, 1
	v_add_u32_e32 v31, 4, v31
	s_cmp_lg_u32 s22, s0
	s_waitcnt lgkmcnt(0)
	v_cmp_lt_f32_e64 vcc, |v32|, |v62|
	s_nop 1
	v_cndmask_b32_e32 v32, v32, v62, vcc
	v_cndmask_b32_e32 v30, v30, v63, vcc
	s_cbranch_scc1 .LBB58_462
.LBB58_463:
	s_waitcnt lgkmcnt(0)
	v_cmp_eq_f32_e32 vcc, 0, v32
	s_and_saveexec_b64 s[0:1], vcc
	s_xor_b64 s[0:1], exec, s[0:1]
; %bb.464:
	v_cmp_ne_u32_e32 vcc, 0, v246
	s_nop 1
	v_cndmask_b32_e32 v246, 28, v246, vcc
; %bb.465:
	s_andn2_saveexec_b64 s[0:1], s[0:1]
	s_cbranch_execz .LBB58_467
; %bb.466:
	v_div_scale_f32 v31, s[2:3], v32, v32, 1.0
	v_rcp_f32_e32 v62, v31
	v_div_scale_f32 v63, vcc, 1.0, v32, 1.0
	v_fma_f32 v64, -v31, v62, 1.0
	v_fmac_f32_e32 v62, v64, v62
	v_mul_f32_e32 v64, v63, v62
	v_fma_f32 v65, -v31, v64, v63
	v_fmac_f32_e32 v64, v65, v62
	v_fma_f32 v31, -v31, v64, v63
	v_div_fmas_f32 v31, v31, v62, v64
	v_div_fixup_f32 v32, v31, v32, 1.0
.LBB58_467:
	s_or_b64 exec, exec, s[0:1]
	scratch_load_dword v0, off, off offset:4 ; 4-byte Folded Reload
	s_waitcnt vmcnt(0)
	v_cmp_ne_u32_e32 vcc, v0, v30
	s_and_saveexec_b64 s[0:1], vcc
	s_xor_b64 s[0:1], exec, s[0:1]
	s_cbranch_execz .LBB58_473
; %bb.468:
	scratch_load_dword v0, off, off offset:4 ; 4-byte Folded Reload
	s_waitcnt vmcnt(0)
	v_cmp_eq_u32_e32 vcc, 27, v0
	s_and_saveexec_b64 s[2:3], vcc
	s_cbranch_execz .LBB58_472
; %bb.469:
	v_cmp_ne_u32_e32 vcc, 27, v30
	s_xor_b64 s[18:19], s[16:17], -1
	s_and_b64 s[20:21], s[18:19], vcc
	s_and_saveexec_b64 s[18:19], s[20:21]
	s_cbranch_execz .LBB58_471
; %bb.470:
	s_movk_i32 s20, 0x1498
	scratch_load_dwordx2 v[0:1], off, s20   ; 8-byte Folded Reload
	v_ashrrev_i32_e32 v31, 31, v30
	s_waitcnt vmcnt(0)
	v_lshl_add_u64 v[62:63], v[30:31], 2, v[0:1]
	global_load_dword v31, v[62:63], off
	global_load_dword v64, v[0:1], off offset:108
	s_waitcnt vmcnt(1)
	global_store_dword v[0:1], v31, off offset:108
	s_waitcnt vmcnt(1)
	global_store_dword v[62:63], v64, off
.LBB58_471:
	s_or_b64 exec, exec, s[18:19]
	v_mov_b32_e32 v0, v30
	scratch_store_dword off, v0, off offset:2704 ; 4-byte Folded Spill
	scratch_store_dword off, v0, off offset:4 ; 4-byte Folded Spill
.LBB58_472:
	s_or_b64 exec, exec, s[2:3]
.LBB58_473:
	s_andn2_saveexec_b64 s[0:1], s[0:1]
	s_cbranch_execz .LBB58_475
; %bb.474:
	v_mov_b32_e32 v0, 27
	ds_write2_b32 v254, v192, v193 offset0:28 offset1:29
	scratch_store_dword off, v0, off offset:4 ; 4-byte Folded Spill
.LBB58_475:
	s_or_b64 exec, exec, s[0:1]
	s_waitcnt lgkmcnt(0)
	s_barrier
	scratch_load_dword v0, off, off offset:4 ; 4-byte Folded Reload
	s_waitcnt vmcnt(0)
	v_cmp_lt_i32_e32 vcc, 27, v0
	s_and_saveexec_b64 s[0:1], vcc
	s_cbranch_execz .LBB58_477
; %bb.476:
	ds_read2_b32 v[0:1], v254 offset0:28 offset1:29
	v_mul_f32_e32 v2, v157, v32
	v_mov_b32_e32 v4, v192
	v_mov_b32_e32 v5, v193
	;; [unrolled: 1-line block ×3, first 2 shown]
	s_waitcnt lgkmcnt(0)
	v_pk_fma_f32 v[32:33], v[2:3], v[0:1], v[4:5] op_sel_hi:[0,1,1] neg_lo:[1,0,0] neg_hi:[1,0,0]
	v_mov_b32_e32 v4, v130
	v_mov_b32_e32 v5, v131
	;; [unrolled: 1-line block ×27, first 2 shown]
	v_mov_b64_e32 v[194:195], v[34:35]
	v_mov_b32_e32 v157, v2
	v_mov_b64_e32 v[192:193], v[32:33]
	v_mov_b64_e32 v[190:191], v[30:31]
	;; [unrolled: 1-line block ×15, first 2 shown]
	v_mov_b32_e32 v1, v32
	scratch_store_dwordx4 off, v[130:133], off offset:784 ; 16-byte Folded Spill
	s_nop 0
	scratch_store_dwordx4 off, v[134:137], off offset:800 ; 16-byte Folded Spill
	scratch_store_dwordx4 off, v[138:141], off offset:816 ; 16-byte Folded Spill
	scratch_store_dwordx4 off, v[142:145], off offset:832 ; 16-byte Folded Spill
	scratch_store_dwordx4 off, v[146:149], off offset:848 ; 16-byte Folded Spill
	scratch_store_dwordx4 off, v[150:153], off offset:864 ; 16-byte Folded Spill
	scratch_store_dwordx4 off, v[154:157], off offset:880 ; 16-byte Folded Spill
	scratch_store_dwordx4 off, v[158:161], off offset:896 ; 16-byte Folded Spill
	scratch_store_dwordx2 off, v[0:1], off offset:264 ; 8-byte Folded Spill
.LBB58_477:
	s_or_b64 exec, exec, s[0:1]
	s_barrier
	scratch_load_dword v0, off, off offset:4 ; 4-byte Folded Reload
	s_cmp_lt_i32 s22, 30
	s_waitcnt vmcnt(0)
	v_lshl_add_u32 v30, v0, 2, v254
	scratch_load_dwordx2 v[0:1], off, off offset:264 ; 8-byte Folded Reload
	s_waitcnt vmcnt(0)
	ds_write_b32 v30, v1
	s_waitcnt lgkmcnt(0)
	s_barrier
	ds_read_b32 v32, v254 offset:112
	v_mov_b32_e32 v30, 28
	s_cbranch_scc1 .LBB58_480
; %bb.478:
	v_add_u32_e32 v31, 0x74, v254
	v_mov_b32_e32 v30, 28
	s_mov_b32 s0, 29
.LBB58_479:                             ; =>This Inner Loop Header: Depth=1
	ds_read_b32 v62, v31
	v_mov_b32_e32 v63, s0
	s_add_i32 s0, s0, 1
	v_add_u32_e32 v31, 4, v31
	s_cmp_lg_u32 s22, s0
	s_waitcnt lgkmcnt(0)
	v_cmp_lt_f32_e64 vcc, |v32|, |v62|
	s_nop 1
	v_cndmask_b32_e32 v32, v32, v62, vcc
	v_cndmask_b32_e32 v30, v30, v63, vcc
	s_cbranch_scc1 .LBB58_479
.LBB58_480:
	s_waitcnt lgkmcnt(0)
	v_cmp_eq_f32_e32 vcc, 0, v32
	s_and_saveexec_b64 s[0:1], vcc
	s_xor_b64 s[0:1], exec, s[0:1]
; %bb.481:
	v_cmp_ne_u32_e32 vcc, 0, v246
	s_nop 1
	v_cndmask_b32_e32 v246, 29, v246, vcc
; %bb.482:
	s_andn2_saveexec_b64 s[0:1], s[0:1]
	s_cbranch_execz .LBB58_484
; %bb.483:
	v_div_scale_f32 v31, s[2:3], v32, v32, 1.0
	v_rcp_f32_e32 v62, v31
	v_div_scale_f32 v63, vcc, 1.0, v32, 1.0
	v_fma_f32 v64, -v31, v62, 1.0
	v_fmac_f32_e32 v62, v64, v62
	v_mul_f32_e32 v64, v63, v62
	v_fma_f32 v65, -v31, v64, v63
	v_fmac_f32_e32 v64, v65, v62
	v_fma_f32 v31, -v31, v64, v63
	v_div_fmas_f32 v31, v31, v62, v64
	v_div_fixup_f32 v32, v31, v32, 1.0
.LBB58_484:
	s_or_b64 exec, exec, s[0:1]
	scratch_load_dword v0, off, off offset:4 ; 4-byte Folded Reload
	s_waitcnt vmcnt(0)
	v_cmp_ne_u32_e32 vcc, v0, v30
	s_and_saveexec_b64 s[0:1], vcc
	s_xor_b64 s[0:1], exec, s[0:1]
	s_cbranch_execz .LBB58_490
; %bb.485:
	scratch_load_dword v0, off, off offset:4 ; 4-byte Folded Reload
	s_waitcnt vmcnt(0)
	v_cmp_eq_u32_e32 vcc, 28, v0
	s_and_saveexec_b64 s[2:3], vcc
	s_cbranch_execz .LBB58_489
; %bb.486:
	v_cmp_ne_u32_e32 vcc, 28, v30
	s_xor_b64 s[18:19], s[16:17], -1
	s_and_b64 s[20:21], s[18:19], vcc
	s_and_saveexec_b64 s[18:19], s[20:21]
	s_cbranch_execz .LBB58_488
; %bb.487:
	s_movk_i32 s20, 0x1498
	scratch_load_dwordx2 v[0:1], off, s20   ; 8-byte Folded Reload
	v_ashrrev_i32_e32 v31, 31, v30
	s_waitcnt vmcnt(0)
	v_lshl_add_u64 v[62:63], v[30:31], 2, v[0:1]
	global_load_dword v31, v[62:63], off
	global_load_dword v64, v[0:1], off offset:112
	s_waitcnt vmcnt(1)
	global_store_dword v[0:1], v31, off offset:112
	s_waitcnt vmcnt(1)
	global_store_dword v[62:63], v64, off
.LBB58_488:
	s_or_b64 exec, exec, s[18:19]
	v_mov_b32_e32 v0, v30
	scratch_store_dword off, v0, off offset:2704 ; 4-byte Folded Spill
	scratch_store_dword off, v0, off offset:4 ; 4-byte Folded Spill
.LBB58_489:
	s_or_b64 exec, exec, s[2:3]
.LBB58_490:
	s_andn2_saveexec_b64 s[0:1], s[0:1]
	s_cbranch_execz .LBB58_492
; %bb.491:
	v_mov_b32_e32 v0, 28
	ds_write_b32 v254, v33 offset:116
	scratch_store_dword off, v0, off offset:4 ; 4-byte Folded Spill
.LBB58_492:
	s_or_b64 exec, exec, s[0:1]
	s_waitcnt lgkmcnt(0)
	s_barrier
	scratch_load_dword v0, off, off offset:4 ; 4-byte Folded Reload
	s_waitcnt vmcnt(0)
	v_cmp_lt_i32_e32 vcc, 28, v0
	s_and_saveexec_b64 s[0:1], vcc
	s_cbranch_execz .LBB58_494
; %bb.493:
	ds_read_b32 v0, v254 offset:116
	scratch_load_dwordx4 v[34:37], off, off offset:784 ; 16-byte Folded Reload
	scratch_load_dwordx4 v[38:41], off, off offset:800 ; 16-byte Folded Reload
	;; [unrolled: 1-line block ×8, first 2 shown]
	scratch_load_dwordx2 v[2:3], off, off offset:264 ; 8-byte Folded Reload
	s_waitcnt vmcnt(5)
	v_mov_b64_e32 v[4:5], v[34:35]
	v_mov_b64_e32 v[6:7], v[36:37]
	;; [unrolled: 1-line block ×3, first 2 shown]
	s_waitcnt vmcnt(2)
	v_mov_b64_e32 v[20:21], v[50:51]
	v_mov_b64_e32 v[10:11], v[40:41]
	s_waitcnt vmcnt(0)
	v_mul_f32_e32 v32, v3, v32
	v_mov_b64_e32 v[12:13], v[42:43]
	v_mov_b64_e32 v[14:15], v[44:45]
	;; [unrolled: 1-line block ×9, first 2 shown]
	s_waitcnt lgkmcnt(0)
	v_fma_f32 v33, -v32, v0, v33
	v_mov_b64_e32 v[194:195], v[34:35]
	v_mov_b64_e32 v[192:193], v[32:33]
	;; [unrolled: 1-line block ×16, first 2 shown]
.LBB58_494:
	s_or_b64 exec, exec, s[0:1]
	s_barrier
	scratch_load_dword v0, off, off offset:4 ; 4-byte Folded Reload
	s_cmp_lt_i32 s22, 31
	s_waitcnt vmcnt(0)
	v_lshl_add_u32 v30, v0, 2, v254
	ds_write_b32 v30, v33
	s_waitcnt lgkmcnt(0)
	s_barrier
	ds_read_b32 v32, v254 offset:116
	v_mov_b32_e32 v30, 29
	s_cbranch_scc1 .LBB58_497
; %bb.495:
	v_add_u32_e32 v31, 0x78, v254
	v_mov_b32_e32 v30, 29
	s_mov_b32 s0, 30
.LBB58_496:                             ; =>This Inner Loop Header: Depth=1
	ds_read_b32 v34, v31
	v_mov_b32_e32 v35, s0
	s_add_i32 s0, s0, 1
	v_add_u32_e32 v31, 4, v31
	s_cmp_lg_u32 s22, s0
	s_waitcnt lgkmcnt(0)
	v_cmp_lt_f32_e64 vcc, |v32|, |v34|
	s_nop 1
	v_cndmask_b32_e32 v32, v32, v34, vcc
	v_cndmask_b32_e32 v30, v30, v35, vcc
	s_cbranch_scc1 .LBB58_496
.LBB58_497:
	s_waitcnt lgkmcnt(0)
	v_cmp_eq_f32_e32 vcc, 0, v32
	s_and_saveexec_b64 s[0:1], vcc
	s_xor_b64 s[0:1], exec, s[0:1]
; %bb.498:
	v_cmp_ne_u32_e32 vcc, 0, v246
	s_nop 1
	v_cndmask_b32_e32 v246, 30, v246, vcc
; %bb.499:
	s_andn2_saveexec_b64 s[0:1], s[0:1]
	s_cbranch_execz .LBB58_501
; %bb.500:
	v_div_scale_f32 v31, s[2:3], v32, v32, 1.0
	v_rcp_f32_e32 v34, v31
	v_div_scale_f32 v35, vcc, 1.0, v32, 1.0
	v_fma_f32 v36, -v31, v34, 1.0
	v_fmac_f32_e32 v34, v36, v34
	v_mul_f32_e32 v36, v35, v34
	v_fma_f32 v37, -v31, v36, v35
	v_fmac_f32_e32 v36, v37, v34
	v_fma_f32 v31, -v31, v36, v35
	v_div_fmas_f32 v31, v31, v34, v36
	v_div_fixup_f32 v32, v31, v32, 1.0
.LBB58_501:
	s_or_b64 exec, exec, s[0:1]
	scratch_load_dword v0, off, off offset:4 ; 4-byte Folded Reload
	v_mov_b32_e32 v34, 29
	s_waitcnt vmcnt(0)
	v_cmp_ne_u32_e32 vcc, v0, v30
	s_and_saveexec_b64 s[0:1], vcc
	s_cbranch_execz .LBB58_507
; %bb.502:
	scratch_load_dword v0, off, off offset:4 ; 4-byte Folded Reload
	s_waitcnt vmcnt(0)
	v_cmp_eq_u32_e32 vcc, 29, v0
	s_and_saveexec_b64 s[2:3], vcc
	s_cbranch_execz .LBB58_506
; %bb.503:
	v_cmp_ne_u32_e32 vcc, 29, v30
	s_xor_b64 s[16:17], s[16:17], -1
	s_and_b64 s[18:19], s[16:17], vcc
	s_and_saveexec_b64 s[16:17], s[18:19]
	s_cbranch_execz .LBB58_505
; %bb.504:
	s_movk_i32 s18, 0x1498
	scratch_load_dwordx2 v[0:1], off, s18   ; 8-byte Folded Reload
	v_ashrrev_i32_e32 v31, 31, v30
	s_waitcnt vmcnt(0)
	v_lshl_add_u64 v[34:35], v[30:31], 2, v[0:1]
	global_load_dword v31, v[34:35], off
	global_load_dword v36, v[0:1], off offset:116
	s_waitcnt vmcnt(1)
	global_store_dword v[0:1], v31, off offset:116
	s_waitcnt vmcnt(1)
	global_store_dword v[34:35], v36, off
.LBB58_505:
	s_or_b64 exec, exec, s[16:17]
	v_mov_b32_e32 v0, v30
	scratch_store_dword off, v0, off offset:2704 ; 4-byte Folded Spill
	scratch_store_dword off, v0, off offset:4 ; 4-byte Folded Spill
.LBB58_506:
	s_or_b64 exec, exec, s[2:3]
	scratch_load_dword v34, off, off offset:4 ; 4-byte Folded Reload
.LBB58_507:
	s_or_b64 exec, exec, s[0:1]
	s_waitcnt vmcnt(0)
	v_cmp_gt_i32_e32 vcc, 30, v34
	v_ashrrev_i32_e32 v35, 31, v34
	s_barrier
	s_barrier
	s_and_saveexec_b64 s[0:1], vcc
	s_cbranch_execz .LBB58_509
; %bb.508:
	s_movk_i32 s2, 0x17a0
	scratch_load_dwordx2 v[0:1], off, s2    ; 8-byte Folded Reload
	v_mov_b32_e32 v30, s6
	v_mov_b32_e32 v31, s7
	s_waitcnt vmcnt(0)
	v_mul_lo_u32 v38, s11, v0
	v_mad_u64_u32 v[36:37], s[2:3], s10, v0, 0
	scratch_load_dword v0, off, off offset:2704 ; 4-byte Folded Reload
	v_mul_lo_u32 v39, s10, v1
	v_add3_u32 v37, v37, v39, v38
	v_lshl_add_u64 v[30:31], v[36:37], 2, v[30:31]
	v_lshl_add_u64 v[30:31], s[8:9], 2, v[30:31]
	;; [unrolled: 1-line block ×3, first 2 shown]
	s_waitcnt vmcnt(0)
	v_add3_u32 v36, v0, s15, 1
	global_store_dword v[30:31], v36, off
.LBB58_509:
	s_or_b64 exec, exec, s[0:1]
	v_cmp_eq_u32_e32 vcc, 0, v34
	s_and_saveexec_b64 s[2:3], vcc
	s_cbranch_execz .LBB58_512
; %bb.510:
	s_movk_i32 s0, 0x17a0
	scratch_load_dwordx2 v[0:1], off, s0    ; 8-byte Folded Reload
	v_mov_b32_e32 v30, s4
	v_mov_b32_e32 v31, s5
	v_cmp_ne_u32_e64 s[0:1], 0, v246
	s_waitcnt vmcnt(0)
	v_lshl_add_u64 v[30:31], v[0:1], 2, v[30:31]
	global_load_dword v36, v[30:31], off
	s_waitcnt vmcnt(0)
	v_cmp_eq_u32_e32 vcc, 0, v36
	s_and_b64 s[0:1], vcc, s[0:1]
	s_and_b64 exec, exec, s[0:1]
	s_cbranch_execz .LBB58_512
; %bb.511:
	v_add_u32_e32 v36, s15, v246
	global_store_dword v[30:31], v36, off
.LBB58_512:
	s_or_b64 exec, exec, s[2:3]
	s_movk_i32 s0, 0x17a8
	scratch_load_dwordx2 v[4:5], off, s0    ; 8-byte Folded Reload
	v_mul_f32_e32 v30, v33, v32
	v_cmp_lt_i32_e32 vcc, 29, v34
	v_add_u32_e32 v0, s14, v34
	v_ashrrev_i32_e32 v1, 31, v0
	v_cndmask_b32_e32 v29, v193, v30, vcc
	s_waitcnt vmcnt(0)
	v_lshl_add_u64 v[30:31], v[34:35], 2, v[4:5]
	global_store_dword v[30:31], v164, off
	v_lshl_add_u64 v[30:31], s[12:13], 2, v[30:31]
	global_store_dword v[30:31], v165, off
	v_lshl_add_u64 v[30:31], v[0:1], 2, v[4:5]
	v_add_u32_e32 v0, s12, v0
	v_ashrrev_i32_e32 v1, 31, v0
	global_store_dword v[30:31], v166, off
	v_lshl_add_u64 v[30:31], v[0:1], 2, v[4:5]
	v_add_u32_e32 v0, s12, v0
	v_ashrrev_i32_e32 v1, 31, v0
	v_lshl_add_u64 v[2:3], v[0:1], 2, v[4:5]
	v_add_u32_e32 v0, s12, v0
	v_ashrrev_i32_e32 v1, 31, v0
	global_store_dword v[30:31], v167, off
	global_store_dword v[2:3], v168, off
	v_lshl_add_u64 v[2:3], v[0:1], 2, v[4:5]
	v_add_u32_e32 v0, s12, v0
	v_ashrrev_i32_e32 v1, 31, v0
	global_store_dword v[2:3], v169, off
	v_lshl_add_u64 v[2:3], v[0:1], 2, v[4:5]
	v_add_u32_e32 v0, s12, v0
	v_ashrrev_i32_e32 v1, 31, v0
	;; [unrolled: 4-line block ×24, first 2 shown]
	v_lshl_add_u64 v[0:1], v[0:1], 2, v[4:5]
	global_store_dword v[2:3], v192, off
	global_store_dword v[0:1], v29, off
.LBB58_513:
	s_endpgm
.LBB58_514:
	v_mov_b32_e32 v67, v89
	v_mov_b32_e32 v12, v80
	;; [unrolled: 1-line block ×5, first 2 shown]
	s_waitcnt lgkmcnt(0)
	v_cmp_eq_f32_e32 vcc, 0, v32
	s_and_saveexec_b64 s[0:1], vcc
	s_xor_b64 s[0:1], exec, s[0:1]
	s_cbranch_execnz .LBB58_141
	s_branch .LBB58_142
.LBB58_515:
	v_mov_b32_e32 v68, v84
	v_mov_b32_e32 v11, v85
	s_waitcnt lgkmcnt(0)
	v_cmp_eq_f32_e32 vcc, 0, v32
	s_and_saveexec_b64 s[0:1], vcc
	s_xor_b64 s[0:1], exec, s[0:1]
	s_cbranch_execnz .LBB58_175
	s_branch .LBB58_176
.LBB58_516:
	v_mov_b32_e32 v17, v53
	s_waitcnt lgkmcnt(0)
	v_cmp_eq_f32_e32 vcc, 0, v32
	s_and_saveexec_b64 s[0:1], vcc
	s_xor_b64 s[0:1], exec, s[0:1]
	s_cbranch_execnz .LBB58_209
	s_branch .LBB58_210
.LBB58_517:
	v_mov_b32_e32 v15, v55
	s_waitcnt lgkmcnt(0)
	v_cmp_eq_f32_e32 vcc, 0, v32
	s_and_saveexec_b64 s[0:1], vcc
	s_xor_b64 s[0:1], exec, s[0:1]
	s_cbranch_execnz .LBB58_243
	s_branch .LBB58_244
.LBB58_518:
	scratch_load_dwordx4 v[82:85], off, off offset:1168 ; 16-byte Folded Reload
	scratch_load_dwordx4 v[86:89], off, off offset:1184 ; 16-byte Folded Reload
	;; [unrolled: 1-line block ×8, first 2 shown]
	s_waitcnt lgkmcnt(0)
	v_cmp_eq_f32_e32 vcc, 0, v32
	s_and_saveexec_b64 s[0:1], vcc
	s_xor_b64 s[0:1], exec, s[0:1]
	s_cbranch_execnz .LBB58_413
	s_branch .LBB58_414
	.section	.rodata,"a",@progbits
	.p2align	6, 0x0
	.amdhsa_kernel _ZN9rocsolver6v33100L18getf2_small_kernelILi30EfiiPfEEvT1_T3_lS3_lPS3_llPT2_S3_S3_S5_l
		.amdhsa_group_segment_fixed_size 0
		.amdhsa_private_segment_fixed_size 6064
		.amdhsa_kernarg_size 352
		.amdhsa_user_sgpr_count 2
		.amdhsa_user_sgpr_dispatch_ptr 0
		.amdhsa_user_sgpr_queue_ptr 0
		.amdhsa_user_sgpr_kernarg_segment_ptr 1
		.amdhsa_user_sgpr_dispatch_id 0
		.amdhsa_user_sgpr_kernarg_preload_length 0
		.amdhsa_user_sgpr_kernarg_preload_offset 0
		.amdhsa_user_sgpr_private_segment_size 0
		.amdhsa_uses_dynamic_stack 0
		.amdhsa_enable_private_segment 1
		.amdhsa_system_sgpr_workgroup_id_x 1
		.amdhsa_system_sgpr_workgroup_id_y 1
		.amdhsa_system_sgpr_workgroup_id_z 0
		.amdhsa_system_sgpr_workgroup_info 0
		.amdhsa_system_vgpr_workitem_id 1
		.amdhsa_next_free_vgpr 256
		.amdhsa_next_free_sgpr 28
		.amdhsa_accum_offset 256
		.amdhsa_reserve_vcc 1
		.amdhsa_float_round_mode_32 0
		.amdhsa_float_round_mode_16_64 0
		.amdhsa_float_denorm_mode_32 3
		.amdhsa_float_denorm_mode_16_64 3
		.amdhsa_dx10_clamp 1
		.amdhsa_ieee_mode 1
		.amdhsa_fp16_overflow 0
		.amdhsa_tg_split 0
		.amdhsa_exception_fp_ieee_invalid_op 0
		.amdhsa_exception_fp_denorm_src 0
		.amdhsa_exception_fp_ieee_div_zero 0
		.amdhsa_exception_fp_ieee_overflow 0
		.amdhsa_exception_fp_ieee_underflow 0
		.amdhsa_exception_fp_ieee_inexact 0
		.amdhsa_exception_int_div_zero 0
	.end_amdhsa_kernel
	.section	.text._ZN9rocsolver6v33100L18getf2_small_kernelILi30EfiiPfEEvT1_T3_lS3_lPS3_llPT2_S3_S3_S5_l,"axG",@progbits,_ZN9rocsolver6v33100L18getf2_small_kernelILi30EfiiPfEEvT1_T3_lS3_lPS3_llPT2_S3_S3_S5_l,comdat
.Lfunc_end58:
	.size	_ZN9rocsolver6v33100L18getf2_small_kernelILi30EfiiPfEEvT1_T3_lS3_lPS3_llPT2_S3_S3_S5_l, .Lfunc_end58-_ZN9rocsolver6v33100L18getf2_small_kernelILi30EfiiPfEEvT1_T3_lS3_lPS3_llPT2_S3_S3_S5_l
                                        ; -- End function
	.set _ZN9rocsolver6v33100L18getf2_small_kernelILi30EfiiPfEEvT1_T3_lS3_lPS3_llPT2_S3_S3_S5_l.num_vgpr, 256
	.set _ZN9rocsolver6v33100L18getf2_small_kernelILi30EfiiPfEEvT1_T3_lS3_lPS3_llPT2_S3_S3_S5_l.num_agpr, 0
	.set _ZN9rocsolver6v33100L18getf2_small_kernelILi30EfiiPfEEvT1_T3_lS3_lPS3_llPT2_S3_S3_S5_l.numbered_sgpr, 28
	.set _ZN9rocsolver6v33100L18getf2_small_kernelILi30EfiiPfEEvT1_T3_lS3_lPS3_llPT2_S3_S3_S5_l.num_named_barrier, 0
	.set _ZN9rocsolver6v33100L18getf2_small_kernelILi30EfiiPfEEvT1_T3_lS3_lPS3_llPT2_S3_S3_S5_l.private_seg_size, 6064
	.set _ZN9rocsolver6v33100L18getf2_small_kernelILi30EfiiPfEEvT1_T3_lS3_lPS3_llPT2_S3_S3_S5_l.uses_vcc, 1
	.set _ZN9rocsolver6v33100L18getf2_small_kernelILi30EfiiPfEEvT1_T3_lS3_lPS3_llPT2_S3_S3_S5_l.uses_flat_scratch, 0
	.set _ZN9rocsolver6v33100L18getf2_small_kernelILi30EfiiPfEEvT1_T3_lS3_lPS3_llPT2_S3_S3_S5_l.has_dyn_sized_stack, 0
	.set _ZN9rocsolver6v33100L18getf2_small_kernelILi30EfiiPfEEvT1_T3_lS3_lPS3_llPT2_S3_S3_S5_l.has_recursion, 0
	.set _ZN9rocsolver6v33100L18getf2_small_kernelILi30EfiiPfEEvT1_T3_lS3_lPS3_llPT2_S3_S3_S5_l.has_indirect_call, 0
	.section	.AMDGPU.csdata,"",@progbits
; Kernel info:
; codeLenInByte = 116088
; TotalNumSgprs: 34
; NumVgprs: 256
; NumAgprs: 0
; TotalNumVgprs: 256
; ScratchSize: 6064
; MemoryBound: 0
; FloatMode: 240
; IeeeMode: 1
; LDSByteSize: 0 bytes/workgroup (compile time only)
; SGPRBlocks: 4
; VGPRBlocks: 31
; NumSGPRsForWavesPerEU: 34
; NumVGPRsForWavesPerEU: 256
; AccumOffset: 256
; Occupancy: 2
; WaveLimiterHint : 0
; COMPUTE_PGM_RSRC2:SCRATCH_EN: 1
; COMPUTE_PGM_RSRC2:USER_SGPR: 2
; COMPUTE_PGM_RSRC2:TRAP_HANDLER: 0
; COMPUTE_PGM_RSRC2:TGID_X_EN: 1
; COMPUTE_PGM_RSRC2:TGID_Y_EN: 1
; COMPUTE_PGM_RSRC2:TGID_Z_EN: 0
; COMPUTE_PGM_RSRC2:TIDIG_COMP_CNT: 1
; COMPUTE_PGM_RSRC3_GFX90A:ACCUM_OFFSET: 63
; COMPUTE_PGM_RSRC3_GFX90A:TG_SPLIT: 0
	.section	.text._ZN9rocsolver6v33100L23getf2_npvt_small_kernelILi30EfiiPfEEvT1_T3_lS3_lPT2_S3_S3_,"axG",@progbits,_ZN9rocsolver6v33100L23getf2_npvt_small_kernelILi30EfiiPfEEvT1_T3_lS3_lPT2_S3_S3_,comdat
	.globl	_ZN9rocsolver6v33100L23getf2_npvt_small_kernelILi30EfiiPfEEvT1_T3_lS3_lPT2_S3_S3_ ; -- Begin function _ZN9rocsolver6v33100L23getf2_npvt_small_kernelILi30EfiiPfEEvT1_T3_lS3_lPT2_S3_S3_
	.p2align	8
	.type	_ZN9rocsolver6v33100L23getf2_npvt_small_kernelILi30EfiiPfEEvT1_T3_lS3_lPT2_S3_S3_,@function
_ZN9rocsolver6v33100L23getf2_npvt_small_kernelILi30EfiiPfEEvT1_T3_lS3_lPT2_S3_S3_: ; @_ZN9rocsolver6v33100L23getf2_npvt_small_kernelILi30EfiiPfEEvT1_T3_lS3_lPT2_S3_S3_
; %bb.0:
	s_load_dword s2, s[0:1], 0x44
	s_load_dwordx2 s[8:9], s[0:1], 0x30
	v_bfe_u32 v1, v0, 10, 10
	s_waitcnt lgkmcnt(0)
	s_lshr_b32 s10, s2, 16
	s_mul_i32 s3, s3, s10
	v_add_u32_e32 v4, s3, v1
	v_cmp_gt_i32_e32 vcc, s8, v4
	s_and_saveexec_b64 s[2:3], vcc
	s_cbranch_execnz .LBB59_1
; %bb.156:
	s_getpc_b64 s[0:1]
.Lpost_getpc0:
	s_add_u32 s0, s0, (.LBB59_155-.Lpost_getpc0)&4294967295
	s_addc_u32 s1, s1, (.LBB59_155-.Lpost_getpc0)>>32
	s_setpc_b64 s[0:1]
.LBB59_1:
	s_load_dwordx4 s[12:15], s[0:1], 0x8
	s_load_dword s2, s[0:1], 0x18
	s_load_dwordx4 s[4:7], s[0:1], 0x20
	v_ashrrev_i32_e32 v5, 31, v4
	s_movk_i32 s0, 0x1a88
	v_and_b32_e32 v66, 0x3ff, v0
	scratch_store_dwordx2 off, v[4:5], s0   ; 8-byte Folded Spill
	s_waitcnt lgkmcnt(0)
	v_mul_lo_u32 v0, s5, v4
	v_mul_lo_u32 v6, s4, v5
	v_mad_u64_u32 v[4:5], s[0:1], s4, v4, 0
	v_mov_b32_e32 v2, s12
	v_mov_b32_e32 v3, s13
	v_add3_u32 v5, v5, v6, v0
	v_lshl_add_u64 v[2:3], v[4:5], 2, v[2:3]
	v_lshl_add_u64 v[2:3], s[14:15], 2, v[2:3]
	v_lshlrev_b32_e32 v4, 2, v66
	v_mov_b32_e32 v5, 0
	s_add_i32 s0, s2, s2
	v_lshl_add_u64 v[30:31], v[2:3], 0, v[4:5]
	v_add_u32_e32 v4, s0, v66
	v_ashrrev_i32_e32 v5, 31, v4
	v_lshl_add_u64 v[24:25], v[4:5], 2, v[2:3]
	v_add_u32_e32 v4, s2, v4
	v_ashrrev_i32_e32 v5, 31, v4
	;; [unrolled: 3-line block ×26, first 2 shown]
	v_lshl_add_u64 v[58:59], v[4:5], 2, v[2:3]
	v_add_u32_e32 v4, s2, v4
	s_movk_i32 s0, 0x19c8
	v_ashrrev_i32_e32 v5, 31, v4
	scratch_store_dwordx2 off, v[10:11], s0 ; 8-byte Folded Spill
	s_movk_i32 s0, 0x19d0
	v_lshl_add_u64 v[60:61], v[4:5], 2, v[2:3]
	v_add_u32_e32 v4, s2, v4
	scratch_store_dwordx2 off, v[56:57], s0 ; 8-byte Folded Spill
	s_movk_i32 s0, 0x19d8
	v_ashrrev_i32_e32 v5, 31, v4
	scratch_store_dwordx2 off, v[58:59], s0 ; 8-byte Folded Spill
	s_movk_i32 s0, 0x19e0
	v_lshl_add_u64 v[62:63], v[4:5], 2, v[2:3]
	scratch_store_dwordx2 off, v[60:61], s0 ; 8-byte Folded Spill
	s_movk_i32 s0, 0x19e8
	scratch_store_dwordx2 off, v[62:63], s0 ; 8-byte Folded Spill
	s_movk_i32 s0, 0x19c0
	scratch_store_dwordx2 off, v[6:7], s0   ; 8-byte Folded Spill
	s_movk_i32 s0, 0x1988
	scratch_store_dwordx2 off, v[8:9], s0   ; 8-byte Folded Spill
	s_movk_i32 s0, 0x1990
	scratch_store_dwordx2 off, v[12:13], s0 ; 8-byte Folded Spill
	s_movk_i32 s0, 0x1998
	scratch_store_dwordx2 off, v[46:47], s0 ; 8-byte Folded Spill
	;; [unrolled: 2-line block ×13, first 2 shown]
	s_movk_i32 s0, 0x1978
	s_ashr_i32 s3, s2, 31
	scratch_store_dwordx2 off, v[44:45], s0 ; 8-byte Folded Spill
	s_movk_i32 s0, 0x1940
	v_lshl_add_u64 v[64:65], s[2:3], 2, v[30:31]
	scratch_store_dwordx2 off, v[22:23], s0 ; 8-byte Folded Spill
	s_movk_i32 s0, 0x19f0
	scratch_store_dwordx2 off, v[64:65], s0 ; 8-byte Folded Spill
	s_movk_i32 s0, 0x1910
	;; [unrolled: 2-line block ×3, first 2 shown]
	global_load_dword v2, v[10:11], off
	global_load_dword v3, v[56:57], off
	;; [unrolled: 1-line block ×5, first 2 shown]
	s_mulk_i32 s10, 0x78
	global_load_dword v59, v[62:63], off
	s_add_i32 s1, s10, 0
	global_load_dword v7, v[6:7], off
	v_lshl_add_u32 v254, v1, 2, s1
	global_load_dword v15, v[14:15], off
	v_cmp_ne_u32_e64 s[2:3], 0, v66
	global_load_dword v16, v[16:17], off
	s_nop 0
	global_load_dword v17, v[18:19], off
	s_nop 0
	;; [unrolled: 2-line block ×3, first 2 shown]
	global_load_dword v10, v[8:9], off
	global_load_dword v11, v[12:13], off
	;; [unrolled: 1-line block ×11, first 2 shown]
	s_nop 0
	global_load_dword v28, v[64:65], off
	global_load_dword v29, v[24:25], off
	global_load_dword v20, v[40:41], off
	global_load_dword v21, v[42:43], off
	s_nop 0
	scratch_store_dwordx2 off, v[26:27], s0 ; 8-byte Folded Spill
	global_load_dword v24, v[26:27], off
	global_load_dword v25, v[32:33], off
	s_movk_i32 s0, 0x1920
	global_load_dword v26, v[34:35], off
	global_load_dword v27, v[36:37], off
	s_nop 0
	scratch_store_dwordx2 off, v[32:33], s0 ; 8-byte Folded Spill
	s_movk_i32 s0, 0x1928
	scratch_store_dwordx2 off, v[34:35], s0 ; 8-byte Folded Spill
	s_movk_i32 s0, 0x1930
	;; [unrolled: 2-line block ×5, first 2 shown]
	v_mad_u32_u24 v0, v1, s0, 0
	v_cmp_eq_u32_e64 s[0:1], 0, v66
	scratch_store_dword off, v0, off offset:388 ; 4-byte Folded Spill
	s_and_saveexec_b64 s[4:5], s[0:1]
	s_cbranch_execz .LBB59_4
; %bb.2:
	scratch_load_dword v0, off, off offset:388 ; 4-byte Folded Reload
	s_waitcnt vmcnt(34)
	ds_write_b32 v254, v174
	s_waitcnt vmcnt(0)
	ds_write2_b32 v0, v28, v29 offset0:1 offset1:2
	ds_write2_b32 v0, v24, v25 offset0:3 offset1:4
	;; [unrolled: 1-line block ×14, first 2 shown]
	ds_write_b32 v0, v59 offset:116
	ds_read_b32 v1, v254
	s_waitcnt lgkmcnt(0)
	v_cmp_neq_f32_e32 vcc, 0, v1
	s_and_b64 exec, exec, vcc
	s_cbranch_execz .LBB59_4
; %bb.3:
	v_div_scale_f32 v30, s[10:11], v1, v1, 1.0
	v_rcp_f32_e32 v31, v30
	v_div_scale_f32 v32, vcc, 1.0, v1, 1.0
	v_fma_f32 v33, -v30, v31, 1.0
	v_fmac_f32_e32 v31, v33, v31
	v_mul_f32_e32 v33, v32, v31
	v_fma_f32 v34, -v30, v33, v32
	v_fmac_f32_e32 v33, v34, v31
	v_fma_f32 v30, -v30, v33, v32
	v_div_fmas_f32 v30, v30, v31, v33
	v_div_fixup_f32 v1, v30, v1, 1.0
	ds_write_b32 v254, v1
.LBB59_4:
	s_or_b64 exec, exec, s[4:5]
	s_waitcnt lgkmcnt(0)
	s_barrier
	ds_read_b32 v1, v254
	s_movk_i32 s4, 0x19f8
                                        ; implicit-def: $vgpr61
                                        ; implicit-def: $vgpr57
                                        ; implicit-def: $vgpr54
                                        ; implicit-def: $vgpr30
                                        ; implicit-def: $vgpr149
                                        ; implicit-def: $vgpr112
                                        ; implicit-def: $vgpr51
                                        ; implicit-def: $vgpr50
                                        ; implicit-def: $vgpr55
                                        ; implicit-def: $vgpr150
                                        ; implicit-def: $vgpr47
                                        ; implicit-def: $vgpr46
                                        ; implicit-def: $vgpr45
                                        ; implicit-def: $vgpr166
                                        ; implicit-def: $vgpr53
                                        ; implicit-def: $vgpr44
                                        ; implicit-def: $vgpr105
                                        ; implicit-def: $vgpr40
                                        ; implicit-def: $vgpr39
                                        ; implicit-def: $vgpr38
                                        ; implicit-def: $vgpr37
                                        ; implicit-def: $vgpr36
                                        ; implicit-def: $vgpr35
                                        ; implicit-def: $vgpr148
                                        ; implicit-def: $vgpr33
                                        ; implicit-def: $vgpr32
	s_waitcnt lgkmcnt(0)
	scratch_store_dword off, v1, s4         ; 4-byte Folded Spill
	s_and_saveexec_b64 s[4:5], s[2:3]
	s_xor_b64 s[2:3], exec, s[4:5]
	s_cbranch_execz .LBB59_6
; %bb.5:
	scratch_load_dword v0, off, off offset:388 ; 4-byte Folded Reload
	s_movk_i32 s4, 0x19f8
	s_waitcnt vmcnt(0)
	ds_read2_b32 v[30:31], v0 offset0:1 offset1:2
	ds_read2_b32 v[32:33], v0 offset0:3 offset1:4
	;; [unrolled: 1-line block ×3, first 2 shown]
	scratch_load_dword v1, off, s4          ; 4-byte Folded Reload
	ds_read2_b32 v[36:37], v0 offset0:7 offset1:8
	s_waitcnt vmcnt(0)
	v_mul_f32_e32 v174, v174, v1
	s_waitcnt lgkmcnt(3)
	v_pk_fma_f32 v[30:31], v[174:175], v[30:31], v[28:29] op_sel_hi:[0,1,1] neg_lo:[1,0,0] neg_hi:[1,0,0]
	s_waitcnt lgkmcnt(2)
	v_pk_fma_f32 v[32:33], v[174:175], v[32:33], v[24:25] op_sel_hi:[0,1,1] neg_lo:[1,0,0] neg_hi:[1,0,0]
	;; [unrolled: 2-line block ×3, first 2 shown]
	ds_read2_b32 v[24:25], v0 offset0:9 offset1:10
	ds_read2_b32 v[26:27], v0 offset0:11 offset1:12
	ds_read2_b32 v[28:29], v0 offset0:13 offset1:14
	s_waitcnt lgkmcnt(3)
	v_pk_fma_f32 v[36:37], v[174:175], v[36:37], v[22:23] op_sel_hi:[0,1,1] neg_lo:[1,0,0] neg_hi:[1,0,0]
	ds_read2_b32 v[22:23], v0 offset0:15 offset1:16
	s_waitcnt lgkmcnt(3)
	v_pk_fma_f32 v[38:39], v[174:175], v[24:25], v[16:17] op_sel_hi:[0,1,1] neg_lo:[1,0,0] neg_hi:[1,0,0]
	s_waitcnt lgkmcnt(2)
	v_pk_fma_f32 v[40:41], v[174:175], v[26:27], v[18:19] op_sel_hi:[0,1,1] neg_lo:[1,0,0] neg_hi:[1,0,0]
	ds_read2_b32 v[16:17], v0 offset0:17 offset1:18
	ds_read2_b32 v[18:19], v0 offset0:19 offset1:20
	s_waitcnt lgkmcnt(3)
	v_pk_fma_f32 v[42:43], v[174:175], v[28:29], v[20:21] op_sel_hi:[0,1,1] neg_lo:[1,0,0] neg_hi:[1,0,0]
	s_waitcnt lgkmcnt(2)
	v_pk_fma_f32 v[44:45], v[174:175], v[22:23], v[14:15] op_sel_hi:[0,1,1] neg_lo:[1,0,0] neg_hi:[1,0,0]
	ds_read2_b32 v[14:15], v0 offset0:21 offset1:22
	;; [unrolled: 6-line block ×3, first 2 shown]
	ds_read2_b32 v[12:13], v0 offset0:27 offset1:28
	ds_read_b32 v1, v0 offset:116
	s_waitcnt lgkmcnt(4)
	v_pk_fma_f32 v[50:51], v[174:175], v[14:15], v[8:9] op_sel_hi:[0,1,1] neg_lo:[1,0,0] neg_hi:[1,0,0]
	s_waitcnt lgkmcnt(3)
	v_pk_fma_f32 v[52:53], v[174:175], v[20:21], v[6:7] op_sel_hi:[0,1,1] neg_lo:[1,0,0] neg_hi:[1,0,0]
	;; [unrolled: 2-line block ×4, first 2 shown]
	s_waitcnt lgkmcnt(0)
	v_fma_f32 v59, -v174, v1, v59
	v_mov_b32_e32 v58, v61
	v_mov_b32_e32 v56, v55
                                        ; implicit-def: $vgpr28
                                        ; implicit-def: $vgpr24
                                        ; implicit-def: $vgpr26
                                        ; implicit-def: $vgpr22
                                        ; implicit-def: $vgpr16
                                        ; implicit-def: $vgpr18
                                        ; implicit-def: $vgpr20
                                        ; implicit-def: $vgpr14
                                        ; implicit-def: $vgpr10
                                        ; implicit-def: $vgpr12
                                        ; implicit-def: $vgpr8
                                        ; implicit-def: $vgpr6
                                        ; implicit-def: $vgpr2
                                        ; implicit-def: $vgpr4
	v_mov_b32_e32 v61, v60
	v_mov_b32_e32 v57, v54
	;; [unrolled: 1-line block ×25, first 2 shown]
.LBB59_6:
	s_or_saveexec_b64 s[2:3], s[2:3]
	v_mov_b32_e32 v175, v30
	s_xor_b64 exec, exec, s[2:3]
	s_cbranch_execz .LBB59_8
; %bb.7:
	s_waitcnt vmcnt(15)
	v_mov_b32_e32 v175, v28
	s_waitcnt vmcnt(14)
	v_mov_b32_e32 v32, v29
	v_mov_b32_e32 v56, v3
	;; [unrolled: 1-line block ×3, first 2 shown]
	s_waitcnt vmcnt(10)
	v_mov_b32_e32 v33, v24
	s_waitcnt vmcnt(9)
	v_mov_b32_e32 v148, v25
	;; [unrolled: 2-line block ×4, first 2 shown]
	v_mov_b32_e32 v37, v22
	v_mov_b32_e32 v38, v23
	;; [unrolled: 1-line block ×20, first 2 shown]
.LBB59_8:
	s_or_b64 exec, exec, s[2:3]
	s_waitcnt vmcnt(37)
	v_mov_b32_e32 v2, v32
	v_mov_b32_e32 v42, v32
	v_mov_b32_e32 v176, v32
	s_waitcnt vmcnt(36)
	v_mov_b32_e32 v3, v33
	v_mov_b32_e32 v41, v33
	v_mov_b32_e32 v177, v33
	;; [unrolled: 4-line block ×3, first 2 shown]
	v_mov_b32_e32 v43, v35
	v_mov_b32_e32 v179, v35
	;; [unrolled: 1-line block ×8, first 2 shown]
	s_waitcnt vmcnt(16)
	v_mov_b32_e32 v9, v39
	v_mov_b32_e32 v183, v39
	v_mov_b32_e32 v10, v40
	v_mov_b32_e32 v184, v40
	v_mov_b32_e32 v185, v105
	v_mov_b32_e32 v186, v44
	v_mov_b32_e32 v187, v53
	v_mov_b32_e32 v188, v166
	v_mov_b32_e32 v189, v45
	v_mov_b32_e32 v190, v46
	v_mov_b32_e32 v191, v47
	v_mov_b32_e32 v192, v150
	v_mov_b32_e32 v193, v55
	s_waitcnt vmcnt(13)
	v_mov_b32_e32 v20, v50
	v_mov_b32_e32 v194, v50
	;; [unrolled: 1-line block ×6, first 2 shown]
	s_waitcnt vmcnt(9)
	v_mov_b32_e32 v25, v57
	s_waitcnt vmcnt(7)
	v_mov_b32_e32 v27, v57
	v_mov_b32_e32 v199, v57
	;; [unrolled: 1-line block ×6, first 2 shown]
	s_movk_i32 s2, 0x1a80
	v_cmp_eq_u32_e32 vcc, 1, v66
	scratch_store_dwordx4 off, v[2:5], off offset:1416 ; 16-byte Folded Spill
	s_nop 0
	scratch_store_dwordx4 off, v[6:9], off offset:1432 ; 16-byte Folded Spill
	scratch_store_dwordx4 off, v[10:13], off offset:1448 ; 16-byte Folded Spill
	;; [unrolled: 1-line block ×7, first 2 shown]
	s_barrier
	scratch_store_dword off, v66, s2        ; 4-byte Folded Spill
	s_and_saveexec_b64 s[2:3], vcc
	s_cbranch_execz .LBB59_11
; %bb.9:
	scratch_load_dword v0, off, off offset:388 ; 4-byte Folded Reload
	v_mov_b32_e32 v32, v42
	v_mov_b32_e32 v33, v41
	;; [unrolled: 1-line block ×4, first 2 shown]
	ds_write_b32 v254, v175
	v_mov_b32_e32 v167, v45
	v_mov_b32_e32 v151, v55
	;; [unrolled: 1-line block ×4, first 2 shown]
	s_waitcnt vmcnt(0)
	ds_write2_b64 v0, v[32:33], v[30:31] offset0:1 offset1:2
	v_mov_b32_e32 v32, v36
	v_mov_b32_e32 v33, v37
	;; [unrolled: 1-line block ×4, first 2 shown]
	ds_write2_b64 v0, v[32:33], v[30:31] offset0:3 offset1:4
	v_mov_b32_e32 v32, v40
	v_mov_b32_e32 v33, v105
	v_mov_b32_e32 v30, v44
	v_mov_b32_e32 v31, v53
	ds_write2_b64 v0, v[32:33], v[30:31] offset0:5 offset1:6
	v_mov_b32_e32 v30, v46
	v_mov_b32_e32 v31, v47
	ds_write2_b64 v0, v[166:167], v[30:31] offset0:7 offset1:8
	v_mov_b32_e32 v30, v50
	v_mov_b32_e32 v31, v51
	ds_write2_b64 v0, v[150:151], v[30:31] offset0:9 offset1:10
	scratch_load_dwordx4 v[62:65], off, off offset:1416 ; 16-byte Folded Reload
	scratch_load_dwordx4 v[66:69], off, off offset:1432 ; 16-byte Folded Reload
	;; [unrolled: 1-line block ×8, first 2 shown]
	v_mov_b32_e32 v30, v54
	ds_write2_b64 v0, v[56:57], v[58:59] offset0:13 offset1:14
	s_waitcnt vmcnt(1)
	v_mov_b32_e32 v31, v87
	ds_write2_b64 v0, v[112:113], v[30:31] offset0:11 offset1:12
	ds_read_b32 v30, v254
	s_waitcnt lgkmcnt(0)
	v_cmp_neq_f32_e32 vcc, 0, v30
	s_and_b64 exec, exec, vcc
	s_cbranch_execz .LBB59_11
; %bb.10:
	v_div_scale_f32 v31, s[4:5], v30, v30, 1.0
	v_rcp_f32_e32 v32, v31
	v_div_scale_f32 v33, vcc, 1.0, v30, 1.0
	v_fma_f32 v34, -v31, v32, 1.0
	v_fmac_f32_e32 v32, v34, v32
	v_mul_f32_e32 v34, v33, v32
	v_fma_f32 v35, -v31, v34, v33
	v_fmac_f32_e32 v34, v35, v32
	v_fma_f32 v31, -v31, v34, v33
	v_div_fmas_f32 v31, v31, v32, v34
	v_div_fixup_f32 v30, v31, v30, 1.0
	ds_write_b32 v254, v30
.LBB59_11:
	s_or_b64 exec, exec, s[2:3]
	v_mov_b32_e32 v49, v45
	v_mov_b32_e32 v32, v42
	;; [unrolled: 1-line block ×5, first 2 shown]
	scratch_store_dwordx4 off, v[34:37], off offset:132 ; 16-byte Folded Spill
	s_nop 0
	scratch_store_dwordx4 off, v[38:41], off offset:148 ; 16-byte Folded Spill
	scratch_store_dwordx4 off, v[42:45], off offset:164 ; 16-byte Folded Spill
	;; [unrolled: 1-line block ×7, first 2 shown]
	v_mov_b32_e32 v68, v12
	v_mov_b32_e32 v60, v174
	;; [unrolled: 1-line block ×13, first 2 shown]
	s_movk_i32 s2, 0x1108
	v_mov_b32_e32 v8, v174
	v_mov_b32_e32 v9, v175
	v_mov_b64_e32 v[220:221], v[200:201]
	v_mov_b64_e32 v[218:219], v[198:199]
	;; [unrolled: 1-line block ×9, first 2 shown]
	v_mov_b32_e32 v82, v12
	v_mov_b32_e32 v78, v174
	;; [unrolled: 1-line block ×3, first 2 shown]
	v_mov_b64_e32 v[206:207], v[186:187]
	v_mov_b64_e32 v[204:205], v[184:185]
	;; [unrolled: 1-line block ×6, first 2 shown]
	v_mov_b32_e32 v152, v194
	v_mov_b32_e32 v153, v195
	;; [unrolled: 1-line block ×5, first 2 shown]
	s_waitcnt vmcnt(8)
	v_mov_b64_e32 v[90:91], v[68:69]
	v_mov_b32_e32 v63, v41
	v_mov_b32_e32 v62, v42
	;; [unrolled: 1-line block ×5, first 2 shown]
	v_mov_b64_e32 v[26:27], v[60:61]
	v_mov_b32_e32 v75, v91
	v_mov_b32_e32 v0, v70
	v_mov_b64_e32 v[28:29], v[62:63]
	v_mov_b32_e32 v6, v76
	v_mov_b32_e32 v102, v38
	;; [unrolled: 1-line block ×23, first 2 shown]
	scratch_store_dwordx4 off, v[30:33], off offset:260 ; 16-byte Folded Spill
	s_nop 0
	scratch_store_dwordx4 off, v[34:37], off offset:276 ; 16-byte Folded Spill
	scratch_store_dwordx4 off, v[38:41], off offset:292 ; 16-byte Folded Spill
	scratch_store_dwordx4 off, v[42:45], off offset:308 ; 16-byte Folded Spill
	scratch_store_dwordx4 off, v[46:49], off offset:324 ; 16-byte Folded Spill
	scratch_store_dwordx4 off, v[50:53], off offset:340 ; 16-byte Folded Spill
	scratch_store_dwordx4 off, v[54:57], off offset:356 ; 16-byte Folded Spill
	scratch_store_dwordx4 off, v[58:61], off offset:372 ; 16-byte Folded Spill
	v_mov_b32_e32 v63, v105
	scratch_store_dwordx4 off, v[94:97], s2 ; 16-byte Folded Spill
	s_nop 0
	scratch_store_dwordx4 off, v[98:101], s2 offset:16 ; 16-byte Folded Spill
	scratch_store_dwordx4 off, v[102:105], s2 offset:32 ; 16-byte Folded Spill
	;; [unrolled: 1-line block ×7, first 2 shown]
	v_mov_b32_e32 v24, v12
	v_mov_b32_e32 v23, v11
	;; [unrolled: 1-line block ×12, first 2 shown]
	v_mov_b64_e32 v[20:21], v[64:65]
	v_mov_b64_e32 v[88:89], v[66:67]
	;; [unrolled: 1-line block ×3, first 2 shown]
	v_mov_b32_e32 v73, v11
	v_mov_b32_e32 v72, v10
	;; [unrolled: 1-line block ×4, first 2 shown]
	v_mov_b64_e32 v[140:141], v[28:29]
	v_mov_b32_e32 v56, v74
	v_mov_b64_e32 v[22:23], v[66:67]
	v_mov_b64_e32 v[24:25], v[68:69]
	v_mov_b32_e32 v130, v6
	v_mov_b32_e32 v68, v74
	;; [unrolled: 1-line block ×35, first 2 shown]
	s_movk_i32 s2, 0x1508
	v_mov_b32_e32 v84, v6
	v_mov_b32_e32 v81, v29
	;; [unrolled: 1-line block ×3, first 2 shown]
	v_mov_b64_e32 v[192:193], v[84:85]
	v_mov_b64_e32 v[186:187], v[78:79]
	v_mov_b64_e32 v[190:191], v[82:83]
	v_mov_b64_e32 v[188:189], v[80:81]
	v_mov_b64_e32 v[138:139], v[26:27]
	v_mov_b32_e32 v155, v141
	v_mov_b64_e32 v[82:83], v[194:195]
	v_mov_b64_e32 v[84:85], v[196:197]
	v_mov_b32_e32 v44, v40
	v_mov_b32_e32 v74, v44
	;; [unrolled: 1-line block ×14, first 2 shown]
	v_mov_b64_e32 v[234:235], v[74:75]
	v_mov_b64_e32 v[232:233], v[72:73]
	;; [unrolled: 1-line block ×6, first 2 shown]
	v_mov_b32_e32 v236, v48
	scratch_store_dwordx4 off, v[34:37], off offset:3976 ; 16-byte Folded Spill
	s_nop 0
	scratch_store_dwordx4 off, v[38:41], off offset:3992 ; 16-byte Folded Spill
	scratch_store_dwordx4 off, v[42:45], off offset:4008 ; 16-byte Folded Spill
	;; [unrolled: 1-line block ×7, first 2 shown]
	v_mov_b32_e32 v10, v30
	v_mov_b32_e32 v77, v33
	;; [unrolled: 1-line block ×4, first 2 shown]
	v_mov_b64_e32 v[34:35], v[24:25]
	v_mov_b64_e32 v[32:33], v[22:23]
	;; [unrolled: 1-line block ×3, first 2 shown]
	v_mov_b32_e32 v68, v4
	v_mov_b32_e32 v70, v130
	;; [unrolled: 1-line block ×7, first 2 shown]
	v_mov_b64_e32 v[98:99], v[210:211]
	v_mov_b32_e32 v1, v115
	v_mov_b32_e32 v2, v116
	;; [unrolled: 1-line block ×8, first 2 shown]
	v_mov_b64_e32 v[86:87], v[198:199]
	v_mov_b64_e32 v[88:89], v[200:201]
	;; [unrolled: 1-line block ×11, first 2 shown]
	v_mov_b32_e32 v160, v8
	v_mov_b64_e32 v[110:111], v[222:223]
	v_mov_b32_e32 v76, v48
	scratch_store_dwordx4 off, v[30:33], s2 ; 16-byte Folded Spill
	s_nop 0
	scratch_store_dwordx4 off, v[34:37], s2 offset:16 ; 16-byte Folded Spill
	scratch_store_dwordx4 off, v[38:41], s2 offset:32 ; 16-byte Folded Spill
	;; [unrolled: 1-line block ×7, first 2 shown]
	v_mov_b64_e32 v[178:179], v[74:75]
	v_mov_b64_e32 v[176:177], v[72:73]
	;; [unrolled: 1-line block ×6, first 2 shown]
	v_mov_b32_e32 v64, v132
	v_mov_b64_e32 v[36:37], v[186:187]
	v_mov_b32_e32 v65, v133
	v_mov_b32_e32 v66, v134
	;; [unrolled: 1-line block ×3, first 2 shown]
	v_mov_b64_e32 v[38:39], v[188:189]
	v_mov_b64_e32 v[40:41], v[190:191]
	;; [unrolled: 1-line block ×3, first 2 shown]
	v_mov_b32_e32 v68, v136
	scratch_store_dwordx4 off, v[124:127], off offset:3848 ; 16-byte Folded Spill
	s_nop 0
	scratch_store_dwordx4 off, v[128:131], off offset:3864 ; 16-byte Folded Spill
	scratch_store_dwordx4 off, v[132:135], off offset:3880 ; 16-byte Folded Spill
	scratch_store_dwordx4 off, v[136:139], off offset:3896 ; 16-byte Folded Spill
	scratch_store_dwordx4 off, v[140:143], off offset:3912 ; 16-byte Folded Spill
	scratch_store_dwordx4 off, v[144:147], off offset:3928 ; 16-byte Folded Spill
	scratch_store_dwordx4 off, v[148:151], off offset:3944 ; 16-byte Folded Spill
	scratch_store_dwordx4 off, v[152:155], off offset:3960 ; 16-byte Folded Spill
	s_movk_i32 s2, 0x1108
	v_mov_b32_e32 v34, v12
	scratch_store_dwordx4 off, v[36:39], off offset:3720 ; 16-byte Folded Spill
	s_nop 0
	scratch_store_dwordx4 off, v[40:43], off offset:3736 ; 16-byte Folded Spill
	scratch_store_dwordx4 off, v[44:47], off offset:3752 ; 16-byte Folded Spill
	;; [unrolled: 1-line block ×7, first 2 shown]
	scratch_load_dwordx4 v[182:185], off, s2 ; 16-byte Folded Reload
	scratch_load_dwordx4 v[186:189], off, s2 offset:16 ; 16-byte Folded Reload
	scratch_load_dwordx4 v[190:193], off, s2 offset:32 ; 16-byte Folded Reload
	scratch_load_dwordx4 v[194:197], off, s2 offset:48 ; 16-byte Folded Reload
	scratch_load_dwordx4 v[198:201], off, s2 offset:64 ; 16-byte Folded Reload
	scratch_load_dwordx4 v[202:205], off, s2 offset:80 ; 16-byte Folded Reload
	scratch_load_dwordx4 v[206:209], off, s2 offset:96 ; 16-byte Folded Reload
	scratch_load_dwordx4 v[210:213], off, s2 offset:112 ; 16-byte Folded Reload
	s_waitcnt vmcnt(3)
	v_mov_b32_e32 v198, v12
	v_mov_b32_e32 v33, v11
	;; [unrolled: 1-line block ×3, first 2 shown]
	s_waitcnt vmcnt(2)
	v_mov_b32_e32 v204, v8
	scratch_load_dwordx4 v[0:3], off, s2    ; 16-byte Folded Reload
	scratch_load_dwordx4 v[4:7], off, s2 offset:16 ; 16-byte Folded Reload
	scratch_load_dwordx4 v[8:11], off, s2 offset:32 ; 16-byte Folded Reload
	scratch_load_dwordx4 v[12:15], off, s2 offset:48 ; 16-byte Folded Reload
	scratch_load_dwordx4 v[16:19], off, s2 offset:64 ; 16-byte Folded Reload
	scratch_load_dwordx4 v[20:23], off, s2 offset:80 ; 16-byte Folded Reload
	scratch_load_dwordx4 v[24:27], off, s2 offset:96 ; 16-byte Folded Reload
	scratch_load_dwordx4 v[28:31], off, s2 offset:112 ; 16-byte Folded Reload
	v_mov_b64_e32 v[180:181], v[76:77]
	v_mov_b32_e32 v156, v68
	v_mov_b32_e32 v200, v68
	v_mov_b32_e32 v196, v82
	v_mov_b32_e32 v197, v83
	v_mov_b32_e32 v201, v35
	s_waitcnt vmcnt(9)
	v_mov_b32_e32 v209, v181
	s_waitcnt vmcnt(8)
	v_mov_b32_e32 v210, v166
	v_mov_b32_e32 v157, v35
	;; [unrolled: 1-line block ×4, first 2 shown]
	s_waitcnt vmcnt(0)
	v_mov_b64_e32 v[26:27], v[138:139]
	v_mov_b64_e32 v[28:29], v[140:141]
	s_movk_i32 s2, 0x1708
	v_mov_b64_e32 v[10:11], v[224:225]
	v_mov_b64_e32 v[12:13], v[226:227]
	v_mov_b64_e32 v[14:15], v[228:229]
	v_mov_b64_e32 v[16:17], v[230:231]
	v_mov_b64_e32 v[18:19], v[232:233]
	v_mov_b64_e32 v[20:21], v[234:235]
	v_mov_b32_e32 v22, v236
	v_mov_b32_e32 v158, v130
	;; [unrolled: 1-line block ×11, first 2 shown]
	scratch_store_dwordx4 off, v[46:49], off offset:3464 ; 16-byte Folded Spill
	s_nop 0
	scratch_store_dwordx4 off, v[50:53], off offset:3480 ; 16-byte Folded Spill
	scratch_store_dwordx4 off, v[54:57], off offset:3496 ; 16-byte Folded Spill
	;; [unrolled: 1-line block ×7, first 2 shown]
	v_mov_b32_e32 v161, v191
	v_mov_b32_e32 v194, v122
	;; [unrolled: 1-line block ×14, first 2 shown]
	v_mov_b64_e32 v[114:115], v[196:197]
	v_mov_b32_e32 v159, v43
	v_mov_b32_e32 v162, v44
	v_mov_b64_e32 v[116:117], v[198:199]
	v_mov_b64_e32 v[118:119], v[200:201]
	;; [unrolled: 1-line block ×8, first 2 shown]
	scratch_store_dwordx4 off, v[64:67], off offset:3592 ; 16-byte Folded Spill
	s_nop 0
	scratch_store_dwordx4 off, v[68:71], off offset:3608 ; 16-byte Folded Spill
	scratch_store_dwordx4 off, v[72:75], off offset:3624 ; 16-byte Folded Spill
	;; [unrolled: 1-line block ×7, first 2 shown]
	v_mov_b64_e32 v[32:33], v[116:117]
	v_mov_b64_e32 v[34:35], v[118:119]
	v_mov_b64_e32 v[36:37], v[120:121]
	v_mov_b64_e32 v[38:39], v[122:123]
	v_mov_b64_e32 v[40:41], v[124:125]
	v_mov_b64_e32 v[42:43], v[126:127]
	v_mov_b64_e32 v[44:45], v[128:129]
	v_mov_b32_e32 v198, v48
	v_mov_b32_e32 v211, v45
	v_mov_b32_e32 v66, v48
	scratch_store_dwordx4 off, v[26:29], s2 ; 16-byte Folded Spill
	s_nop 0
	scratch_store_dwordx4 off, v[30:33], s2 offset:16 ; 16-byte Folded Spill
	scratch_store_dwordx4 off, v[34:37], s2 offset:32 ; 16-byte Folded Spill
	scratch_store_dwordx4 off, v[38:41], s2 offset:48 ; 16-byte Folded Spill
	scratch_store_dwordx4 off, v[42:45], s2 offset:64 ; 16-byte Folded Spill
	scratch_store_dwordx4 off, v[46:49], s2 offset:80 ; 16-byte Folded Spill
	scratch_store_dwordx4 off, v[50:53], s2 offset:96 ; 16-byte Folded Spill
	scratch_store_dwordx4 off, v[54:57], s2 offset:112 ; 16-byte Folded Spill
	s_movk_i32 s2, 0x1508
	v_mov_b32_e32 v208, v236
	v_mov_b32_e32 v81, v239
	scratch_load_dwordx4 v[222:225], off, s2 ; 16-byte Folded Reload
	scratch_load_dwordx4 v[226:229], off, s2 offset:16 ; 16-byte Folded Reload
	scratch_load_dwordx4 v[230:233], off, s2 offset:32 ; 16-byte Folded Reload
	;; [unrolled: 1-line block ×7, first 2 shown]
	v_mov_b32_e32 v204, v194
	v_mov_b64_e32 v[114:115], v[196:197]
	v_mov_b64_e32 v[116:117], v[198:199]
	;; [unrolled: 1-line block ×8, first 2 shown]
	v_mov_b32_e32 v130, v212
	s_movk_i32 s2, 0x1288
	v_mov_b32_e32 v72, v194
	v_mov_b32_e32 v77, v181
	;; [unrolled: 1-line block ×11, first 2 shown]
	s_waitcnt vmcnt(6)
	v_mov_b32_e32 v69, v227
	scratch_load_dwordx4 v[222:225], off, off offset:3848 ; 16-byte Folded Reload
	scratch_load_dwordx4 v[226:229], off, off offset:3864 ; 16-byte Folded Reload
	;; [unrolled: 1-line block ×16, first 2 shown]
	s_waitcnt vmcnt(14)
	v_mov_b32_e32 v70, v228
	s_waitcnt vmcnt(6)
	v_mov_b32_e32 v71, v203
	scratch_store_dwordx4 off, v[186:189], s2 ; 16-byte Folded Spill
	s_nop 0
	scratch_store_dwordx4 off, v[190:193], s2 offset:16 ; 16-byte Folded Spill
	scratch_store_dwordx4 off, v[194:197], s2 offset:32 ; 16-byte Folded Spill
	;; [unrolled: 1-line block ×3, first 2 shown]
	s_waitcnt vmcnt(9)
	scratch_store_dwordx4 off, v[202:205], s2 offset:64 ; 16-byte Folded Spill
	s_waitcnt vmcnt(9)
	scratch_store_dwordx4 off, v[206:209], s2 offset:80 ; 16-byte Folded Spill
	;; [unrolled: 2-line block ×4, first 2 shown]
	scratch_load_dwordx4 v[222:225], off, off offset:3976 ; 16-byte Folded Reload
	scratch_load_dwordx4 v[226:229], off, off offset:3992 ; 16-byte Folded Reload
	;; [unrolled: 1-line block ×8, first 2 shown]
	s_nop 0
	scratch_store_dwordx4 off, v[168:171], off offset:3080 ; 16-byte Folded Spill
	s_nop 0
	scratch_store_dwordx4 off, v[172:175], off offset:3096 ; 16-byte Folded Spill
	scratch_store_dwordx4 off, v[176:179], off offset:3112 ; 16-byte Folded Spill
	;; [unrolled: 1-line block ×7, first 2 shown]
	s_waitcnt vmcnt(25)
	v_mov_b64_e32 v[220:221], v[128:129]
	v_mov_b64_e32 v[218:219], v[126:127]
	;; [unrolled: 1-line block ×8, first 2 shown]
	s_waitcnt vmcnt(15)
	v_mov_b32_e32 v222, v130
	scratch_load_dwordx4 v[114:117], off, off offset:3464 ; 16-byte Folded Reload
	scratch_load_dwordx4 v[118:121], off, off offset:3480 ; 16-byte Folded Reload
	;; [unrolled: 1-line block ×8, first 2 shown]
	s_movk_i32 s2, 0x1508
	v_mov_b64_e32 v[182:183], v[44:45]
	v_mov_b64_e32 v[180:181], v[42:43]
	;; [unrolled: 1-line block ×8, first 2 shown]
	v_mov_b32_e32 v189, v29
	v_mov_b32_e32 v200, v166
	;; [unrolled: 1-line block ×3, first 2 shown]
	s_waitcnt vmcnt(21)
	v_mov_b32_e32 v74, v232
	s_waitcnt vmcnt(19)
	v_mov_b64_e32 v[238:239], v[78:79]
	v_mov_b64_e32 v[240:241], v[80:81]
	;; [unrolled: 1-line block ×9, first 2 shown]
	v_mov_b32_e32 v186, v82
	v_mov_b32_e32 v187, v83
	;; [unrolled: 1-line block ×5, first 2 shown]
	v_mov_b64_e32 v[64:65], v[206:207]
	v_mov_b32_e32 v202, v222
	v_mov_b32_e32 v203, v241
	v_mov_b64_e32 v[66:67], v[208:209]
	v_mov_b64_e32 v[68:69], v[210:211]
	v_mov_b64_e32 v[70:71], v[212:213]
	v_mov_b64_e32 v[72:73], v[214:215]
	v_mov_b64_e32 v[74:75], v[216:217]
	v_mov_b64_e32 v[76:77], v[218:219]
	v_mov_b64_e32 v[78:79], v[220:221]
	v_mov_b32_e32 v80, v222
	s_waitcnt vmcnt(7)
	v_mov_b32_e32 v188, v116
	scratch_load_dwordx4 v[114:117], off, off offset:3592 ; 16-byte Folded Reload
	scratch_load_dwordx4 v[118:121], off, off offset:3608 ; 16-byte Folded Reload
	;; [unrolled: 1-line block ×8, first 2 shown]
	s_waitcnt vmcnt(6)
	v_mov_b32_e32 v190, v118
	scratch_load_dwordx4 v[114:117], off, s2 ; 16-byte Folded Reload
	scratch_load_dwordx4 v[118:121], off, s2 offset:16 ; 16-byte Folded Reload
	scratch_load_dwordx4 v[122:125], off, s2 offset:32 ; 16-byte Folded Reload
	;; [unrolled: 1-line block ×7, first 2 shown]
	s_movk_i32 s2, 0x1388
	s_waitcnt vmcnt(6)
	v_mov_b64_e32 v[44:45], v[114:115]
	v_mov_b64_e32 v[46:47], v[116:117]
	;; [unrolled: 1-line block ×3, first 2 shown]
	scratch_load_dwordx4 v[114:117], off, off offset:3848 ; 16-byte Folded Reload
	scratch_load_dwordx4 v[118:121], off, off offset:3864 ; 16-byte Folded Reload
	;; [unrolled: 1-line block ×8, first 2 shown]
	v_mov_b32_e32 v191, v49
	s_waitcnt vmcnt(6)
	v_mov_b32_e32 v24, v114
	v_mov_b32_e32 v25, v115
	;; [unrolled: 1-line block ×7, first 2 shown]
	scratch_load_dwordx4 v[114:117], off, off offset:3720 ; 16-byte Folded Reload
	scratch_load_dwordx4 v[118:121], off, off offset:3736 ; 16-byte Folded Reload
	;; [unrolled: 1-line block ×8, first 2 shown]
	v_mov_b32_e32 v192, v30
	s_waitcnt vmcnt(6)
	v_mov_b32_e32 v193, v121
	scratch_load_dwordx4 v[114:117], off, off offset:3976 ; 16-byte Folded Reload
	scratch_load_dwordx4 v[118:121], off, off offset:3992 ; 16-byte Folded Reload
	;; [unrolled: 1-line block ×8, first 2 shown]
	s_waitcnt vmcnt(5)
	v_mov_b32_e32 v32, v114
	v_mov_b32_e32 v33, v115
	;; [unrolled: 1-line block ×11, first 2 shown]
	scratch_load_dwordx4 v[114:117], off, off offset:3080 ; 16-byte Folded Reload
	scratch_load_dwordx4 v[118:121], off, off offset:3096 ; 16-byte Folded Reload
	;; [unrolled: 1-line block ×8, first 2 shown]
	s_nop 0
	scratch_store_dwordx4 off, v[152:155], s2 ; 16-byte Folded Spill
	s_nop 0
	scratch_store_dwordx4 off, v[156:159], s2 offset:16 ; 16-byte Folded Spill
	scratch_store_dwordx4 off, v[160:163], s2 offset:32 ; 16-byte Folded Spill
	;; [unrolled: 1-line block ×7, first 2 shown]
	v_mov_b32_e32 v196, v42
	s_movk_i32 s2, 0x1708
	v_mov_b64_e32 v[150:151], v[168:169]
	v_mov_b64_e32 v[152:153], v[170:171]
	;; [unrolled: 1-line block ×8, first 2 shown]
	scratch_store_dwordx4 off, v[150:153], off offset:1160 ; 16-byte Folded Spill
	s_nop 0
	scratch_store_dwordx4 off, v[154:157], off offset:1176 ; 16-byte Folded Spill
	scratch_store_dwordx4 off, v[158:161], off offset:1192 ; 16-byte Folded Spill
	;; [unrolled: 1-line block ×7, first 2 shown]
	s_waitcnt vmcnt(20)
	v_mov_b32_e32 v199, v127
	v_mov_b64_e32 v[184:185], v[96:97]
	v_mov_b32_e32 v150, v82
	v_mov_b32_e32 v151, v83
	v_mov_b64_e32 v[182:183], v[94:95]
	v_mov_b64_e32 v[180:181], v[92:93]
	;; [unrolled: 1-line block ×7, first 2 shown]
	v_mov_b32_e32 v156, v30
	v_mov_b64_e32 v[90:91], v[8:9]
	v_mov_b32_e32 v162, v22
	v_mov_b32_e32 v159, v9
	v_mov_b64_e32 v[88:89], v[6:7]
	v_mov_b64_e32 v[86:87], v[4:5]
	;; [unrolled: 1-line block ×4, first 2 shown]
	v_mov_b32_e32 v155, v49
	v_mov_b32_e32 v169, v113
	;; [unrolled: 1-line block ×6, first 2 shown]
	scratch_store_dwordx4 off, v[186:189], off offset:648 ; 16-byte Folded Spill
	s_nop 0
	scratch_store_dwordx4 off, v[190:193], off offset:664 ; 16-byte Folded Spill
	scratch_store_dwordx4 off, v[194:197], off offset:680 ; 16-byte Folded Spill
	;; [unrolled: 1-line block ×7, first 2 shown]
	scratch_load_dwordx4 v[114:117], off, off offset:3464 ; 16-byte Folded Reload
	scratch_load_dwordx4 v[118:121], off, off offset:3480 ; 16-byte Folded Reload
	;; [unrolled: 1-line block ×8, first 2 shown]
	v_mov_b64_e32 v[196:197], v[108:109]
	v_mov_b64_e32 v[194:195], v[106:107]
	;; [unrolled: 1-line block ×11, first 2 shown]
	v_mov_b32_e32 v167, v49
	s_waitcnt vmcnt(7)
	v_mov_b32_e32 v152, v116
	scratch_load_dwordx4 v[114:117], off, s2 ; 16-byte Folded Reload
	scratch_load_dwordx4 v[118:121], off, s2 offset:16 ; 16-byte Folded Reload
	scratch_load_dwordx4 v[122:125], off, s2 offset:32 ; 16-byte Folded Reload
	;; [unrolled: 1-line block ×7, first 2 shown]
	s_movk_i32 s2, 0x1288
	s_waitcnt vmcnt(7)
	v_mov_b32_e32 v153, v117
	scratch_load_dwordx4 v[114:117], off, off offset:3592 ; 16-byte Folded Reload
	scratch_load_dwordx4 v[118:121], off, off offset:3608 ; 16-byte Folded Reload
	;; [unrolled: 1-line block ×8, first 2 shown]
	s_waitcnt vmcnt(6)
	v_mov_b32_e32 v154, v118
	scratch_load_dwordx4 v[114:117], off, off offset:3720 ; 16-byte Folded Reload
	scratch_load_dwordx4 v[118:121], off, off offset:3736 ; 16-byte Folded Reload
	;; [unrolled: 1-line block ×8, first 2 shown]
	s_waitcnt vmcnt(6)
	v_mov_b64_e32 v[220:221], v[120:121]
	v_mov_b64_e32 v[218:219], v[118:119]
	v_mov_b64_e32 v[216:217], v[116:117]
	v_mov_b64_e32 v[214:215], v[114:115]
	scratch_load_dwordx4 v[116:119], off, s2 ; 16-byte Folded Reload
	scratch_load_dwordx4 v[120:123], off, s2 offset:16 ; 16-byte Folded Reload
	scratch_load_dwordx4 v[124:127], off, s2 offset:32 ; 16-byte Folded Reload
	;; [unrolled: 1-line block ×7, first 2 shown]
	s_movk_i32 s2, 0x1088
	scratch_store_dwordx4 off, v[10:13], s2 ; 16-byte Folded Spill
	s_nop 0
	scratch_store_dwordx4 off, v[14:17], s2 offset:16 ; 16-byte Folded Spill
	scratch_store_dwordx4 off, v[18:21], s2 offset:32 ; 16-byte Folded Spill
	;; [unrolled: 1-line block ×7, first 2 shown]
	scratch_load_dwordx4 v[0:3], off, off offset:3080 ; 16-byte Folded Reload
	s_nop 0
	scratch_load_dwordx4 v[4:7], off, off offset:3096 ; 16-byte Folded Reload
	scratch_load_dwordx4 v[8:11], off, off offset:3112 ; 16-byte Folded Reload
	;; [unrolled: 1-line block ×7, first 2 shown]
	s_movk_i32 s2, 0x1388
	v_mov_b32_e32 v157, v221
	v_mov_b64_e32 v[32:33], v[224:225]
	v_mov_b64_e32 v[34:35], v[226:227]
	;; [unrolled: 1-line block ×8, first 2 shown]
	s_waitcnt vmcnt(21)
	v_mov_b32_e32 v158, v124
	s_waitcnt vmcnt(5)
	v_mov_b64_e32 v[102:103], v[10:11]
	v_mov_b64_e32 v[100:101], v[8:9]
	;; [unrolled: 1-line block ×6, first 2 shown]
	s_waitcnt vmcnt(4)
	v_mov_b64_e32 v[104:105], v[12:13]
	scratch_load_dwordx4 v[0:3], off, s2    ; 16-byte Folded Reload
	scratch_load_dwordx4 v[4:7], off, s2 offset:16 ; 16-byte Folded Reload
	scratch_load_dwordx4 v[8:11], off, s2 offset:32 ; 16-byte Folded Reload
	;; [unrolled: 1-line block ×7, first 2 shown]
	s_nop 0
	scratch_store_dwordx4 off, v[64:67], off offset:776 ; 16-byte Folded Spill
	s_nop 0
	scratch_store_dwordx4 off, v[68:71], off offset:792 ; 16-byte Folded Spill
	scratch_store_dwordx4 off, v[72:75], off offset:808 ; 16-byte Folded Spill
	;; [unrolled: 1-line block ×7, first 2 shown]
	v_mov_b32_e32 v163, v105
	s_movk_i32 s2, 0x1708
	s_waitcnt vmcnt(12)
	v_mov_b32_e32 v164, v14
	scratch_load_dwordx4 v[0:3], off, off offset:648 ; 16-byte Folded Reload
	scratch_load_dwordx4 v[4:7], off, off offset:664 ; 16-byte Folded Reload
	scratch_load_dwordx4 v[8:11], off, off offset:680 ; 16-byte Folded Reload
	scratch_load_dwordx4 v[12:15], off, off offset:696 ; 16-byte Folded Reload
	scratch_load_dwordx4 v[16:19], off, off offset:712 ; 16-byte Folded Reload
	scratch_load_dwordx4 v[20:23], off, off offset:728 ; 16-byte Folded Reload
	scratch_load_dwordx4 v[24:27], off, off offset:744 ; 16-byte Folded Reload
	scratch_load_dwordx4 v[28:31], off, off offset:760 ; 16-byte Folded Reload
	s_waitcnt vmcnt(0)
	v_mov_b64_e32 v[28:29], v[198:199]
	v_mov_b32_e32 v168, v18
	scratch_store_dwordx4 off, v[150:153], off offset:392 ; 16-byte Folded Spill
	s_nop 0
	scratch_store_dwordx4 off, v[154:157], off offset:408 ; 16-byte Folded Spill
	scratch_store_dwordx4 off, v[158:161], off offset:424 ; 16-byte Folded Spill
	;; [unrolled: 1-line block ×8, first 2 shown]
	s_nop 0
	scratch_store_dwordx4 off, v[130:133], off offset:536 ; 16-byte Folded Spill
	scratch_store_dwordx4 off, v[134:137], off offset:552 ; 16-byte Folded Spill
	;; [unrolled: 1-line block ×7, first 2 shown]
	v_mov_b32_e32 v138, v112
	v_mov_b64_e32 v[16:17], v[186:187]
	v_mov_b64_e32 v[18:19], v[188:189]
	;; [unrolled: 1-line block ×14, first 2 shown]
	v_mov_b32_e32 v112, v148
	scratch_store_dwordx4 off, v[88:91], off offset:1672 ; 16-byte Folded Spill
	s_nop 0
	scratch_store_dwordx4 off, v[92:95], off offset:1688 ; 16-byte Folded Spill
	scratch_store_dwordx4 off, v[96:99], off offset:1704 ; 16-byte Folded Spill
	;; [unrolled: 1-line block ×7, first 2 shown]
	scratch_load_dwordx4 v[140:143], off, off offset:3464 ; 16-byte Folded Reload
	scratch_load_dwordx4 v[144:147], off, off offset:3480 ; 16-byte Folded Reload
	;; [unrolled: 1-line block ×8, first 2 shown]
	v_mov_b32_e32 v105, v63
	v_mov_b32_e32 v94, v0
	;; [unrolled: 1-line block ×5, first 2 shown]
	v_mov_b64_e32 v[134:135], v[110:111]
	s_waitcnt vmcnt(7)
	v_mov_b32_e32 v182, v142
	v_mov_b32_e32 v181, v141
	;; [unrolled: 1-line block ×3, first 2 shown]
	scratch_load_dwordx4 v[140:143], off, s2 ; 16-byte Folded Reload
	scratch_load_dwordx4 v[144:147], off, s2 offset:16 ; 16-byte Folded Reload
	scratch_load_dwordx4 v[148:151], off, s2 offset:32 ; 16-byte Folded Reload
	;; [unrolled: 1-line block ×7, first 2 shown]
	scratch_load_dwordx4 v[144:147], off, off offset:3592 ; 16-byte Folded Reload
	scratch_load_dwordx4 v[148:151], off, off offset:3608 ; 16-byte Folded Reload
	;; [unrolled: 1-line block ×8, first 2 shown]
	s_movk_i32 s2, 0x1308
	v_mov_b64_e32 v[132:133], v[108:109]
	v_mov_b64_e32 v[130:131], v[106:107]
	v_mov_b32_e32 v111, v49
	v_mov_b32_e32 v96, v182
	;; [unrolled: 1-line block ×4, first 2 shown]
	s_waitcnt vmcnt(15)
	v_mov_b32_e32 v97, v143
	s_waitcnt vmcnt(6)
	v_mov_b32_e32 v80, v144
	v_mov_b32_e32 v81, v145
	;; [unrolled: 1-line block ×5, first 2 shown]
	scratch_load_dwordx4 v[144:147], off, off offset:3848 ; 16-byte Folded Reload
	scratch_load_dwordx4 v[148:151], off, off offset:3864 ; 16-byte Folded Reload
	;; [unrolled: 1-line block ×8, first 2 shown]
	s_waitcnt vmcnt(2)
	v_mov_b64_e32 v[158:159], v[214:215]
	v_mov_b64_e32 v[160:161], v[216:217]
	;; [unrolled: 1-line block ×4, first 2 shown]
	v_mov_b32_e32 v101, v165
	scratch_load_dwordx4 v[202:205], off, off offset:3976 ; 16-byte Folded Reload
	scratch_load_dwordx4 v[206:209], off, off offset:3992 ; 16-byte Folded Reload
	;; [unrolled: 1-line block ×8, first 2 shown]
	v_mov_b32_e32 v98, v84
	v_mov_b32_e32 v156, v150
	;; [unrolled: 1-line block ×8, first 2 shown]
	v_mov_b64_e32 v[154:155], v[62:63]
	v_mov_b64_e32 v[152:153], v[60:61]
	;; [unrolled: 1-line block ×6, first 2 shown]
	v_mov_b32_e32 v100, v156
	scratch_store_dwordx4 off, v[144:147], s2 ; 16-byte Folded Spill
	s_nop 0
	scratch_store_dwordx4 off, v[148:151], s2 offset:16 ; 16-byte Folded Spill
	scratch_store_dwordx4 off, v[152:155], s2 offset:32 ; 16-byte Folded Spill
	;; [unrolled: 1-line block ×5, first 2 shown]
	s_waitcnt vmcnt(15)
	scratch_store_dwordx4 off, v[168:171], s2 offset:96 ; 16-byte Folded Spill
	s_waitcnt vmcnt(15)
	scratch_store_dwordx4 off, v[172:175], s2 offset:112 ; 16-byte Folded Spill
	s_movk_i32 s2, 0x1088
	scratch_load_dwordx4 v[52:55], off, s2  ; 16-byte Folded Reload
	scratch_load_dwordx4 v[56:59], off, s2 offset:16 ; 16-byte Folded Reload
	scratch_load_dwordx4 v[60:63], off, s2 offset:32 ; 16-byte Folded Reload
	;; [unrolled: 1-line block ×7, first 2 shown]
	s_movk_i32 s2, 0x1a84
	scratch_store_dword off, v254, s2       ; 4-byte Folded Spill
	s_movk_i32 s2, 0x1388
	s_waitcnt vmcnt(22)
	v_mov_b32_e32 v104, v212
	v_mov_b32_e32 v176, v124
	;; [unrolled: 1-line block ×10, first 2 shown]
	s_waitcnt vmcnt(5)
	v_mov_b32_e32 v106, v64
	scratch_load_dwordx4 v[52:55], off, off offset:3080 ; 16-byte Folded Reload
	scratch_load_dwordx4 v[56:59], off, off offset:3096 ; 16-byte Folded Reload
	;; [unrolled: 1-line block ×8, first 2 shown]
	scratch_load_dwordx4 v[196:199], off, s2 ; 16-byte Folded Reload
	scratch_load_dwordx4 v[200:203], off, s2 offset:16 ; 16-byte Folded Reload
	scratch_load_dwordx4 v[204:207], off, s2 offset:32 ; 16-byte Folded Reload
	;; [unrolled: 1-line block ×7, first 2 shown]
	s_movk_i32 s2, 0x1108
	s_waitcnt vmcnt(12)
	v_mov_b32_e32 v107, v65
	scratch_load_dwordx4 v[52:55], off, off offset:1160 ; 16-byte Folded Reload
	scratch_load_dwordx4 v[56:59], off, off offset:1176 ; 16-byte Folded Reload
	;; [unrolled: 1-line block ×8, first 2 shown]
	s_waitcnt vmcnt(12)
	v_mov_b32_e32 v108, v210
	s_waitcnt vmcnt(4)
	v_mov_b32_e32 v109, v67
	scratch_load_dwordx4 v[52:55], off, off offset:776 ; 16-byte Folded Reload
	scratch_load_dwordx4 v[56:59], off, off offset:792 ; 16-byte Folded Reload
	;; [unrolled: 1-line block ×8, first 2 shown]
	s_waitcnt vmcnt(3)
	v_mov_b32_e32 v110, v68
	scratch_load_dwordx4 v[52:55], off, off offset:648 ; 16-byte Folded Reload
	scratch_load_dwordx4 v[56:59], off, off offset:664 ; 16-byte Folded Reload
	;; [unrolled: 1-line block ×8, first 2 shown]
	s_waitcnt vmcnt(3)
	v_mov_b32_e32 v134, v70
	v_mov_b32_e32 v133, v69
	;; [unrolled: 1-line block ×3, first 2 shown]
	scratch_load_dwordx4 v[52:55], off, off offset:392 ; 16-byte Folded Reload
	scratch_load_dwordx4 v[56:59], off, off offset:408 ; 16-byte Folded Reload
	;; [unrolled: 1-line block ×8, first 2 shown]
	s_waitcnt vmcnt(7)
	v_mov_b32_e32 v52, v0
	v_mov_b32_e32 v53, v1
	scratch_store_dwordx4 off, v[0:3], off offset:4 ; 16-byte Folded Spill
	s_nop 0
	scratch_store_dwordx4 off, v[4:7], off offset:20 ; 16-byte Folded Spill
	scratch_store_dwordx4 off, v[8:11], off offset:36 ; 16-byte Folded Spill
	;; [unrolled: 1-line block ×7, first 2 shown]
	scratch_load_dwordx4 v[196:199], off, s2 ; 16-byte Folded Reload
	scratch_load_dwordx4 v[200:203], off, s2 offset:16 ; 16-byte Folded Reload
	scratch_load_dwordx4 v[204:207], off, s2 offset:32 ; 16-byte Folded Reload
	;; [unrolled: 1-line block ×7, first 2 shown]
	s_movk_i32 s2, 0x1088
	s_waitcnt vmcnt(22)
	v_mov_b32_e32 v58, v156
	v_mov_b32_e32 v59, v165
	s_waitcnt vmcnt(21)
	v_mov_b32_e32 v63, v155
	v_mov_b32_e32 v112, v134
	s_waitcnt vmcnt(2)
	v_mov_b64_e32 v[216:217], v[240:241]
	v_mov_b32_e32 v73, v51
	v_mov_b32_e32 v54, v182
	;; [unrolled: 1-line block ×8, first 2 shown]
	v_mov_b64_e32 v[134:135], v[140:141]
	v_mov_b64_e32 v[136:137], v[142:143]
	v_mov_b32_e32 v113, v71
	v_mov_b32_e32 v61, v205
	scratch_load_dwordx4 v[184:187], off, off offset:3976 ; 16-byte Folded Reload
	scratch_load_dwordx4 v[188:191], off, off offset:3992 ; 16-byte Folded Reload
	;; [unrolled: 1-line block ×8, first 2 shown]
	scratch_load_dwordx4 v[144:147], off, s2 ; 16-byte Folded Reload
	scratch_load_dwordx4 v[148:151], off, s2 offset:16 ; 16-byte Folded Reload
	scratch_load_dwordx4 v[152:155], off, s2 offset:32 ; 16-byte Folded Reload
	;; [unrolled: 1-line block ×7, first 2 shown]
	scratch_load_dwordx4 v[0:3], off, off offset:3080 ; 16-byte Folded Reload
	scratch_load_dwordx4 v[4:7], off, off offset:3096 ; 16-byte Folded Reload
	;; [unrolled: 1-line block ×8, first 2 shown]
	s_movk_i32 s2, 0x1388
	s_waitcnt vmcnt(21)
	v_mov_b32_e32 v62, v194
	s_waitcnt vmcnt(13)
	v_mov_b64_e32 v[228:229], v[154:155]
	v_mov_b64_e32 v[226:227], v[152:153]
	;; [unrolled: 1-line block ×6, first 2 shown]
	s_waitcnt vmcnt(12)
	v_mov_b32_e32 v230, v156
	v_mov_b32_e32 v64, v156
	s_waitcnt vmcnt(4)
	v_mov_b32_e32 v65, v13
	scratch_load_dwordx4 v[184:187], off, s2 ; 16-byte Folded Reload
	scratch_load_dwordx4 v[188:191], off, s2 offset:16 ; 16-byte Folded Reload
	scratch_load_dwordx4 v[192:195], off, s2 offset:32 ; 16-byte Folded Reload
	;; [unrolled: 1-line block ×7, first 2 shown]
	scratch_load_dwordx4 v[144:147], off, off offset:1160 ; 16-byte Folded Reload
	scratch_load_dwordx4 v[148:151], off, off offset:1176 ; 16-byte Folded Reload
	;; [unrolled: 1-line block ×16, first 2 shown]
	s_waitcnt vmcnt(16)
	v_mov_b64_e32 v[214:215], v[46:47]
	v_mov_b64_e32 v[212:213], v[44:45]
	;; [unrolled: 1-line block ×8, first 2 shown]
	v_mov_b32_e32 v32, v110
	v_mov_b32_e32 v36, v114
	;; [unrolled: 1-line block ×6, first 2 shown]
	s_waitcnt vmcnt(9)
	v_mov_b64_e32 v[170:171], v[240:241]
	v_mov_b32_e32 v110, v230
	s_movk_i32 s2, 0x1508
	v_mov_b32_e32 v222, v138
	v_mov_b32_e32 v217, v171
	;; [unrolled: 1-line block ×5, first 2 shown]
	v_mov_b64_e32 v[154:155], v[200:201]
	s_waitcnt vmcnt(0)
	v_mov_b32_e32 v30, v16
	v_mov_b64_e32 v[28:29], v[14:15]
	v_mov_b64_e32 v[26:27], v[12:13]
	;; [unrolled: 1-line block ×8, first 2 shown]
	v_mov_b32_e32 v68, v30
	scratch_load_dwordx4 v[0:3], off, off offset:392 ; 16-byte Folded Reload
	scratch_load_dwordx4 v[4:7], off, off offset:408 ; 16-byte Folded Reload
	;; [unrolled: 1-line block ×8, first 2 shown]
	v_mov_b64_e32 v[156:157], v[202:203]
	v_mov_b64_e32 v[158:159], v[204:205]
	;; [unrolled: 1-line block ×7, first 2 shown]
	s_waitcnt vmcnt(4)
	v_mov_b32_e32 v12, v196
	v_mov_b32_e32 v208, v176
	;; [unrolled: 1-line block ×7, first 2 shown]
	s_waitcnt vmcnt(3)
	v_mov_b32_e32 v71, v19
	scratch_store_dwordx4 off, v[52:55], off offset:1032 ; 16-byte Folded Spill
	s_nop 0
	scratch_store_dwordx4 off, v[56:59], off offset:1048 ; 16-byte Folded Spill
	scratch_store_dwordx4 off, v[60:63], off offset:1064 ; 16-byte Folded Spill
	;; [unrolled: 1-line block ×7, first 2 shown]
	s_waitcnt vmcnt(8)
	v_mov_b64_e32 v[16:17], v[94:95]
	scratch_load_dwordx4 v[38:41], off, off offset:392 ; 16-byte Folded Reload
	scratch_load_dwordx4 v[42:45], off, off offset:408 ; 16-byte Folded Reload
	;; [unrolled: 1-line block ×8, first 2 shown]
	v_mov_b64_e32 v[18:19], v[96:97]
	v_mov_b64_e32 v[20:21], v[98:99]
	;; [unrolled: 1-line block ×7, first 2 shown]
	scratch_load_dwordx4 v[64:67], off, off offset:4 ; 16-byte Folded Reload
	scratch_load_dwordx4 v[68:71], off, off offset:20 ; 16-byte Folded Reload
	;; [unrolled: 1-line block ×16, first 2 shown]
	s_waitcnt vmcnt(8)
	v_mov_b32_e32 v94, v180
	v_mov_b32_e32 v95, v181
	;; [unrolled: 1-line block ×6, first 2 shown]
	v_mov_b64_e32 v[132:133], v[56:57]
	v_mov_b64_e32 v[130:131], v[54:55]
	v_mov_b32_e32 v219, v133
	v_mov_b32_e32 v200, v64
	;; [unrolled: 1-line block ×3, first 2 shown]
	s_waitcnt vmcnt(6)
	v_mov_b32_e32 v46, v224
	v_mov_b32_e32 v47, v225
	;; [unrolled: 1-line block ×5, first 2 shown]
	scratch_load_dwordx4 v[224:227], off, s2 ; 16-byte Folded Reload
	scratch_load_dwordx4 v[228:231], off, s2 offset:16 ; 16-byte Folded Reload
	scratch_load_dwordx4 v[232:235], off, s2 offset:32 ; 16-byte Folded Reload
	;; [unrolled: 1-line block ×7, first 2 shown]
	s_movk_i32 s2, 0x1108
	v_mov_b32_e32 v204, v50
	v_mov_b32_e32 v92, v50
	s_waitcnt vmcnt(6)
	v_mov_b64_e32 v[138:139], v[224:225]
	v_mov_b64_e32 v[140:141], v[226:227]
	;; [unrolled: 1-line block ×3, first 2 shown]
	scratch_load_dwordx4 v[224:227], off, off offset:3848 ; 16-byte Folded Reload
	scratch_load_dwordx4 v[228:231], off, off offset:3864 ; 16-byte Folded Reload
	;; [unrolled: 1-line block ×8, first 2 shown]
	v_mov_b32_e32 v205, v143
	v_mov_b32_e32 v93, v143
	s_waitcnt vmcnt(6)
	v_mov_b32_e32 v54, v224
	v_mov_b32_e32 v55, v225
	;; [unrolled: 1-line block ×7, first 2 shown]
	scratch_load_dwordx4 v[224:227], off, off offset:3720 ; 16-byte Folded Reload
	scratch_load_dwordx4 v[228:231], off, off offset:3736 ; 16-byte Folded Reload
	;; [unrolled: 1-line block ×8, first 2 shown]
	v_mov_b32_e32 v206, v60
	v_mov_b32_e32 v94, v60
	s_waitcnt vmcnt(6)
	v_mov_b64_e32 v[42:43], v[224:225]
	v_mov_b64_e32 v[44:45], v[226:227]
	;; [unrolled: 1-line block ×4, first 2 shown]
	scratch_load_dwordx4 v[224:227], off, s2 ; 16-byte Folded Reload
	scratch_load_dwordx4 v[228:231], off, s2 offset:16 ; 16-byte Folded Reload
	scratch_load_dwordx4 v[232:235], off, s2 offset:32 ; 16-byte Folded Reload
	scratch_load_dwordx4 v[236:239], off, s2 offset:48 ; 16-byte Folded Reload
	scratch_load_dwordx4 v[240:243], off, s2 offset:64 ; 16-byte Folded Reload
	scratch_load_dwordx4 v[244:247], off, s2 offset:80 ; 16-byte Folded Reload
	scratch_load_dwordx4 v[248:251], off, s2 offset:96 ; 16-byte Folded Reload
	scratch_load_dwordx4 v[252:255], off, s2 offset:112 ; 16-byte Folded Reload
	s_movk_i32 s2, 0x1308
	v_mov_b32_e32 v207, v49
	v_mov_b32_e32 v95, v49
	s_waitcnt vmcnt(5)
	v_mov_b32_e32 v209, v233
	scratch_load_dwordx4 v[224:227], off, off offset:3976 ; 16-byte Folded Reload
	scratch_load_dwordx4 v[228:231], off, off offset:3992 ; 16-byte Folded Reload
	;; [unrolled: 1-line block ×8, first 2 shown]
	s_waitcnt vmcnt(5)
	v_mov_b32_e32 v38, v224
	v_mov_b32_e32 v39, v225
	;; [unrolled: 1-line block ×11, first 2 shown]
	scratch_load_dwordx4 v[224:227], off, s2 ; 16-byte Folded Reload
	scratch_load_dwordx4 v[228:231], off, s2 offset:16 ; 16-byte Folded Reload
	scratch_load_dwordx4 v[232:235], off, s2 offset:32 ; 16-byte Folded Reload
	;; [unrolled: 1-line block ×7, first 2 shown]
	v_mov_b32_e32 v210, v48
	s_movk_i32 s2, 0x1108
	v_mov_b32_e32 v98, v48
	s_waitcnt vmcnt(5)
	v_mov_b32_e32 v211, v235
	scratch_load_dwordx4 v[224:227], off, off offset:3080 ; 16-byte Folded Reload
	scratch_load_dwordx4 v[228:231], off, off offset:3096 ; 16-byte Folded Reload
	;; [unrolled: 1-line block ×8, first 2 shown]
	s_waitcnt vmcnt(5)
	v_mov_b64_e32 v[178:179], v[224:225]
	v_mov_b64_e32 v[180:181], v[226:227]
	;; [unrolled: 1-line block ×6, first 2 shown]
	s_waitcnt vmcnt(4)
	v_mov_b64_e32 v[190:191], v[236:237]
	scratch_load_dwordx4 v[224:227], off, off offset:1160 ; 16-byte Folded Reload
	scratch_load_dwordx4 v[228:231], off, off offset:1176 ; 16-byte Folded Reload
	scratch_load_dwordx4 v[232:235], off, off offset:1192 ; 16-byte Folded Reload
	scratch_load_dwordx4 v[236:239], off, off offset:1208 ; 16-byte Folded Reload
	scratch_load_dwordx4 v[240:243], off, off offset:1224 ; 16-byte Folded Reload
	scratch_load_dwordx4 v[244:247], off, off offset:1240 ; 16-byte Folded Reload
	scratch_load_dwordx4 v[248:251], off, off offset:1256 ; 16-byte Folded Reload
	scratch_load_dwordx4 v[252:255], off, off offset:1272 ; 16-byte Folded Reload
	v_mov_b32_e32 v213, v191
	s_waitcnt vmcnt(4)
	v_mov_b32_e32 v215, v239
	scratch_load_dwordx4 v[224:227], off, off offset:776 ; 16-byte Folded Reload
	scratch_load_dwordx4 v[228:231], off, off offset:792 ; 16-byte Folded Reload
	;; [unrolled: 1-line block ×8, first 2 shown]
	s_nop 0
	scratch_store_dwordx4 off, v[154:157], off offset:1544 ; 16-byte Folded Spill
	s_nop 0
	scratch_store_dwordx4 off, v[158:161], off offset:1560 ; 16-byte Folded Spill
	scratch_store_dwordx4 off, v[162:165], off offset:1576 ; 16-byte Folded Spill
	;; [unrolled: 1-line block ×7, first 2 shown]
	v_mov_b64_e32 v[156:157], v[190:191]
	v_mov_b32_e32 v101, v157
	v_mov_b32_e32 v96, v176
	s_waitcnt vmcnt(11)
	v_mov_b32_e32 v216, v240
	scratch_load_dwordx4 v[224:227], off, off offset:648 ; 16-byte Folded Reload
	scratch_load_dwordx4 v[228:231], off, off offset:664 ; 16-byte Folded Reload
	;; [unrolled: 1-line block ×8, first 2 shown]
	s_nop 0
	scratch_store_dwordx4 off, v[16:19], off offset:1288 ; 16-byte Folded Spill
	s_nop 0
	scratch_store_dwordx4 off, v[20:23], off offset:1304 ; 16-byte Folded Spill
	scratch_store_dwordx4 off, v[24:27], off offset:1320 ; 16-byte Folded Spill
	;; [unrolled: 1-line block ×7, first 2 shown]
	scratch_load_dwordx4 v[0:3], off, off offset:1032 ; 16-byte Folded Reload
	s_nop 0
	scratch_load_dwordx4 v[4:7], off, off offset:1048 ; 16-byte Folded Reload
	scratch_load_dwordx4 v[8:11], off, off offset:1064 ; 16-byte Folded Reload
	;; [unrolled: 1-line block ×7, first 2 shown]
	s_waitcnt vmcnt(19)
	v_mov_b32_e32 v218, v242
	s_waitcnt vmcnt(2)
	v_mov_b32_e32 v221, v21
	scratch_store_dwordx4 off, v[200:203], off offset:904 ; 16-byte Folded Spill
	s_nop 0
	scratch_store_dwordx4 off, v[204:207], off offset:920 ; 16-byte Folded Spill
	scratch_store_dwordx4 off, v[208:211], off offset:936 ; 16-byte Folded Spill
	;; [unrolled: 1-line block ×7, first 2 shown]
	scratch_load_dwordx4 v[0:3], off, off offset:520 ; 16-byte Folded Reload
	scratch_load_dwordx4 v[4:7], off, off offset:536 ; 16-byte Folded Reload
	;; [unrolled: 1-line block ×8, first 2 shown]
	v_mov_b64_e32 v[224:225], v[78:79]
	v_mov_b64_e32 v[222:223], v[76:77]
	;; [unrolled: 1-line block ×13, first 2 shown]
	v_mov_b32_e32 v88, v210
	v_mov_b32_e32 v89, v211
	;; [unrolled: 1-line block ×6, first 2 shown]
	s_waitcnt vmcnt(2)
	v_mov_b32_e32 v111, v23
	scratch_load_dwordx4 v[0:3], off, s2    ; 16-byte Folded Reload
	scratch_load_dwordx4 v[4:7], off, s2 offset:16 ; 16-byte Folded Reload
	scratch_load_dwordx4 v[8:11], off, s2 offset:32 ; 16-byte Folded Reload
	;; [unrolled: 1-line block ×7, first 2 shown]
	s_movk_i32 s2, 0x1308
	s_waitcnt vmcnt(5)
	v_mov_b64_e32 v[176:177], v[8:9]
	v_mov_b64_e32 v[174:175], v[6:7]
	;; [unrolled: 1-line block ×5, first 2 shown]
	scratch_load_dwordx4 v[0:3], off, s2    ; 16-byte Folded Reload
	scratch_load_dwordx4 v[4:7], off, s2 offset:16 ; 16-byte Folded Reload
	scratch_load_dwordx4 v[8:11], off, s2 offset:32 ; 16-byte Folded Reload
	;; [unrolled: 1-line block ×7, first 2 shown]
	s_movk_i32 s2, 0x1088
	scratch_load_dwordx4 v[120:123], off, s2 ; 16-byte Folded Reload
	scratch_load_dwordx4 v[124:127], off, s2 offset:16 ; 16-byte Folded Reload
	scratch_load_dwordx4 v[128:131], off, s2 offset:32 ; 16-byte Folded Reload
	;; [unrolled: 1-line block ×7, first 2 shown]
	s_waitcnt vmcnt(0)
	v_mov_b64_e32 v[144:145], v[178:179]
	s_movk_i32 s2, 0x1388
	v_mov_b64_e32 v[146:147], v[180:181]
	v_mov_b64_e32 v[148:149], v[182:183]
	;; [unrolled: 1-line block ×5, first 2 shown]
	scratch_load_dwordx4 v[178:181], off, s2 ; 16-byte Folded Reload
	scratch_load_dwordx4 v[182:185], off, s2 offset:16 ; 16-byte Folded Reload
	scratch_load_dwordx4 v[186:189], off, s2 offset:32 ; 16-byte Folded Reload
	;; [unrolled: 1-line block ×7, first 2 shown]
	v_mov_b32_e32 v97, v177
	v_mov_b32_e32 v143, v111
	s_movk_i32 s2, 0x1288
	v_mov_b64_e32 v[62:63], v[10:11]
	v_mov_b64_e32 v[60:61], v[8:9]
	v_mov_b64_e32 v[58:59], v[6:7]
	v_mov_b64_e32 v[56:57], v[4:5]
	v_mov_b64_e32 v[54:55], v[2:3]
	v_mov_b64_e32 v[52:53], v[0:1]
	v_mov_b32_e32 v99, v63
	v_mov_b32_e32 v100, v132
	s_waitcnt vmcnt(4)
	v_mov_b32_e32 v102, v192
	scratch_load_dwordx4 v[178:181], off, off offset:1160 ; 16-byte Folded Reload
	scratch_load_dwordx4 v[182:185], off, off offset:1176 ; 16-byte Folded Reload
	;; [unrolled: 1-line block ×16, first 2 shown]
	s_waitcnt vmcnt(12)
	v_mov_b32_e32 v103, v193
	v_mov_b64_e32 v[134:135], v[102:103]
	s_waitcnt vmcnt(3)
	v_mov_b32_e32 v104, v16
	scratch_load_dwordx4 v[0:3], off, off offset:1544 ; 16-byte Folded Reload
	scratch_load_dwordx4 v[4:7], off, off offset:1560 ; 16-byte Folded Reload
	;; [unrolled: 1-line block ×8, first 2 shown]
	v_mov_b64_e32 v[132:133], v[100:101]
	v_mov_b64_e32 v[130:131], v[98:99]
	v_mov_b64_e32 v[128:129], v[96:97]
	v_mov_b64_e32 v[126:127], v[94:95]
	v_mov_b64_e32 v[124:125], v[92:93]
	v_mov_b64_e32 v[122:123], v[90:91]
	v_mov_b64_e32 v[120:121], v[88:89]
	s_waitcnt vmcnt(3)
	v_mov_b32_e32 v105, v17
	scratch_load_dwordx4 v[0:3], off, off offset:648 ; 16-byte Folded Reload
	scratch_load_dwordx4 v[4:7], off, off offset:664 ; 16-byte Folded Reload
	;; [unrolled: 1-line block ×8, first 2 shown]
	s_waitcnt vmcnt(3)
	v_mov_b32_e32 v196, v18
	v_mov_b32_e32 v195, v17
	;; [unrolled: 1-line block ×3, first 2 shown]
	scratch_load_dwordx4 v[0:3], off, off offset:392 ; 16-byte Folded Reload
	scratch_load_dwordx4 v[4:7], off, off offset:408 ; 16-byte Folded Reload
	;; [unrolled: 1-line block ×8, first 2 shown]
	v_mov_b32_e32 v106, v196
	s_waitcnt vmcnt(3)
	v_mov_b32_e32 v107, v19
	scratch_load_dwordx4 v[0:3], off, off offset:1288 ; 16-byte Folded Reload
	scratch_load_dwordx4 v[4:7], off, off offset:1304 ; 16-byte Folded Reload
	;; [unrolled: 1-line block ×8, first 2 shown]
	s_waitcnt vmcnt(2)
	v_mov_b32_e32 v108, v20
	scratch_load_dwordx4 v[0:3], off, off offset:1032 ; 16-byte Folded Reload
	scratch_load_dwordx4 v[4:7], off, off offset:1048 ; 16-byte Folded Reload
	;; [unrolled: 1-line block ×8, first 2 shown]
	s_waitcnt vmcnt(2)
	v_mov_b32_e32 v109, v21
	v_mov_b64_e32 v[140:141], v[108:109]
	v_mov_b64_e32 v[138:139], v[106:107]
	v_mov_b64_e32 v[136:137], v[104:105]
	scratch_load_dwordx4 v[84:87], off, off offset:904 ; 16-byte Folded Reload
	scratch_load_dwordx4 v[88:91], off, off offset:920 ; 16-byte Folded Reload
	;; [unrolled: 1-line block ×8, first 2 shown]
	s_waitcnt vmcnt(2)
	v_mov_b32_e32 v38, v100
	v_mov_b32_e32 v44, v106
	;; [unrolled: 1-line block ×3, first 2 shown]
	scratch_store_dwordx4 off, v[120:123], off offset:520 ; 16-byte Folded Spill
	s_nop 0
	scratch_store_dwordx4 off, v[124:127], off offset:536 ; 16-byte Folded Spill
	scratch_store_dwordx4 off, v[128:131], off offset:552 ; 16-byte Folded Spill
	;; [unrolled: 1-line block ×7, first 2 shown]
	v_mov_b32_e32 v39, v101
	v_mov_b32_e32 v40, v102
	;; [unrolled: 1-line block ×5, first 2 shown]
	scratch_load_dwordx4 v[84:87], off, off offset:1672 ; 16-byte Folded Reload
	scratch_load_dwordx4 v[88:91], off, off offset:1688 ; 16-byte Folded Reload
	scratch_load_dwordx4 v[92:95], off, off offset:1704 ; 16-byte Folded Reload
	scratch_load_dwordx4 v[96:99], off, off offset:1720 ; 16-byte Folded Reload
	scratch_load_dwordx4 v[100:103], off, off offset:1736 ; 16-byte Folded Reload
	scratch_load_dwordx4 v[104:107], off, off offset:1752 ; 16-byte Folded Reload
	scratch_load_dwordx4 v[108:111], off, off offset:1768 ; 16-byte Folded Reload
	scratch_load_dwordx4 v[112:115], off, off offset:1784 ; 16-byte Folded Reload
	scratch_load_dwordx4 v[0:3], off, off offset:3464 ; 16-byte Folded Reload
	scratch_load_dwordx4 v[4:7], off, off offset:3480 ; 16-byte Folded Reload
	scratch_load_dwordx4 v[8:11], off, off offset:3496 ; 16-byte Folded Reload
	scratch_load_dwordx4 v[12:15], off, off offset:3512 ; 16-byte Folded Reload
	scratch_load_dwordx4 v[16:19], off, off offset:3528 ; 16-byte Folded Reload
	scratch_load_dwordx4 v[20:23], off, off offset:3544 ; 16-byte Folded Reload
	scratch_load_dwordx4 v[24:27], off, off offset:3560 ; 16-byte Folded Reload
	scratch_load_dwordx4 v[28:31], off, off offset:3576 ; 16-byte Folded Reload
	s_waitcnt vmcnt(11)
	v_mov_b32_e32 v101, v157
	v_mov_b64_e32 v[32:33], v[210:211]
	v_mov_b64_e32 v[126:127], v[168:169]
	;; [unrolled: 1-line block ×9, first 2 shown]
	v_mov_b32_e32 v97, v177
	v_mov_b64_e32 v[128:129], v[170:171]
	v_mov_b64_e32 v[130:131], v[172:173]
	;; [unrolled: 1-line block ×4, first 2 shown]
	s_waitcnt vmcnt(10)
	v_mov_b32_e32 v106, v196
	v_mov_b32_e32 v99, v63
	s_waitcnt vmcnt(7)
	v_mov_b32_e32 v66, v2
	scratch_load_dwordx4 v[0:3], off, off offset:3592 ; 16-byte Folded Reload
	scratch_load_dwordx4 v[4:7], off, off offset:3608 ; 16-byte Folded Reload
	;; [unrolled: 1-line block ×8, first 2 shown]
	v_mov_b32_e32 v112, v108
	s_waitcnt vmcnt(6)
	v_mov_b32_e32 v68, v4
	scratch_load_dwordx4 v[0:3], off, off offset:3848 ; 16-byte Folded Reload
	scratch_load_dwordx4 v[4:7], off, off offset:3864 ; 16-byte Folded Reload
	;; [unrolled: 1-line block ×8, first 2 shown]
	s_waitcnt vmcnt(6)
	v_mov_b32_e32 v70, v6
	scratch_load_dwordx4 v[0:3], off, off offset:3720 ; 16-byte Folded Reload
	scratch_load_dwordx4 v[4:7], off, off offset:3736 ; 16-byte Folded Reload
	;; [unrolled: 1-line block ×8, first 2 shown]
	s_waitcnt vmcnt(6)
	v_mov_b32_e32 v71, v7
	scratch_load_dwordx4 v[0:3], off, s2    ; 16-byte Folded Reload
	scratch_load_dwordx4 v[4:7], off, s2 offset:16 ; 16-byte Folded Reload
	scratch_load_dwordx4 v[8:11], off, s2 offset:32 ; 16-byte Folded Reload
	;; [unrolled: 1-line block ×7, first 2 shown]
	s_movk_i32 s2, 0x1088
	v_mov_b64_e32 v[94:95], v[70:71]
	v_mov_b64_e32 v[92:93], v[68:69]
	v_mov_b64_e32 v[90:91], v[66:67]
	v_mov_b64_e32 v[88:89], v[64:65]
	s_waitcnt vmcnt(5)
	v_mov_b32_e32 v96, v8
	scratch_load_dwordx4 v[0:3], off, off offset:3976 ; 16-byte Folded Reload
	scratch_load_dwordx4 v[4:7], off, off offset:3992 ; 16-byte Folded Reload
	;; [unrolled: 1-line block ×8, first 2 shown]
	s_waitcnt vmcnt(5)
	v_mov_b32_e32 v98, v10
	scratch_load_dwordx4 v[0:3], off, s2    ; 16-byte Folded Reload
	scratch_load_dwordx4 v[4:7], off, s2 offset:16 ; 16-byte Folded Reload
	scratch_load_dwordx4 v[8:11], off, s2 offset:32 ; 16-byte Folded Reload
	;; [unrolled: 1-line block ×7, first 2 shown]
	s_movk_i32 s2, 0x1388
	s_waitcnt vmcnt(4)
	v_mov_b32_e32 v100, v12
	scratch_load_dwordx4 v[0:3], off, s2    ; 16-byte Folded Reload
	scratch_load_dwordx4 v[4:7], off, s2 offset:16 ; 16-byte Folded Reload
	scratch_load_dwordx4 v[8:11], off, s2 offset:32 ; 16-byte Folded Reload
	;; [unrolled: 1-line block ×7, first 2 shown]
	s_movk_i32 s2, 0x1288
	s_waitcnt vmcnt(4)
	v_mov_b32_e32 v102, v14
	scratch_load_dwordx4 v[0:3], off, off offset:1160 ; 16-byte Folded Reload
	scratch_load_dwordx4 v[4:7], off, off offset:1176 ; 16-byte Folded Reload
	scratch_load_dwordx4 v[8:11], off, off offset:1192 ; 16-byte Folded Reload
	scratch_load_dwordx4 v[12:15], off, off offset:1208 ; 16-byte Folded Reload
	scratch_load_dwordx4 v[16:19], off, off offset:1224 ; 16-byte Folded Reload
	scratch_load_dwordx4 v[20:23], off, off offset:1240 ; 16-byte Folded Reload
	scratch_load_dwordx4 v[24:27], off, off offset:1256 ; 16-byte Folded Reload
	scratch_load_dwordx4 v[28:31], off, off offset:1272 ; 16-byte Folded Reload
	s_waitcnt vmcnt(4)
	v_mov_b32_e32 v103, v15
	scratch_load_dwordx4 v[0:3], off, off offset:776 ; 16-byte Folded Reload
	scratch_load_dwordx4 v[4:7], off, off offset:792 ; 16-byte Folded Reload
	scratch_load_dwordx4 v[8:11], off, off offset:808 ; 16-byte Folded Reload
	scratch_load_dwordx4 v[12:15], off, off offset:824 ; 16-byte Folded Reload
	scratch_load_dwordx4 v[16:19], off, off offset:840 ; 16-byte Folded Reload
	scratch_load_dwordx4 v[20:23], off, off offset:856 ; 16-byte Folded Reload
	scratch_load_dwordx4 v[24:27], off, off offset:872 ; 16-byte Folded Reload
	scratch_load_dwordx4 v[28:31], off, off offset:888 ; 16-byte Folded Reload
	;; [unrolled: 10-line block ×3, first 2 shown]
	scratch_load_dwordx4 v[136:139], off, off offset:392 ; 16-byte Folded Reload
	scratch_load_dwordx4 v[140:143], off, off offset:408 ; 16-byte Folded Reload
	;; [unrolled: 1-line block ×8, first 2 shown]
	s_waitcnt vmcnt(11)
	v_mov_b32_e32 v105, v17
	s_waitcnt vmcnt(3)
	v_mov_b32_e32 v107, v155
	scratch_load_dwordx4 v[136:139], off, off offset:1288 ; 16-byte Folded Reload
	scratch_load_dwordx4 v[140:143], off, off offset:1304 ; 16-byte Folded Reload
	;; [unrolled: 1-line block ×24, first 2 shown]
	s_waitcnt vmcnt(12)
	v_mov_b64_e32 v[180:181], v[102:103]
	v_mov_b64_e32 v[178:179], v[100:101]
	;; [unrolled: 1-line block ×8, first 2 shown]
	s_waitcnt vmcnt(9)
	v_mov_b32_e32 v190, v112
	v_mov_b32_e32 v164, v156
	v_mov_b32_e32 v108, v164
	s_waitcnt vmcnt(2)
	v_mov_b32_e32 v110, v246
	v_mov_b32_e32 v109, v187
	;; [unrolled: 1-line block ×9, first 2 shown]
	scratch_load_dwordx4 v[88:91], off, off offset:520 ; 16-byte Folded Reload
	scratch_load_dwordx4 v[92:95], off, off offset:536 ; 16-byte Folded Reload
	;; [unrolled: 1-line block ×8, first 2 shown]
	v_mov_b32_e32 v163, v155
	v_mov_b32_e32 v162, v154
	;; [unrolled: 1-line block ×4, first 2 shown]
	v_mov_b64_e32 v[158:159], v[150:151]
	v_mov_b64_e32 v[156:157], v[148:149]
	;; [unrolled: 1-line block ×8, first 2 shown]
	s_waitcnt vmcnt(0)
	v_mov_b32_e32 v116, v32
	v_mov_b32_e32 v117, v33
	;; [unrolled: 1-line block ×4, first 2 shown]
	scratch_store_dwordx4 off, v[166:169], off offset:1672 ; 16-byte Folded Spill
	s_nop 0
	scratch_store_dwordx4 off, v[170:173], off offset:1688 ; 16-byte Folded Spill
	scratch_store_dwordx4 off, v[174:177], off offset:1704 ; 16-byte Folded Spill
	;; [unrolled: 1-line block ×7, first 2 shown]
	scratch_load_dwordx4 v[84:87], off, off offset:1416 ; 16-byte Folded Reload
	scratch_load_dwordx4 v[88:91], off, off offset:1432 ; 16-byte Folded Reload
	;; [unrolled: 1-line block ×16, first 2 shown]
	s_waitcnt vmcnt(7)
	v_mov_b32_e32 v118, v168
	v_mov_b32_e32 v141, v109
	scratch_load_dwordx4 v[84:87], off, off offset:3592 ; 16-byte Folded Reload
	scratch_load_dwordx4 v[88:91], off, off offset:3608 ; 16-byte Folded Reload
	;; [unrolled: 1-line block ×24, first 2 shown]
	scratch_load_dwordx4 v[176:179], off, s2 ; 16-byte Folded Reload
	scratch_load_dwordx4 v[180:183], off, s2 offset:16 ; 16-byte Folded Reload
	scratch_load_dwordx4 v[184:187], off, s2 offset:32 ; 16-byte Folded Reload
	;; [unrolled: 1-line block ×7, first 2 shown]
	s_movk_i32 s2, 0x1308
	s_waitcnt vmcnt(31)
	v_mov_b64_e32 v[84:85], v[116:117]
	v_mov_b64_e32 v[86:87], v[118:119]
	s_waitcnt vmcnt(27)
	v_mov_b32_e32 v101, v17
	s_waitcnt vmcnt(25)
	v_mov_b32_e32 v109, v141
	v_mov_b32_e32 v89, v83
	;; [unrolled: 1-line block ×4, first 2 shown]
	s_waitcnt vmcnt(22)
	v_mov_b32_e32 v68, v24
	v_mov_b32_e32 v67, v23
	;; [unrolled: 1-line block ×7, first 2 shown]
	s_waitcnt vmcnt(14)
	v_mov_b32_e32 v91, v173
	s_waitcnt vmcnt(5)
	v_mov_b32_e32 v92, v184
	scratch_load_dwordx4 v[18:21], off, off offset:3976 ; 16-byte Folded Reload
	scratch_load_dwordx4 v[22:25], off, off offset:3992 ; 16-byte Folded Reload
	;; [unrolled: 1-line block ×8, first 2 shown]
	scratch_load_dwordx4 v[166:169], off, s2 ; 16-byte Folded Reload
	scratch_load_dwordx4 v[170:173], off, s2 offset:16 ; 16-byte Folded Reload
	scratch_load_dwordx4 v[174:177], off, s2 offset:32 ; 16-byte Folded Reload
	;; [unrolled: 1-line block ×7, first 2 shown]
	s_movk_i32 s2, 0x1088
	v_mov_b32_e32 v90, v68
	s_waitcnt vmcnt(13)
	v_mov_b32_e32 v124, v28
	s_waitcnt vmcnt(5)
	v_mov_b32_e32 v95, v177
	scratch_load_dwordx4 v[166:169], off, s2 ; 16-byte Folded Reload
	scratch_load_dwordx4 v[170:173], off, s2 offset:16 ; 16-byte Folded Reload
	scratch_load_dwordx4 v[174:177], off, s2 offset:32 ; 16-byte Folded Reload
	;; [unrolled: 1-line block ×7, first 2 shown]
	s_movk_i32 s2, 0x1388
	v_mov_b32_e32 v123, v27
	v_mov_b32_e32 v122, v26
	;; [unrolled: 1-line block ×11, first 2 shown]
	s_waitcnt vmcnt(4)
	v_mov_b32_e32 v96, v178
	scratch_load_dwordx4 v[166:169], off, off offset:3080 ; 16-byte Folded Reload
	scratch_load_dwordx4 v[170:173], off, off offset:3096 ; 16-byte Folded Reload
	scratch_load_dwordx4 v[174:177], off, off offset:3112 ; 16-byte Folded Reload
	scratch_load_dwordx4 v[178:181], off, off offset:3128 ; 16-byte Folded Reload
	scratch_load_dwordx4 v[182:185], off, off offset:3144 ; 16-byte Folded Reload
	scratch_load_dwordx4 v[186:189], off, off offset:3160 ; 16-byte Folded Reload
	scratch_load_dwordx4 v[190:193], off, off offset:3176 ; 16-byte Folded Reload
	scratch_load_dwordx4 v[194:197], off, off offset:3192 ; 16-byte Folded Reload
	s_waitcnt vmcnt(4)
	v_mov_b32_e32 v97, v179
	scratch_load_dwordx4 v[166:169], off, s2 ; 16-byte Folded Reload
	scratch_load_dwordx4 v[170:173], off, s2 offset:16 ; 16-byte Folded Reload
	scratch_load_dwordx4 v[174:177], off, s2 offset:32 ; 16-byte Folded Reload
	;; [unrolled: 1-line block ×7, first 2 shown]
	s_movk_i32 s2, 0x1288
	s_waitcnt vmcnt(5)
	v_mov_b64_e32 v[230:231], v[176:177]
	s_waitcnt vmcnt(4)
	v_mov_b32_e32 v234, v180
	v_mov_b64_e32 v[228:229], v[174:175]
	v_mov_b64_e32 v[226:227], v[172:173]
	;; [unrolled: 1-line block ×5, first 2 shown]
	v_mov_b32_e32 v233, v179
	v_mov_b32_e32 v232, v178
	scratch_load_dwordx4 v[166:169], off, off offset:1160 ; 16-byte Folded Reload
	scratch_load_dwordx4 v[170:173], off, off offset:1176 ; 16-byte Folded Reload
	;; [unrolled: 1-line block ×8, first 2 shown]
	v_mov_b32_e32 v98, v234
	s_waitcnt vmcnt(4)
	v_mov_b32_e32 v99, v181
	scratch_load_dwordx4 v[166:169], off, off offset:776 ; 16-byte Folded Reload
	scratch_load_dwordx4 v[170:173], off, off offset:792 ; 16-byte Folded Reload
	;; [unrolled: 1-line block ×16, first 2 shown]
	s_waitcnt vmcnt(11)
	v_mov_b32_e32 v100, v182
	s_waitcnt vmcnt(3)
	v_mov_b32_e32 v102, v18
	scratch_load_dwordx4 v[0:3], off, off offset:392 ; 16-byte Folded Reload
	scratch_load_dwordx4 v[4:7], off, off offset:408 ; 16-byte Folded Reload
	;; [unrolled: 1-line block ×16, first 2 shown]
	s_waitcnt vmcnt(11)
	v_mov_b64_e32 v[66:67], v[18:19]
	v_mov_b32_e32 v103, v67
	s_waitcnt vmcnt(2)
	v_mov_b32_e32 v105, v41
	scratch_load_dwordx4 v[20:23], off, off offset:904 ; 16-byte Folded Reload
	scratch_load_dwordx4 v[24:27], off, off offset:920 ; 16-byte Folded Reload
	;; [unrolled: 1-line block ×8, first 2 shown]
	v_mov_b64_e32 v[64:65], v[16:17]
	s_waitcnt vmcnt(2)
	v_mov_b32_e32 v106, v42
	scratch_load_dwordx4 v[20:23], off, off offset:520 ; 16-byte Folded Reload
	scratch_load_dwordx4 v[24:27], off, off offset:536 ; 16-byte Folded Reload
	;; [unrolled: 1-line block ×8, first 2 shown]
	s_waitcnt vmcnt(2)
	v_mov_b32_e32 v107, v43
	scratch_load_dwordx4 v[20:23], off, off offset:1672 ; 16-byte Folded Reload
	scratch_load_dwordx4 v[24:27], off, off offset:1688 ; 16-byte Folded Reload
	;; [unrolled: 1-line block ×8, first 2 shown]
	s_waitcnt vmcnt(4)
	v_mov_b32_e32 v35, v83
	s_waitcnt vmcnt(3)
	v_mov_b32_e32 v36, v68
	v_mov_b32_e32 v39, v135
	s_waitcnt vmcnt(2)
	v_mov_b32_e32 v40, v124
	s_waitcnt vmcnt(1)
	v_mov_b32_e32 v108, v44
	scratch_store_dwordx4 off, v[84:87], off offset:1416 ; 16-byte Folded Spill
	s_nop 0
	scratch_store_dwordx4 off, v[88:91], off offset:1432 ; 16-byte Folded Spill
	scratch_store_dwordx4 off, v[92:95], off offset:1448 ; 16-byte Folded Spill
	;; [unrolled: 1-line block ×7, first 2 shown]
	scratch_load_dwordx4 v[0:3], off, off offset:260 ; 16-byte Folded Reload
	scratch_load_dwordx4 v[4:7], off, off offset:276 ; 16-byte Folded Reload
	;; [unrolled: 1-line block ×8, first 2 shown]
	v_mov_b32_e32 v44, v234
	s_waitcnt vmcnt(1)
	v_mov_b32_e32 v46, v26
	s_waitcnt vmcnt(0)
	v_mov_b64_e32 v[48:49], v[28:29]
	scratch_load_dwordx4 v[0:3], off, off offset:4 ; 16-byte Folded Reload
	scratch_load_dwordx4 v[4:7], off, off offset:20 ; 16-byte Folded Reload
	;; [unrolled: 1-line block ×8, first 2 shown]
	v_mov_b64_e32 v[58:59], v[48:49]
	v_mov_b32_e32 v56, v46
	s_waitcnt vmcnt(4)
	v_mov_b64_e32 v[158:159], v[14:15]
	v_mov_b64_e32 v[156:157], v[12:13]
	;; [unrolled: 1-line block ×8, first 2 shown]
	s_waitcnt vmcnt(2)
	v_mov_b32_e32 v20, v144
	v_mov_b32_e32 v21, v145
	scratch_load_dwordx4 v[144:147], off, off offset:3464 ; 16-byte Folded Reload
	scratch_load_dwordx4 v[148:151], off, off offset:3480 ; 16-byte Folded Reload
	;; [unrolled: 1-line block ×8, first 2 shown]
	v_mov_b64_e32 v[8:9], v[72:73]
	v_mov_b64_e32 v[10:11], v[74:75]
	v_mov_b32_e32 v0, v114
	v_mov_b32_e32 v1, v115
	;; [unrolled: 1-line block ×11, first 2 shown]
	s_waitcnt vmcnt(8)
	v_mov_b64_e32 v[30:31], v[20:21]
	v_mov_b32_e32 v33, v11
	s_waitcnt vmcnt(7)
	v_mov_b32_e32 v32, v146
	scratch_load_dwordx4 v[136:139], off, off offset:3592 ; 16-byte Folded Reload
	scratch_load_dwordx4 v[140:143], off, off offset:3608 ; 16-byte Folded Reload
	;; [unrolled: 1-line block ×16, first 2 shown]
	scratch_load_dwordx4 v[144:147], off, s2 ; 16-byte Folded Reload
	scratch_load_dwordx4 v[148:151], off, s2 offset:16 ; 16-byte Folded Reload
	scratch_load_dwordx4 v[152:155], off, s2 offset:32 ; 16-byte Folded Reload
	;; [unrolled: 1-line block ×7, first 2 shown]
	s_movk_i32 s2, 0x1308
	scratch_load_dwordx4 v[88:91], off, s2  ; 16-byte Folded Reload
	scratch_load_dwordx4 v[92:95], off, s2 offset:16 ; 16-byte Folded Reload
	scratch_load_dwordx4 v[96:99], off, s2 offset:32 ; 16-byte Folded Reload
	;; [unrolled: 1-line block ×7, first 2 shown]
	s_movk_i32 s2, 0x1088
	s_waitcnt vmcnt(12)
	v_mov_b32_e32 v156, v232
	v_mov_b32_e32 v157, v233
	v_mov_b32_e32 v158, v234
	v_mov_b32_e32 v12, v136
	v_mov_b32_e32 v13, v137
	v_mov_b32_e32 v14, v138
	v_mov_b32_e32 v15, v139
	v_mov_b32_e32 v16, v140
	s_waitcnt vmcnt(5)
	v_mov_b32_e32 v41, v99
	scratch_load_dwordx4 v[76:79], off, s2  ; 16-byte Folded Reload
	scratch_load_dwordx4 v[80:83], off, s2 offset:16 ; 16-byte Folded Reload
	scratch_load_dwordx4 v[84:87], off, s2 offset:32 ; 16-byte Folded Reload
	;; [unrolled: 1-line block ×7, first 2 shown]
	scratch_load_dwordx4 v[114:117], off, off offset:3080 ; 16-byte Folded Reload
	scratch_load_dwordx4 v[118:121], off, off offset:3096 ; 16-byte Folded Reload
	;; [unrolled: 1-line block ×8, first 2 shown]
	v_mov_b32_e32 v38, v152
	s_waitcnt vmcnt(0)
	v_mov_b64_e32 v[144:145], v[220:221]
	v_mov_b64_e32 v[146:147], v[222:223]
	;; [unrolled: 1-line block ×6, first 2 shown]
	s_movk_i32 s2, 0x1508
	v_mov_b64_e32 v[18:19], v[68:69]
	v_mov_b64_e32 v[24:25], v[74:75]
	;; [unrolled: 1-line block ×4, first 2 shown]
	v_mov_b32_e32 v34, v16
	v_mov_b32_e32 v37, v25
	v_mov_b64_e32 v[212:213], v[86:87]
	v_mov_b64_e32 v[210:211], v[84:85]
	;; [unrolled: 1-line block ×6, first 2 shown]
	v_mov_b32_e32 v214, v88
	v_mov_b32_e32 v42, v88
	scratch_load_dwordx4 v[76:79], off, off offset:1160 ; 16-byte Folded Reload
	scratch_load_dwordx4 v[80:83], off, off offset:1176 ; 16-byte Folded Reload
	;; [unrolled: 1-line block ×8, first 2 shown]
	v_mov_b32_e32 v43, v127
	scratch_load_dwordx4 v[160:163], off, off offset:776 ; 16-byte Folded Reload
	scratch_load_dwordx4 v[164:167], off, off offset:792 ; 16-byte Folded Reload
	;; [unrolled: 1-line block ×8, first 2 shown]
	s_waitcnt vmcnt(12)
	v_mov_b64_e32 v[128:129], v[90:91]
	v_mov_b64_e32 v[126:127], v[88:89]
	;; [unrolled: 1-line block ×8, first 2 shown]
	scratch_load_dwordx4 v[76:79], off, off offset:1544 ; 16-byte Folded Reload
	scratch_load_dwordx4 v[80:83], off, off offset:1560 ; 16-byte Folded Reload
	;; [unrolled: 1-line block ×8, first 2 shown]
	s_waitcnt vmcnt(11)
	v_mov_b32_e32 v46, v176
	v_mov_b32_e32 v45, v129
	s_waitcnt vmcnt(3)
	v_mov_b32_e32 v47, v93
	scratch_load_dwordx4 v[76:79], off, off offset:648 ; 16-byte Folded Reload
	scratch_load_dwordx4 v[80:83], off, off offset:664 ; 16-byte Folded Reload
	scratch_load_dwordx4 v[84:87], off, off offset:680 ; 16-byte Folded Reload
	scratch_load_dwordx4 v[88:91], off, off offset:696 ; 16-byte Folded Reload
	scratch_load_dwordx4 v[92:95], off, off offset:712 ; 16-byte Folded Reload
	scratch_load_dwordx4 v[96:99], off, off offset:728 ; 16-byte Folded Reload
	scratch_load_dwordx4 v[100:103], off, off offset:744 ; 16-byte Folded Reload
	scratch_load_dwordx4 v[104:107], off, off offset:760 ; 16-byte Folded Reload
	s_waitcnt vmcnt(3)
	v_mov_b32_e32 v48, v94
	scratch_load_dwordx4 v[76:79], off, off offset:392 ; 16-byte Folded Reload
	scratch_load_dwordx4 v[80:83], off, off offset:408 ; 16-byte Folded Reload
	scratch_load_dwordx4 v[84:87], off, off offset:424 ; 16-byte Folded Reload
	scratch_load_dwordx4 v[88:91], off, off offset:440 ; 16-byte Folded Reload
	scratch_load_dwordx4 v[92:95], off, off offset:456 ; 16-byte Folded Reload
	scratch_load_dwordx4 v[96:99], off, off offset:472 ; 16-byte Folded Reload
	scratch_load_dwordx4 v[100:103], off, off offset:488 ; 16-byte Folded Reload
	scratch_load_dwordx4 v[104:107], off, off offset:504 ; 16-byte Folded Reload
	;; [unrolled: 10-line block ×4, first 2 shown]
	s_waitcnt vmcnt(4)
	v_mov_b64_e32 v[230:231], v[90:91]
	v_mov_b64_e32 v[228:229], v[88:89]
	s_waitcnt vmcnt(2)
	v_mov_b64_e32 v[236:237], v[96:97]
	v_mov_b64_e32 v[226:227], v[86:87]
	v_mov_b64_e32 v[224:225], v[84:85]
	v_mov_b64_e32 v[222:223], v[82:83]
	v_mov_b64_e32 v[220:221], v[80:81]
	v_mov_b64_e32 v[218:219], v[78:79]
	v_mov_b64_e32 v[216:217], v[76:77]
	v_mov_b64_e32 v[234:235], v[94:95]
	v_mov_b64_e32 v[232:233], v[92:93]
	scratch_load_dwordx4 v[76:79], off, off offset:904 ; 16-byte Folded Reload
	scratch_load_dwordx4 v[80:83], off, off offset:920 ; 16-byte Folded Reload
	;; [unrolled: 1-line block ×16, first 2 shown]
	v_mov_b32_e32 v51, v237
	s_waitcnt vmcnt(10)
	v_mov_b32_e32 v52, v98
	scratch_load_dwordx4 v[76:79], off, off offset:1672 ; 16-byte Folded Reload
	scratch_load_dwordx4 v[80:83], off, off offset:1688 ; 16-byte Folded Reload
	;; [unrolled: 1-line block ×8, first 2 shown]
	s_waitcnt vmcnt(10)
	v_mov_b32_e32 v53, v183
	s_waitcnt vmcnt(1)
	v_mov_b32_e32 v54, v100
	scratch_load_dwordx4 v[76:79], off, off offset:1416 ; 16-byte Folded Reload
	scratch_load_dwordx4 v[80:83], off, off offset:1432 ; 16-byte Folded Reload
	;; [unrolled: 1-line block ×8, first 2 shown]
	s_waitcnt vmcnt(1)
	v_mov_b32_e32 v55, v101
	scratch_load_dwordx4 v[76:79], off, off offset:132 ; 16-byte Folded Reload
	scratch_load_dwordx4 v[80:83], off, off offset:148 ; 16-byte Folded Reload
	;; [unrolled: 1-line block ×16, first 2 shown]
	s_waitcnt vmcnt(7)
	v_mov_b32_e32 v76, v160
	scratch_store_dwordx4 off, v[76:79], off offset:132 ; 16-byte Folded Spill
	s_nop 0
	scratch_store_dwordx4 off, v[80:83], off offset:148 ; 16-byte Folded Spill
	scratch_store_dwordx4 off, v[84:87], off offset:164 ; 16-byte Folded Spill
	;; [unrolled: 1-line block ×7, first 2 shown]
	scratch_load_dwordx4 v[76:79], off, off offset:132 ; 16-byte Folded Reload
	s_nop 0
	scratch_load_dwordx4 v[80:83], off, off offset:148 ; 16-byte Folded Reload
	scratch_load_dwordx4 v[84:87], off, off offset:164 ; 16-byte Folded Reload
	;; [unrolled: 1-line block ×7, first 2 shown]
	s_waitcnt vmcnt(7)
	v_mov_b32_e32 v77, v161
	scratch_store_dwordx4 off, v[76:79], off offset:132 ; 16-byte Folded Spill
	s_waitcnt vmcnt(7)
	scratch_store_dwordx4 off, v[80:83], off offset:148 ; 16-byte Folded Spill
	s_waitcnt vmcnt(7)
	;; [unrolled: 2-line block ×7, first 2 shown]
	scratch_store_dwordx4 off, v[104:107], off offset:244 ; 16-byte Folded Spill
	scratch_load_dwordx4 v[160:163], off, off offset:3464 ; 16-byte Folded Reload
	scratch_load_dwordx4 v[164:167], off, off offset:3480 ; 16-byte Folded Reload
	;; [unrolled: 1-line block ×16, first 2 shown]
	s_waitcnt vmcnt(7)
	v_mov_b32_e32 v78, v162
	scratch_store_dwordx4 off, v[76:79], off offset:132 ; 16-byte Folded Spill
	s_waitcnt vmcnt(7)
	scratch_store_dwordx4 off, v[80:83], off offset:148 ; 16-byte Folded Spill
	s_waitcnt vmcnt(7)
	;; [unrolled: 2-line block ×7, first 2 shown]
	scratch_store_dwordx4 off, v[104:107], off offset:244 ; 16-byte Folded Spill
	scratch_load_dwordx4 v[76:79], off, off offset:132 ; 16-byte Folded Reload
	s_nop 0
	scratch_load_dwordx4 v[80:83], off, off offset:148 ; 16-byte Folded Reload
	scratch_load_dwordx4 v[84:87], off, off offset:164 ; 16-byte Folded Reload
	;; [unrolled: 1-line block ×7, first 2 shown]
	s_waitcnt vmcnt(7)
	v_mov_b32_e32 v79, v11
	scratch_store_dwordx4 off, v[76:79], off offset:132 ; 16-byte Folded Spill
	s_waitcnt vmcnt(7)
	scratch_store_dwordx4 off, v[80:83], off offset:148 ; 16-byte Folded Spill
	s_waitcnt vmcnt(7)
	;; [unrolled: 2-line block ×7, first 2 shown]
	scratch_store_dwordx4 off, v[104:107], off offset:244 ; 16-byte Folded Spill
	scratch_load_dwordx4 v[76:79], off, off offset:132 ; 16-byte Folded Reload
	s_nop 0
	scratch_load_dwordx4 v[80:83], off, off offset:148 ; 16-byte Folded Reload
	scratch_load_dwordx4 v[84:87], off, off offset:164 ; 16-byte Folded Reload
	;; [unrolled: 1-line block ×7, first 2 shown]
	s_waitcnt vmcnt(6)
	v_mov_b32_e32 v80, v16
	scratch_store_dwordx4 off, v[76:79], off offset:132 ; 16-byte Folded Spill
	s_nop 0
	scratch_store_dwordx4 off, v[80:83], off offset:148 ; 16-byte Folded Spill
	s_waitcnt vmcnt(7)
	scratch_store_dwordx4 off, v[84:87], off offset:164 ; 16-byte Folded Spill
	s_waitcnt vmcnt(7)
	;; [unrolled: 2-line block ×6, first 2 shown]
	scratch_store_dwordx4 off, v[104:107], off offset:244 ; 16-byte Folded Spill
	scratch_load_dwordx4 v[76:79], off, off offset:132 ; 16-byte Folded Reload
	s_nop 0
	scratch_load_dwordx4 v[80:83], off, off offset:148 ; 16-byte Folded Reload
	scratch_load_dwordx4 v[84:87], off, off offset:164 ; 16-byte Folded Reload
	;; [unrolled: 1-line block ×7, first 2 shown]
	scratch_load_dwordx4 v[160:163], off, s2 ; 16-byte Folded Reload
	scratch_load_dwordx4 v[164:167], off, s2 offset:16 ; 16-byte Folded Reload
	scratch_load_dwordx4 v[168:171], off, s2 offset:32 ; 16-byte Folded Reload
	;; [unrolled: 1-line block ×7, first 2 shown]
	s_movk_i32 s2, 0x1288
	s_waitcnt vmcnt(6)
	v_mov_b32_e32 v81, v165
	scratch_store_dwordx4 off, v[76:79], off offset:132 ; 16-byte Folded Spill
	s_nop 0
	scratch_store_dwordx4 off, v[80:83], off offset:148 ; 16-byte Folded Spill
	scratch_store_dwordx4 off, v[84:87], off offset:164 ; 16-byte Folded Spill
	;; [unrolled: 1-line block ×7, first 2 shown]
	scratch_load_dwordx4 v[76:79], off, off offset:132 ; 16-byte Folded Reload
	s_nop 0
	scratch_load_dwordx4 v[80:83], off, off offset:148 ; 16-byte Folded Reload
	scratch_load_dwordx4 v[84:87], off, off offset:164 ; 16-byte Folded Reload
	;; [unrolled: 1-line block ×15, first 2 shown]
	s_waitcnt vmcnt(6)
	v_mov_b32_e32 v82, v166
	scratch_store_dwordx4 off, v[76:79], off offset:132 ; 16-byte Folded Spill
	s_nop 0
	scratch_store_dwordx4 off, v[80:83], off offset:148 ; 16-byte Folded Spill
	scratch_store_dwordx4 off, v[84:87], off offset:164 ; 16-byte Folded Spill
	;; [unrolled: 1-line block ×7, first 2 shown]
	scratch_load_dwordx4 v[76:79], off, off offset:132 ; 16-byte Folded Reload
	s_nop 0
	scratch_load_dwordx4 v[80:83], off, off offset:148 ; 16-byte Folded Reload
	scratch_load_dwordx4 v[84:87], off, off offset:164 ; 16-byte Folded Reload
	;; [unrolled: 1-line block ×7, first 2 shown]
	s_waitcnt vmcnt(6)
	v_mov_b32_e32 v83, v25
	scratch_store_dwordx4 off, v[76:79], off offset:132 ; 16-byte Folded Spill
	s_nop 0
	scratch_store_dwordx4 off, v[80:83], off offset:148 ; 16-byte Folded Spill
	s_waitcnt vmcnt(7)
	scratch_store_dwordx4 off, v[84:87], off offset:164 ; 16-byte Folded Spill
	s_waitcnt vmcnt(7)
	;; [unrolled: 2-line block ×6, first 2 shown]
	scratch_store_dwordx4 off, v[104:107], off offset:244 ; 16-byte Folded Spill
	scratch_load_dwordx4 v[164:167], off, s2 ; 16-byte Folded Reload
	scratch_load_dwordx4 v[168:171], off, s2 offset:16 ; 16-byte Folded Reload
	scratch_load_dwordx4 v[172:175], off, s2 offset:32 ; 16-byte Folded Reload
	;; [unrolled: 1-line block ×7, first 2 shown]
	scratch_load_dwordx4 v[60:63], off, off offset:132 ; 16-byte Folded Reload
	scratch_load_dwordx4 v[64:67], off, off offset:148 ; 16-byte Folded Reload
	;; [unrolled: 1-line block ×8, first 2 shown]
	s_movk_i32 s2, 0x1108
	s_waitcnt vmcnt(5)
	v_mov_b32_e32 v68, v172
	scratch_store_dwordx4 off, v[60:63], off offset:132 ; 16-byte Folded Spill
	s_nop 0
	scratch_store_dwordx4 off, v[64:67], off offset:148 ; 16-byte Folded Spill
	scratch_store_dwordx4 off, v[68:71], off offset:164 ; 16-byte Folded Spill
	s_waitcnt vmcnt(7)
	scratch_store_dwordx4 off, v[72:75], off offset:180 ; 16-byte Folded Spill
	s_waitcnt vmcnt(7)
	;; [unrolled: 2-line block ×5, first 2 shown]
	scratch_store_dwordx4 off, v[88:91], off offset:244 ; 16-byte Folded Spill
	scratch_load_dwordx4 v[60:63], off, off offset:132 ; 16-byte Folded Reload
	s_nop 0
	scratch_load_dwordx4 v[64:67], off, off offset:148 ; 16-byte Folded Reload
	scratch_load_dwordx4 v[68:71], off, off offset:164 ; 16-byte Folded Reload
	;; [unrolled: 1-line block ×7, first 2 shown]
	scratch_load_dwordx4 v[160:163], off, s2 ; 16-byte Folded Reload
	scratch_load_dwordx4 v[164:167], off, s2 offset:16 ; 16-byte Folded Reload
	scratch_load_dwordx4 v[168:171], off, s2 offset:32 ; 16-byte Folded Reload
	scratch_load_dwordx4 v[172:175], off, s2 offset:48 ; 16-byte Folded Reload
	scratch_load_dwordx4 v[176:179], off, s2 offset:64 ; 16-byte Folded Reload
	scratch_load_dwordx4 v[180:183], off, s2 offset:80 ; 16-byte Folded Reload
	scratch_load_dwordx4 v[184:187], off, s2 offset:96 ; 16-byte Folded Reload
	scratch_load_dwordx4 v[188:191], off, s2 offset:112 ; 16-byte Folded Reload
	s_movk_i32 s2, 0x1308
	s_waitcnt vmcnt(5)
	v_mov_b32_e32 v69, v169
	scratch_store_dwordx4 off, v[60:63], off offset:132 ; 16-byte Folded Spill
	s_nop 0
	scratch_store_dwordx4 off, v[64:67], off offset:148 ; 16-byte Folded Spill
	scratch_store_dwordx4 off, v[68:71], off offset:164 ; 16-byte Folded Spill
	;; [unrolled: 1-line block ×7, first 2 shown]
	scratch_load_dwordx4 v[60:63], off, off offset:132 ; 16-byte Folded Reload
	s_nop 0
	scratch_load_dwordx4 v[64:67], off, off offset:148 ; 16-byte Folded Reload
	scratch_load_dwordx4 v[68:71], off, off offset:164 ; 16-byte Folded Reload
	;; [unrolled: 1-line block ×7, first 2 shown]
	s_waitcnt vmcnt(5)
	v_mov_b32_e32 v70, v10
	scratch_store_dwordx4 off, v[60:63], off offset:132 ; 16-byte Folded Spill
	s_nop 0
	scratch_store_dwordx4 off, v[64:67], off offset:148 ; 16-byte Folded Spill
	scratch_store_dwordx4 off, v[68:71], off offset:164 ; 16-byte Folded Spill
	s_waitcnt vmcnt(7)
	scratch_store_dwordx4 off, v[72:75], off offset:180 ; 16-byte Folded Spill
	s_waitcnt vmcnt(7)
	scratch_store_dwordx4 off, v[76:79], off offset:196 ; 16-byte Folded Spill
	s_waitcnt vmcnt(7)
	scratch_store_dwordx4 off, v[80:83], off offset:212 ; 16-byte Folded Spill
	s_waitcnt vmcnt(7)
	scratch_store_dwordx4 off, v[84:87], off offset:228 ; 16-byte Folded Spill
	s_waitcnt vmcnt(7)
	scratch_store_dwordx4 off, v[88:91], off offset:244 ; 16-byte Folded Spill
	scratch_load_dwordx4 v[60:63], off, s2  ; 16-byte Folded Reload
	s_nop 0
	scratch_load_dwordx4 v[64:67], off, s2 offset:16 ; 16-byte Folded Reload
	scratch_load_dwordx4 v[68:71], off, s2 offset:32 ; 16-byte Folded Reload
	;; [unrolled: 1-line block ×7, first 2 shown]
	scratch_load_dwordx4 v[72:75], off, off offset:132 ; 16-byte Folded Reload
	scratch_load_dwordx4 v[76:79], off, off offset:148 ; 16-byte Folded Reload
	;; [unrolled: 1-line block ×8, first 2 shown]
	s_movk_i32 s2, 0x1a80
	s_waitcnt vmcnt(5)
	v_mov_b32_e32 v83, v71
	scratch_store_dwordx4 off, v[72:75], off offset:132 ; 16-byte Folded Spill
	s_nop 0
	scratch_store_dwordx4 off, v[76:79], off offset:148 ; 16-byte Folded Spill
	scratch_store_dwordx4 off, v[80:83], off offset:164 ; 16-byte Folded Spill
	s_waitcnt vmcnt(7)
	scratch_store_dwordx4 off, v[84:87], off offset:180 ; 16-byte Folded Spill
	s_waitcnt vmcnt(7)
	;; [unrolled: 2-line block ×5, first 2 shown]
	scratch_store_dwordx4 off, v[100:103], off offset:244 ; 16-byte Folded Spill
	scratch_load_dwordx4 v[60:63], off, off offset:132 ; 16-byte Folded Reload
	s_nop 0
	scratch_load_dwordx4 v[64:67], off, off offset:148 ; 16-byte Folded Reload
	scratch_load_dwordx4 v[68:71], off, off offset:164 ; 16-byte Folded Reload
	;; [unrolled: 1-line block ×7, first 2 shown]
	s_waitcnt vmcnt(4)
	v_mov_b32_e32 v72, v214
	scratch_store_dwordx4 off, v[60:63], off offset:132 ; 16-byte Folded Spill
	s_nop 0
	scratch_store_dwordx4 off, v[64:67], off offset:148 ; 16-byte Folded Spill
	scratch_store_dwordx4 off, v[68:71], off offset:164 ; 16-byte Folded Spill
	;; [unrolled: 1-line block ×3, first 2 shown]
	s_waitcnt vmcnt(7)
	scratch_store_dwordx4 off, v[76:79], off offset:196 ; 16-byte Folded Spill
	s_waitcnt vmcnt(7)
	scratch_store_dwordx4 off, v[80:83], off offset:212 ; 16-byte Folded Spill
	s_waitcnt vmcnt(7)
	scratch_store_dwordx4 off, v[84:87], off offset:228 ; 16-byte Folded Spill
	s_waitcnt vmcnt(7)
	scratch_store_dwordx4 off, v[88:91], off offset:244 ; 16-byte Folded Spill
	scratch_load_dwordx4 v[180:183], off, off offset:3080 ; 16-byte Folded Reload
	scratch_load_dwordx4 v[184:187], off, off offset:3096 ; 16-byte Folded Reload
	;; [unrolled: 1-line block ×16, first 2 shown]
	s_waitcnt vmcnt(8)
	v_mov_b32_e32 v212, v158
	v_mov_b64_e32 v[208:209], v[154:155]
	v_mov_b64_e32 v[206:207], v[152:153]
	v_mov_b64_e32 v[204:205], v[150:151]
	v_mov_b64_e32 v[202:203], v[148:149]
	v_mov_b64_e32 v[200:201], v[146:147]
	v_mov_b64_e32 v[198:199], v[144:145]
	v_mov_b32_e32 v211, v157
	v_mov_b32_e32 v210, v156
	v_mov_b64_e32 v[156:157], v[232:233]
	v_mov_b64_e32 v[160:161], v[236:237]
	;; [unrolled: 1-line block ×3, first 2 shown]
	s_waitcnt vmcnt(4)
	v_mov_b32_e32 v73, v193
	scratch_store_dwordx4 off, v[60:63], off offset:132 ; 16-byte Folded Spill
	s_nop 0
	scratch_store_dwordx4 off, v[64:67], off offset:148 ; 16-byte Folded Spill
	scratch_store_dwordx4 off, v[68:71], off offset:164 ; 16-byte Folded Spill
	;; [unrolled: 1-line block ×3, first 2 shown]
	s_waitcnt vmcnt(7)
	scratch_store_dwordx4 off, v[76:79], off offset:196 ; 16-byte Folded Spill
	s_waitcnt vmcnt(7)
	scratch_store_dwordx4 off, v[80:83], off offset:212 ; 16-byte Folded Spill
	;; [unrolled: 2-line block ×4, first 2 shown]
	scratch_load_dwordx4 v[60:63], off, off offset:132 ; 16-byte Folded Reload
	s_nop 0
	scratch_load_dwordx4 v[64:67], off, off offset:148 ; 16-byte Folded Reload
	scratch_load_dwordx4 v[68:71], off, off offset:164 ; 16-byte Folded Reload
	scratch_load_dwordx4 v[72:75], off, off offset:180 ; 16-byte Folded Reload
	scratch_load_dwordx4 v[76:79], off, off offset:196 ; 16-byte Folded Reload
	scratch_load_dwordx4 v[80:83], off, off offset:212 ; 16-byte Folded Reload
	scratch_load_dwordx4 v[84:87], off, off offset:228 ; 16-byte Folded Reload
	scratch_load_dwordx4 v[88:91], off, off offset:244 ; 16-byte Folded Reload
	s_waitcnt vmcnt(4)
	v_mov_b32_e32 v74, v212
	scratch_store_dwordx4 off, v[60:63], off offset:132 ; 16-byte Folded Spill
	s_nop 0
	scratch_store_dwordx4 off, v[64:67], off offset:148 ; 16-byte Folded Spill
	scratch_store_dwordx4 off, v[68:71], off offset:164 ; 16-byte Folded Spill
	;; [unrolled: 1-line block ×3, first 2 shown]
	s_waitcnt vmcnt(7)
	scratch_store_dwordx4 off, v[76:79], off offset:196 ; 16-byte Folded Spill
	s_waitcnt vmcnt(7)
	scratch_store_dwordx4 off, v[80:83], off offset:212 ; 16-byte Folded Spill
	;; [unrolled: 2-line block ×4, first 2 shown]
	scratch_load_dwordx4 v[60:63], off, off offset:132 ; 16-byte Folded Reload
	s_nop 0
	scratch_load_dwordx4 v[64:67], off, off offset:148 ; 16-byte Folded Reload
	scratch_load_dwordx4 v[68:71], off, off offset:164 ; 16-byte Folded Reload
	scratch_load_dwordx4 v[72:75], off, off offset:180 ; 16-byte Folded Reload
	scratch_load_dwordx4 v[76:79], off, off offset:196 ; 16-byte Folded Reload
	scratch_load_dwordx4 v[80:83], off, off offset:212 ; 16-byte Folded Reload
	scratch_load_dwordx4 v[84:87], off, off offset:228 ; 16-byte Folded Reload
	scratch_load_dwordx4 v[88:91], off, off offset:244 ; 16-byte Folded Reload
	s_waitcnt vmcnt(4)
	v_mov_b32_e32 v75, v129
	scratch_store_dwordx4 off, v[60:63], off offset:132 ; 16-byte Folded Spill
	s_nop 0
	scratch_store_dwordx4 off, v[64:67], off offset:148 ; 16-byte Folded Spill
	scratch_store_dwordx4 off, v[68:71], off offset:164 ; 16-byte Folded Spill
	;; [unrolled: 1-line block ×3, first 2 shown]
	s_waitcnt vmcnt(7)
	scratch_store_dwordx4 off, v[76:79], off offset:196 ; 16-byte Folded Spill
	s_waitcnt vmcnt(7)
	scratch_store_dwordx4 off, v[80:83], off offset:212 ; 16-byte Folded Spill
	;; [unrolled: 2-line block ×4, first 2 shown]
	scratch_load_dwordx4 v[114:117], off, off offset:776 ; 16-byte Folded Reload
	scratch_load_dwordx4 v[118:121], off, off offset:792 ; 16-byte Folded Reload
	;; [unrolled: 1-line block ×16, first 2 shown]
	s_waitcnt vmcnt(8)
	v_mov_b64_e32 v[140:141], v[216:217]
	v_mov_b64_e32 v[142:143], v[218:219]
	;; [unrolled: 1-line block ×8, first 2 shown]
	s_waitcnt vmcnt(3)
	v_mov_b32_e32 v76, v130
	scratch_store_dwordx4 off, v[60:63], off offset:132 ; 16-byte Folded Spill
	s_nop 0
	scratch_store_dwordx4 off, v[64:67], off offset:148 ; 16-byte Folded Spill
	scratch_store_dwordx4 off, v[68:71], off offset:164 ; 16-byte Folded Spill
	;; [unrolled: 1-line block ×4, first 2 shown]
	s_waitcnt vmcnt(7)
	scratch_store_dwordx4 off, v[80:83], off offset:212 ; 16-byte Folded Spill
	s_waitcnt vmcnt(7)
	scratch_store_dwordx4 off, v[84:87], off offset:228 ; 16-byte Folded Spill
	;; [unrolled: 2-line block ×3, first 2 shown]
	scratch_load_dwordx4 v[60:63], off, off offset:132 ; 16-byte Folded Reload
	s_nop 0
	scratch_load_dwordx4 v[64:67], off, off offset:148 ; 16-byte Folded Reload
	scratch_load_dwordx4 v[68:71], off, off offset:164 ; 16-byte Folded Reload
	scratch_load_dwordx4 v[72:75], off, off offset:180 ; 16-byte Folded Reload
	scratch_load_dwordx4 v[76:79], off, off offset:196 ; 16-byte Folded Reload
	scratch_load_dwordx4 v[80:83], off, off offset:212 ; 16-byte Folded Reload
	scratch_load_dwordx4 v[84:87], off, off offset:228 ; 16-byte Folded Reload
	scratch_load_dwordx4 v[88:91], off, off offset:244 ; 16-byte Folded Reload
	scratch_load_dwordx4 v[92:95], off, off offset:1544 ; 16-byte Folded Reload
	scratch_load_dwordx4 v[96:99], off, off offset:1560 ; 16-byte Folded Reload
	scratch_load_dwordx4 v[100:103], off, off offset:1576 ; 16-byte Folded Reload
	scratch_load_dwordx4 v[104:107], off, off offset:1592 ; 16-byte Folded Reload
	scratch_load_dwordx4 v[108:111], off, off offset:1608 ; 16-byte Folded Reload
	scratch_load_dwordx4 v[112:115], off, off offset:1624 ; 16-byte Folded Reload
	scratch_load_dwordx4 v[116:119], off, off offset:1640 ; 16-byte Folded Reload
	scratch_load_dwordx4 v[120:123], off, off offset:1656 ; 16-byte Folded Reload
	s_waitcnt vmcnt(3)
	v_mov_b32_e32 v77, v109
	scratch_store_dwordx4 off, v[60:63], off offset:132 ; 16-byte Folded Spill
	s_nop 0
	scratch_store_dwordx4 off, v[64:67], off offset:148 ; 16-byte Folded Spill
	scratch_store_dwordx4 off, v[68:71], off offset:164 ; 16-byte Folded Spill
	scratch_store_dwordx4 off, v[72:75], off offset:180 ; 16-byte Folded Spill
	scratch_store_dwordx4 off, v[76:79], off offset:196 ; 16-byte Folded Spill
	scratch_store_dwordx4 off, v[80:83], off offset:212 ; 16-byte Folded Spill
	scratch_store_dwordx4 off, v[84:87], off offset:228 ; 16-byte Folded Spill
	scratch_store_dwordx4 off, v[88:91], off offset:244 ; 16-byte Folded Spill
	scratch_load_dwordx4 v[60:63], off, off offset:132 ; 16-byte Folded Reload
	s_nop 0
	scratch_load_dwordx4 v[64:67], off, off offset:148 ; 16-byte Folded Reload
	scratch_load_dwordx4 v[68:71], off, off offset:164 ; 16-byte Folded Reload
	scratch_load_dwordx4 v[72:75], off, off offset:180 ; 16-byte Folded Reload
	scratch_load_dwordx4 v[76:79], off, off offset:196 ; 16-byte Folded Reload
	scratch_load_dwordx4 v[80:83], off, off offset:212 ; 16-byte Folded Reload
	scratch_load_dwordx4 v[84:87], off, off offset:228 ; 16-byte Folded Reload
	scratch_load_dwordx4 v[88:91], off, off offset:244 ; 16-byte Folded Reload
	scratch_load_dwordx4 v[92:95], off, off offset:648 ; 16-byte Folded Reload
	scratch_load_dwordx4 v[96:99], off, off offset:664 ; 16-byte Folded Reload
	scratch_load_dwordx4 v[100:103], off, off offset:680 ; 16-byte Folded Reload
	scratch_load_dwordx4 v[104:107], off, off offset:696 ; 16-byte Folded Reload
	scratch_load_dwordx4 v[108:111], off, off offset:712 ; 16-byte Folded Reload
	scratch_load_dwordx4 v[112:115], off, off offset:728 ; 16-byte Folded Reload
	scratch_load_dwordx4 v[116:119], off, off offset:744 ; 16-byte Folded Reload
	scratch_load_dwordx4 v[120:123], off, off offset:760 ; 16-byte Folded Reload
	s_waitcnt vmcnt(3)
	v_mov_b32_e32 v78, v110
	scratch_store_dwordx4 off, v[60:63], off offset:132 ; 16-byte Folded Spill
	s_nop 0
	scratch_store_dwordx4 off, v[64:67], off offset:148 ; 16-byte Folded Spill
	scratch_store_dwordx4 off, v[68:71], off offset:164 ; 16-byte Folded Spill
	scratch_store_dwordx4 off, v[72:75], off offset:180 ; 16-byte Folded Spill
	scratch_store_dwordx4 off, v[76:79], off offset:196 ; 16-byte Folded Spill
	scratch_store_dwordx4 off, v[80:83], off offset:212 ; 16-byte Folded Spill
	scratch_store_dwordx4 off, v[84:87], off offset:228 ; 16-byte Folded Spill
	scratch_store_dwordx4 off, v[88:91], off offset:244 ; 16-byte Folded Spill
	;; [unrolled: 28-line block ×4, first 2 shown]
	scratch_load_dwordx4 v[60:63], off, off offset:132 ; 16-byte Folded Reload
	s_nop 0
	scratch_load_dwordx4 v[64:67], off, off offset:148 ; 16-byte Folded Reload
	scratch_load_dwordx4 v[68:71], off, off offset:164 ; 16-byte Folded Reload
	;; [unrolled: 1-line block ×7, first 2 shown]
	s_waitcnt vmcnt(2)
	v_mov_b32_e32 v81, v161
	scratch_store_dwordx4 off, v[60:63], off offset:132 ; 16-byte Folded Spill
	s_nop 0
	scratch_store_dwordx4 off, v[64:67], off offset:148 ; 16-byte Folded Spill
	scratch_store_dwordx4 off, v[68:71], off offset:164 ; 16-byte Folded Spill
	;; [unrolled: 1-line block ×5, first 2 shown]
	s_waitcnt vmcnt(7)
	scratch_store_dwordx4 off, v[84:87], off offset:228 ; 16-byte Folded Spill
	s_waitcnt vmcnt(7)
	scratch_store_dwordx4 off, v[88:91], off offset:244 ; 16-byte Folded Spill
	scratch_load_dwordx4 v[60:63], off, off offset:132 ; 16-byte Folded Reload
	s_nop 0
	scratch_load_dwordx4 v[64:67], off, off offset:148 ; 16-byte Folded Reload
	scratch_load_dwordx4 v[68:71], off, off offset:164 ; 16-byte Folded Reload
	;; [unrolled: 1-line block ×15, first 2 shown]
	s_waitcnt vmcnt(2)
	v_mov_b32_e32 v82, v114
	scratch_store_dwordx4 off, v[60:63], off offset:132 ; 16-byte Folded Spill
	s_nop 0
	scratch_store_dwordx4 off, v[64:67], off offset:148 ; 16-byte Folded Spill
	scratch_store_dwordx4 off, v[68:71], off offset:164 ; 16-byte Folded Spill
	;; [unrolled: 1-line block ×7, first 2 shown]
	scratch_load_dwordx4 v[214:217], off, off offset:520 ; 16-byte Folded Reload
	scratch_load_dwordx4 v[218:221], off, off offset:536 ; 16-byte Folded Reload
	;; [unrolled: 1-line block ×16, first 2 shown]
	s_waitcnt vmcnt(12)
	v_mov_b64_e32 v[114:115], v[214:215]
	v_mov_b64_e32 v[116:117], v[216:217]
	s_waitcnt vmcnt(10)
	v_mov_b64_e32 v[130:131], v[230:231]
	v_mov_b64_e32 v[136:137], v[236:237]
	s_waitcnt vmcnt(2)
	v_mov_b32_e32 v83, v137
	scratch_store_dwordx4 off, v[60:63], off offset:132 ; 16-byte Folded Spill
	s_nop 0
	scratch_store_dwordx4 off, v[64:67], off offset:148 ; 16-byte Folded Spill
	scratch_store_dwordx4 off, v[68:71], off offset:164 ; 16-byte Folded Spill
	;; [unrolled: 1-line block ×5, first 2 shown]
	s_waitcnt vmcnt(7)
	scratch_store_dwordx4 off, v[84:87], off offset:228 ; 16-byte Folded Spill
	s_waitcnt vmcnt(7)
	scratch_store_dwordx4 off, v[88:91], off offset:244 ; 16-byte Folded Spill
	v_mov_b64_e32 v[118:119], v[218:219]
	v_mov_b64_e32 v[120:121], v[220:221]
	;; [unrolled: 1-line block ×8, first 2 shown]
	scratch_load_dwordx4 v[60:63], off, off offset:132 ; 16-byte Folded Reload
	scratch_load_dwordx4 v[64:67], off, off offset:148 ; 16-byte Folded Reload
	;; [unrolled: 1-line block ×16, first 2 shown]
	s_waitcnt vmcnt(1)
	v_mov_b32_e32 v84, v238
	scratch_store_dwordx4 off, v[60:63], off offset:132 ; 16-byte Folded Spill
	s_nop 0
	scratch_store_dwordx4 off, v[64:67], off offset:148 ; 16-byte Folded Spill
	scratch_store_dwordx4 off, v[68:71], off offset:164 ; 16-byte Folded Spill
	;; [unrolled: 1-line block ×7, first 2 shown]
	scratch_load_dwordx4 v[60:63], off, off offset:132 ; 16-byte Folded Reload
	s_nop 0
	scratch_load_dwordx4 v[64:67], off, off offset:148 ; 16-byte Folded Reload
	scratch_load_dwordx4 v[68:71], off, off offset:164 ; 16-byte Folded Reload
	;; [unrolled: 1-line block ×15, first 2 shown]
	s_waitcnt vmcnt(1)
	v_mov_b32_e32 v85, v187
	scratch_store_dwordx4 off, v[60:63], off offset:132 ; 16-byte Folded Spill
	s_nop 0
	scratch_store_dwordx4 off, v[64:67], off offset:148 ; 16-byte Folded Spill
	scratch_store_dwordx4 off, v[68:71], off offset:164 ; 16-byte Folded Spill
	;; [unrolled: 1-line block ×7, first 2 shown]
	scratch_load_dwordx4 v[60:63], off, off offset:132 ; 16-byte Folded Reload
	s_nop 0
	scratch_load_dwordx4 v[64:67], off, off offset:148 ; 16-byte Folded Reload
	scratch_load_dwordx4 v[68:71], off, off offset:164 ; 16-byte Folded Reload
	;; [unrolled: 1-line block ×7, first 2 shown]
	s_waitcnt vmcnt(1)
	v_mov_b32_e32 v86, v56
	scratch_store_dwordx4 off, v[60:63], off offset:132 ; 16-byte Folded Spill
	s_nop 0
	scratch_store_dwordx4 off, v[64:67], off offset:148 ; 16-byte Folded Spill
	scratch_store_dwordx4 off, v[68:71], off offset:164 ; 16-byte Folded Spill
	;; [unrolled: 1-line block ×6, first 2 shown]
	s_waitcnt vmcnt(7)
	scratch_store_dwordx4 off, v[88:91], off offset:244 ; 16-byte Folded Spill
	s_waitcnt lgkmcnt(0)
	s_barrier
	scratch_load_dword v255, off, s2        ; 4-byte Folded Reload
	s_movk_i32 s2, 0x1a84
	scratch_load_dword v0, off, s2          ; 4-byte Folded Reload
	s_movk_i32 s2, 0x19fc
	s_waitcnt vmcnt(1)
	v_cmp_lt_u32_e32 vcc, 1, v255
	s_waitcnt vmcnt(0)
	ds_read_b32 v57, v0
	v_mov_b32_e32 v162, v0
	s_waitcnt lgkmcnt(0)
	scratch_store_dword off, v57, s2        ; 4-byte Folded Spill
	scratch_load_dwordx4 v[60:63], off, off offset:132 ; 16-byte Folded Reload
	scratch_load_dwordx4 v[64:67], off, off offset:148 ; 16-byte Folded Reload
	;; [unrolled: 1-line block ×8, first 2 shown]
	s_waitcnt vmcnt(7)
	scratch_store_dwordx4 off, v[60:63], off offset:1800 ; 16-byte Folded Spill
	s_waitcnt vmcnt(7)
	scratch_store_dwordx4 off, v[64:67], off offset:1816 ; 16-byte Folded Spill
	;; [unrolled: 2-line block ×8, first 2 shown]
	v_mov_b64_e32 v[62:63], v[58:59]
	v_mov_b32_e32 v60, v56
	scratch_store_dwordx4 off, v[34:37], off offset:260 ; 16-byte Folded Spill
	s_nop 0
	scratch_store_dwordx4 off, v[38:41], off offset:276 ; 16-byte Folded Spill
	scratch_store_dwordx4 off, v[42:45], off offset:292 ; 16-byte Folded Spill
	;; [unrolled: 1-line block ×8, first 2 shown]
	s_nop 0
	scratch_store_dwordx4 off, v[34:37], off offset:1944 ; 16-byte Folded Spill
	scratch_store_dwordx4 off, v[38:41], off offset:1960 ; 16-byte Folded Spill
	;; [unrolled: 1-line block ×7, first 2 shown]
	scratch_load_dwordx4 v[20:23], off, off offset:1416 ; 16-byte Folded Reload
	s_nop 0
	scratch_load_dwordx4 v[24:27], off, off offset:1432 ; 16-byte Folded Reload
	scratch_load_dwordx4 v[28:31], off, off offset:1448 ; 16-byte Folded Reload
	;; [unrolled: 1-line block ×7, first 2 shown]
	s_movk_i32 s2, 0x1008
	s_waitcnt vmcnt(1)
	v_mov_b32_e32 v139, v45
	scratch_store_dwordx4 off, v[20:23], off offset:2184 ; 16-byte Folded Spill
	s_nop 0
	scratch_store_dwordx4 off, v[24:27], off offset:2200 ; 16-byte Folded Spill
	scratch_store_dwordx4 off, v[28:31], off offset:2216 ; 16-byte Folded Spill
	;; [unrolled: 1-line block ×6, first 2 shown]
	s_waitcnt vmcnt(7)
	scratch_store_dwordx4 off, v[48:51], off offset:2296 ; 16-byte Folded Spill
	v_mov_b64_e32 v[20:21], v[214:215]
	v_mov_b32_e32 v36, v230
	v_mov_b64_e32 v[22:23], v[216:217]
	v_mov_b64_e32 v[24:25], v[218:219]
	;; [unrolled: 1-line block ×7, first 2 shown]
	v_mov_b32_e32 v37, v231
	v_mov_b32_e32 v38, v232
	;; [unrolled: 1-line block ×9, first 2 shown]
	scratch_store_dwordx4 off, v[20:23], off offset:2312 ; 16-byte Folded Spill
	s_nop 0
	scratch_store_dwordx4 off, v[24:27], off offset:2328 ; 16-byte Folded Spill
	scratch_store_dwordx4 off, v[28:31], off offset:2344 ; 16-byte Folded Spill
	;; [unrolled: 1-line block ×7, first 2 shown]
	scratch_load_dwordx4 v[60:63], off, off offset:132 ; 16-byte Folded Reload
	scratch_load_dwordx4 v[64:67], off, off offset:148 ; 16-byte Folded Reload
	;; [unrolled: 1-line block ×8, first 2 shown]
	s_nop 0
	scratch_store_dwordx4 off, v[114:117], off offset:2440 ; 16-byte Folded Spill
	s_nop 0
	scratch_store_dwordx4 off, v[118:121], off offset:2456 ; 16-byte Folded Spill
	scratch_store_dwordx4 off, v[122:125], off offset:2472 ; 16-byte Folded Spill
	;; [unrolled: 1-line block ×7, first 2 shown]
	scratch_load_dwordx4 v[20:23], off, off offset:904 ; 16-byte Folded Reload
	scratch_load_dwordx4 v[24:27], off, off offset:920 ; 16-byte Folded Reload
	;; [unrolled: 1-line block ×8, first 2 shown]
	s_waitcnt vmcnt(7)
	scratch_store_dwordx4 off, v[20:23], off offset:1416 ; 16-byte Folded Spill
	s_waitcnt vmcnt(7)
	scratch_store_dwordx4 off, v[24:27], off offset:1432 ; 16-byte Folded Spill
	;; [unrolled: 2-line block ×8, first 2 shown]
	scratch_store_dwordx4 off, v[140:143], off offset:2568 ; 16-byte Folded Spill
	s_nop 0
	scratch_store_dwordx4 off, v[144:147], off offset:2584 ; 16-byte Folded Spill
	scratch_store_dwordx4 off, v[148:151], off offset:2600 ; 16-byte Folded Spill
	;; [unrolled: 1-line block ×7, first 2 shown]
	scratch_load_dwordx4 v[20:23], off, off offset:1288 ; 16-byte Folded Reload
	scratch_load_dwordx4 v[24:27], off, off offset:1304 ; 16-byte Folded Reload
	;; [unrolled: 1-line block ×8, first 2 shown]
	v_mov_b32_e32 v158, v212
	s_waitcnt vmcnt(0)
	v_mov_b32_e32 v52, v40
	v_mov_b32_e32 v51, v39
	;; [unrolled: 1-line block ×5, first 2 shown]
	v_mov_b64_e32 v[46:47], v[34:35]
	v_mov_b64_e32 v[44:45], v[32:33]
	;; [unrolled: 1-line block ×8, first 2 shown]
	scratch_store_dwordx4 off, v[32:35], off offset:2696 ; 16-byte Folded Spill
	s_nop 0
	scratch_store_dwordx4 off, v[36:39], off offset:2712 ; 16-byte Folded Spill
	scratch_store_dwordx4 off, v[40:43], off offset:2728 ; 16-byte Folded Spill
	;; [unrolled: 1-line block ×7, first 2 shown]
	scratch_load_dwordx4 v[20:23], off, off offset:392 ; 16-byte Folded Reload
	s_nop 0
	scratch_load_dwordx4 v[24:27], off, off offset:408 ; 16-byte Folded Reload
	scratch_load_dwordx4 v[28:31], off, off offset:424 ; 16-byte Folded Reload
	;; [unrolled: 1-line block ×7, first 2 shown]
	s_waitcnt vmcnt(0)
	v_mov_b64_e32 v[50:51], v[38:39]
	v_mov_b64_e32 v[48:49], v[36:37]
	;; [unrolled: 1-line block ×10, first 2 shown]
	scratch_store_dwordx4 off, v[32:35], off offset:2824 ; 16-byte Folded Spill
	s_nop 0
	scratch_store_dwordx4 off, v[36:39], off offset:2840 ; 16-byte Folded Spill
	scratch_store_dwordx4 off, v[40:43], off offset:2856 ; 16-byte Folded Spill
	;; [unrolled: 1-line block ×7, first 2 shown]
	scratch_load_dwordx4 v[0:3], off, off offset:648 ; 16-byte Folded Reload
	scratch_load_dwordx4 v[4:7], off, off offset:664 ; 16-byte Folded Reload
	scratch_load_dwordx4 v[8:11], off, off offset:680 ; 16-byte Folded Reload
	scratch_load_dwordx4 v[12:15], off, off offset:696 ; 16-byte Folded Reload
	scratch_load_dwordx4 v[16:19], off, off offset:712 ; 16-byte Folded Reload
	scratch_load_dwordx4 v[20:23], off, off offset:728 ; 16-byte Folded Reload
	scratch_load_dwordx4 v[24:27], off, off offset:744 ; 16-byte Folded Reload
	scratch_load_dwordx4 v[28:31], off, off offset:760 ; 16-byte Folded Reload
	s_waitcnt vmcnt(7)
	scratch_store_dwordx4 off, v[0:3], off offset:1672 ; 16-byte Folded Spill
	s_waitcnt vmcnt(7)
	scratch_store_dwordx4 off, v[4:7], off offset:1688 ; 16-byte Folded Spill
	s_waitcnt vmcnt(7)
	scratch_store_dwordx4 off, v[8:11], off offset:1704 ; 16-byte Folded Spill
	s_waitcnt vmcnt(7)
	scratch_store_dwordx4 off, v[12:15], off offset:1720 ; 16-byte Folded Spill
	s_waitcnt vmcnt(7)
	scratch_store_dwordx4 off, v[16:19], off offset:1736 ; 16-byte Folded Spill
	s_waitcnt vmcnt(7)
	scratch_store_dwordx4 off, v[20:23], off offset:1752 ; 16-byte Folded Spill
	s_waitcnt vmcnt(7)
	scratch_store_dwordx4 off, v[24:27], off offset:1768 ; 16-byte Folded Spill
	s_waitcnt vmcnt(7)
	scratch_store_dwordx4 off, v[28:31], off offset:1784 ; 16-byte Folded Spill
	scratch_load_dwordx4 v[0:3], off, off offset:1544 ; 16-byte Folded Reload
	s_nop 0
	scratch_load_dwordx4 v[4:7], off, off offset:1560 ; 16-byte Folded Reload
	scratch_load_dwordx4 v[8:11], off, off offset:1576 ; 16-byte Folded Reload
	scratch_load_dwordx4 v[12:15], off, off offset:1592 ; 16-byte Folded Reload
	scratch_load_dwordx4 v[16:19], off, off offset:1608 ; 16-byte Folded Reload
	scratch_load_dwordx4 v[20:23], off, off offset:1624 ; 16-byte Folded Reload
	scratch_load_dwordx4 v[24:27], off, off offset:1640 ; 16-byte Folded Reload
	scratch_load_dwordx4 v[28:31], off, off offset:1656 ; 16-byte Folded Reload
	s_waitcnt vmcnt(7)
	scratch_store_dwordx4 off, v[0:3], off offset:2952 ; 16-byte Folded Spill
	s_waitcnt vmcnt(7)
	scratch_store_dwordx4 off, v[4:7], off offset:2968 ; 16-byte Folded Spill
	s_waitcnt vmcnt(7)
	scratch_store_dwordx4 off, v[8:11], off offset:2984 ; 16-byte Folded Spill
	s_waitcnt vmcnt(7)
	scratch_store_dwordx4 off, v[12:15], off offset:3000 ; 16-byte Folded Spill
	s_waitcnt vmcnt(7)
	scratch_store_dwordx4 off, v[16:19], off offset:3016 ; 16-byte Folded Spill
	s_waitcnt vmcnt(7)
	scratch_store_dwordx4 off, v[20:23], off offset:3032 ; 16-byte Folded Spill
	s_waitcnt vmcnt(7)
	scratch_store_dwordx4 off, v[24:27], off offset:3048 ; 16-byte Folded Spill
	s_waitcnt vmcnt(7)
	scratch_store_dwordx4 off, v[28:31], off offset:3064 ; 16-byte Folded Spill
	scratch_load_dwordx4 v[0:3], off, off offset:776 ; 16-byte Folded Reload
	s_nop 0
	scratch_load_dwordx4 v[4:7], off, off offset:792 ; 16-byte Folded Reload
	scratch_load_dwordx4 v[8:11], off, off offset:808 ; 16-byte Folded Reload
	scratch_load_dwordx4 v[12:15], off, off offset:824 ; 16-byte Folded Reload
	scratch_load_dwordx4 v[16:19], off, off offset:840 ; 16-byte Folded Reload
	scratch_load_dwordx4 v[20:23], off, off offset:856 ; 16-byte Folded Reload
	scratch_load_dwordx4 v[24:27], off, off offset:872 ; 16-byte Folded Reload
	scratch_load_dwordx4 v[28:31], off, off offset:888 ; 16-byte Folded Reload
	s_waitcnt vmcnt(7)
	scratch_store_dwordx4 off, v[0:3], off offset:2056 ; 16-byte Folded Spill
	s_waitcnt vmcnt(7)
	scratch_store_dwordx4 off, v[4:7], off offset:2072 ; 16-byte Folded Spill
	s_waitcnt vmcnt(7)
	scratch_store_dwordx4 off, v[8:11], off offset:2088 ; 16-byte Folded Spill
	s_waitcnt vmcnt(7)
	scratch_store_dwordx4 off, v[12:15], off offset:2104 ; 16-byte Folded Spill
	s_waitcnt vmcnt(7)
	scratch_store_dwordx4 off, v[16:19], off offset:2120 ; 16-byte Folded Spill
	s_waitcnt vmcnt(7)
	scratch_store_dwordx4 off, v[20:23], off offset:2136 ; 16-byte Folded Spill
	s_waitcnt vmcnt(7)
	scratch_store_dwordx4 off, v[24:27], off offset:2152 ; 16-byte Folded Spill
	s_waitcnt vmcnt(7)
	scratch_store_dwordx4 off, v[28:31], off offset:2168 ; 16-byte Folded Spill
	scratch_load_dwordx4 v[0:3], off, off offset:1160 ; 16-byte Folded Reload
	s_nop 0
	scratch_load_dwordx4 v[4:7], off, off offset:1176 ; 16-byte Folded Reload
	scratch_load_dwordx4 v[8:11], off, off offset:1192 ; 16-byte Folded Reload
	scratch_load_dwordx4 v[12:15], off, off offset:1208 ; 16-byte Folded Reload
	scratch_load_dwordx4 v[16:19], off, off offset:1224 ; 16-byte Folded Reload
	scratch_load_dwordx4 v[20:23], off, off offset:1240 ; 16-byte Folded Reload
	scratch_load_dwordx4 v[24:27], off, off offset:1256 ; 16-byte Folded Reload
	scratch_load_dwordx4 v[28:31], off, off offset:1272 ; 16-byte Folded Reload
	s_waitcnt vmcnt(7)
	scratch_store_dwordx4 off, v[0:3], off offset:3336 ; 16-byte Folded Spill
	s_waitcnt vmcnt(7)
	scratch_store_dwordx4 off, v[4:7], off offset:3352 ; 16-byte Folded Spill
	;; [unrolled: 2-line block ×8, first 2 shown]
	scratch_store_dwordx4 off, v[198:201], off offset:3208 ; 16-byte Folded Spill
	s_nop 0
	scratch_store_dwordx4 off, v[202:205], off offset:3224 ; 16-byte Folded Spill
	scratch_store_dwordx4 off, v[206:209], off offset:3240 ; 16-byte Folded Spill
	;; [unrolled: 1-line block ×7, first 2 shown]
	scratch_load_dwordx4 v[0:3], off, off offset:3080 ; 16-byte Folded Reload
	scratch_load_dwordx4 v[4:7], off, off offset:3096 ; 16-byte Folded Reload
	scratch_load_dwordx4 v[8:11], off, off offset:3112 ; 16-byte Folded Reload
	scratch_load_dwordx4 v[12:15], off, off offset:3128 ; 16-byte Folded Reload
	scratch_load_dwordx4 v[16:19], off, off offset:3144 ; 16-byte Folded Reload
	scratch_load_dwordx4 v[20:23], off, off offset:3160 ; 16-byte Folded Reload
	scratch_load_dwordx4 v[24:27], off, off offset:3176 ; 16-byte Folded Reload
	scratch_load_dwordx4 v[28:31], off, off offset:3192 ; 16-byte Folded Reload
	s_waitcnt vmcnt(4)
	v_mov_b32_e32 v167, v13
	scratch_store_dwordx4 off, v[0:3], s2   ; 16-byte Folded Spill
	s_nop 0
	scratch_store_dwordx4 off, v[4:7], s2 offset:16 ; 16-byte Folded Spill
	scratch_store_dwordx4 off, v[8:11], s2 offset:32 ; 16-byte Folded Spill
	;; [unrolled: 1-line block ×3, first 2 shown]
	s_waitcnt vmcnt(7)
	scratch_store_dwordx4 off, v[16:19], s2 offset:64 ; 16-byte Folded Spill
	s_waitcnt vmcnt(7)
	scratch_store_dwordx4 off, v[20:23], s2 offset:80 ; 16-byte Folded Spill
	;; [unrolled: 2-line block ×4, first 2 shown]
	s_movk_i32 s2, 0x1088
	scratch_load_dwordx4 v[0:3], off, s2    ; 16-byte Folded Reload
	scratch_load_dwordx4 v[4:7], off, s2 offset:16 ; 16-byte Folded Reload
	scratch_load_dwordx4 v[8:11], off, s2 offset:32 ; 16-byte Folded Reload
	;; [unrolled: 1-line block ×7, first 2 shown]
	s_movk_i32 s2, 0x1188
	s_waitcnt vmcnt(4)
	v_mov_b32_e32 v110, v12
	scratch_store_dwordx4 off, v[0:3], s2   ; 16-byte Folded Spill
	s_nop 0
	scratch_store_dwordx4 off, v[4:7], s2 offset:16 ; 16-byte Folded Spill
	scratch_store_dwordx4 off, v[8:11], s2 offset:32 ; 16-byte Folded Spill
	scratch_store_dwordx4 off, v[12:15], s2 offset:48 ; 16-byte Folded Spill
	s_waitcnt vmcnt(7)
	scratch_store_dwordx4 off, v[16:19], s2 offset:64 ; 16-byte Folded Spill
	s_waitcnt vmcnt(7)
	scratch_store_dwordx4 off, v[20:23], s2 offset:80 ; 16-byte Folded Spill
	;; [unrolled: 2-line block ×4, first 2 shown]
	s_movk_i32 s2, 0x1308
	scratch_load_dwordx4 v[0:3], off, s2    ; 16-byte Folded Reload
	scratch_load_dwordx4 v[4:7], off, s2 offset:16 ; 16-byte Folded Reload
	scratch_load_dwordx4 v[8:11], off, s2 offset:32 ; 16-byte Folded Reload
	;; [unrolled: 1-line block ×7, first 2 shown]
	s_movk_i32 s2, 0x1208
	s_waitcnt vmcnt(5)
	v_mov_b32_e32 v111, v11
	scratch_store_dwordx4 off, v[0:3], s2   ; 16-byte Folded Spill
	s_nop 0
	scratch_store_dwordx4 off, v[4:7], s2 offset:16 ; 16-byte Folded Spill
	scratch_store_dwordx4 off, v[8:11], s2 offset:32 ; 16-byte Folded Spill
	s_waitcnt vmcnt(7)
	scratch_store_dwordx4 off, v[12:15], s2 offset:48 ; 16-byte Folded Spill
	s_waitcnt vmcnt(7)
	;; [unrolled: 2-line block ×5, first 2 shown]
	scratch_store_dwordx4 off, v[28:31], s2 offset:112 ; 16-byte Folded Spill
	scratch_load_dwordx4 v[0:3], off, off offset:4 ; 16-byte Folded Reload
	s_nop 0
	scratch_load_dwordx4 v[4:7], off, off offset:20 ; 16-byte Folded Reload
	scratch_load_dwordx4 v[8:11], off, off offset:36 ; 16-byte Folded Reload
	;; [unrolled: 1-line block ×15, first 2 shown]
	s_movk_i32 s2, 0x1108
	s_waitcnt vmcnt(8)
	v_mov_b64_e32 v[210:211], v[28:29]
	s_waitcnt vmcnt(0)
	v_mov_b64_e32 v[198:199], v[60:61]
	v_mov_b64_e32 v[196:197], v[58:59]
	;; [unrolled: 1-line block ×30, first 2 shown]
	scratch_load_dwordx4 v[0:3], off, s2    ; 16-byte Folded Reload
	scratch_load_dwordx4 v[4:7], off, s2 offset:16 ; 16-byte Folded Reload
	scratch_load_dwordx4 v[8:11], off, s2 offset:32 ; 16-byte Folded Reload
	;; [unrolled: 1-line block ×7, first 2 shown]
	s_movk_i32 s2, 0x1488
	s_waitcnt vmcnt(7)
	scratch_store_dwordx4 off, v[0:3], s2   ; 16-byte Folded Spill
	s_waitcnt vmcnt(7)
	scratch_store_dwordx4 off, v[4:7], s2 offset:16 ; 16-byte Folded Spill
	s_waitcnt vmcnt(7)
	scratch_store_dwordx4 off, v[8:11], s2 offset:32 ; 16-byte Folded Spill
	s_waitcnt vmcnt(7)
	scratch_store_dwordx4 off, v[12:15], s2 offset:48 ; 16-byte Folded Spill
	s_waitcnt vmcnt(7)
	scratch_store_dwordx4 off, v[16:19], s2 offset:64 ; 16-byte Folded Spill
	s_waitcnt vmcnt(7)
	scratch_store_dwordx4 off, v[20:23], s2 offset:80 ; 16-byte Folded Spill
	s_waitcnt vmcnt(7)
	scratch_store_dwordx4 off, v[24:27], s2 offset:96 ; 16-byte Folded Spill
	s_waitcnt vmcnt(7)
	scratch_store_dwordx4 off, v[28:31], s2 offset:112 ; 16-byte Folded Spill
	s_movk_i32 s2, 0x1288
	scratch_load_dwordx4 v[42:45], off, s2  ; 16-byte Folded Reload
	scratch_load_dwordx4 v[46:49], off, s2 offset:16 ; 16-byte Folded Reload
	scratch_load_dwordx4 v[50:53], off, s2 offset:32 ; 16-byte Folded Reload
	;; [unrolled: 1-line block ×7, first 2 shown]
	s_movk_i32 s2, 0x1408
	s_waitcnt vmcnt(5)
	v_mov_b32_e32 v0, v42
	v_mov_b32_e32 v1, v43
	;; [unrolled: 1-line block ×9, first 2 shown]
	scratch_store_dwordx4 off, v[0:3], s2   ; 16-byte Folded Spill
	s_nop 0
	scratch_store_dwordx4 off, v[4:7], s2 offset:16 ; 16-byte Folded Spill
	scratch_store_dwordx4 off, v[8:11], s2 offset:32 ; 16-byte Folded Spill
	;; [unrolled: 1-line block ×7, first 2 shown]
	scratch_load_dwordx4 v[42:45], off, off offset:3720 ; 16-byte Folded Reload
	scratch_load_dwordx4 v[46:49], off, off offset:3736 ; 16-byte Folded Reload
	;; [unrolled: 1-line block ×8, first 2 shown]
	s_movk_i32 s2, 0x1608
	s_waitcnt vmcnt(6)
	v_mov_b64_e32 v[0:1], v[42:43]
	v_mov_b64_e32 v[2:3], v[44:45]
	;; [unrolled: 1-line block ×4, first 2 shown]
	scratch_store_dwordx4 off, v[0:3], s2   ; 16-byte Folded Spill
	s_nop 0
	scratch_store_dwordx4 off, v[4:7], s2 offset:16 ; 16-byte Folded Spill
	scratch_store_dwordx4 off, v[8:11], s2 offset:32 ; 16-byte Folded Spill
	;; [unrolled: 1-line block ×7, first 2 shown]
	scratch_load_dwordx4 v[42:45], off, off offset:3848 ; 16-byte Folded Reload
	scratch_load_dwordx4 v[46:49], off, off offset:3864 ; 16-byte Folded Reload
	;; [unrolled: 1-line block ×8, first 2 shown]
	s_movk_i32 s2, 0x1588
	s_waitcnt vmcnt(6)
	v_mov_b32_e32 v0, v42
	v_mov_b32_e32 v1, v43
	;; [unrolled: 1-line block ×7, first 2 shown]
	scratch_store_dwordx4 off, v[0:3], s2   ; 16-byte Folded Spill
	s_nop 0
	scratch_store_dwordx4 off, v[4:7], s2 offset:16 ; 16-byte Folded Spill
	scratch_store_dwordx4 off, v[8:11], s2 offset:32 ; 16-byte Folded Spill
	;; [unrolled: 1-line block ×7, first 2 shown]
	s_movk_i32 s2, 0x1508
	scratch_load_dwordx4 v[42:45], off, s2  ; 16-byte Folded Reload
	scratch_load_dwordx4 v[46:49], off, s2 offset:16 ; 16-byte Folded Reload
	scratch_load_dwordx4 v[50:53], off, s2 offset:32 ; 16-byte Folded Reload
	;; [unrolled: 1-line block ×7, first 2 shown]
	s_movk_i32 s2, 0x1688
	s_waitcnt vmcnt(6)
	v_mov_b64_e32 v[96:97], v[46:47]
	v_mov_b64_e32 v[94:95], v[44:45]
	;; [unrolled: 1-line block ×3, first 2 shown]
	scratch_store_dwordx4 off, v[92:95], s2 ; 16-byte Folded Spill
	s_nop 0
	scratch_store_dwordx4 off, v[96:99], s2 offset:16 ; 16-byte Folded Spill
	scratch_store_dwordx4 off, v[100:103], s2 offset:32 ; 16-byte Folded Spill
	;; [unrolled: 1-line block ×7, first 2 shown]
	scratch_load_dwordx4 v[42:45], off, off offset:3592 ; 16-byte Folded Reload
	scratch_load_dwordx4 v[46:49], off, off offset:3608 ; 16-byte Folded Reload
	;; [unrolled: 1-line block ×8, first 2 shown]
	s_movk_i32 s2, 0x1788
	s_waitcnt vmcnt(6)
	v_mov_b32_e32 v96, v46
	v_mov_b32_e32 v95, v45
	;; [unrolled: 1-line block ×5, first 2 shown]
	scratch_store_dwordx4 off, v[92:95], s2 ; 16-byte Folded Spill
	s_nop 0
	scratch_store_dwordx4 off, v[96:99], s2 offset:16 ; 16-byte Folded Spill
	scratch_store_dwordx4 off, v[100:103], s2 offset:32 ; 16-byte Folded Spill
	;; [unrolled: 1-line block ×7, first 2 shown]
	s_movk_i32 s2, 0x1708
	scratch_load_dwordx4 v[42:45], off, s2  ; 16-byte Folded Reload
	scratch_load_dwordx4 v[46:49], off, s2 offset:16 ; 16-byte Folded Reload
	scratch_load_dwordx4 v[50:53], off, s2 offset:32 ; 16-byte Folded Reload
	;; [unrolled: 1-line block ×7, first 2 shown]
	s_movk_i32 s2, 0x1808
	s_waitcnt vmcnt(7)
	v_mov_b64_e32 v[2:3], v[42:43]
	v_mov_b64_e32 v[4:5], v[44:45]
	scratch_store_dwordx4 off, v[2:5], s2   ; 16-byte Folded Spill
	s_nop 0
	scratch_store_dwordx4 off, v[6:9], s2 offset:16 ; 16-byte Folded Spill
	scratch_store_dwordx4 off, v[10:13], s2 offset:32 ; 16-byte Folded Spill
	;; [unrolled: 1-line block ×7, first 2 shown]
	scratch_load_dwordx4 v[42:45], off, off offset:3464 ; 16-byte Folded Reload
	scratch_load_dwordx4 v[46:49], off, off offset:3480 ; 16-byte Folded Reload
	;; [unrolled: 1-line block ×8, first 2 shown]
	s_movk_i32 s2, 0x1888
	s_waitcnt vmcnt(7)
	v_mov_b32_e32 v0, v42
	v_mov_b32_e32 v1, v43
	;; [unrolled: 1-line block ×3, first 2 shown]
	scratch_store_dwordx4 off, v[0:3], s2   ; 16-byte Folded Spill
	s_nop 0
	scratch_store_dwordx4 off, v[4:7], s2 offset:16 ; 16-byte Folded Spill
	scratch_store_dwordx4 off, v[8:11], s2 offset:32 ; 16-byte Folded Spill
	scratch_store_dwordx4 off, v[12:15], s2 offset:48 ; 16-byte Folded Spill
	scratch_store_dwordx4 off, v[16:19], s2 offset:64 ; 16-byte Folded Spill
	scratch_store_dwordx4 off, v[20:23], s2 offset:80 ; 16-byte Folded Spill
	scratch_store_dwordx4 off, v[24:27], s2 offset:96 ; 16-byte Folded Spill
	scratch_store_dwordx4 off, v[28:31], s2 offset:112 ; 16-byte Folded Spill
	s_movk_i32 s2, 0x1a00
	scratch_store_dwordx4 off, v[182:185], s2 ; 16-byte Folded Spill
	s_nop 0
	scratch_store_dwordx4 off, v[186:189], s2 offset:16 ; 16-byte Folded Spill
	scratch_store_dwordx4 off, v[190:193], s2 offset:32 ; 16-byte Folded Spill
	;; [unrolled: 1-line block ×7, first 2 shown]
	s_mov_b64 s[2:3], exec
	s_and_b64 s[4:5], s[2:3], vcc
	v_mov_b32_e32 v90, v40
	v_mov_b32_e32 v92, v8
	;; [unrolled: 1-line block ×6, first 2 shown]
	s_mov_b64 exec, s[4:5]
	s_cbranch_execz .LBB59_13
; %bb.12:
	v_mov_b32_e32 v99, v5
	scratch_load_dwordx4 v[0:3], off, off offset:1160 ; 16-byte Folded Reload
	scratch_load_dwordx4 v[4:7], off, off offset:1176 ; 16-byte Folded Reload
	;; [unrolled: 1-line block ×8, first 2 shown]
	v_mov_b32_e32 v91, v111
	v_mov_b32_e32 v88, v110
	s_movk_i32 s4, 0x19fc
	v_mov_b32_e32 v89, v167
	v_mov_b32_e32 v84, v158
	s_waitcnt vmcnt(4)
	v_mov_b32_e32 v85, v15
	scratch_load_dwordx4 v[0:3], off, off offset:776 ; 16-byte Folded Reload
	scratch_load_dwordx4 v[4:7], off, off offset:792 ; 16-byte Folded Reload
	scratch_load_dwordx4 v[8:11], off, off offset:808 ; 16-byte Folded Reload
	scratch_load_dwordx4 v[12:15], off, off offset:824 ; 16-byte Folded Reload
	scratch_load_dwordx4 v[16:19], off, off offset:840 ; 16-byte Folded Reload
	scratch_load_dwordx4 v[20:23], off, off offset:856 ; 16-byte Folded Reload
	scratch_load_dwordx4 v[24:27], off, off offset:872 ; 16-byte Folded Reload
	scratch_load_dwordx4 v[28:31], off, off offset:888 ; 16-byte Folded Reload
	s_waitcnt vmcnt(3)
	v_mov_b32_e32 v82, v16
	scratch_load_dwordx4 v[0:3], off, off offset:1544 ; 16-byte Folded Reload
	scratch_load_dwordx4 v[4:7], off, off offset:1560 ; 16-byte Folded Reload
	scratch_load_dwordx4 v[8:11], off, off offset:1576 ; 16-byte Folded Reload
	scratch_load_dwordx4 v[12:15], off, off offset:1592 ; 16-byte Folded Reload
	scratch_load_dwordx4 v[16:19], off, off offset:1608 ; 16-byte Folded Reload
	scratch_load_dwordx4 v[20:23], off, off offset:1624 ; 16-byte Folded Reload
	scratch_load_dwordx4 v[24:27], off, off offset:1640 ; 16-byte Folded Reload
	scratch_load_dwordx4 v[28:31], off, off offset:1656 ; 16-byte Folded Reload
	;; [unrolled: 10-line block ×3, first 2 shown]
	scratch_load_dwordx4 v[0:3], off, off offset:392 ; 16-byte Folded Reload
	scratch_load_dwordx4 v[4:7], off, off offset:408 ; 16-byte Folded Reload
	;; [unrolled: 1-line block ×8, first 2 shown]
	s_waitcnt vmcnt(3)
	v_mov_b32_e32 v69, v19
	scratch_load_dwordx4 v[0:3], off, off offset:1288 ; 16-byte Folded Reload
	scratch_load_dwordx4 v[4:7], off, off offset:1304 ; 16-byte Folded Reload
	;; [unrolled: 1-line block ×16, first 2 shown]
	s_waitcnt vmcnt(2)
	v_mov_b32_e32 v21, v43
	scratch_load_dwordx4 v[22:25], off, off offset:520 ; 16-byte Folded Reload
	scratch_load_dwordx4 v[26:29], off, off offset:536 ; 16-byte Folded Reload
	;; [unrolled: 1-line block ×16, first 2 shown]
	s_waitcnt vmcnt(4)
	v_mov_b32_e32 v114, v138
	v_mov_b32_e32 v115, v139
	;; [unrolled: 1-line block ×3, first 2 shown]
	scratch_load_dwordx4 v[36:39], off, off offset:260 ; 16-byte Folded Reload
	scratch_load_dwordx4 v[40:43], off, off offset:276 ; 16-byte Folded Reload
	;; [unrolled: 1-line block ×8, first 2 shown]
	scratch_load_dword v2, off, s4          ; 4-byte Folded Reload
	scratch_load_dword v0, off, off offset:388 ; 4-byte Folded Reload
	s_movk_i32 s4, 0x1a00
	s_waitcnt vmcnt(3)
	v_mov_b32_e32 v63, v87
	v_mov_b32_e32 v22, v122
	s_waitcnt vmcnt(1)
	v_mul_f32_e32 v28, v183, v2
	s_waitcnt vmcnt(0)
	ds_read2_b64 v[2:5], v0 offset0:1 offset1:2
	ds_read2_b64 v[6:9], v0 offset0:3 offset1:4
	v_mov_b32_e32 v183, v28
	s_waitcnt lgkmcnt(1)
	v_pk_fma_f32 v[98:99], v[28:29], v[2:3], v[98:99] op_sel_hi:[0,1,1] neg_lo:[1,0,0] neg_hi:[1,0,0]
	v_pk_fma_f32 v[96:97], v[28:29], v[4:5], v[96:97] op_sel_hi:[0,1,1] neg_lo:[1,0,0] neg_hi:[1,0,0]
	s_waitcnt lgkmcnt(0)
	v_pk_fma_f32 v[94:95], v[28:29], v[6:7], v[94:95] op_sel_hi:[0,1,1] neg_lo:[1,0,0] neg_hi:[1,0,0]
	v_pk_fma_f32 v[92:93], v[28:29], v[8:9], v[92:93] op_sel_hi:[0,1,1] neg_lo:[1,0,0] neg_hi:[1,0,0]
	ds_read2_b64 v[2:5], v0 offset0:5 offset1:6
	ds_read2_b64 v[6:9], v0 offset0:7 offset1:8
	s_waitcnt lgkmcnt(1)
	v_pk_fma_f32 v[90:91], v[28:29], v[2:3], v[90:91] op_sel_hi:[0,1,1] neg_lo:[1,0,0] neg_hi:[1,0,0]
	v_pk_fma_f32 v[88:89], v[28:29], v[4:5], v[88:89] op_sel_hi:[0,1,1] neg_lo:[1,0,0] neg_hi:[1,0,0]
	s_waitcnt lgkmcnt(0)
	v_pk_fma_f32 v[84:85], v[28:29], v[6:7], v[84:85] op_sel_hi:[0,1,1] neg_lo:[1,0,0] neg_hi:[1,0,0]
	v_pk_fma_f32 v[82:83], v[28:29], v[8:9], v[82:83] op_sel_hi:[0,1,1] neg_lo:[1,0,0] neg_hi:[1,0,0]
	ds_read2_b64 v[2:5], v0 offset0:9 offset1:10
	ds_read2_b64 v[6:9], v0 offset0:11 offset1:12
	v_mov_b32_e32 v111, v91
	v_mov_b32_e32 v110, v88
	;; [unrolled: 1-line block ×3, first 2 shown]
	s_waitcnt lgkmcnt(1)
	v_pk_fma_f32 v[68:69], v[28:29], v[2:3], v[68:69] op_sel_hi:[0,1,1] neg_lo:[1,0,0] neg_hi:[1,0,0]
	v_pk_fma_f32 v[20:21], v[28:29], v[4:5], v[20:21] op_sel_hi:[0,1,1] neg_lo:[1,0,0] neg_hi:[1,0,0]
	ds_read2_b64 v[2:5], v0 offset0:13 offset1:14
	scratch_store_dwordx4 off, v[182:185], s4 ; 16-byte Folded Spill
	s_nop 0
	scratch_store_dwordx4 off, v[186:189], s4 offset:16 ; 16-byte Folded Spill
	scratch_store_dwordx4 off, v[190:193], s4 offset:32 ; 16-byte Folded Spill
	;; [unrolled: 1-line block ×7, first 2 shown]
	v_mov_b32_e32 v184, v98
	s_movk_i32 s4, 0x1888
	s_waitcnt lgkmcnt(1)
	v_pk_fma_f32 v[22:23], v[28:29], v[6:7], v[22:23] op_sel_hi:[0,1,1] neg_lo:[1,0,0] neg_hi:[1,0,0]
	v_pk_fma_f32 v[114:115], v[28:29], v[8:9], v[114:115] op_sel_hi:[0,1,1] neg_lo:[1,0,0] neg_hi:[1,0,0]
	s_waitcnt lgkmcnt(0)
	v_pk_fma_f32 v[62:63], v[28:29], v[2:3], v[62:63] op_sel_hi:[0,1,1] neg_lo:[1,0,0] neg_hi:[1,0,0]
	v_pk_fma_f32 v[64:65], v[28:29], v[4:5], v[64:65] op_sel_hi:[0,1,1] neg_lo:[1,0,0] neg_hi:[1,0,0]
	v_mov_b32_e32 v158, v84
	v_mov_b32_e32 v138, v114
	;; [unrolled: 1-line block ×3, first 2 shown]
	scratch_store_dwordx4 off, v[182:185], s4 ; 16-byte Folded Spill
	s_nop 0
	scratch_store_dwordx4 off, v[186:189], s4 offset:16 ; 16-byte Folded Spill
	scratch_store_dwordx4 off, v[190:193], s4 offset:32 ; 16-byte Folded Spill
	scratch_store_dwordx4 off, v[194:197], s4 offset:48 ; 16-byte Folded Spill
	scratch_store_dwordx4 off, v[198:201], s4 offset:64 ; 16-byte Folded Spill
	scratch_store_dwordx4 off, v[202:205], s4 offset:80 ; 16-byte Folded Spill
	scratch_store_dwordx4 off, v[206:209], s4 offset:96 ; 16-byte Folded Spill
	scratch_store_dwordx4 off, v[210:213], s4 offset:112 ; 16-byte Folded Spill
	v_mov_b32_e32 v185, v99
	s_movk_i32 s4, 0x1808
	scratch_store_dwordx4 off, v[182:185], s4 ; 16-byte Folded Spill
	s_nop 0
	scratch_store_dwordx4 off, v[186:189], s4 offset:16 ; 16-byte Folded Spill
	scratch_store_dwordx4 off, v[190:193], s4 offset:32 ; 16-byte Folded Spill
	scratch_store_dwordx4 off, v[194:197], s4 offset:48 ; 16-byte Folded Spill
	scratch_store_dwordx4 off, v[198:201], s4 offset:64 ; 16-byte Folded Spill
	scratch_store_dwordx4 off, v[202:205], s4 offset:80 ; 16-byte Folded Spill
	scratch_store_dwordx4 off, v[206:209], s4 offset:96 ; 16-byte Folded Spill
	scratch_store_dwordx4 off, v[210:213], s4 offset:112 ; 16-byte Folded Spill
	v_mov_b32_e32 v186, v96
	s_movk_i32 s4, 0x1788
	;; [unrolled: 11-line block ×8, first 2 shown]
	v_mov_b32_e32 v0, v182
	v_mov_b32_e32 v1, v183
	;; [unrolled: 1-line block ×11, first 2 shown]
	v_mov_b64_e32 v[198:199], v[30:31]
	v_mov_b64_e32 v[192:193], v[24:25]
	;; [unrolled: 1-line block ×9, first 2 shown]
	v_mov_b32_e32 v182, v0
	v_mov_b32_e32 v183, v28
	;; [unrolled: 1-line block ×12, first 2 shown]
	scratch_store_dwordx4 off, v[182:185], s4 ; 16-byte Folded Spill
	s_nop 0
	scratch_store_dwordx4 off, v[186:189], s4 offset:16 ; 16-byte Folded Spill
	scratch_store_dwordx4 off, v[190:193], s4 offset:32 ; 16-byte Folded Spill
	;; [unrolled: 1-line block ×7, first 2 shown]
	v_mov_b32_e32 v183, v28
	v_mov_b32_e32 v184, v98
	;; [unrolled: 1-line block ×11, first 2 shown]
	s_movk_i32 s4, 0x1188
	v_mov_b64_e32 v[180:181], v[12:13]
	v_mov_b64_e32 v[178:179], v[10:11]
	;; [unrolled: 1-line block ×7, first 2 shown]
	v_mov_b32_e32 v5, v99
	scratch_store_dwordx4 off, v[182:185], s4 ; 16-byte Folded Spill
	s_nop 0
	scratch_store_dwordx4 off, v[186:189], s4 offset:16 ; 16-byte Folded Spill
	scratch_store_dwordx4 off, v[190:193], s4 offset:32 ; 16-byte Folded Spill
	;; [unrolled: 1-line block ×7, first 2 shown]
	v_mov_b32_e32 v183, v28
	v_mov_b32_e32 v184, v98
	;; [unrolled: 1-line block ×12, first 2 shown]
	s_movk_i32 s4, 0x1008
	scratch_store_dwordx4 off, v[182:185], s4 ; 16-byte Folded Spill
	s_nop 0
	scratch_store_dwordx4 off, v[186:189], s4 offset:16 ; 16-byte Folded Spill
	scratch_store_dwordx4 off, v[190:193], s4 offset:32 ; 16-byte Folded Spill
	;; [unrolled: 1-line block ×7, first 2 shown]
	v_mov_b32_e32 v183, v28
	v_mov_b32_e32 v184, v98
	;; [unrolled: 1-line block ×13, first 2 shown]
	scratch_store_dwordx4 off, v[182:185], off offset:3208 ; 16-byte Folded Spill
	s_nop 0
	scratch_store_dwordx4 off, v[186:189], off offset:3224 ; 16-byte Folded Spill
	scratch_store_dwordx4 off, v[190:193], off offset:3240 ; 16-byte Folded Spill
	;; [unrolled: 1-line block ×7, first 2 shown]
	v_mov_b32_e32 v183, v28
	v_mov_b32_e32 v184, v98
	;; [unrolled: 1-line block ×14, first 2 shown]
	scratch_store_dwordx4 off, v[182:185], off offset:3336 ; 16-byte Folded Spill
	s_nop 0
	scratch_store_dwordx4 off, v[186:189], off offset:3352 ; 16-byte Folded Spill
	scratch_store_dwordx4 off, v[190:193], off offset:3368 ; 16-byte Folded Spill
	;; [unrolled: 1-line block ×7, first 2 shown]
	v_mov_b32_e32 v183, v28
	v_mov_b32_e32 v184, v98
	;; [unrolled: 1-line block ×15, first 2 shown]
	scratch_store_dwordx4 off, v[182:185], off offset:2056 ; 16-byte Folded Spill
	s_nop 0
	scratch_store_dwordx4 off, v[186:189], off offset:2072 ; 16-byte Folded Spill
	scratch_store_dwordx4 off, v[190:193], off offset:2088 ; 16-byte Folded Spill
	;; [unrolled: 1-line block ×7, first 2 shown]
	v_mov_b32_e32 v183, v28
	v_mov_b32_e32 v184, v98
	v_mov_b32_e32 v185, v99
	v_mov_b32_e32 v186, v96
	v_mov_b32_e32 v187, v97
	v_mov_b32_e32 v188, v94
	v_mov_b32_e32 v189, v95
	v_mov_b32_e32 v190, v92
	v_mov_b32_e32 v191, v93
	v_mov_b32_e32 v192, v90
	v_mov_b32_e32 v193, v91
	v_mov_b32_e32 v194, v88
	v_mov_b32_e32 v195, v89
	v_mov_b32_e32 v196, v84
	v_mov_b32_e32 v197, v85
	v_mov_b32_e32 v199, v83
	scratch_store_dwordx4 off, v[182:185], off offset:2952 ; 16-byte Folded Spill
	s_nop 0
	scratch_store_dwordx4 off, v[186:189], off offset:2968 ; 16-byte Folded Spill
	scratch_store_dwordx4 off, v[190:193], off offset:2984 ; 16-byte Folded Spill
	;; [unrolled: 1-line block ×7, first 2 shown]
	v_mov_b32_e32 v183, v28
	v_mov_b32_e32 v184, v98
	;; [unrolled: 1-line block ×17, first 2 shown]
	scratch_store_dwordx4 off, v[182:185], off offset:1672 ; 16-byte Folded Spill
	s_nop 0
	scratch_store_dwordx4 off, v[186:189], off offset:1688 ; 16-byte Folded Spill
	scratch_store_dwordx4 off, v[190:193], off offset:1704 ; 16-byte Folded Spill
	scratch_store_dwordx4 off, v[194:197], off offset:1720 ; 16-byte Folded Spill
	scratch_store_dwordx4 off, v[198:201], off offset:1736 ; 16-byte Folded Spill
	scratch_store_dwordx4 off, v[202:205], off offset:1752 ; 16-byte Folded Spill
	scratch_store_dwordx4 off, v[206:209], off offset:1768 ; 16-byte Folded Spill
	scratch_store_dwordx4 off, v[210:213], off offset:1784 ; 16-byte Folded Spill
	v_mov_b32_e32 v201, v69
	scratch_store_dwordx4 off, v[182:185], off offset:2824 ; 16-byte Folded Spill
	s_nop 0
	scratch_store_dwordx4 off, v[186:189], off offset:2840 ; 16-byte Folded Spill
	scratch_store_dwordx4 off, v[190:193], off offset:2856 ; 16-byte Folded Spill
	scratch_store_dwordx4 off, v[194:197], off offset:2872 ; 16-byte Folded Spill
	scratch_store_dwordx4 off, v[198:201], off offset:2888 ; 16-byte Folded Spill
	scratch_store_dwordx4 off, v[202:205], off offset:2904 ; 16-byte Folded Spill
	scratch_store_dwordx4 off, v[206:209], off offset:2920 ; 16-byte Folded Spill
	scratch_store_dwordx4 off, v[210:213], off offset:2936 ; 16-byte Folded Spill
	v_mov_b32_e32 v202, v20
	;; [unrolled: 10-line block ×5, first 2 shown]
	scratch_store_dwordx4 off, v[182:185], off offset:2440 ; 16-byte Folded Spill
	s_nop 0
	scratch_store_dwordx4 off, v[186:189], off offset:2456 ; 16-byte Folded Spill
	scratch_store_dwordx4 off, v[190:193], off offset:2472 ; 16-byte Folded Spill
	;; [unrolled: 1-line block ×7, first 2 shown]
	s_nop 0
	v_mov_b32_e32 v206, v114
	v_mov_b64_e32 v[30:31], v[182:183]
	v_mov_b64_e32 v[32:33], v[184:185]
	;; [unrolled: 1-line block ×16, first 2 shown]
	v_mov_b32_e32 v207, v115
	scratch_store_dwordx4 off, v[182:185], off offset:2184 ; 16-byte Folded Spill
	s_nop 0
	scratch_store_dwordx4 off, v[186:189], off offset:2200 ; 16-byte Folded Spill
	scratch_store_dwordx4 off, v[190:193], off offset:2216 ; 16-byte Folded Spill
	;; [unrolled: 1-line block ×7, first 2 shown]
	s_nop 0
	v_mov_b32_e32 v208, v62
	scratch_store_dwordx4 off, v[182:185], off offset:1928 ; 16-byte Folded Spill
	s_nop 0
	scratch_store_dwordx4 off, v[186:189], off offset:1944 ; 16-byte Folded Spill
	scratch_store_dwordx4 off, v[190:193], off offset:1960 ; 16-byte Folded Spill
	;; [unrolled: 1-line block ×7, first 2 shown]
	s_nop 0
	v_mov_b32_e32 v209, v63
	scratch_store_dwordx4 off, v[182:185], off offset:1800 ; 16-byte Folded Spill
	s_nop 0
	scratch_store_dwordx4 off, v[186:189], off offset:1816 ; 16-byte Folded Spill
	scratch_store_dwordx4 off, v[190:193], off offset:1832 ; 16-byte Folded Spill
	scratch_store_dwordx4 off, v[194:197], off offset:1848 ; 16-byte Folded Spill
	scratch_store_dwordx4 off, v[198:201], off offset:1864 ; 16-byte Folded Spill
	scratch_store_dwordx4 off, v[202:205], off offset:1880 ; 16-byte Folded Spill
	scratch_store_dwordx4 off, v[206:209], off offset:1896 ; 16-byte Folded Spill
	scratch_store_dwordx4 off, v[210:213], off offset:1912 ; 16-byte Folded Spill
	scratch_store_dwordx4 off, v[30:33], off offset:2312 ; 16-byte Folded Spill
	s_nop 0
	scratch_store_dwordx4 off, v[34:37], off offset:2328 ; 16-byte Folded Spill
	scratch_store_dwordx4 off, v[38:41], off offset:2344 ; 16-byte Folded Spill
	;; [unrolled: 1-line block ×7, first 2 shown]
	v_mov_b32_e32 v210, v64
	v_mov_b32_e32 v211, v65
	scratch_store_dwordx4 off, v[70:73], off offset:1160 ; 16-byte Folded Spill
	s_nop 0
	scratch_store_dwordx4 off, v[74:77], off offset:1176 ; 16-byte Folded Spill
	scratch_store_dwordx4 off, v[78:81], off offset:1192 ; 16-byte Folded Spill
	scratch_store_dwordx4 off, v[82:85], off offset:1208 ; 16-byte Folded Spill
	scratch_store_dwordx4 off, v[86:89], off offset:1224 ; 16-byte Folded Spill
	scratch_store_dwordx4 off, v[90:93], off offset:1240 ; 16-byte Folded Spill
	scratch_store_dwordx4 off, v[94:97], off offset:1256 ; 16-byte Folded Spill
	scratch_store_dwordx4 off, v[98:101], off offset:1272 ; 16-byte Folded Spill
	scratch_store_dwordx4 off, v[66:69], off offset:776 ; 16-byte Folded Spill
	s_nop 0
	scratch_store_dwordx4 off, v[70:73], off offset:792 ; 16-byte Folded Spill
	scratch_store_dwordx4 off, v[74:77], off offset:808 ; 16-byte Folded Spill
	scratch_store_dwordx4 off, v[78:81], off offset:824 ; 16-byte Folded Spill
	scratch_store_dwordx4 off, v[82:85], off offset:840 ; 16-byte Folded Spill
	scratch_store_dwordx4 off, v[86:89], off offset:856 ; 16-byte Folded Spill
	scratch_store_dwordx4 off, v[90:93], off offset:872 ; 16-byte Folded Spill
	scratch_store_dwordx4 off, v[94:97], off offset:888 ; 16-byte Folded Spill
	;; [unrolled: 9-line block ×10, first 2 shown]
	v_mov_b32_e32 v87, v63
.LBB59_13:
	s_or_b64 exec, exec, s[2:3]
	v_mov_b32_e32 v29, v97
	v_mov_b32_e32 v76, v96
	;; [unrolled: 1-line block ×7, first 2 shown]
	s_waitcnt vmcnt(63) expcnt(7) lgkmcnt(15)
	s_barrier
	v_cmp_eq_u32_e32 vcc, 2, v255
	s_mov_b64 s[2:3], exec
	s_and_b64 s[4:5], s[2:3], vcc
	v_mov_b32_e32 v254, v162
	s_mov_b64 exec, s[4:5]
	s_cbranch_execz .LBB59_16
; %bb.14:
	scratch_load_dword v0, off, off offset:388 ; 4-byte Folded Reload
	ds_write_b32 v254, v98
	s_waitcnt vmcnt(0)
	ds_write2_b32 v0, v185, v186 offset0:3 offset1:4
	ds_write2_b32 v0, v187, v188 offset0:5 offset1:6
	;; [unrolled: 1-line block ×13, first 2 shown]
	scratch_load_dwordx4 v[30:33], off, off offset:260 ; 16-byte Folded Reload
	scratch_load_dwordx4 v[34:37], off, off offset:276 ; 16-byte Folded Reload
	scratch_load_dwordx4 v[38:41], off, off offset:292 ; 16-byte Folded Reload
	scratch_load_dwordx4 v[42:45], off, off offset:308 ; 16-byte Folded Reload
	scratch_load_dwordx4 v[46:49], off, off offset:324 ; 16-byte Folded Reload
	scratch_load_dwordx4 v[50:53], off, off offset:340 ; 16-byte Folded Reload
	scratch_load_dwordx4 v[54:57], off, off offset:356 ; 16-byte Folded Reload
	scratch_load_dwordx4 v[58:61], off, off offset:372 ; 16-byte Folded Reload
	s_waitcnt vmcnt(0)
	ds_write_b32 v0, v59 offset:116
	ds_read_b32 v30, v254
	s_waitcnt lgkmcnt(0)
	v_cmp_neq_f32_e32 vcc, 0, v30
	s_and_b64 exec, exec, vcc
	s_cbranch_execz .LBB59_16
; %bb.15:
	v_div_scale_f32 v31, s[4:5], v30, v30, 1.0
	v_rcp_f32_e32 v32, v31
	v_div_scale_f32 v33, vcc, 1.0, v30, 1.0
	v_fma_f32 v34, -v31, v32, 1.0
	v_fmac_f32_e32 v32, v34, v32
	v_mul_f32_e32 v34, v33, v32
	v_fma_f32 v35, -v31, v34, v33
	v_fmac_f32_e32 v34, v35, v32
	v_fma_f32 v31, -v31, v34, v33
	v_div_fmas_f32 v31, v31, v32, v34
	v_div_fixup_f32 v30, v31, v30, 1.0
	ds_write_b32 v254, v30
.LBB59_16:
	s_or_b64 exec, exec, s[2:3]
	s_waitcnt lgkmcnt(0)
	s_barrier
	ds_read_b32 v0, v254
	v_cmp_lt_u32_e32 vcc, 2, v255
	s_waitcnt lgkmcnt(0)
	scratch_store_dword off, v0, off offset:132 ; 4-byte Folded Spill
	s_and_saveexec_b64 s[2:3], vcc
	s_cbranch_execz .LBB59_18
; %bb.17:
	s_movk_i32 s4, 0x1a00
	scratch_load_dword v0, off, off offset:132 ; 4-byte Folded Reload
	scratch_load_dwordx4 v[2:5], off, s4    ; 16-byte Folded Reload
	scratch_load_dwordx4 v[6:9], off, s4 offset:16 ; 16-byte Folded Reload
	scratch_load_dwordx4 v[10:13], off, s4 offset:32 ; 16-byte Folded Reload
	scratch_load_dwordx4 v[14:17], off, s4 offset:48 ; 16-byte Folded Reload
	scratch_load_dwordx4 v[18:21], off, s4 offset:64 ; 16-byte Folded Reload
	scratch_load_dwordx4 v[22:25], off, s4 offset:80 ; 16-byte Folded Reload
	scratch_load_dwordx4 v[26:29], off, s4 offset:96 ; 16-byte Folded Reload
	scratch_load_dwordx4 v[30:33], off, s4 offset:112 ; 16-byte Folded Reload
	scratch_load_dword v10, off, off offset:388 ; 4-byte Folded Reload
	s_movk_i32 s4, 0x1788
	s_waitcnt vmcnt(8)
	v_mov_b64_e32 v[88:89], v[2:3]
	v_mov_b32_e32 v2, v185
	v_mov_b32_e32 v3, v186
	;; [unrolled: 1-line block ×5, first 2 shown]
	v_mul_f32_e32 v90, v98, v0
	v_mov_b32_e32 v224, v90
	s_waitcnt vmcnt(0)
	ds_read2_b32 v[0:1], v10 offset0:3 offset1:4
	ds_read2_b32 v[32:33], v10 offset0:5 offset1:6
	;; [unrolled: 1-line block ×4, first 2 shown]
	v_mov_b32_e32 v169, v89
	v_mov_b32_e32 v170, v90
	;; [unrolled: 1-line block ×3, first 2 shown]
	s_waitcnt lgkmcnt(3)
	v_pk_fma_f32 v[30:31], v[90:91], v[0:1], v[2:3] op_sel_hi:[0,1,1] neg_lo:[1,0,0] neg_hi:[1,0,0]
	v_mov_b32_e32 v0, v187
	v_mov_b32_e32 v1, v188
	s_waitcnt lgkmcnt(2)
	v_pk_fma_f32 v[32:33], v[90:91], v[32:33], v[0:1] op_sel_hi:[0,1,1] neg_lo:[1,0,0] neg_hi:[1,0,0]
	v_mov_b32_e32 v0, v189
	v_mov_b32_e32 v1, v190
	s_waitcnt lgkmcnt(1)
	v_pk_fma_f32 v[34:35], v[90:91], v[34:35], v[0:1] op_sel_hi:[0,1,1] neg_lo:[1,0,0] neg_hi:[1,0,0]
	v_mov_b32_e32 v0, v191
	v_mov_b32_e32 v1, v192
	s_waitcnt lgkmcnt(0)
	v_pk_fma_f32 v[36:37], v[90:91], v[36:37], v[0:1] op_sel_hi:[0,1,1] neg_lo:[1,0,0] neg_hi:[1,0,0]
	ds_read2_b32 v[0:1], v10 offset0:11 offset1:12
	ds_read2_b32 v[4:5], v10 offset0:13 offset1:14
	;; [unrolled: 1-line block ×4, first 2 shown]
	v_mov_b32_e32 v2, v193
	v_mov_b32_e32 v3, v194
	;; [unrolled: 1-line block ×3, first 2 shown]
	s_waitcnt lgkmcnt(3)
	v_pk_fma_f32 v[38:39], v[90:91], v[0:1], v[2:3] op_sel_hi:[0,1,1] neg_lo:[1,0,0] neg_hi:[1,0,0]
	v_mov_b32_e32 v0, v195
	v_mov_b32_e32 v1, v196
	s_waitcnt lgkmcnt(2)
	v_pk_fma_f32 v[40:41], v[90:91], v[4:5], v[0:1] op_sel_hi:[0,1,1] neg_lo:[1,0,0] neg_hi:[1,0,0]
	v_mov_b32_e32 v0, v197
	v_mov_b32_e32 v1, v198
	;; [unrolled: 4-line block ×3, first 2 shown]
	s_waitcnt lgkmcnt(0)
	v_pk_fma_f32 v[44:45], v[90:91], v[8:9], v[0:1] op_sel_hi:[0,1,1] neg_lo:[1,0,0] neg_hi:[1,0,0]
	ds_read2_b32 v[0:1], v10 offset0:19 offset1:20
	ds_read2_b32 v[4:5], v10 offset0:21 offset1:22
	;; [unrolled: 1-line block ×4, first 2 shown]
	v_mov_b32_e32 v2, v201
	v_mov_b32_e32 v3, v202
	;; [unrolled: 1-line block ×3, first 2 shown]
	s_waitcnt lgkmcnt(3)
	v_pk_fma_f32 v[46:47], v[90:91], v[0:1], v[2:3] op_sel_hi:[0,1,1] neg_lo:[1,0,0] neg_hi:[1,0,0]
	v_mov_b32_e32 v0, v203
	v_mov_b32_e32 v1, v204
	s_waitcnt lgkmcnt(2)
	v_pk_fma_f32 v[48:49], v[90:91], v[4:5], v[0:1] op_sel_hi:[0,1,1] neg_lo:[1,0,0] neg_hi:[1,0,0]
	ds_read2_b32 v[2:3], v10 offset0:27 offset1:28
	ds_read_b32 v4, v10 offset:116
	scratch_load_dwordx4 v[56:59], off, off offset:260 ; 16-byte Folded Reload
	scratch_load_dwordx4 v[60:63], off, off offset:276 ; 16-byte Folded Reload
	;; [unrolled: 1-line block ×8, first 2 shown]
	v_mov_b32_e32 v0, v205
	v_mov_b32_e32 v1, v206
	s_waitcnt lgkmcnt(3)
	v_pk_fma_f32 v[50:51], v[90:91], v[6:7], v[0:1] op_sel_hi:[0,1,1] neg_lo:[1,0,0] neg_hi:[1,0,0]
	v_mov_b32_e32 v0, v207
	v_mov_b32_e32 v1, v208
	s_waitcnt lgkmcnt(2)
	v_pk_fma_f32 v[52:53], v[90:91], v[8:9], v[0:1] op_sel_hi:[0,1,1] neg_lo:[1,0,0] neg_hi:[1,0,0]
	;; [unrolled: 4-line block ×3, first 2 shown]
	v_mov_b32_e32 v0, v88
	v_mov_b32_e32 v1, v89
	v_mov_b32_e32 v2, v90
	v_mov_b32_e32 v3, v30
	v_mov_b32_e32 v91, v30
	v_mov_b32_e32 v229, v34
	v_mov_b32_e32 v230, v35
	v_mov_b32_e32 v231, v36
	v_mov_b32_e32 v232, v37
	v_mov_b32_e32 v233, v38
	v_mov_b32_e32 v234, v39
	v_mov_b32_e32 v235, v40
	v_mov_b32_e32 v236, v41
	v_mov_b32_e32 v237, v42
	v_mov_b32_e32 v238, v43
	v_mov_b32_e32 v183, v89
	v_mov_b32_e32 v184, v90
	s_waitcnt vmcnt(7)
	v_mov_b32_e32 v56, v53
	v_mov_b32_e32 v58, v55
	;; [unrolled: 1-line block ×32, first 2 shown]
	s_waitcnt vmcnt(0) lgkmcnt(0)
	v_fma_f32 v211, -v90, v4, v85
	v_mov_b32_e32 v4, v31
	scratch_store_dwordx4 off, v[0:3], s4   ; 16-byte Folded Spill
	s_nop 0
	scratch_store_dwordx4 off, v[4:7], s4 offset:16 ; 16-byte Folded Spill
	scratch_store_dwordx4 off, v[8:11], s4 offset:32 ; 16-byte Folded Spill
	;; [unrolled: 1-line block ×7, first 2 shown]
	v_mov_b32_e32 v5, v32
	s_movk_i32 s4, 0x1688
	v_mov_b32_e32 v59, v211
	scratch_store_dwordx4 off, v[0:3], s4   ; 16-byte Folded Spill
	s_nop 0
	scratch_store_dwordx4 off, v[4:7], s4 offset:16 ; 16-byte Folded Spill
	scratch_store_dwordx4 off, v[8:11], s4 offset:32 ; 16-byte Folded Spill
	scratch_store_dwordx4 off, v[12:15], s4 offset:48 ; 16-byte Folded Spill
	scratch_store_dwordx4 off, v[16:19], s4 offset:64 ; 16-byte Folded Spill
	scratch_store_dwordx4 off, v[20:23], s4 offset:80 ; 16-byte Folded Spill
	scratch_store_dwordx4 off, v[24:27], s4 offset:96 ; 16-byte Folded Spill
	scratch_store_dwordx4 off, v[28:31], s4 offset:112 ; 16-byte Folded Spill
	v_mov_b32_e32 v6, v33
	s_movk_i32 s4, 0x1588
	scratch_store_dwordx4 off, v[0:3], s4   ; 16-byte Folded Spill
	s_nop 0
	scratch_store_dwordx4 off, v[4:7], s4 offset:16 ; 16-byte Folded Spill
	scratch_store_dwordx4 off, v[8:11], s4 offset:32 ; 16-byte Folded Spill
	scratch_store_dwordx4 off, v[12:15], s4 offset:48 ; 16-byte Folded Spill
	scratch_store_dwordx4 off, v[16:19], s4 offset:64 ; 16-byte Folded Spill
	scratch_store_dwordx4 off, v[20:23], s4 offset:80 ; 16-byte Folded Spill
	scratch_store_dwordx4 off, v[24:27], s4 offset:96 ; 16-byte Folded Spill
	scratch_store_dwordx4 off, v[28:31], s4 offset:112 ; 16-byte Folded Spill
	v_mov_b32_e32 v7, v34
	s_movk_i32 s4, 0x1608
	;; [unrolled: 11-line block ×4, first 2 shown]
	scratch_store_dwordx4 off, v[0:3], s4   ; 16-byte Folded Spill
	s_nop 0
	scratch_store_dwordx4 off, v[4:7], s4 offset:16 ; 16-byte Folded Spill
	scratch_store_dwordx4 off, v[8:11], s4 offset:32 ; 16-byte Folded Spill
	;; [unrolled: 1-line block ×7, first 2 shown]
	v_mov_b32_e32 v10, v37
	v_mov_b32_e32 v11, v38
	s_movk_i32 s4, 0x1208
	v_mov_b32_e32 v171, v30
	v_mov_b32_e32 v172, v31
	scratch_store_dwordx4 off, v[0:3], s4   ; 16-byte Folded Spill
	s_nop 0
	scratch_store_dwordx4 off, v[4:7], s4 offset:16 ; 16-byte Folded Spill
	scratch_store_dwordx4 off, v[8:11], s4 offset:32 ; 16-byte Folded Spill
	scratch_store_dwordx4 off, v[12:15], s4 offset:48 ; 16-byte Folded Spill
	scratch_store_dwordx4 off, v[16:19], s4 offset:64 ; 16-byte Folded Spill
	scratch_store_dwordx4 off, v[20:23], s4 offset:80 ; 16-byte Folded Spill
	scratch_store_dwordx4 off, v[24:27], s4 offset:96 ; 16-byte Folded Spill
	scratch_store_dwordx4 off, v[28:31], s4 offset:112 ; 16-byte Folded Spill
	v_mov_b32_e32 v12, v39
	s_movk_i32 s4, 0x1188
	scratch_store_dwordx4 off, v[0:3], s4   ; 16-byte Folded Spill
	s_nop 0
	scratch_store_dwordx4 off, v[4:7], s4 offset:16 ; 16-byte Folded Spill
	scratch_store_dwordx4 off, v[8:11], s4 offset:32 ; 16-byte Folded Spill
	scratch_store_dwordx4 off, v[12:15], s4 offset:48 ; 16-byte Folded Spill
	scratch_store_dwordx4 off, v[16:19], s4 offset:64 ; 16-byte Folded Spill
	scratch_store_dwordx4 off, v[20:23], s4 offset:80 ; 16-byte Folded Spill
	scratch_store_dwordx4 off, v[24:27], s4 offset:96 ; 16-byte Folded Spill
	scratch_store_dwordx4 off, v[28:31], s4 offset:112 ; 16-byte Folded Spill
	v_mov_b32_e32 v13, v40
	s_movk_i32 s4, 0x1008
	;; [unrolled: 11-line block ×3, first 2 shown]
	scratch_store_dwordx4 off, v[0:3], off offset:3208 ; 16-byte Folded Spill
	s_nop 0
	scratch_store_dwordx4 off, v[4:7], off offset:3224 ; 16-byte Folded Spill
	scratch_store_dwordx4 off, v[8:11], off offset:3240 ; 16-byte Folded Spill
	;; [unrolled: 1-line block ×7, first 2 shown]
	v_mov_b32_e32 v15, v42
	scratch_store_dwordx4 off, v[0:3], off offset:3336 ; 16-byte Folded Spill
	s_nop 0
	scratch_store_dwordx4 off, v[4:7], off offset:3352 ; 16-byte Folded Spill
	scratch_store_dwordx4 off, v[8:11], off offset:3368 ; 16-byte Folded Spill
	;; [unrolled: 1-line block ×7, first 2 shown]
	v_mov_b32_e32 v16, v43
	v_mov_b32_e32 v17, v44
	;; [unrolled: 1-line block ×4, first 2 shown]
	scratch_store_dwordx4 off, v[222:225], off offset:2056 ; 16-byte Folded Spill
	s_nop 0
	scratch_store_dwordx4 off, v[226:229], off offset:2072 ; 16-byte Folded Spill
	scratch_store_dwordx4 off, v[230:233], off offset:2088 ; 16-byte Folded Spill
	;; [unrolled: 1-line block ×8, first 2 shown]
	s_nop 0
	scratch_store_dwordx4 off, v[4:7], off offset:2968 ; 16-byte Folded Spill
	scratch_store_dwordx4 off, v[8:11], off offset:2984 ; 16-byte Folded Spill
	scratch_store_dwordx4 off, v[12:15], off offset:3000 ; 16-byte Folded Spill
	scratch_store_dwordx4 off, v[16:19], off offset:3016 ; 16-byte Folded Spill
	scratch_store_dwordx4 off, v[20:23], off offset:3032 ; 16-byte Folded Spill
	scratch_store_dwordx4 off, v[24:27], off offset:3048 ; 16-byte Folded Spill
	scratch_store_dwordx4 off, v[28:31], off offset:3064 ; 16-byte Folded Spill
	v_mov_b32_e32 v18, v45
	scratch_store_dwordx4 off, v[0:3], off offset:1672 ; 16-byte Folded Spill
	s_nop 0
	scratch_store_dwordx4 off, v[4:7], off offset:1688 ; 16-byte Folded Spill
	scratch_store_dwordx4 off, v[8:11], off offset:1704 ; 16-byte Folded Spill
	scratch_store_dwordx4 off, v[12:15], off offset:1720 ; 16-byte Folded Spill
	scratch_store_dwordx4 off, v[16:19], off offset:1736 ; 16-byte Folded Spill
	scratch_store_dwordx4 off, v[20:23], off offset:1752 ; 16-byte Folded Spill
	scratch_store_dwordx4 off, v[24:27], off offset:1768 ; 16-byte Folded Spill
	scratch_store_dwordx4 off, v[28:31], off offset:1784 ; 16-byte Folded Spill
	v_mov_b32_e32 v19, v46
	scratch_store_dwordx4 off, v[0:3], off offset:2824 ; 16-byte Folded Spill
	;; [unrolled: 10-line block ×6, first 2 shown]
	s_nop 0
	scratch_store_dwordx4 off, v[4:7], off offset:2456 ; 16-byte Folded Spill
	scratch_store_dwordx4 off, v[8:11], off offset:2472 ; 16-byte Folded Spill
	scratch_store_dwordx4 off, v[12:15], off offset:2488 ; 16-byte Folded Spill
	scratch_store_dwordx4 off, v[16:19], off offset:2504 ; 16-byte Folded Spill
	scratch_store_dwordx4 off, v[20:23], off offset:2520 ; 16-byte Folded Spill
	scratch_store_dwordx4 off, v[24:27], off offset:2536 ; 16-byte Folded Spill
	scratch_store_dwordx4 off, v[28:31], off offset:2552 ; 16-byte Folded Spill
	s_nop 0
	v_mov_b32_e32 v24, v51
	scratch_store_dwordx4 off, v[0:3], off offset:2312 ; 16-byte Folded Spill
	s_nop 0
	scratch_store_dwordx4 off, v[4:7], off offset:2328 ; 16-byte Folded Spill
	scratch_store_dwordx4 off, v[8:11], off offset:2344 ; 16-byte Folded Spill
	scratch_store_dwordx4 off, v[12:15], off offset:2360 ; 16-byte Folded Spill
	scratch_store_dwordx4 off, v[16:19], off offset:2376 ; 16-byte Folded Spill
	scratch_store_dwordx4 off, v[20:23], off offset:2392 ; 16-byte Folded Spill
	scratch_store_dwordx4 off, v[24:27], off offset:2408 ; 16-byte Folded Spill
	scratch_store_dwordx4 off, v[28:31], off offset:2424 ; 16-byte Folded Spill
	s_nop 0
	v_mov_b32_e32 v25, v52
	scratch_store_dwordx4 off, v[0:3], off offset:2184 ; 16-byte Folded Spill
	;; [unrolled: 11-line block ×4, first 2 shown]
	s_nop 0
	scratch_store_dwordx4 off, v[4:7], off offset:1816 ; 16-byte Folded Spill
	scratch_store_dwordx4 off, v[8:11], off offset:1832 ; 16-byte Folded Spill
	;; [unrolled: 1-line block ×7, first 2 shown]
	scratch_store_dwordx4 off, v[88:91], s4 ; 16-byte Folded Spill
	s_nop 0
	scratch_store_dwordx4 off, v[92:95], s4 offset:16 ; 16-byte Folded Spill
	scratch_store_dwordx4 off, v[96:99], s4 offset:32 ; 16-byte Folded Spill
	;; [unrolled: 1-line block ×7, first 2 shown]
	s_movk_i32 s4, 0x1888
	scratch_store_dwordx4 off, v[88:91], s4 ; 16-byte Folded Spill
	s_nop 0
	scratch_store_dwordx4 off, v[92:95], s4 offset:16 ; 16-byte Folded Spill
	scratch_store_dwordx4 off, v[96:99], s4 offset:32 ; 16-byte Folded Spill
	;; [unrolled: 1-line block ×7, first 2 shown]
	v_mov_b32_e32 v185, v30
	v_mov_b32_e32 v186, v31
	scratch_store_dwordx4 off, v[30:33], off offset:260 ; 16-byte Folded Spill
	s_nop 0
	scratch_store_dwordx4 off, v[34:37], off offset:276 ; 16-byte Folded Spill
	scratch_store_dwordx4 off, v[38:41], off offset:292 ; 16-byte Folded Spill
	;; [unrolled: 1-line block ×7, first 2 shown]
	v_mov_b32_e32 v5, v30
	v_mov_b32_e32 v76, v31
	;; [unrolled: 1-line block ×15, first 2 shown]
	scratch_store_dwordx4 off, v[0:3], off offset:1160 ; 16-byte Folded Spill
	s_nop 0
	scratch_store_dwordx4 off, v[4:7], off offset:1176 ; 16-byte Folded Spill
	scratch_store_dwordx4 off, v[8:11], off offset:1192 ; 16-byte Folded Spill
	scratch_store_dwordx4 off, v[12:15], off offset:1208 ; 16-byte Folded Spill
	scratch_store_dwordx4 off, v[16:19], off offset:1224 ; 16-byte Folded Spill
	scratch_store_dwordx4 off, v[20:23], off offset:1240 ; 16-byte Folded Spill
	scratch_store_dwordx4 off, v[24:27], off offset:1256 ; 16-byte Folded Spill
	scratch_store_dwordx4 off, v[28:31], off offset:1272 ; 16-byte Folded Spill
	scratch_store_dwordx4 off, v[0:3], off offset:776 ; 16-byte Folded Spill
	s_nop 0
	scratch_store_dwordx4 off, v[4:7], off offset:792 ; 16-byte Folded Spill
	scratch_store_dwordx4 off, v[8:11], off offset:808 ; 16-byte Folded Spill
	scratch_store_dwordx4 off, v[12:15], off offset:824 ; 16-byte Folded Spill
	scratch_store_dwordx4 off, v[16:19], off offset:840 ; 16-byte Folded Spill
	scratch_store_dwordx4 off, v[20:23], off offset:856 ; 16-byte Folded Spill
	scratch_store_dwordx4 off, v[24:27], off offset:872 ; 16-byte Folded Spill
	scratch_store_dwordx4 off, v[28:31], off offset:888 ; 16-byte Folded Spill
	;; [unrolled: 9-line block ×9, first 2 shown]
.LBB59_18:
	s_or_b64 exec, exec, s[2:3]
	v_cmp_eq_u32_e32 vcc, 3, v255
	s_waitcnt vmcnt(63) expcnt(7) lgkmcnt(15)
	s_barrier
	s_and_saveexec_b64 s[2:3], vcc
	s_cbranch_execz .LBB59_21
; %bb.19:
	scratch_load_dword v0, off, off offset:388 ; 4-byte Folded Reload
	ds_write_b32 v254, v5
	s_waitcnt vmcnt(0)
	ds_write2_b64 v0, v[186:187], v[188:189] offset0:2 offset1:3
	ds_write2_b64 v0, v[190:191], v[192:193] offset0:4 offset1:5
	;; [unrolled: 1-line block ×6, first 2 shown]
	ds_write_b64 v0, v[210:211] offset:112
	ds_read_b32 v30, v254
	s_waitcnt lgkmcnt(0)
	v_cmp_neq_f32_e32 vcc, 0, v30
	s_and_b64 exec, exec, vcc
	s_cbranch_execz .LBB59_21
; %bb.20:
	v_div_scale_f32 v31, s[4:5], v30, v30, 1.0
	v_rcp_f32_e32 v32, v31
	v_div_scale_f32 v33, vcc, 1.0, v30, 1.0
	v_fma_f32 v34, -v31, v32, 1.0
	v_fmac_f32_e32 v32, v34, v32
	v_mul_f32_e32 v34, v33, v32
	v_fma_f32 v35, -v31, v34, v33
	v_fmac_f32_e32 v34, v35, v32
	v_fma_f32 v31, -v31, v34, v33
	v_div_fmas_f32 v31, v31, v32, v34
	v_div_fixup_f32 v30, v31, v30, 1.0
	ds_write_b32 v254, v30
.LBB59_21:
	s_or_b64 exec, exec, s[2:3]
	s_waitcnt lgkmcnt(0)
	s_barrier
	ds_read_b32 v0, v254
	v_cmp_lt_u32_e32 vcc, 3, v255
	s_waitcnt lgkmcnt(0)
	scratch_store_dword off, v0, off offset:3080 ; 4-byte Folded Spill
	s_and_saveexec_b64 s[2:3], vcc
	s_cbranch_execz .LBB59_23
; %bb.22:
	scratch_load_dword v70, off, off offset:388 ; 4-byte Folded Reload
	s_movk_i32 s4, 0x1888
	s_waitcnt vmcnt(0)
	ds_read2_b64 v[30:33], v70 offset0:2 offset1:3
	ds_read2_b64 v[34:37], v70 offset0:4 offset1:5
	ds_read_b64 v[2:3], v70 offset:112
	scratch_load_dword v0, off, off offset:3080 ; 4-byte Folded Reload
	s_waitcnt vmcnt(0)
	v_mul_f32_e32 v142, v5, v0
	s_waitcnt lgkmcnt(0)
	v_pk_fma_f32 v[210:211], v[142:143], v[2:3], v[210:211] op_sel_hi:[0,1,1] neg_lo:[1,0,0] neg_hi:[1,0,0]
	v_pk_fma_f32 v[38:39], v[142:143], v[30:31], v[186:187] op_sel_hi:[0,1,1] neg_lo:[1,0,0] neg_hi:[1,0,0]
	;; [unrolled: 1-line block ×4, first 2 shown]
	scratch_store_dwordx4 off, v[182:185], off offset:4 ; 16-byte Folded Spill
	s_nop 0
	scratch_store_dwordx4 off, v[186:189], off offset:20 ; 16-byte Folded Spill
	scratch_store_dwordx4 off, v[190:193], off offset:36 ; 16-byte Folded Spill
	scratch_store_dwordx4 off, v[194:197], off offset:52 ; 16-byte Folded Spill
	scratch_store_dwordx4 off, v[198:201], off offset:68 ; 16-byte Folded Spill
	scratch_store_dwordx4 off, v[202:205], off offset:84 ; 16-byte Folded Spill
	scratch_store_dwordx4 off, v[206:209], off offset:100 ; 16-byte Folded Spill
	scratch_store_dwordx4 off, v[210:213], off offset:116 ; 16-byte Folded Spill
	scratch_load_dwordx4 v[0:3], off, s4    ; 16-byte Folded Reload
	scratch_load_dwordx4 v[4:7], off, s4 offset:16 ; 16-byte Folded Reload
	scratch_load_dwordx4 v[8:11], off, s4 offset:32 ; 16-byte Folded Reload
	scratch_load_dwordx4 v[12:15], off, s4 offset:48 ; 16-byte Folded Reload
	scratch_load_dwordx4 v[16:19], off, s4 offset:64 ; 16-byte Folded Reload
	scratch_load_dwordx4 v[20:23], off, s4 offset:80 ; 16-byte Folded Reload
	scratch_load_dwordx4 v[24:27], off, s4 offset:96 ; 16-byte Folded Reload
	scratch_load_dwordx4 v[28:31], off, s4 offset:112 ; 16-byte Folded Reload
	s_waitcnt vmcnt(4)
	v_mov_b64_e32 v[12:13], v[38:39]
	v_mov_b32_e32 v11, v142
	v_mov_b32_e32 v3, v142
	;; [unrolled: 1-line block ×4, first 2 shown]
	s_movk_i32 s4, 0x1688
	v_mov_b32_e32 v38, v116
	v_mov_b32_e32 v39, v117
	;; [unrolled: 1-line block ×18, first 2 shown]
	v_pk_fma_f32 v[178:179], v[142:143], v[36:37], v[192:193] op_sel_hi:[0,1,1] neg_lo:[1,0,0] neg_hi:[1,0,0]
	v_mov_b32_e32 v182, v2
	v_mov_b32_e32 v181, v1
	;; [unrolled: 1-line block ×6, first 2 shown]
	scratch_store_dwordx4 off, v[0:3], s4   ; 16-byte Folded Spill
	s_nop 0
	scratch_store_dwordx4 off, v[4:7], s4 offset:16 ; 16-byte Folded Spill
	scratch_store_dwordx4 off, v[8:11], s4 offset:32 ; 16-byte Folded Spill
	;; [unrolled: 1-line block ×3, first 2 shown]
	s_waitcnt vmcnt(7)
	scratch_store_dwordx4 off, v[16:19], s4 offset:64 ; 16-byte Folded Spill
	s_waitcnt vmcnt(7)
	scratch_store_dwordx4 off, v[20:23], s4 offset:80 ; 16-byte Folded Spill
	s_waitcnt vmcnt(7)
	scratch_store_dwordx4 off, v[24:27], s4 offset:96 ; 16-byte Folded Spill
	s_waitcnt vmcnt(7)
	scratch_store_dwordx4 off, v[28:31], s4 offset:112 ; 16-byte Folded Spill
	v_mov_b64_e32 v[6:7], v[32:33]
	s_movk_i32 s4, 0x1608
	v_mov_b32_e32 v32, v182
	v_mov_b32_e32 v33, v142
	;; [unrolled: 1-line block ×33, first 2 shown]
	v_mov_b64_e32 v[20:21], v[6:7]
	v_mov_b64_e32 v[18:19], v[4:5]
	v_mov_b64_e32 v[16:17], v[2:3]
	v_mov_b64_e32 v[14:15], v[0:1]
	scratch_store_dwordx4 off, v[0:3], s4   ; 16-byte Folded Spill
	s_nop 0
	scratch_store_dwordx4 off, v[4:7], s4 offset:16 ; 16-byte Folded Spill
	scratch_store_dwordx4 off, v[8:11], s4 offset:32 ; 16-byte Folded Spill
	;; [unrolled: 1-line block ×7, first 2 shown]
	s_movk_i32 s4, 0x1488
	v_mov_b64_e32 v[26:27], v[12:13]
	v_mov_b64_e32 v[24:25], v[10:11]
	;; [unrolled: 1-line block ×3, first 2 shown]
	v_mov_b32_e32 v8, v116
	v_mov_b32_e32 v9, v117
	v_mov_b32_e32 v112, v12
	v_mov_b32_e32 v113, v13
	v_mov_b32_e32 v114, v20
	v_mov_b32_e32 v115, v21
	scratch_store_dwordx4 off, v[0:3], s4   ; 16-byte Folded Spill
	s_nop 0
	scratch_store_dwordx4 off, v[4:7], s4 offset:16 ; 16-byte Folded Spill
	scratch_store_dwordx4 off, v[8:11], s4 offset:32 ; 16-byte Folded Spill
	;; [unrolled: 1-line block ×7, first 2 shown]
	s_movk_i32 s4, 0x1208
	v_mov_b32_e32 v0, v180
	v_mov_b32_e32 v30, v180
	;; [unrolled: 1-line block ×8, first 2 shown]
	scratch_store_dwordx4 off, v[30:33], s4 ; 16-byte Folded Spill
	s_nop 0
	scratch_store_dwordx4 off, v[34:37], s4 offset:16 ; 16-byte Folded Spill
	scratch_store_dwordx4 off, v[38:41], s4 offset:32 ; 16-byte Folded Spill
	;; [unrolled: 1-line block ×7, first 2 shown]
	ds_read2_b64 v[2:5], v70 offset0:6 offset1:7
	ds_read2_b64 v[6:9], v70 offset0:8 offset1:9
	v_mov_b64_e32 v[10:11], v[14:15]
	v_mov_b64_e32 v[12:13], v[16:17]
	;; [unrolled: 1-line block ×3, first 2 shown]
	s_waitcnt lgkmcnt(1)
	v_pk_fma_f32 v[166:167], v[142:143], v[2:3], v[194:195] op_sel_hi:[0,1,1] neg_lo:[1,0,0] neg_hi:[1,0,0]
	v_mov_b64_e32 v[16:17], v[20:21]
	v_mov_b32_e32 v36, v16
	v_mov_b32_e32 v37, v17
	;; [unrolled: 1-line block ×4, first 2 shown]
	s_movk_i32 s4, 0x1008
	v_mov_b64_e32 v[126:127], v[26:27]
	v_mov_b64_e32 v[134:135], v[16:17]
	v_mov_b32_e32 v172, v26
	v_mov_b32_e32 v173, v27
	;; [unrolled: 1-line block ×8, first 2 shown]
	v_mov_b64_e32 v[124:125], v[24:25]
	v_mov_b64_e32 v[122:123], v[22:23]
	;; [unrolled: 1-line block ×5, first 2 shown]
	v_mov_b32_e32 v62, v166
	v_mov_b32_e32 v63, v167
	;; [unrolled: 1-line block ×24, first 2 shown]
	scratch_store_dwordx4 off, v[30:33], s4 ; 16-byte Folded Spill
	s_nop 0
	scratch_store_dwordx4 off, v[34:37], s4 offset:16 ; 16-byte Folded Spill
	scratch_store_dwordx4 off, v[38:41], s4 offset:32 ; 16-byte Folded Spill
	;; [unrolled: 1-line block ×7, first 2 shown]
	scratch_load_dwordx4 v[10:13], off, off offset:4 ; 16-byte Folded Reload
	s_nop 0
	scratch_load_dwordx4 v[14:17], off, off offset:20 ; 16-byte Folded Reload
	scratch_load_dwordx4 v[18:21], off, off offset:36 ; 16-byte Folded Reload
	;; [unrolled: 1-line block ×7, first 2 shown]
	s_waitcnt vmcnt(2)
	v_mov_b32_e32 v30, v180
	v_mov_b32_e32 v31, v181
	v_mov_b32_e32 v32, v182
	v_mov_b32_e32 v33, v142
	s_waitcnt vmcnt(1)
	v_mov_b32_e32 v34, v126
	v_mov_b32_e32 v35, v127
	v_mov_b32_e32 v36, v134
	v_mov_b32_e32 v37, v135
	;; [unrolled: 5-line block ×3, first 2 shown]
	s_movk_i32 s4, 0x1588
	v_pk_fma_f32 v[198:199], v[142:143], v[4:5], v[24:25] op_sel_hi:[0,1,1] neg_lo:[1,0,0] neg_hi:[1,0,0]
	v_mov_b32_e32 v44, v198
	v_mov_b32_e32 v45, v199
	scratch_store_dwordx4 off, v[30:33], off offset:3336 ; 16-byte Folded Spill
	s_nop 0
	scratch_store_dwordx4 off, v[34:37], off offset:3352 ; 16-byte Folded Spill
	scratch_store_dwordx4 off, v[38:41], off offset:3368 ; 16-byte Folded Spill
	;; [unrolled: 1-line block ×7, first 2 shown]
	scratch_load_dwordx4 v[10:13], off, off offset:4 ; 16-byte Folded Reload
	s_nop 0
	scratch_load_dwordx4 v[14:17], off, off offset:20 ; 16-byte Folded Reload
	scratch_load_dwordx4 v[18:21], off, off offset:36 ; 16-byte Folded Reload
	;; [unrolled: 1-line block ×7, first 2 shown]
	s_waitcnt vmcnt(2)
	v_mov_b32_e32 v30, v180
	v_mov_b32_e32 v31, v181
	v_mov_b32_e32 v32, v182
	v_mov_b32_e32 v33, v142
	s_waitcnt vmcnt(1)
	v_mov_b32_e32 v34, v126
	v_mov_b32_e32 v35, v127
	v_mov_b32_e32 v36, v134
	v_mov_b32_e32 v37, v135
	;; [unrolled: 5-line block ×3, first 2 shown]
	v_mov_b32_e32 v64, v198
	v_mov_b32_e32 v65, v199
	;; [unrolled: 1-line block ×8, first 2 shown]
	s_waitcnt lgkmcnt(0)
	v_pk_fma_f32 v[216:217], v[142:143], v[6:7], v[26:27] op_sel_hi:[0,1,1] neg_lo:[1,0,0] neg_hi:[1,0,0]
	v_mov_b32_e32 v46, v216
	v_mov_b32_e32 v47, v217
	scratch_store_dwordx4 off, v[30:33], off offset:2952 ; 16-byte Folded Spill
	s_nop 0
	scratch_store_dwordx4 off, v[34:37], off offset:2968 ; 16-byte Folded Spill
	scratch_store_dwordx4 off, v[38:41], off offset:2984 ; 16-byte Folded Spill
	;; [unrolled: 1-line block ×7, first 2 shown]
	scratch_load_dwordx4 v[10:13], off, off offset:4 ; 16-byte Folded Reload
	s_nop 0
	scratch_load_dwordx4 v[14:17], off, off offset:20 ; 16-byte Folded Reload
	scratch_load_dwordx4 v[18:21], off, off offset:36 ; 16-byte Folded Reload
	scratch_load_dwordx4 v[22:25], off, off offset:52 ; 16-byte Folded Reload
	scratch_load_dwordx4 v[26:29], off, off offset:68 ; 16-byte Folded Reload
	scratch_load_dwordx4 v[30:33], off, off offset:84 ; 16-byte Folded Reload
	scratch_load_dwordx4 v[34:37], off, off offset:100 ; 16-byte Folded Reload
	scratch_load_dwordx4 v[38:41], off, off offset:116 ; 16-byte Folded Reload
	v_mov_b32_e32 v50, v180
	v_mov_b32_e32 v51, v181
	;; [unrolled: 1-line block ×16, first 2 shown]
	s_waitcnt vmcnt(2)
	v_mov_b32_e32 v30, v180
	v_mov_b32_e32 v31, v181
	v_mov_b32_e32 v32, v182
	v_mov_b32_e32 v33, v142
	s_waitcnt vmcnt(1)
	v_mov_b32_e32 v34, v126
	v_mov_b32_e32 v35, v127
	v_mov_b32_e32 v36, v134
	v_mov_b32_e32 v37, v135
	;; [unrolled: 5-line block ×3, first 2 shown]
	v_mov_b32_e32 v14, v198
	v_mov_b32_e32 v15, v199
	;; [unrolled: 1-line block ×10, first 2 shown]
	v_pk_fma_f32 v[48:49], v[142:143], v[8:9], v[28:29] op_sel_hi:[0,1,1] neg_lo:[1,0,0] neg_hi:[1,0,0]
	v_mov_b32_e32 v68, v48
	v_mov_b32_e32 v69, v49
	scratch_store_dwordx4 off, v[50:53], off offset:2824 ; 16-byte Folded Spill
	s_nop 0
	scratch_store_dwordx4 off, v[54:57], off offset:2840 ; 16-byte Folded Spill
	scratch_store_dwordx4 off, v[58:61], off offset:2856 ; 16-byte Folded Spill
	;; [unrolled: 1-line block ×7, first 2 shown]
	v_mov_b32_e32 v100, v48
	v_mov_b32_e32 v101, v49
	;; [unrolled: 1-line block ×8, first 2 shown]
	ds_read2_b64 v[20:23], v70 offset0:10 offset1:11
	ds_read2_b64 v[24:27], v70 offset0:12 offset1:13
	scratch_load_dwordx4 v[50:53], off, off offset:4 ; 16-byte Folded Reload
	scratch_load_dwordx4 v[54:57], off, off offset:20 ; 16-byte Folded Reload
	;; [unrolled: 1-line block ×8, first 2 shown]
	s_waitcnt vmcnt(2) lgkmcnt(1)
	v_pk_fma_f32 v[20:21], v[142:143], v[20:21], v[70:71] op_sel_hi:[0,1,1] neg_lo:[1,0,0] neg_hi:[1,0,0]
	v_mov_b32_e32 v102, v20
	v_mov_b32_e32 v103, v21
	scratch_store_dwordx4 off, v[82:85], off offset:2568 ; 16-byte Folded Spill
	s_nop 0
	scratch_store_dwordx4 off, v[86:89], off offset:2584 ; 16-byte Folded Spill
	scratch_store_dwordx4 off, v[90:93], off offset:2600 ; 16-byte Folded Spill
	;; [unrolled: 1-line block ×7, first 2 shown]
	scratch_load_dwordx4 v[50:53], off, off offset:4 ; 16-byte Folded Reload
	scratch_load_dwordx4 v[54:57], off, off offset:20 ; 16-byte Folded Reload
	;; [unrolled: 1-line block ×8, first 2 shown]
	s_waitcnt vmcnt(6)
	v_mov_b64_e32 v[50:51], v[122:123]
	v_mov_b64_e32 v[54:55], v[126:127]
	;; [unrolled: 1-line block ×6, first 2 shown]
	v_mov_b32_e32 v122, v54
	v_mov_b32_e32 v123, v55
	v_mov_b64_e32 v[146:147], v[52:53]
	v_mov_b64_e32 v[144:145], v[50:51]
	v_mov_b32_e32 v50, v180
	v_mov_b32_e32 v51, v181
	;; [unrolled: 1-line block ×8, first 2 shown]
	s_waitcnt vmcnt(5)
	v_mov_b32_e32 v58, v116
	v_mov_b32_e32 v59, v117
	v_mov_b32_e32 v60, v178
	v_mov_b32_e32 v61, v179
	s_waitcnt vmcnt(4)
	v_mov_b32_e32 v62, v166
	v_mov_b32_e32 v63, v167
	v_mov_b32_e32 v64, v198
	v_mov_b32_e32 v65, v199
	;; [unrolled: 5-line block ×3, first 2 shown]
	s_waitcnt vmcnt(2)
	v_mov_b32_e32 v70, v20
	v_mov_b32_e32 v71, v21
	v_mov_b64_e32 v[84:85], v[130:131]
	v_mov_b64_e32 v[86:87], v[132:133]
	v_mov_b32_e32 v92, v216
	v_mov_b32_e32 v93, v217
	;; [unrolled: 1-line block ×20, first 2 shown]
	v_pk_fma_f32 v[140:141], v[142:143], v[22:23], v[72:73] op_sel_hi:[0,1,1] neg_lo:[1,0,0] neg_hi:[1,0,0]
	v_mov_b32_e32 v72, v140
	v_mov_b32_e32 v73, v141
	scratch_store_dwordx4 off, v[50:53], off offset:2440 ; 16-byte Folded Spill
	s_nop 0
	scratch_store_dwordx4 off, v[54:57], off offset:2456 ; 16-byte Folded Spill
	scratch_store_dwordx4 off, v[58:61], off offset:2472 ; 16-byte Folded Spill
	;; [unrolled: 1-line block ×5, first 2 shown]
	s_waitcnt vmcnt(7)
	scratch_store_dwordx4 off, v[74:77], off offset:2536 ; 16-byte Folded Spill
	s_waitcnt vmcnt(7)
	scratch_store_dwordx4 off, v[78:81], off offset:2552 ; 16-byte Folded Spill
	scratch_load_dwordx4 v[50:53], off, off offset:4 ; 16-byte Folded Reload
	s_nop 0
	scratch_load_dwordx4 v[54:57], off, off offset:20 ; 16-byte Folded Reload
	scratch_load_dwordx4 v[58:61], off, off offset:36 ; 16-byte Folded Reload
	;; [unrolled: 1-line block ×7, first 2 shown]
	s_waitcnt vmcnt(6)
	v_mov_b32_e32 v56, v88
	v_mov_b32_e32 v57, v89
	v_mov_b64_e32 v[90:91], v[88:89]
	v_mov_b64_e32 v[88:89], v[86:87]
	;; [unrolled: 1-line block ×5, first 2 shown]
	s_waitcnt vmcnt(1)
	v_mov_b32_e32 v76, v180
	v_mov_b32_e32 v77, v181
	s_waitcnt vmcnt(0)
	v_mov_b32_e32 v78, v182
	v_mov_b32_e32 v79, v142
	;; [unrolled: 1-line block ×6, first 2 shown]
	v_mov_b64_e32 v[222:223], v[88:89]
	v_mov_b64_e32 v[220:221], v[86:87]
	;; [unrolled: 1-line block ×3, first 2 shown]
	v_mov_b32_e32 v84, v116
	v_mov_b32_e32 v85, v117
	;; [unrolled: 1-line block ×32, first 2 shown]
	s_waitcnt lgkmcnt(0)
	v_pk_fma_f32 v[74:75], v[142:143], v[24:25], v[74:75] op_sel_hi:[0,1,1] neg_lo:[1,0,0] neg_hi:[1,0,0]
	v_mov_b32_e32 v100, v74
	v_mov_b32_e32 v101, v75
	scratch_store_dwordx4 off, v[76:79], off offset:2184 ; 16-byte Folded Spill
	s_nop 0
	scratch_store_dwordx4 off, v[80:83], off offset:2200 ; 16-byte Folded Spill
	scratch_store_dwordx4 off, v[84:87], off offset:2216 ; 16-byte Folded Spill
	;; [unrolled: 1-line block ×7, first 2 shown]
	scratch_load_dwordx4 v[76:79], off, off offset:4 ; 16-byte Folded Reload
	s_nop 0
	scratch_load_dwordx4 v[80:83], off, off offset:20 ; 16-byte Folded Reload
	scratch_load_dwordx4 v[84:87], off, off offset:36 ; 16-byte Folded Reload
	;; [unrolled: 1-line block ×7, first 2 shown]
	s_waitcnt vmcnt(5)
	v_mov_b32_e32 v86, v224
	v_mov_b32_e32 v87, v225
	s_waitcnt vmcnt(2)
	v_mov_b32_e32 v98, v48
	v_mov_b32_e32 v99, v49
	;; [unrolled: 1-line block ×7, first 2 shown]
	s_waitcnt vmcnt(0)
	v_mov_b32_e32 v104, v74
	v_mov_b32_e32 v105, v75
	;; [unrolled: 1-line block ×15, first 2 shown]
	v_pk_fma_f32 v[106:107], v[142:143], v[26:27], v[102:103] op_sel_hi:[0,1,1] neg_lo:[1,0,0] neg_hi:[1,0,0]
	v_mov_b64_e32 v[22:23], v[218:219]
	v_mov_b64_e32 v[24:25], v[220:221]
	;; [unrolled: 1-line block ×4, first 2 shown]
	scratch_load_dwordx4 v[218:221], off, off offset:4 ; 16-byte Folded Reload
	scratch_load_dwordx4 v[222:225], off, off offset:20 ; 16-byte Folded Reload
	;; [unrolled: 1-line block ×8, first 2 shown]
	s_waitcnt vmcnt(7)
	v_mov_b32_e32 v221, v142
	v_mov_b32_e32 v76, v106
	;; [unrolled: 1-line block ×4, first 2 shown]
	scratch_store_dwordx4 off, v[218:221], off offset:4 ; 16-byte Folded Spill
	s_waitcnt vmcnt(7)
	scratch_store_dwordx4 off, v[222:225], off offset:20 ; 16-byte Folded Spill
	s_waitcnt vmcnt(7)
	;; [unrolled: 2-line block ×7, first 2 shown]
	scratch_store_dwordx4 off, v[246:249], off offset:116 ; 16-byte Folded Spill
	v_mov_b32_e32 v218, v180
	v_mov_b32_e32 v219, v181
	v_mov_b32_e32 v220, v182
	v_mov_b32_e32 v222, v148
	v_mov_b32_e32 v223, v149
	v_mov_b32_e32 v224, v28
	v_mov_b32_e32 v225, v29
	v_mov_b32_e32 v226, v116
	v_mov_b32_e32 v227, v117
	v_mov_b32_e32 v228, v178
	v_mov_b32_e32 v229, v179
	v_mov_b32_e32 v230, v166
	v_mov_b32_e32 v231, v167
	v_mov_b32_e32 v232, v198
	v_mov_b32_e32 v233, v199
	v_mov_b32_e32 v234, v216
	v_mov_b32_e32 v235, v217
	v_mov_b32_e32 v236, v48
	v_mov_b32_e32 v237, v49
	v_mov_b32_e32 v238, v20
	v_mov_b32_e32 v239, v21
	v_mov_b32_e32 v240, v140
	v_mov_b32_e32 v241, v141
	v_mov_b32_e32 v242, v74
	v_mov_b32_e32 v243, v75
	v_mov_b32_e32 v244, v106
	v_mov_b32_e32 v245, v107
	scratch_store_dwordx4 off, v[218:221], off offset:1800 ; 16-byte Folded Spill
	s_nop 0
	scratch_store_dwordx4 off, v[222:225], off offset:1816 ; 16-byte Folded Spill
	scratch_store_dwordx4 off, v[226:229], off offset:1832 ; 16-byte Folded Spill
	;; [unrolled: 1-line block ×7, first 2 shown]
	scratch_load_dwordx4 v[218:221], off, off offset:4 ; 16-byte Folded Reload
	s_nop 0
	scratch_load_dwordx4 v[222:225], off, off offset:20 ; 16-byte Folded Reload
	scratch_load_dwordx4 v[226:229], off, off offset:36 ; 16-byte Folded Reload
	scratch_load_dwordx4 v[230:233], off, off offset:52 ; 16-byte Folded Reload
	scratch_load_dwordx4 v[234:237], off, off offset:68 ; 16-byte Folded Reload
	scratch_load_dwordx4 v[238:241], off, off offset:84 ; 16-byte Folded Reload
	scratch_load_dwordx4 v[242:245], off, off offset:100 ; 16-byte Folded Reload
	scratch_load_dwordx4 v[246:249], off, off offset:116 ; 16-byte Folded Reload
	s_waitcnt vmcnt(7)
	v_mov_b32_e32 v218, v180
	scratch_store_dwordx4 off, v[218:221], off offset:4 ; 16-byte Folded Spill
	s_waitcnt vmcnt(7)
	scratch_store_dwordx4 off, v[222:225], off offset:20 ; 16-byte Folded Spill
	s_waitcnt vmcnt(7)
	scratch_store_dwordx4 off, v[226:229], off offset:36 ; 16-byte Folded Spill
	s_waitcnt vmcnt(7)
	scratch_store_dwordx4 off, v[230:233], off offset:52 ; 16-byte Folded Spill
	s_waitcnt vmcnt(7)
	scratch_store_dwordx4 off, v[234:237], off offset:68 ; 16-byte Folded Spill
	s_waitcnt vmcnt(7)
	scratch_store_dwordx4 off, v[238:241], off offset:84 ; 16-byte Folded Spill
	s_waitcnt vmcnt(7)
	scratch_store_dwordx4 off, v[242:245], off offset:100 ; 16-byte Folded Spill
	s_waitcnt vmcnt(7)
	scratch_store_dwordx4 off, v[246:249], off offset:116 ; 16-byte Folded Spill
	scratch_load_dwordx4 v[218:221], off, off offset:4 ; 16-byte Folded Reload
	s_nop 0
	scratch_load_dwordx4 v[222:225], off, off offset:20 ; 16-byte Folded Reload
	scratch_load_dwordx4 v[226:229], off, off offset:36 ; 16-byte Folded Reload
	scratch_load_dwordx4 v[230:233], off, off offset:52 ; 16-byte Folded Reload
	scratch_load_dwordx4 v[234:237], off, off offset:68 ; 16-byte Folded Reload
	scratch_load_dwordx4 v[238:241], off, off offset:84 ; 16-byte Folded Reload
	scratch_load_dwordx4 v[242:245], off, off offset:100 ; 16-byte Folded Reload
	scratch_load_dwordx4 v[246:249], off, off offset:116 ; 16-byte Folded Reload
	s_waitcnt vmcnt(7)
	v_mov_b32_e32 v219, v181
	scratch_store_dwordx4 off, v[218:221], off offset:4 ; 16-byte Folded Spill
	s_waitcnt vmcnt(7)
	scratch_store_dwordx4 off, v[222:225], off offset:20 ; 16-byte Folded Spill
	s_waitcnt vmcnt(7)
	scratch_store_dwordx4 off, v[226:229], off offset:36 ; 16-byte Folded Spill
	s_waitcnt vmcnt(7)
	scratch_store_dwordx4 off, v[230:233], off offset:52 ; 16-byte Folded Spill
	s_waitcnt vmcnt(7)
	scratch_store_dwordx4 off, v[234:237], off offset:68 ; 16-byte Folded Spill
	s_waitcnt vmcnt(7)
	scratch_store_dwordx4 off, v[238:241], off offset:84 ; 16-byte Folded Spill
	s_waitcnt vmcnt(7)
	scratch_store_dwordx4 off, v[242:245], off offset:100 ; 16-byte Folded Spill
	s_waitcnt vmcnt(7)
	scratch_store_dwordx4 off, v[246:249], off offset:116 ; 16-byte Folded Spill
	scratch_load_dwordx4 v[218:221], off, off offset:4 ; 16-byte Folded Reload
	s_nop 0
	scratch_load_dwordx4 v[222:225], off, off offset:20 ; 16-byte Folded Reload
	scratch_load_dwordx4 v[226:229], off, off offset:36 ; 16-byte Folded Reload
	scratch_load_dwordx4 v[230:233], off, off offset:52 ; 16-byte Folded Reload
	scratch_load_dwordx4 v[234:237], off, off offset:68 ; 16-byte Folded Reload
	scratch_load_dwordx4 v[238:241], off, off offset:84 ; 16-byte Folded Reload
	scratch_load_dwordx4 v[242:245], off, off offset:100 ; 16-byte Folded Reload
	scratch_load_dwordx4 v[246:249], off, off offset:116 ; 16-byte Folded Reload
	s_waitcnt vmcnt(7)
	v_mov_b32_e32 v220, v182
	scratch_store_dwordx4 off, v[218:221], off offset:4 ; 16-byte Folded Spill
	s_waitcnt vmcnt(7)
	scratch_store_dwordx4 off, v[222:225], off offset:20 ; 16-byte Folded Spill
	s_waitcnt vmcnt(7)
	scratch_store_dwordx4 off, v[226:229], off offset:36 ; 16-byte Folded Spill
	s_waitcnt vmcnt(7)
	scratch_store_dwordx4 off, v[230:233], off offset:52 ; 16-byte Folded Spill
	s_waitcnt vmcnt(7)
	scratch_store_dwordx4 off, v[234:237], off offset:68 ; 16-byte Folded Spill
	s_waitcnt vmcnt(7)
	scratch_store_dwordx4 off, v[238:241], off offset:84 ; 16-byte Folded Spill
	s_waitcnt vmcnt(7)
	scratch_store_dwordx4 off, v[242:245], off offset:100 ; 16-byte Folded Spill
	s_waitcnt vmcnt(7)
	scratch_store_dwordx4 off, v[246:249], off offset:116 ; 16-byte Folded Spill
	scratch_load_dwordx4 v[218:221], off, off offset:4 ; 16-byte Folded Reload
	s_nop 0
	scratch_load_dwordx4 v[222:225], off, off offset:20 ; 16-byte Folded Reload
	scratch_load_dwordx4 v[226:229], off, off offset:36 ; 16-byte Folded Reload
	;; [unrolled: 1-line block ×7, first 2 shown]
	s_waitcnt vmcnt(6)
	v_mov_b32_e32 v222, v148
	scratch_store_dwordx4 off, v[218:221], off offset:4 ; 16-byte Folded Spill
	s_nop 0
	scratch_store_dwordx4 off, v[222:225], off offset:20 ; 16-byte Folded Spill
	s_waitcnt vmcnt(7)
	scratch_store_dwordx4 off, v[226:229], off offset:36 ; 16-byte Folded Spill
	s_waitcnt vmcnt(7)
	;; [unrolled: 2-line block ×6, first 2 shown]
	scratch_store_dwordx4 off, v[246:249], off offset:116 ; 16-byte Folded Spill
	scratch_load_dwordx4 v[218:221], off, off offset:4 ; 16-byte Folded Reload
	s_nop 0
	scratch_load_dwordx4 v[222:225], off, off offset:20 ; 16-byte Folded Reload
	scratch_load_dwordx4 v[226:229], off, off offset:36 ; 16-byte Folded Reload
	;; [unrolled: 1-line block ×7, first 2 shown]
	s_waitcnt vmcnt(6)
	v_mov_b32_e32 v223, v149
	scratch_store_dwordx4 off, v[218:221], off offset:4 ; 16-byte Folded Spill
	s_nop 0
	scratch_store_dwordx4 off, v[222:225], off offset:20 ; 16-byte Folded Spill
	s_waitcnt vmcnt(7)
	scratch_store_dwordx4 off, v[226:229], off offset:36 ; 16-byte Folded Spill
	s_waitcnt vmcnt(7)
	;; [unrolled: 2-line block ×6, first 2 shown]
	scratch_store_dwordx4 off, v[246:249], off offset:116 ; 16-byte Folded Spill
	scratch_load_dwordx4 v[218:221], off, off offset:4 ; 16-byte Folded Reload
	s_nop 0
	scratch_load_dwordx4 v[222:225], off, off offset:20 ; 16-byte Folded Reload
	scratch_load_dwordx4 v[226:229], off, off offset:36 ; 16-byte Folded Reload
	;; [unrolled: 1-line block ×7, first 2 shown]
	s_nop 0
	scratch_store_dwordx4 off, v[22:25], s4 ; 16-byte Folded Spill
	s_nop 0
	scratch_store_dwordx4 off, v[26:29], s4 offset:16 ; 16-byte Folded Spill
	scratch_store_dwordx4 off, v[30:33], s4 offset:32 ; 16-byte Folded Spill
	;; [unrolled: 1-line block ×7, first 2 shown]
	s_movk_i32 s4, 0x1808
	v_mov_b32_e32 v22, v144
	v_mov_b32_e32 v23, v145
	;; [unrolled: 1-line block ×5, first 2 shown]
	s_waitcnt vmcnt(14)
	v_mov_b32_e32 v224, v28
	scratch_store_dwordx4 off, v[218:221], off offset:4 ; 16-byte Folded Spill
	s_nop 0
	scratch_store_dwordx4 off, v[222:225], off offset:20 ; 16-byte Folded Spill
	s_waitcnt vmcnt(15)
	scratch_store_dwordx4 off, v[226:229], off offset:36 ; 16-byte Folded Spill
	s_waitcnt vmcnt(15)
	;; [unrolled: 2-line block ×6, first 2 shown]
	scratch_store_dwordx4 off, v[246:249], off offset:116 ; 16-byte Folded Spill
	scratch_load_dwordx4 v[218:221], off, off offset:4 ; 16-byte Folded Reload
	s_nop 0
	scratch_load_dwordx4 v[222:225], off, off offset:20 ; 16-byte Folded Reload
	scratch_load_dwordx4 v[226:229], off, off offset:36 ; 16-byte Folded Reload
	scratch_load_dwordx4 v[230:233], off, off offset:52 ; 16-byte Folded Reload
	scratch_load_dwordx4 v[234:237], off, off offset:68 ; 16-byte Folded Reload
	scratch_load_dwordx4 v[238:241], off, off offset:84 ; 16-byte Folded Reload
	scratch_load_dwordx4 v[242:245], off, off offset:100 ; 16-byte Folded Reload
	scratch_load_dwordx4 v[246:249], off, off offset:116 ; 16-byte Folded Reload
	s_waitcnt vmcnt(6)
	v_mov_b32_e32 v225, v29
	scratch_store_dwordx4 off, v[218:221], off offset:4 ; 16-byte Folded Spill
	s_nop 0
	scratch_store_dwordx4 off, v[222:225], off offset:20 ; 16-byte Folded Spill
	s_waitcnt vmcnt(7)
	scratch_store_dwordx4 off, v[226:229], off offset:36 ; 16-byte Folded Spill
	s_waitcnt vmcnt(7)
	;; [unrolled: 2-line block ×6, first 2 shown]
	scratch_store_dwordx4 off, v[246:249], off offset:116 ; 16-byte Folded Spill
	scratch_load_dwordx4 v[218:221], off, off offset:4 ; 16-byte Folded Reload
	s_nop 0
	scratch_load_dwordx4 v[222:225], off, off offset:20 ; 16-byte Folded Reload
	scratch_load_dwordx4 v[226:229], off, off offset:36 ; 16-byte Folded Reload
	scratch_load_dwordx4 v[230:233], off, off offset:52 ; 16-byte Folded Reload
	scratch_load_dwordx4 v[234:237], off, off offset:68 ; 16-byte Folded Reload
	scratch_load_dwordx4 v[238:241], off, off offset:84 ; 16-byte Folded Reload
	scratch_load_dwordx4 v[242:245], off, off offset:100 ; 16-byte Folded Reload
	scratch_load_dwordx4 v[246:249], off, off offset:116 ; 16-byte Folded Reload
	s_waitcnt vmcnt(5)
	v_mov_b32_e32 v226, v116
	scratch_store_dwordx4 off, v[218:221], off offset:4 ; 16-byte Folded Spill
	s_nop 0
	scratch_store_dwordx4 off, v[222:225], off offset:20 ; 16-byte Folded Spill
	scratch_store_dwordx4 off, v[226:229], off offset:36 ; 16-byte Folded Spill
	s_waitcnt vmcnt(7)
	scratch_store_dwordx4 off, v[230:233], off offset:52 ; 16-byte Folded Spill
	s_waitcnt vmcnt(7)
	scratch_store_dwordx4 off, v[234:237], off offset:68 ; 16-byte Folded Spill
	s_waitcnt vmcnt(7)
	scratch_store_dwordx4 off, v[238:241], off offset:84 ; 16-byte Folded Spill
	s_waitcnt vmcnt(7)
	scratch_store_dwordx4 off, v[242:245], off offset:100 ; 16-byte Folded Spill
	s_waitcnt vmcnt(7)
	scratch_store_dwordx4 off, v[246:249], off offset:116 ; 16-byte Folded Spill
	scratch_load_dwordx4 v[218:221], off, off offset:4 ; 16-byte Folded Reload
	s_nop 0
	scratch_load_dwordx4 v[222:225], off, off offset:20 ; 16-byte Folded Reload
	scratch_load_dwordx4 v[226:229], off, off offset:36 ; 16-byte Folded Reload
	scratch_load_dwordx4 v[230:233], off, off offset:52 ; 16-byte Folded Reload
	scratch_load_dwordx4 v[234:237], off, off offset:68 ; 16-byte Folded Reload
	scratch_load_dwordx4 v[238:241], off, off offset:84 ; 16-byte Folded Reload
	scratch_load_dwordx4 v[242:245], off, off offset:100 ; 16-byte Folded Reload
	scratch_load_dwordx4 v[246:249], off, off offset:116 ; 16-byte Folded Reload
	s_waitcnt vmcnt(5)
	v_mov_b32_e32 v227, v117
	scratch_store_dwordx4 off, v[218:221], off offset:4 ; 16-byte Folded Spill
	s_nop 0
	scratch_store_dwordx4 off, v[222:225], off offset:20 ; 16-byte Folded Spill
	scratch_store_dwordx4 off, v[226:229], off offset:36 ; 16-byte Folded Spill
	s_waitcnt vmcnt(7)
	scratch_store_dwordx4 off, v[230:233], off offset:52 ; 16-byte Folded Spill
	s_waitcnt vmcnt(7)
	scratch_store_dwordx4 off, v[234:237], off offset:68 ; 16-byte Folded Spill
	s_waitcnt vmcnt(7)
	scratch_store_dwordx4 off, v[238:241], off offset:84 ; 16-byte Folded Spill
	s_waitcnt vmcnt(7)
	scratch_store_dwordx4 off, v[242:245], off offset:100 ; 16-byte Folded Spill
	s_waitcnt vmcnt(7)
	;; [unrolled: 25-line block ×4, first 2 shown]
	scratch_store_dwordx4 off, v[246:249], off offset:116 ; 16-byte Folded Spill
	scratch_load_dwordx4 v[218:221], off, off offset:4 ; 16-byte Folded Reload
	s_nop 0
	scratch_load_dwordx4 v[222:225], off, off offset:20 ; 16-byte Folded Reload
	scratch_load_dwordx4 v[226:229], off, off offset:36 ; 16-byte Folded Reload
	scratch_load_dwordx4 v[230:233], off, off offset:52 ; 16-byte Folded Reload
	scratch_load_dwordx4 v[234:237], off, off offset:68 ; 16-byte Folded Reload
	scratch_load_dwordx4 v[238:241], off, off offset:84 ; 16-byte Folded Reload
	scratch_load_dwordx4 v[242:245], off, off offset:100 ; 16-byte Folded Reload
	scratch_load_dwordx4 v[246:249], off, off offset:116 ; 16-byte Folded Reload
	s_waitcnt vmcnt(4)
	v_mov_b32_e32 v230, v166
	scratch_store_dwordx4 off, v[218:221], off offset:4 ; 16-byte Folded Spill
	s_nop 0
	scratch_store_dwordx4 off, v[222:225], off offset:20 ; 16-byte Folded Spill
	scratch_store_dwordx4 off, v[226:229], off offset:36 ; 16-byte Folded Spill
	scratch_store_dwordx4 off, v[230:233], off offset:52 ; 16-byte Folded Spill
	s_waitcnt vmcnt(7)
	scratch_store_dwordx4 off, v[234:237], off offset:68 ; 16-byte Folded Spill
	s_waitcnt vmcnt(7)
	scratch_store_dwordx4 off, v[238:241], off offset:84 ; 16-byte Folded Spill
	s_waitcnt vmcnt(7)
	scratch_store_dwordx4 off, v[242:245], off offset:100 ; 16-byte Folded Spill
	s_waitcnt vmcnt(7)
	scratch_store_dwordx4 off, v[246:249], off offset:116 ; 16-byte Folded Spill
	scratch_load_dwordx4 v[218:221], off, off offset:4 ; 16-byte Folded Reload
	s_nop 0
	scratch_load_dwordx4 v[222:225], off, off offset:20 ; 16-byte Folded Reload
	scratch_load_dwordx4 v[226:229], off, off offset:36 ; 16-byte Folded Reload
	scratch_load_dwordx4 v[230:233], off, off offset:52 ; 16-byte Folded Reload
	scratch_load_dwordx4 v[234:237], off, off offset:68 ; 16-byte Folded Reload
	scratch_load_dwordx4 v[238:241], off, off offset:84 ; 16-byte Folded Reload
	scratch_load_dwordx4 v[242:245], off, off offset:100 ; 16-byte Folded Reload
	scratch_load_dwordx4 v[246:249], off, off offset:116 ; 16-byte Folded Reload
	s_waitcnt vmcnt(4)
	v_mov_b32_e32 v231, v167
	scratch_store_dwordx4 off, v[218:221], off offset:4 ; 16-byte Folded Spill
	s_nop 0
	scratch_store_dwordx4 off, v[222:225], off offset:20 ; 16-byte Folded Spill
	scratch_store_dwordx4 off, v[226:229], off offset:36 ; 16-byte Folded Spill
	scratch_store_dwordx4 off, v[230:233], off offset:52 ; 16-byte Folded Spill
	s_waitcnt vmcnt(7)
	scratch_store_dwordx4 off, v[234:237], off offset:68 ; 16-byte Folded Spill
	s_waitcnt vmcnt(7)
	scratch_store_dwordx4 off, v[238:241], off offset:84 ; 16-byte Folded Spill
	s_waitcnt vmcnt(7)
	scratch_store_dwordx4 off, v[242:245], off offset:100 ; 16-byte Folded Spill
	s_waitcnt vmcnt(7)
	scratch_store_dwordx4 off, v[246:249], off offset:116 ; 16-byte Folded Spill
	scratch_load_dwordx4 v[218:221], off, off offset:4 ; 16-byte Folded Reload
	s_nop 0
	scratch_load_dwordx4 v[222:225], off, off offset:20 ; 16-byte Folded Reload
	scratch_load_dwordx4 v[226:229], off, off offset:36 ; 16-byte Folded Reload
	scratch_load_dwordx4 v[230:233], off, off offset:52 ; 16-byte Folded Reload
	scratch_load_dwordx4 v[234:237], off, off offset:68 ; 16-byte Folded Reload
	scratch_load_dwordx4 v[238:241], off, off offset:84 ; 16-byte Folded Reload
	scratch_load_dwordx4 v[242:245], off, off offset:100 ; 16-byte Folded Reload
	scratch_load_dwordx4 v[246:249], off, off offset:116 ; 16-byte Folded Reload
	s_waitcnt vmcnt(4)
	v_mov_b32_e32 v232, v198
	scratch_store_dwordx4 off, v[218:221], off offset:4 ; 16-byte Folded Spill
	s_nop 0
	scratch_store_dwordx4 off, v[222:225], off offset:20 ; 16-byte Folded Spill
	scratch_store_dwordx4 off, v[226:229], off offset:36 ; 16-byte Folded Spill
	scratch_store_dwordx4 off, v[230:233], off offset:52 ; 16-byte Folded Spill
	s_waitcnt vmcnt(7)
	scratch_store_dwordx4 off, v[234:237], off offset:68 ; 16-byte Folded Spill
	s_waitcnt vmcnt(7)
	scratch_store_dwordx4 off, v[238:241], off offset:84 ; 16-byte Folded Spill
	s_waitcnt vmcnt(7)
	scratch_store_dwordx4 off, v[242:245], off offset:100 ; 16-byte Folded Spill
	s_waitcnt vmcnt(7)
	scratch_store_dwordx4 off, v[246:249], off offset:116 ; 16-byte Folded Spill
	scratch_load_dwordx4 v[218:221], off, off offset:4 ; 16-byte Folded Reload
	s_nop 0
	scratch_load_dwordx4 v[222:225], off, off offset:20 ; 16-byte Folded Reload
	scratch_load_dwordx4 v[226:229], off, off offset:36 ; 16-byte Folded Reload
	scratch_load_dwordx4 v[230:233], off, off offset:52 ; 16-byte Folded Reload
	scratch_load_dwordx4 v[234:237], off, off offset:68 ; 16-byte Folded Reload
	scratch_load_dwordx4 v[238:241], off, off offset:84 ; 16-byte Folded Reload
	scratch_load_dwordx4 v[242:245], off, off offset:100 ; 16-byte Folded Reload
	scratch_load_dwordx4 v[246:249], off, off offset:116 ; 16-byte Folded Reload
	s_waitcnt vmcnt(4)
	v_mov_b32_e32 v233, v199
	scratch_store_dwordx4 off, v[218:221], off offset:4 ; 16-byte Folded Spill
	s_nop 0
	scratch_store_dwordx4 off, v[222:225], off offset:20 ; 16-byte Folded Spill
	scratch_store_dwordx4 off, v[226:229], off offset:36 ; 16-byte Folded Spill
	scratch_store_dwordx4 off, v[230:233], off offset:52 ; 16-byte Folded Spill
	s_waitcnt vmcnt(7)
	scratch_store_dwordx4 off, v[234:237], off offset:68 ; 16-byte Folded Spill
	s_waitcnt vmcnt(7)
	scratch_store_dwordx4 off, v[238:241], off offset:84 ; 16-byte Folded Spill
	s_waitcnt vmcnt(7)
	scratch_store_dwordx4 off, v[242:245], off offset:100 ; 16-byte Folded Spill
	s_waitcnt vmcnt(7)
	scratch_store_dwordx4 off, v[246:249], off offset:116 ; 16-byte Folded Spill
	scratch_load_dwordx4 v[218:221], off, off offset:4 ; 16-byte Folded Reload
	s_nop 0
	scratch_load_dwordx4 v[222:225], off, off offset:20 ; 16-byte Folded Reload
	scratch_load_dwordx4 v[226:229], off, off offset:36 ; 16-byte Folded Reload
	scratch_load_dwordx4 v[230:233], off, off offset:52 ; 16-byte Folded Reload
	scratch_load_dwordx4 v[234:237], off, off offset:68 ; 16-byte Folded Reload
	scratch_load_dwordx4 v[238:241], off, off offset:84 ; 16-byte Folded Reload
	scratch_load_dwordx4 v[242:245], off, off offset:100 ; 16-byte Folded Reload
	scratch_load_dwordx4 v[246:249], off, off offset:116 ; 16-byte Folded Reload
	s_waitcnt vmcnt(3)
	v_mov_b32_e32 v234, v216
	scratch_store_dwordx4 off, v[218:221], off offset:4 ; 16-byte Folded Spill
	s_nop 0
	scratch_store_dwordx4 off, v[222:225], off offset:20 ; 16-byte Folded Spill
	scratch_store_dwordx4 off, v[226:229], off offset:36 ; 16-byte Folded Spill
	scratch_store_dwordx4 off, v[230:233], off offset:52 ; 16-byte Folded Spill
	scratch_store_dwordx4 off, v[234:237], off offset:68 ; 16-byte Folded Spill
	s_waitcnt vmcnt(7)
	scratch_store_dwordx4 off, v[238:241], off offset:84 ; 16-byte Folded Spill
	s_waitcnt vmcnt(7)
	scratch_store_dwordx4 off, v[242:245], off offset:100 ; 16-byte Folded Spill
	s_waitcnt vmcnt(7)
	scratch_store_dwordx4 off, v[246:249], off offset:116 ; 16-byte Folded Spill
	scratch_load_dwordx4 v[218:221], off, off offset:4 ; 16-byte Folded Reload
	s_nop 0
	scratch_load_dwordx4 v[222:225], off, off offset:20 ; 16-byte Folded Reload
	scratch_load_dwordx4 v[226:229], off, off offset:36 ; 16-byte Folded Reload
	scratch_load_dwordx4 v[230:233], off, off offset:52 ; 16-byte Folded Reload
	scratch_load_dwordx4 v[234:237], off, off offset:68 ; 16-byte Folded Reload
	scratch_load_dwordx4 v[238:241], off, off offset:84 ; 16-byte Folded Reload
	scratch_load_dwordx4 v[242:245], off, off offset:100 ; 16-byte Folded Reload
	scratch_load_dwordx4 v[246:249], off, off offset:116 ; 16-byte Folded Reload
	s_waitcnt vmcnt(3)
	v_mov_b32_e32 v235, v217
	scratch_store_dwordx4 off, v[218:221], off offset:4 ; 16-byte Folded Spill
	s_nop 0
	scratch_store_dwordx4 off, v[222:225], off offset:20 ; 16-byte Folded Spill
	scratch_store_dwordx4 off, v[226:229], off offset:36 ; 16-byte Folded Spill
	scratch_store_dwordx4 off, v[230:233], off offset:52 ; 16-byte Folded Spill
	scratch_store_dwordx4 off, v[234:237], off offset:68 ; 16-byte Folded Spill
	s_waitcnt vmcnt(7)
	scratch_store_dwordx4 off, v[238:241], off offset:84 ; 16-byte Folded Spill
	s_waitcnt vmcnt(7)
	scratch_store_dwordx4 off, v[242:245], off offset:100 ; 16-byte Folded Spill
	s_waitcnt vmcnt(7)
	;; [unrolled: 23-line block ×4, first 2 shown]
	scratch_store_dwordx4 off, v[246:249], off offset:116 ; 16-byte Folded Spill
	scratch_load_dwordx4 v[218:221], off, off offset:4 ; 16-byte Folded Reload
	s_nop 0
	scratch_load_dwordx4 v[222:225], off, off offset:20 ; 16-byte Folded Reload
	scratch_load_dwordx4 v[226:229], off, off offset:36 ; 16-byte Folded Reload
	scratch_load_dwordx4 v[230:233], off, off offset:52 ; 16-byte Folded Reload
	scratch_load_dwordx4 v[234:237], off, off offset:68 ; 16-byte Folded Reload
	scratch_load_dwordx4 v[238:241], off, off offset:84 ; 16-byte Folded Reload
	scratch_load_dwordx4 v[242:245], off, off offset:100 ; 16-byte Folded Reload
	scratch_load_dwordx4 v[246:249], off, off offset:116 ; 16-byte Folded Reload
	s_waitcnt vmcnt(2)
	v_mov_b32_e32 v238, v20
	scratch_store_dwordx4 off, v[218:221], off offset:4 ; 16-byte Folded Spill
	s_nop 0
	scratch_store_dwordx4 off, v[222:225], off offset:20 ; 16-byte Folded Spill
	scratch_store_dwordx4 off, v[226:229], off offset:36 ; 16-byte Folded Spill
	scratch_store_dwordx4 off, v[230:233], off offset:52 ; 16-byte Folded Spill
	scratch_store_dwordx4 off, v[234:237], off offset:68 ; 16-byte Folded Spill
	scratch_store_dwordx4 off, v[238:241], off offset:84 ; 16-byte Folded Spill
	s_waitcnt vmcnt(7)
	scratch_store_dwordx4 off, v[242:245], off offset:100 ; 16-byte Folded Spill
	s_waitcnt vmcnt(7)
	scratch_store_dwordx4 off, v[246:249], off offset:116 ; 16-byte Folded Spill
	scratch_load_dwordx4 v[218:221], off, off offset:4 ; 16-byte Folded Reload
	s_nop 0
	scratch_load_dwordx4 v[222:225], off, off offset:20 ; 16-byte Folded Reload
	scratch_load_dwordx4 v[226:229], off, off offset:36 ; 16-byte Folded Reload
	scratch_load_dwordx4 v[230:233], off, off offset:52 ; 16-byte Folded Reload
	scratch_load_dwordx4 v[234:237], off, off offset:68 ; 16-byte Folded Reload
	scratch_load_dwordx4 v[238:241], off, off offset:84 ; 16-byte Folded Reload
	scratch_load_dwordx4 v[242:245], off, off offset:100 ; 16-byte Folded Reload
	scratch_load_dwordx4 v[246:249], off, off offset:116 ; 16-byte Folded Reload
	s_waitcnt vmcnt(2)
	v_mov_b32_e32 v239, v21
	scratch_store_dwordx4 off, v[218:221], off offset:4 ; 16-byte Folded Spill
	s_nop 0
	scratch_store_dwordx4 off, v[222:225], off offset:20 ; 16-byte Folded Spill
	scratch_store_dwordx4 off, v[226:229], off offset:36 ; 16-byte Folded Spill
	scratch_store_dwordx4 off, v[230:233], off offset:52 ; 16-byte Folded Spill
	scratch_store_dwordx4 off, v[234:237], off offset:68 ; 16-byte Folded Spill
	scratch_store_dwordx4 off, v[238:241], off offset:84 ; 16-byte Folded Spill
	s_waitcnt vmcnt(7)
	scratch_store_dwordx4 off, v[242:245], off offset:100 ; 16-byte Folded Spill
	s_waitcnt vmcnt(7)
	;; [unrolled: 22-line block ×4, first 2 shown]
	scratch_store_dwordx4 off, v[246:249], off offset:116 ; 16-byte Folded Spill
	scratch_load_dwordx4 v[218:221], off, off offset:4 ; 16-byte Folded Reload
	s_nop 0
	scratch_load_dwordx4 v[222:225], off, off offset:20 ; 16-byte Folded Reload
	scratch_load_dwordx4 v[226:229], off, off offset:36 ; 16-byte Folded Reload
	scratch_load_dwordx4 v[230:233], off, off offset:52 ; 16-byte Folded Reload
	scratch_load_dwordx4 v[234:237], off, off offset:68 ; 16-byte Folded Reload
	scratch_load_dwordx4 v[238:241], off, off offset:84 ; 16-byte Folded Reload
	scratch_load_dwordx4 v[242:245], off, off offset:100 ; 16-byte Folded Reload
	scratch_load_dwordx4 v[246:249], off, off offset:116 ; 16-byte Folded Reload
	s_waitcnt vmcnt(1)
	v_mov_b32_e32 v242, v74
	scratch_store_dwordx4 off, v[218:221], off offset:4 ; 16-byte Folded Spill
	s_nop 0
	scratch_store_dwordx4 off, v[222:225], off offset:20 ; 16-byte Folded Spill
	scratch_store_dwordx4 off, v[226:229], off offset:36 ; 16-byte Folded Spill
	scratch_store_dwordx4 off, v[230:233], off offset:52 ; 16-byte Folded Spill
	scratch_store_dwordx4 off, v[234:237], off offset:68 ; 16-byte Folded Spill
	scratch_store_dwordx4 off, v[238:241], off offset:84 ; 16-byte Folded Spill
	scratch_store_dwordx4 off, v[242:245], off offset:100 ; 16-byte Folded Spill
	s_waitcnt vmcnt(7)
	scratch_store_dwordx4 off, v[246:249], off offset:116 ; 16-byte Folded Spill
	scratch_load_dwordx4 v[218:221], off, off offset:4 ; 16-byte Folded Reload
	s_nop 0
	scratch_load_dwordx4 v[222:225], off, off offset:20 ; 16-byte Folded Reload
	scratch_load_dwordx4 v[226:229], off, off offset:36 ; 16-byte Folded Reload
	scratch_load_dwordx4 v[230:233], off, off offset:52 ; 16-byte Folded Reload
	scratch_load_dwordx4 v[234:237], off, off offset:68 ; 16-byte Folded Reload
	scratch_load_dwordx4 v[238:241], off, off offset:84 ; 16-byte Folded Reload
	scratch_load_dwordx4 v[242:245], off, off offset:100 ; 16-byte Folded Reload
	scratch_load_dwordx4 v[246:249], off, off offset:116 ; 16-byte Folded Reload
	s_waitcnt vmcnt(1)
	v_mov_b32_e32 v243, v75
	scratch_store_dwordx4 off, v[218:221], off offset:4 ; 16-byte Folded Spill
	s_nop 0
	scratch_store_dwordx4 off, v[222:225], off offset:20 ; 16-byte Folded Spill
	scratch_store_dwordx4 off, v[226:229], off offset:36 ; 16-byte Folded Spill
	scratch_store_dwordx4 off, v[230:233], off offset:52 ; 16-byte Folded Spill
	scratch_store_dwordx4 off, v[234:237], off offset:68 ; 16-byte Folded Spill
	scratch_store_dwordx4 off, v[238:241], off offset:84 ; 16-byte Folded Spill
	scratch_store_dwordx4 off, v[242:245], off offset:100 ; 16-byte Folded Spill
	s_waitcnt vmcnt(7)
	;; [unrolled: 21-line block ×4, first 2 shown]
	scratch_store_dwordx4 off, v[246:249], off offset:116 ; 16-byte Folded Spill
	scratch_store_dwordx4 off, v[180:183], s4 ; 16-byte Folded Spill
	s_nop 0
	scratch_store_dwordx4 off, v[184:187], s4 offset:16 ; 16-byte Folded Spill
	scratch_store_dwordx4 off, v[188:191], s4 offset:32 ; 16-byte Folded Spill
	;; [unrolled: 1-line block ×7, first 2 shown]
	scratch_load_dwordx4 v[218:221], off, off offset:4 ; 16-byte Folded Reload
	scratch_load_dwordx4 v[222:225], off, off offset:20 ; 16-byte Folded Reload
	;; [unrolled: 1-line block ×8, first 2 shown]
	s_movk_i32 s4, 0x1788
	s_waitcnt vmcnt(0)
	v_mov_b32_e32 v78, v246
	scratch_load_dwordx4 v[218:221], off, off offset:4 ; 16-byte Folded Reload
	scratch_load_dwordx4 v[222:225], off, off offset:20 ; 16-byte Folded Reload
	;; [unrolled: 1-line block ×8, first 2 shown]
	s_waitcnt vmcnt(0)
	v_mov_b32_e32 v79, v247
	scratch_store_dwordx4 off, v[50:53], off offset:260 ; 16-byte Folded Spill
	s_nop 0
	scratch_store_dwordx4 off, v[54:57], off offset:276 ; 16-byte Folded Spill
	scratch_store_dwordx4 off, v[58:61], off offset:292 ; 16-byte Folded Spill
	scratch_store_dwordx4 off, v[62:65], off offset:308 ; 16-byte Folded Spill
	scratch_store_dwordx4 off, v[66:69], off offset:324 ; 16-byte Folded Spill
	scratch_store_dwordx4 off, v[70:73], off offset:340 ; 16-byte Folded Spill
	scratch_store_dwordx4 off, v[74:77], off offset:356 ; 16-byte Folded Spill
	scratch_store_dwordx4 off, v[78:81], off offset:372 ; 16-byte Folded Spill
	scratch_store_dwordx4 off, v[22:25], s4 ; 16-byte Folded Spill
	s_nop 0
	scratch_store_dwordx4 off, v[26:29], s4 offset:16 ; 16-byte Folded Spill
	scratch_store_dwordx4 off, v[30:33], s4 offset:32 ; 16-byte Folded Spill
	;; [unrolled: 1-line block ×7, first 2 shown]
	s_movk_i32 s4, 0x1588
	scratch_load_dwordx4 v[218:221], off, s4 ; 16-byte Folded Reload
	scratch_load_dwordx4 v[222:225], off, s4 offset:16 ; 16-byte Folded Reload
	scratch_load_dwordx4 v[226:229], off, s4 offset:32 ; 16-byte Folded Reload
	scratch_load_dwordx4 v[230:233], off, s4 offset:48 ; 16-byte Folded Reload
	scratch_load_dwordx4 v[234:237], off, s4 offset:64 ; 16-byte Folded Reload
	scratch_load_dwordx4 v[238:241], off, s4 offset:80 ; 16-byte Folded Reload
	scratch_load_dwordx4 v[242:245], off, s4 offset:96 ; 16-byte Folded Reload
	scratch_load_dwordx4 v[246:249], off, s4 offset:112 ; 16-byte Folded Reload
	v_mov_b32_e32 v76, v148
	v_mov_b32_e32 v29, v149
	s_movk_i32 s4, 0x1408
	v_mov_b32_e32 v22, v216
	s_waitcnt vmcnt(6)
	v_mov_b64_e32 v[142:143], v[218:219]
	v_mov_b64_e32 v[144:145], v[220:221]
	;; [unrolled: 1-line block ×3, first 2 shown]
	v_mov_b32_e32 v144, v116
	scratch_store_dwordx4 off, v[108:111], s4 ; 16-byte Folded Spill
	s_nop 0
	scratch_store_dwordx4 off, v[112:115], s4 offset:16 ; 16-byte Folded Spill
	scratch_store_dwordx4 off, v[116:119], s4 offset:32 ; 16-byte Folded Spill
	;; [unrolled: 1-line block ×7, first 2 shown]
	s_movk_i32 s4, 0x1188
	v_mov_b32_e32 v146, v178
	v_mov_b32_e32 v111, v179
	;; [unrolled: 1-line block ×3, first 2 shown]
	scratch_store_dwordx4 off, v[154:157], s4 ; 16-byte Folded Spill
	s_nop 0
	scratch_store_dwordx4 off, v[158:161], s4 offset:16 ; 16-byte Folded Spill
	scratch_store_dwordx4 off, v[162:165], s4 offset:32 ; 16-byte Folded Spill
	;; [unrolled: 1-line block ×7, first 2 shown]
	v_mov_b32_e32 v158, v198
	v_mov_b64_e32 v[148:149], v[224:225]
	v_mov_b32_e32 v153, v149
	scratch_store_dwordx4 off, v[184:187], off offset:3208 ; 16-byte Folded Spill
	s_nop 0
	scratch_store_dwordx4 off, v[188:191], off offset:3224 ; 16-byte Folded Spill
	scratch_store_dwordx4 off, v[192:195], off offset:3240 ; 16-byte Folded Spill
	;; [unrolled: 1-line block ×8, first 2 shown]
	s_nop 0
	scratch_store_dwordx4 off, v[188:191], off offset:1176 ; 16-byte Folded Spill
	scratch_store_dwordx4 off, v[192:195], off offset:1192 ; 16-byte Folded Spill
	;; [unrolled: 1-line block ×7, first 2 shown]
	v_mov_b32_e32 v145, v117
	scratch_store_dwordx4 off, v[6:9], off offset:776 ; 16-byte Folded Spill
	s_nop 0
	scratch_store_dwordx4 off, v[10:13], off offset:792 ; 16-byte Folded Spill
	scratch_store_dwordx4 off, v[14:17], off offset:808 ; 16-byte Folded Spill
	;; [unrolled: 1-line block ×8, first 2 shown]
	s_nop 0
	scratch_store_dwordx4 off, v[204:207], off offset:2072 ; 16-byte Folded Spill
	scratch_store_dwordx4 off, v[208:211], off offset:2088 ; 16-byte Folded Spill
	;; [unrolled: 1-line block ×5, first 2 shown]
	s_waitcnt vmcnt(51)
	scratch_store_dwordx4 off, v[224:227], off offset:2152 ; 16-byte Folded Spill
	s_waitcnt vmcnt(51)
	scratch_store_dwordx4 off, v[228:231], off offset:2168 ; 16-byte Folded Spill
	scratch_load_dwordx4 v[182:185], off, off offset:4 ; 16-byte Folded Reload
	s_nop 0
	scratch_load_dwordx4 v[186:189], off, off offset:20 ; 16-byte Folded Reload
	scratch_load_dwordx4 v[190:193], off, off offset:36 ; 16-byte Folded Reload
	;; [unrolled: 1-line block ×7, first 2 shown]
	s_waitcnt vmcnt(2)
	scratch_store_dwordx4 off, v[200:203], off offset:1544 ; 16-byte Folded Spill
	s_waitcnt vmcnt(2)
	scratch_store_dwordx4 off, v[204:207], off offset:1560 ; 16-byte Folded Spill
	;; [unrolled: 2-line block ×3, first 2 shown]
	scratch_store_dwordx4 off, v[212:215], off offset:1592 ; 16-byte Folded Spill
	scratch_store_dwordx4 off, v[216:219], off offset:1608 ; 16-byte Folded Spill
	;; [unrolled: 1-line block ×5, first 2 shown]
	s_nop 0
	v_mov_b64_e32 v[226:227], v[14:15]
	v_mov_b64_e32 v[232:233], v[20:21]
	;; [unrolled: 1-line block ×11, first 2 shown]
	scratch_store_dwordx4 off, v[0:3], off offset:648 ; 16-byte Folded Spill
	s_nop 0
	scratch_store_dwordx4 off, v[4:7], off offset:664 ; 16-byte Folded Spill
	scratch_store_dwordx4 off, v[8:11], off offset:680 ; 16-byte Folded Spill
	scratch_store_dwordx4 off, v[12:15], off offset:696 ; 16-byte Folded Spill
	scratch_store_dwordx4 off, v[16:19], off offset:712 ; 16-byte Folded Spill
	scratch_store_dwordx4 off, v[20:23], off offset:728 ; 16-byte Folded Spill
	scratch_store_dwordx4 off, v[24:27], off offset:744 ; 16-byte Folded Spill
	scratch_store_dwordx4 off, v[28:31], off offset:760 ; 16-byte Folded Spill
	scratch_store_dwordx4 off, v[30:33], off offset:1672 ; 16-byte Folded Spill
	s_nop 0
	scratch_store_dwordx4 off, v[34:37], off offset:1688 ; 16-byte Folded Spill
	scratch_store_dwordx4 off, v[38:41], off offset:1704 ; 16-byte Folded Spill
	scratch_store_dwordx4 off, v[42:45], off offset:1720 ; 16-byte Folded Spill
	scratch_store_dwordx4 off, v[46:49], off offset:1736 ; 16-byte Folded Spill
	scratch_store_dwordx4 off, v[50:53], off offset:1752 ; 16-byte Folded Spill
	scratch_store_dwordx4 off, v[54:57], off offset:1768 ; 16-byte Folded Spill
	scratch_store_dwordx4 off, v[58:61], off offset:1784 ; 16-byte Folded Spill
	;; [unrolled: 9-line block ×6, first 2 shown]
	v_mov_b32_e32 v22, v140
	scratch_store_dwordx4 off, v[0:3], off offset:904 ; 16-byte Folded Spill
	s_nop 0
	scratch_store_dwordx4 off, v[4:7], off offset:920 ; 16-byte Folded Spill
	scratch_store_dwordx4 off, v[8:11], off offset:936 ; 16-byte Folded Spill
	scratch_store_dwordx4 off, v[12:15], off offset:952 ; 16-byte Folded Spill
	scratch_store_dwordx4 off, v[16:19], off offset:968 ; 16-byte Folded Spill
	scratch_store_dwordx4 off, v[20:23], off offset:984 ; 16-byte Folded Spill
	scratch_store_dwordx4 off, v[24:27], off offset:1000 ; 16-byte Folded Spill
	scratch_store_dwordx4 off, v[28:31], off offset:1016 ; 16-byte Folded Spill
	scratch_store_dwordx4 off, v[118:121], off offset:1416 ; 16-byte Folded Spill
	s_nop 0
	scratch_store_dwordx4 off, v[122:125], off offset:1432 ; 16-byte Folded Spill
	scratch_store_dwordx4 off, v[126:129], off offset:1448 ; 16-byte Folded Spill
	scratch_store_dwordx4 off, v[130:133], off offset:1464 ; 16-byte Folded Spill
	scratch_store_dwordx4 off, v[134:137], off offset:1480 ; 16-byte Folded Spill
	scratch_store_dwordx4 off, v[138:141], off offset:1496 ; 16-byte Folded Spill
	scratch_store_dwordx4 off, v[142:145], off offset:1512 ; 16-byte Folded Spill
	scratch_store_dwordx4 off, v[146:149], off offset:1528 ; 16-byte Folded Spill
	;; [unrolled: 9-line block ×3, first 2 shown]
	v_mov_b32_e32 v138, v74
	scratch_store_dwordx4 off, v[50:53], off offset:2312 ; 16-byte Folded Spill
	s_nop 0
	scratch_store_dwordx4 off, v[54:57], off offset:2328 ; 16-byte Folded Spill
	scratch_store_dwordx4 off, v[58:61], off offset:2344 ; 16-byte Folded Spill
	;; [unrolled: 1-line block ×8, first 2 shown]
	s_nop 0
	scratch_store_dwordx4 off, v[84:87], off offset:1944 ; 16-byte Folded Spill
	scratch_store_dwordx4 off, v[88:91], off offset:1960 ; 16-byte Folded Spill
	;; [unrolled: 1-line block ×7, first 2 shown]
	v_mov_b32_e32 v139, v75
	v_mov_b32_e32 v87, v107
.LBB59_23:
	s_or_b64 exec, exec, s[2:3]
	v_cmp_eq_u32_e32 vcc, 4, v255
	s_waitcnt vmcnt(63) expcnt(7) lgkmcnt(15)
	s_barrier
	s_and_saveexec_b64 s[2:3], vcc
	s_cbranch_execz .LBB59_26
; %bb.24:
	scratch_load_dword v0, off, off offset:388 ; 4-byte Folded Reload
	ds_write_b32 v254, v76
	s_waitcnt vmcnt(0)
	ds_write2_b32 v0, v187, v188 offset0:5 offset1:6
	ds_write2_b32 v0, v189, v190 offset0:7 offset1:8
	;; [unrolled: 1-line block ×12, first 2 shown]
	scratch_load_dwordx4 v[30:33], off, off offset:260 ; 16-byte Folded Reload
	scratch_load_dwordx4 v[34:37], off, off offset:276 ; 16-byte Folded Reload
	;; [unrolled: 1-line block ×8, first 2 shown]
	s_waitcnt vmcnt(0)
	ds_write_b32 v0, v59 offset:116
	ds_read_b32 v30, v254
	s_waitcnt lgkmcnt(0)
	v_cmp_neq_f32_e32 vcc, 0, v30
	s_and_b64 exec, exec, vcc
	s_cbranch_execz .LBB59_26
; %bb.25:
	v_div_scale_f32 v31, s[4:5], v30, v30, 1.0
	v_rcp_f32_e32 v32, v31
	v_div_scale_f32 v33, vcc, 1.0, v30, 1.0
	v_fma_f32 v34, -v31, v32, 1.0
	v_fmac_f32_e32 v32, v34, v32
	v_mul_f32_e32 v34, v33, v32
	v_fma_f32 v35, -v31, v34, v33
	v_fmac_f32_e32 v34, v35, v32
	v_fma_f32 v31, -v31, v34, v33
	v_div_fmas_f32 v31, v31, v32, v34
	v_div_fixup_f32 v30, v31, v30, 1.0
	ds_write_b32 v254, v30
.LBB59_26:
	s_or_b64 exec, exec, s[2:3]
	s_waitcnt lgkmcnt(0)
	s_barrier
	ds_read_b32 v0, v254
	v_cmp_lt_u32_e32 vcc, 4, v255
	s_waitcnt lgkmcnt(0)
	scratch_store_dword off, v0, off offset:3464 ; 4-byte Folded Spill
	s_and_saveexec_b64 s[2:3], vcc
	s_cbranch_execz .LBB59_28
; %bb.27:
	s_movk_i32 s4, 0x1808
	scratch_load_dwordx4 v[86:89], off, s4  ; 16-byte Folded Reload
	scratch_load_dwordx4 v[90:93], off, s4 offset:16 ; 16-byte Folded Reload
	scratch_load_dwordx4 v[94:97], off, s4 offset:32 ; 16-byte Folded Reload
	;; [unrolled: 1-line block ×7, first 2 shown]
	scratch_load_dword v0, off, off offset:3464 ; 4-byte Folded Reload
	scratch_load_dword v10, off, off offset:388 ; 4-byte Folded Reload
	v_mov_b32_e32 v2, v187
	v_mov_b32_e32 v3, v188
	s_movk_i32 s4, 0x1588
	s_waitcnt vmcnt(9)
	v_mov_b32_e32 v222, v86
	v_mov_b32_e32 v223, v87
	;; [unrolled: 1-line block ×8, first 2 shown]
	s_waitcnt vmcnt(1)
	v_mul_f32_e32 v90, v76, v0
	s_waitcnt vmcnt(0)
	ds_read2_b32 v[0:1], v10 offset0:5 offset1:6
	ds_read2_b32 v[4:5], v10 offset0:7 offset1:8
	;; [unrolled: 1-line block ×4, first 2 shown]
	v_mov_b32_e32 v226, v90
	v_mov_b32_e32 v172, v90
	;; [unrolled: 1-line block ×3, first 2 shown]
	s_waitcnt lgkmcnt(3)
	v_pk_fma_f32 v[30:31], v[90:91], v[0:1], v[2:3] op_sel_hi:[0,1,1] neg_lo:[1,0,0] neg_hi:[1,0,0]
	v_mov_b32_e32 v0, v189
	v_mov_b32_e32 v1, v190
	s_waitcnt lgkmcnt(2)
	v_pk_fma_f32 v[32:33], v[90:91], v[4:5], v[0:1] op_sel_hi:[0,1,1] neg_lo:[1,0,0] neg_hi:[1,0,0]
	v_mov_b32_e32 v0, v191
	v_mov_b32_e32 v1, v192
	;; [unrolled: 4-line block ×3, first 2 shown]
	s_waitcnt lgkmcnt(0)
	v_pk_fma_f32 v[36:37], v[90:91], v[36:37], v[0:1] op_sel_hi:[0,1,1] neg_lo:[1,0,0] neg_hi:[1,0,0]
	ds_read2_b32 v[0:1], v10 offset0:13 offset1:14
	ds_read2_b32 v[4:5], v10 offset0:15 offset1:16
	ds_read2_b32 v[6:7], v10 offset0:17 offset1:18
	ds_read2_b32 v[8:9], v10 offset0:19 offset1:20
	v_mov_b32_e32 v2, v195
	v_mov_b32_e32 v3, v196
	;; [unrolled: 1-line block ×3, first 2 shown]
	s_waitcnt lgkmcnt(3)
	v_pk_fma_f32 v[38:39], v[90:91], v[0:1], v[2:3] op_sel_hi:[0,1,1] neg_lo:[1,0,0] neg_hi:[1,0,0]
	v_mov_b32_e32 v0, v197
	v_mov_b32_e32 v1, v198
	s_waitcnt lgkmcnt(2)
	v_pk_fma_f32 v[40:41], v[90:91], v[4:5], v[0:1] op_sel_hi:[0,1,1] neg_lo:[1,0,0] neg_hi:[1,0,0]
	v_mov_b32_e32 v0, v199
	v_mov_b32_e32 v1, v200
	;; [unrolled: 4-line block ×3, first 2 shown]
	s_waitcnt lgkmcnt(0)
	v_pk_fma_f32 v[44:45], v[90:91], v[8:9], v[0:1] op_sel_hi:[0,1,1] neg_lo:[1,0,0] neg_hi:[1,0,0]
	ds_read2_b32 v[0:1], v10 offset0:21 offset1:22
	v_mov_b32_e32 v2, v203
	v_mov_b32_e32 v3, v204
	ds_read2_b32 v[4:5], v10 offset0:23 offset1:24
	ds_read2_b32 v[6:7], v10 offset0:25 offset1:26
	;; [unrolled: 1-line block ×3, first 2 shown]
	v_mov_b32_e32 v230, v33
	s_waitcnt lgkmcnt(3)
	v_pk_fma_f32 v[46:47], v[90:91], v[0:1], v[2:3] op_sel_hi:[0,1,1] neg_lo:[1,0,0] neg_hi:[1,0,0]
	ds_read_b32 v2, v10 offset:116
	scratch_load_dwordx4 v[54:57], off, off offset:260 ; 16-byte Folded Reload
	scratch_load_dwordx4 v[58:61], off, off offset:276 ; 16-byte Folded Reload
	;; [unrolled: 1-line block ×8, first 2 shown]
	v_mov_b32_e32 v0, v205
	v_mov_b32_e32 v1, v206
	s_waitcnt lgkmcnt(3)
	v_pk_fma_f32 v[48:49], v[90:91], v[4:5], v[0:1] op_sel_hi:[0,1,1] neg_lo:[1,0,0] neg_hi:[1,0,0]
	v_mov_b32_e32 v0, v207
	v_mov_b32_e32 v1, v208
	s_waitcnt lgkmcnt(2)
	v_pk_fma_f32 v[50:51], v[90:91], v[6:7], v[0:1] op_sel_hi:[0,1,1] neg_lo:[1,0,0] neg_hi:[1,0,0]
	;; [unrolled: 4-line block ×3, first 2 shown]
	v_mov_b32_e32 v0, v86
	v_mov_b32_e32 v1, v87
	v_mov_b32_e32 v3, v89
	v_mov_b32_e32 v4, v90
	v_mov_b32_e32 v5, v30
	v_mov_b32_e32 v6, v31
	v_mov_b32_e32 v91, v30
	v_mov_b32_e32 v231, v34
	v_mov_b32_e32 v232, v35
	v_mov_b32_e32 v233, v36
	v_mov_b32_e32 v234, v37
	v_mov_b32_e32 v235, v38
	v_mov_b32_e32 v236, v39
	v_mov_b32_e32 v237, v40
	v_mov_b32_e32 v238, v41
	v_mov_b32_e32 v183, v87
	v_mov_b32_e32 v184, v88
	v_mov_b32_e32 v185, v89
	v_mov_b32_e32 v186, v90
	s_waitcnt vmcnt(7)
	v_mov_b32_e32 v54, v51
	v_mov_b32_e32 v56, v53
	;; [unrolled: 1-line block ×28, first 2 shown]
	s_waitcnt vmcnt(0) lgkmcnt(0)
	v_fma_f32 v211, -v90, v2, v83
	v_mov_b32_e32 v2, v88
	scratch_store_dwordx4 off, v[0:3], s4   ; 16-byte Folded Spill
	s_nop 0
	scratch_store_dwordx4 off, v[4:7], s4 offset:16 ; 16-byte Folded Spill
	scratch_store_dwordx4 off, v[8:11], s4 offset:32 ; 16-byte Folded Spill
	;; [unrolled: 1-line block ×7, first 2 shown]
	v_mov_b32_e32 v7, v32
	s_movk_i32 s4, 0x1608
	v_mov_b32_e32 v57, v211
	scratch_store_dwordx4 off, v[0:3], s4   ; 16-byte Folded Spill
	s_nop 0
	scratch_store_dwordx4 off, v[4:7], s4 offset:16 ; 16-byte Folded Spill
	scratch_store_dwordx4 off, v[8:11], s4 offset:32 ; 16-byte Folded Spill
	;; [unrolled: 1-line block ×7, first 2 shown]
	v_mov_b32_e32 v8, v33
	s_movk_i32 s4, 0x1408
	scratch_store_dwordx4 off, v[0:3], s4   ; 16-byte Folded Spill
	s_nop 0
	scratch_store_dwordx4 off, v[4:7], s4 offset:16 ; 16-byte Folded Spill
	scratch_store_dwordx4 off, v[8:11], s4 offset:32 ; 16-byte Folded Spill
	;; [unrolled: 1-line block ×7, first 2 shown]
	v_mov_b32_e32 v9, v34
	s_movk_i32 s4, 0x1488
	scratch_store_dwordx4 off, v[0:3], s4   ; 16-byte Folded Spill
	s_nop 0
	scratch_store_dwordx4 off, v[4:7], s4 offset:16 ; 16-byte Folded Spill
	scratch_store_dwordx4 off, v[8:11], s4 offset:32 ; 16-byte Folded Spill
	;; [unrolled: 1-line block ×7, first 2 shown]
	v_mov_b32_e32 v10, v35
	v_mov_b32_e32 v11, v36
	s_movk_i32 s4, 0x1208
	v_mov_b32_e32 v173, v30
	v_mov_b32_e32 v174, v31
	scratch_store_dwordx4 off, v[0:3], s4   ; 16-byte Folded Spill
	s_nop 0
	scratch_store_dwordx4 off, v[4:7], s4 offset:16 ; 16-byte Folded Spill
	scratch_store_dwordx4 off, v[8:11], s4 offset:32 ; 16-byte Folded Spill
	scratch_store_dwordx4 off, v[12:15], s4 offset:48 ; 16-byte Folded Spill
	scratch_store_dwordx4 off, v[16:19], s4 offset:64 ; 16-byte Folded Spill
	scratch_store_dwordx4 off, v[20:23], s4 offset:80 ; 16-byte Folded Spill
	scratch_store_dwordx4 off, v[24:27], s4 offset:96 ; 16-byte Folded Spill
	scratch_store_dwordx4 off, v[28:31], s4 offset:112 ; 16-byte Folded Spill
	v_mov_b32_e32 v12, v37
	s_movk_i32 s4, 0x1188
	scratch_store_dwordx4 off, v[0:3], s4   ; 16-byte Folded Spill
	s_nop 0
	scratch_store_dwordx4 off, v[4:7], s4 offset:16 ; 16-byte Folded Spill
	scratch_store_dwordx4 off, v[8:11], s4 offset:32 ; 16-byte Folded Spill
	scratch_store_dwordx4 off, v[12:15], s4 offset:48 ; 16-byte Folded Spill
	scratch_store_dwordx4 off, v[16:19], s4 offset:64 ; 16-byte Folded Spill
	scratch_store_dwordx4 off, v[20:23], s4 offset:80 ; 16-byte Folded Spill
	scratch_store_dwordx4 off, v[24:27], s4 offset:96 ; 16-byte Folded Spill
	scratch_store_dwordx4 off, v[28:31], s4 offset:112 ; 16-byte Folded Spill
	v_mov_b32_e32 v13, v38
	s_movk_i32 s4, 0x1008
	;; [unrolled: 11-line block ×3, first 2 shown]
	scratch_store_dwordx4 off, v[0:3], off offset:3208 ; 16-byte Folded Spill
	s_nop 0
	scratch_store_dwordx4 off, v[4:7], off offset:3224 ; 16-byte Folded Spill
	scratch_store_dwordx4 off, v[8:11], off offset:3240 ; 16-byte Folded Spill
	;; [unrolled: 1-line block ×7, first 2 shown]
	v_mov_b32_e32 v15, v40
	scratch_store_dwordx4 off, v[0:3], off offset:3336 ; 16-byte Folded Spill
	s_nop 0
	scratch_store_dwordx4 off, v[4:7], off offset:3352 ; 16-byte Folded Spill
	scratch_store_dwordx4 off, v[8:11], off offset:3368 ; 16-byte Folded Spill
	;; [unrolled: 1-line block ×7, first 2 shown]
	v_mov_b32_e32 v16, v41
	v_mov_b32_e32 v17, v42
	;; [unrolled: 1-line block ×4, first 2 shown]
	scratch_store_dwordx4 off, v[222:225], off offset:2056 ; 16-byte Folded Spill
	s_nop 0
	scratch_store_dwordx4 off, v[226:229], off offset:2072 ; 16-byte Folded Spill
	scratch_store_dwordx4 off, v[230:233], off offset:2088 ; 16-byte Folded Spill
	;; [unrolled: 1-line block ×8, first 2 shown]
	s_nop 0
	scratch_store_dwordx4 off, v[4:7], off offset:2968 ; 16-byte Folded Spill
	scratch_store_dwordx4 off, v[8:11], off offset:2984 ; 16-byte Folded Spill
	scratch_store_dwordx4 off, v[12:15], off offset:3000 ; 16-byte Folded Spill
	scratch_store_dwordx4 off, v[16:19], off offset:3016 ; 16-byte Folded Spill
	scratch_store_dwordx4 off, v[20:23], off offset:3032 ; 16-byte Folded Spill
	scratch_store_dwordx4 off, v[24:27], off offset:3048 ; 16-byte Folded Spill
	scratch_store_dwordx4 off, v[28:31], off offset:3064 ; 16-byte Folded Spill
	v_mov_b32_e32 v18, v43
	scratch_store_dwordx4 off, v[0:3], off offset:1672 ; 16-byte Folded Spill
	s_nop 0
	scratch_store_dwordx4 off, v[4:7], off offset:1688 ; 16-byte Folded Spill
	scratch_store_dwordx4 off, v[8:11], off offset:1704 ; 16-byte Folded Spill
	scratch_store_dwordx4 off, v[12:15], off offset:1720 ; 16-byte Folded Spill
	scratch_store_dwordx4 off, v[16:19], off offset:1736 ; 16-byte Folded Spill
	scratch_store_dwordx4 off, v[20:23], off offset:1752 ; 16-byte Folded Spill
	scratch_store_dwordx4 off, v[24:27], off offset:1768 ; 16-byte Folded Spill
	scratch_store_dwordx4 off, v[28:31], off offset:1784 ; 16-byte Folded Spill
	v_mov_b32_e32 v19, v44
	scratch_store_dwordx4 off, v[0:3], off offset:2824 ; 16-byte Folded Spill
	;; [unrolled: 10-line block ×6, first 2 shown]
	s_nop 0
	scratch_store_dwordx4 off, v[4:7], off offset:2456 ; 16-byte Folded Spill
	scratch_store_dwordx4 off, v[8:11], off offset:2472 ; 16-byte Folded Spill
	scratch_store_dwordx4 off, v[12:15], off offset:2488 ; 16-byte Folded Spill
	scratch_store_dwordx4 off, v[16:19], off offset:2504 ; 16-byte Folded Spill
	scratch_store_dwordx4 off, v[20:23], off offset:2520 ; 16-byte Folded Spill
	scratch_store_dwordx4 off, v[24:27], off offset:2536 ; 16-byte Folded Spill
	scratch_store_dwordx4 off, v[28:31], off offset:2552 ; 16-byte Folded Spill
	s_nop 0
	v_mov_b32_e32 v24, v49
	scratch_store_dwordx4 off, v[0:3], off offset:2312 ; 16-byte Folded Spill
	s_nop 0
	scratch_store_dwordx4 off, v[4:7], off offset:2328 ; 16-byte Folded Spill
	scratch_store_dwordx4 off, v[8:11], off offset:2344 ; 16-byte Folded Spill
	scratch_store_dwordx4 off, v[12:15], off offset:2360 ; 16-byte Folded Spill
	scratch_store_dwordx4 off, v[16:19], off offset:2376 ; 16-byte Folded Spill
	scratch_store_dwordx4 off, v[20:23], off offset:2392 ; 16-byte Folded Spill
	scratch_store_dwordx4 off, v[24:27], off offset:2408 ; 16-byte Folded Spill
	scratch_store_dwordx4 off, v[28:31], off offset:2424 ; 16-byte Folded Spill
	s_nop 0
	v_mov_b32_e32 v25, v50
	scratch_store_dwordx4 off, v[0:3], off offset:2184 ; 16-byte Folded Spill
	;; [unrolled: 11-line block ×4, first 2 shown]
	s_nop 0
	scratch_store_dwordx4 off, v[4:7], off offset:1816 ; 16-byte Folded Spill
	scratch_store_dwordx4 off, v[8:11], off offset:1832 ; 16-byte Folded Spill
	;; [unrolled: 1-line block ×7, first 2 shown]
	scratch_store_dwordx4 off, v[86:89], s4 ; 16-byte Folded Spill
	s_nop 0
	scratch_store_dwordx4 off, v[90:93], s4 offset:16 ; 16-byte Folded Spill
	scratch_store_dwordx4 off, v[94:97], s4 offset:32 ; 16-byte Folded Spill
	;; [unrolled: 1-line block ×7, first 2 shown]
	s_movk_i32 s4, 0x1788
	scratch_store_dwordx4 off, v[86:89], s4 ; 16-byte Folded Spill
	s_nop 0
	scratch_store_dwordx4 off, v[90:93], s4 offset:16 ; 16-byte Folded Spill
	scratch_store_dwordx4 off, v[94:97], s4 offset:32 ; 16-byte Folded Spill
	;; [unrolled: 1-line block ×7, first 2 shown]
	v_mov_b32_e32 v187, v30
	v_mov_b32_e32 v188, v31
	scratch_store_dwordx4 off, v[28:31], off offset:260 ; 16-byte Folded Spill
	s_nop 0
	scratch_store_dwordx4 off, v[32:35], off offset:276 ; 16-byte Folded Spill
	scratch_store_dwordx4 off, v[36:39], off offset:292 ; 16-byte Folded Spill
	scratch_store_dwordx4 off, v[40:43], off offset:308 ; 16-byte Folded Spill
	scratch_store_dwordx4 off, v[44:47], off offset:324 ; 16-byte Folded Spill
	scratch_store_dwordx4 off, v[48:51], off offset:340 ; 16-byte Folded Spill
	scratch_store_dwordx4 off, v[52:55], off offset:356 ; 16-byte Folded Spill
	scratch_store_dwordx4 off, v[56:59], off offset:372 ; 16-byte Folded Spill
	v_mov_b32_e32 v29, v30
	v_mov_b32_e32 v148, v31
	;; [unrolled: 1-line block ×13, first 2 shown]
	scratch_store_dwordx4 off, v[0:3], off offset:1160 ; 16-byte Folded Spill
	s_nop 0
	scratch_store_dwordx4 off, v[4:7], off offset:1176 ; 16-byte Folded Spill
	scratch_store_dwordx4 off, v[8:11], off offset:1192 ; 16-byte Folded Spill
	scratch_store_dwordx4 off, v[12:15], off offset:1208 ; 16-byte Folded Spill
	scratch_store_dwordx4 off, v[16:19], off offset:1224 ; 16-byte Folded Spill
	scratch_store_dwordx4 off, v[20:23], off offset:1240 ; 16-byte Folded Spill
	scratch_store_dwordx4 off, v[24:27], off offset:1256 ; 16-byte Folded Spill
	scratch_store_dwordx4 off, v[28:31], off offset:1272 ; 16-byte Folded Spill
	scratch_store_dwordx4 off, v[0:3], off offset:776 ; 16-byte Folded Spill
	s_nop 0
	scratch_store_dwordx4 off, v[4:7], off offset:792 ; 16-byte Folded Spill
	scratch_store_dwordx4 off, v[8:11], off offset:808 ; 16-byte Folded Spill
	scratch_store_dwordx4 off, v[12:15], off offset:824 ; 16-byte Folded Spill
	scratch_store_dwordx4 off, v[16:19], off offset:840 ; 16-byte Folded Spill
	scratch_store_dwordx4 off, v[20:23], off offset:856 ; 16-byte Folded Spill
	scratch_store_dwordx4 off, v[24:27], off offset:872 ; 16-byte Folded Spill
	scratch_store_dwordx4 off, v[28:31], off offset:888 ; 16-byte Folded Spill
	scratch_store_dwordx4 off, v[0:3], off offset:1544 ; 16-byte Folded Spill
	s_nop 0
	scratch_store_dwordx4 off, v[4:7], off offset:1560 ; 16-byte Folded Spill
	scratch_store_dwordx4 off, v[8:11], off offset:1576 ; 16-byte Folded Spill
	scratch_store_dwordx4 off, v[12:15], off offset:1592 ; 16-byte Folded Spill
	scratch_store_dwordx4 off, v[16:19], off offset:1608 ; 16-byte Folded Spill
	scratch_store_dwordx4 off, v[20:23], off offset:1624 ; 16-byte Folded Spill
	scratch_store_dwordx4 off, v[24:27], off offset:1640 ; 16-byte Folded Spill
	scratch_store_dwordx4 off, v[28:31], off offset:1656 ; 16-byte Folded Spill
	scratch_store_dwordx4 off, v[0:3], off offset:648 ; 16-byte Folded Spill
	s_nop 0
	scratch_store_dwordx4 off, v[4:7], off offset:664 ; 16-byte Folded Spill
	scratch_store_dwordx4 off, v[8:11], off offset:680 ; 16-byte Folded Spill
	scratch_store_dwordx4 off, v[12:15], off offset:696 ; 16-byte Folded Spill
	scratch_store_dwordx4 off, v[16:19], off offset:712 ; 16-byte Folded Spill
	scratch_store_dwordx4 off, v[20:23], off offset:728 ; 16-byte Folded Spill
	scratch_store_dwordx4 off, v[24:27], off offset:744 ; 16-byte Folded Spill
	scratch_store_dwordx4 off, v[28:31], off offset:760 ; 16-byte Folded Spill
	scratch_store_dwordx4 off, v[0:3], off offset:392 ; 16-byte Folded Spill
	s_nop 0
	scratch_store_dwordx4 off, v[4:7], off offset:408 ; 16-byte Folded Spill
	scratch_store_dwordx4 off, v[8:11], off offset:424 ; 16-byte Folded Spill
	scratch_store_dwordx4 off, v[12:15], off offset:440 ; 16-byte Folded Spill
	scratch_store_dwordx4 off, v[16:19], off offset:456 ; 16-byte Folded Spill
	scratch_store_dwordx4 off, v[20:23], off offset:472 ; 16-byte Folded Spill
	scratch_store_dwordx4 off, v[24:27], off offset:488 ; 16-byte Folded Spill
	scratch_store_dwordx4 off, v[28:31], off offset:504 ; 16-byte Folded Spill
	scratch_store_dwordx4 off, v[0:3], off offset:1288 ; 16-byte Folded Spill
	s_nop 0
	scratch_store_dwordx4 off, v[4:7], off offset:1304 ; 16-byte Folded Spill
	scratch_store_dwordx4 off, v[8:11], off offset:1320 ; 16-byte Folded Spill
	scratch_store_dwordx4 off, v[12:15], off offset:1336 ; 16-byte Folded Spill
	scratch_store_dwordx4 off, v[16:19], off offset:1352 ; 16-byte Folded Spill
	scratch_store_dwordx4 off, v[20:23], off offset:1368 ; 16-byte Folded Spill
	scratch_store_dwordx4 off, v[24:27], off offset:1384 ; 16-byte Folded Spill
	scratch_store_dwordx4 off, v[28:31], off offset:1400 ; 16-byte Folded Spill
	scratch_store_dwordx4 off, v[0:3], off offset:1032 ; 16-byte Folded Spill
	s_nop 0
	scratch_store_dwordx4 off, v[4:7], off offset:1048 ; 16-byte Folded Spill
	scratch_store_dwordx4 off, v[8:11], off offset:1064 ; 16-byte Folded Spill
	scratch_store_dwordx4 off, v[12:15], off offset:1080 ; 16-byte Folded Spill
	scratch_store_dwordx4 off, v[16:19], off offset:1096 ; 16-byte Folded Spill
	scratch_store_dwordx4 off, v[20:23], off offset:1112 ; 16-byte Folded Spill
	scratch_store_dwordx4 off, v[24:27], off offset:1128 ; 16-byte Folded Spill
	scratch_store_dwordx4 off, v[28:31], off offset:1144 ; 16-byte Folded Spill
	scratch_store_dwordx4 off, v[0:3], off offset:904 ; 16-byte Folded Spill
	s_nop 0
	scratch_store_dwordx4 off, v[4:7], off offset:920 ; 16-byte Folded Spill
	scratch_store_dwordx4 off, v[8:11], off offset:936 ; 16-byte Folded Spill
	scratch_store_dwordx4 off, v[12:15], off offset:952 ; 16-byte Folded Spill
	scratch_store_dwordx4 off, v[16:19], off offset:968 ; 16-byte Folded Spill
	scratch_store_dwordx4 off, v[20:23], off offset:984 ; 16-byte Folded Spill
	scratch_store_dwordx4 off, v[24:27], off offset:1000 ; 16-byte Folded Spill
	scratch_store_dwordx4 off, v[28:31], off offset:1016 ; 16-byte Folded Spill
	scratch_store_dwordx4 off, v[0:3], off offset:520 ; 16-byte Folded Spill
	s_nop 0
	scratch_store_dwordx4 off, v[4:7], off offset:536 ; 16-byte Folded Spill
	scratch_store_dwordx4 off, v[8:11], off offset:552 ; 16-byte Folded Spill
	scratch_store_dwordx4 off, v[12:15], off offset:568 ; 16-byte Folded Spill
	scratch_store_dwordx4 off, v[16:19], off offset:584 ; 16-byte Folded Spill
	scratch_store_dwordx4 off, v[20:23], off offset:600 ; 16-byte Folded Spill
	scratch_store_dwordx4 off, v[24:27], off offset:616 ; 16-byte Folded Spill
	scratch_store_dwordx4 off, v[28:31], off offset:632 ; 16-byte Folded Spill
.LBB59_28:
	s_or_b64 exec, exec, s[2:3]
	v_cmp_eq_u32_e32 vcc, 5, v255
	s_waitcnt vmcnt(63) expcnt(7) lgkmcnt(15)
	s_barrier
	s_and_saveexec_b64 s[2:3], vcc
	s_cbranch_execz .LBB59_31
; %bb.29:
	scratch_load_dword v0, off, off offset:388 ; 4-byte Folded Reload
	ds_write_b32 v254, v29
	s_waitcnt vmcnt(0)
	ds_write2_b64 v0, v[188:189], v[190:191] offset0:3 offset1:4
	ds_write2_b64 v0, v[192:193], v[194:195] offset0:5 offset1:6
	;; [unrolled: 1-line block ×6, first 2 shown]
	ds_read_b32 v30, v254
	s_waitcnt lgkmcnt(0)
	v_cmp_neq_f32_e32 vcc, 0, v30
	s_and_b64 exec, exec, vcc
	s_cbranch_execz .LBB59_31
; %bb.30:
	v_div_scale_f32 v31, s[4:5], v30, v30, 1.0
	v_rcp_f32_e32 v32, v31
	v_div_scale_f32 v33, vcc, 1.0, v30, 1.0
	v_fma_f32 v34, -v31, v32, 1.0
	v_fmac_f32_e32 v32, v34, v32
	v_mul_f32_e32 v34, v33, v32
	v_fma_f32 v35, -v31, v34, v33
	v_fmac_f32_e32 v34, v35, v32
	v_fma_f32 v31, -v31, v34, v33
	v_div_fmas_f32 v31, v31, v32, v34
	v_div_fixup_f32 v30, v31, v30, 1.0
	ds_write_b32 v254, v30
.LBB59_31:
	s_or_b64 exec, exec, s[2:3]
	s_waitcnt lgkmcnt(0)
	s_barrier
	ds_read_b32 v0, v254
	v_cmp_lt_u32_e32 vcc, 5, v255
	s_waitcnt lgkmcnt(0)
	scratch_store_dword off, v0, off offset:3592 ; 4-byte Folded Spill
	s_and_saveexec_b64 s[2:3], vcc
	s_cbranch_execz .LBB59_33
; %bb.32:
	scratch_load_dword v28, off, off offset:388 ; 4-byte Folded Reload
	s_movk_i32 s4, 0x1788
	s_waitcnt vmcnt(0)
	ds_read2_b64 v[36:39], v28 offset0:3 offset1:4
	ds_read2_b64 v[30:33], v28 offset0:5 offset1:6
	;; [unrolled: 1-line block ×3, first 2 shown]
	scratch_load_dword v4, off, off offset:3592 ; 4-byte Folded Reload
	ds_read2_b64 v[118:121], v28 offset0:11 offset1:12
	s_waitcnt vmcnt(0)
	v_mul_f32_e32 v34, v29, v4
	s_waitcnt lgkmcnt(1)
	v_pk_fma_f32 v[210:211], v[34:35], v[182:183], v[210:211] op_sel_hi:[0,1,1] neg_lo:[1,0,0] neg_hi:[1,0,0]
	v_pk_fma_f32 v[116:117], v[34:35], v[36:37], v[188:189] op_sel_hi:[0,1,1] neg_lo:[1,0,0] neg_hi:[1,0,0]
	;; [unrolled: 1-line block ×4, first 2 shown]
	scratch_store_dwordx4 off, v[182:185], off offset:4 ; 16-byte Folded Spill
	s_nop 0
	scratch_store_dwordx4 off, v[186:189], off offset:20 ; 16-byte Folded Spill
	scratch_store_dwordx4 off, v[190:193], off offset:36 ; 16-byte Folded Spill
	;; [unrolled: 1-line block ×7, first 2 shown]
	scratch_load_dwordx4 v[36:39], off, s4  ; 16-byte Folded Reload
	scratch_load_dwordx4 v[40:43], off, s4 offset:16 ; 16-byte Folded Reload
	scratch_load_dwordx4 v[44:47], off, s4 offset:32 ; 16-byte Folded Reload
	;; [unrolled: 1-line block ×7, first 2 shown]
	v_mov_b32_e32 v13, v34
	v_mov_b32_e32 v14, v116
	v_mov_b32_e32 v15, v117
	s_movk_i32 s4, 0x1608
	v_mov_b32_e32 v189, v34
	v_mov_b32_e32 v115, v34
	s_waitcnt vmcnt(6)
	v_mov_b32_e32 v42, v116
	v_mov_b32_e32 v43, v117
	s_waitcnt vmcnt(5)
	v_mov_b32_e32 v46, v178
	v_mov_b32_e32 v47, v179
	;; [unrolled: 1-line block ×38, first 2 shown]
	scratch_store_dwordx4 off, v[8:11], s4  ; 16-byte Folded Spill
	s_nop 0
	scratch_store_dwordx4 off, v[12:15], s4 offset:16 ; 16-byte Folded Spill
	scratch_store_dwordx4 off, v[16:19], s4 offset:32 ; 16-byte Folded Spill
	;; [unrolled: 1-line block ×7, first 2 shown]
	s_movk_i32 s4, 0x1488
	v_mov_b32_e32 v110, v184
	v_mov_b32_e32 v111, v185
	;; [unrolled: 1-line block ×30, first 2 shown]
	v_mov_b64_e32 v[26:27], v[16:17]
	v_mov_b64_e32 v[24:25], v[14:15]
	;; [unrolled: 1-line block ×5, first 2 shown]
	scratch_store_dwordx4 off, v[8:11], s4  ; 16-byte Folded Spill
	s_nop 0
	scratch_store_dwordx4 off, v[12:15], s4 offset:16 ; 16-byte Folded Spill
	scratch_store_dwordx4 off, v[16:19], s4 offset:32 ; 16-byte Folded Spill
	;; [unrolled: 1-line block ×7, first 2 shown]
	s_movk_i32 s4, 0x1208
	v_mov_b32_e32 v41, v34
	v_mov_b32_e32 v44, v26
	;; [unrolled: 1-line block ×3, first 2 shown]
	scratch_store_dwordx4 off, v[36:39], s4 ; 16-byte Folded Spill
	s_nop 0
	scratch_store_dwordx4 off, v[40:43], s4 offset:16 ; 16-byte Folded Spill
	scratch_store_dwordx4 off, v[44:47], s4 offset:32 ; 16-byte Folded Spill
	s_waitcnt vmcnt(23)
	scratch_store_dwordx4 off, v[48:51], s4 offset:48 ; 16-byte Folded Spill
	s_waitcnt vmcnt(23)
	;; [unrolled: 2-line block ×5, first 2 shown]
	scratch_store_dwordx4 off, v[64:67], s4 offset:112 ; 16-byte Folded Spill
	v_pk_fma_f32 v[166:167], v[34:35], v[32:33], v[194:195] op_sel_hi:[0,1,1] neg_lo:[1,0,0] neg_hi:[1,0,0]
	v_mov_b32_e32 v48, v166
	v_mov_b32_e32 v49, v167
	s_movk_i32 s4, 0x1008
	v_mov_b64_e32 v[152:153], v[16:17]
	v_mov_b64_e32 v[150:151], v[14:15]
	;; [unrolled: 1-line block ×5, first 2 shown]
	v_mov_b32_e32 v68, v166
	v_mov_b32_e32 v69, v167
	;; [unrolled: 1-line block ×33, first 2 shown]
	scratch_store_dwordx4 off, v[36:39], s4 ; 16-byte Folded Spill
	s_nop 0
	scratch_store_dwordx4 off, v[40:43], s4 offset:16 ; 16-byte Folded Spill
	scratch_store_dwordx4 off, v[44:47], s4 offset:32 ; 16-byte Folded Spill
	;; [unrolled: 1-line block ×7, first 2 shown]
	ds_read2_b64 v[8:11], v28 offset0:7 offset1:8
	ds_read2_b64 v[30:33], v28 offset0:9 offset1:10
	scratch_load_dwordx4 v[36:39], off, off offset:4 ; 16-byte Folded Reload
	scratch_load_dwordx4 v[40:43], off, off offset:20 ; 16-byte Folded Reload
	;; [unrolled: 1-line block ×8, first 2 shown]
	s_waitcnt vmcnt(7)
	v_mov_b32_e32 v36, v184
	v_mov_b32_e32 v37, v185
	v_mov_b32_e32 v38, v186
	v_mov_b32_e32 v39, v187
	s_waitcnt vmcnt(6)
	v_mov_b32_e32 v40, v188
	v_mov_b32_e32 v41, v34
	v_mov_b32_e32 v42, v116
	v_mov_b32_e32 v43, v117
	;; [unrolled: 5-line block ×3, first 2 shown]
	s_waitcnt vmcnt(4)
	v_mov_b32_e32 v48, v166
	v_mov_b32_e32 v49, v167
	s_movk_i32 s4, 0x1688
	s_waitcnt lgkmcnt(1)
	v_pk_fma_f32 v[204:205], v[34:35], v[8:9], v[50:51] op_sel_hi:[0,1,1] neg_lo:[1,0,0] neg_hi:[1,0,0]
	v_mov_b32_e32 v50, v204
	v_mov_b32_e32 v51, v205
	scratch_store_dwordx4 off, v[36:39], off offset:3336 ; 16-byte Folded Spill
	s_nop 0
	scratch_store_dwordx4 off, v[40:43], off offset:3352 ; 16-byte Folded Spill
	scratch_store_dwordx4 off, v[44:47], off offset:3368 ; 16-byte Folded Spill
	;; [unrolled: 1-line block ×3, first 2 shown]
	s_waitcnt vmcnt(7)
	scratch_store_dwordx4 off, v[52:55], off offset:3400 ; 16-byte Folded Spill
	s_waitcnt vmcnt(7)
	scratch_store_dwordx4 off, v[56:59], off offset:3416 ; 16-byte Folded Spill
	;; [unrolled: 2-line block ×4, first 2 shown]
	scratch_load_dwordx4 v[36:39], off, off offset:4 ; 16-byte Folded Reload
	s_nop 0
	scratch_load_dwordx4 v[40:43], off, off offset:20 ; 16-byte Folded Reload
	scratch_load_dwordx4 v[44:47], off, off offset:36 ; 16-byte Folded Reload
	scratch_load_dwordx4 v[48:51], off, off offset:52 ; 16-byte Folded Reload
	scratch_load_dwordx4 v[52:55], off, off offset:68 ; 16-byte Folded Reload
	scratch_load_dwordx4 v[56:59], off, off offset:84 ; 16-byte Folded Reload
	scratch_load_dwordx4 v[60:63], off, off offset:100 ; 16-byte Folded Reload
	scratch_load_dwordx4 v[64:67], off, off offset:116 ; 16-byte Folded Reload
	s_waitcnt vmcnt(7)
	v_mov_b32_e32 v36, v184
	v_mov_b32_e32 v37, v185
	v_mov_b32_e32 v38, v186
	v_mov_b32_e32 v39, v187
	s_waitcnt vmcnt(6)
	v_mov_b32_e32 v40, v188
	v_mov_b32_e32 v41, v34
	v_mov_b32_e32 v42, v116
	v_mov_b32_e32 v43, v117
	;; [unrolled: 5-line block ×4, first 2 shown]
	v_mov_b32_e32 v70, v204
	v_mov_b32_e32 v71, v205
	;; [unrolled: 1-line block ×10, first 2 shown]
	s_waitcnt vmcnt(3)
	v_pk_fma_f32 v[222:223], v[34:35], v[10:11], v[52:53] op_sel_hi:[0,1,1] neg_lo:[1,0,0] neg_hi:[1,0,0]
	v_mov_b32_e32 v52, v222
	v_mov_b32_e32 v53, v223
	scratch_store_dwordx4 off, v[36:39], off offset:2952 ; 16-byte Folded Spill
	s_nop 0
	scratch_store_dwordx4 off, v[40:43], off offset:2968 ; 16-byte Folded Spill
	scratch_store_dwordx4 off, v[44:47], off offset:2984 ; 16-byte Folded Spill
	;; [unrolled: 1-line block ×4, first 2 shown]
	s_waitcnt vmcnt(7)
	scratch_store_dwordx4 off, v[56:59], off offset:3032 ; 16-byte Folded Spill
	s_waitcnt vmcnt(7)
	scratch_store_dwordx4 off, v[60:63], off offset:3048 ; 16-byte Folded Spill
	;; [unrolled: 2-line block ×3, first 2 shown]
	scratch_load_dwordx4 v[36:39], off, off offset:4 ; 16-byte Folded Reload
	s_nop 0
	scratch_load_dwordx4 v[40:43], off, off offset:20 ; 16-byte Folded Reload
	scratch_load_dwordx4 v[44:47], off, off offset:36 ; 16-byte Folded Reload
	;; [unrolled: 1-line block ×7, first 2 shown]
	s_waitcnt vmcnt(2)
	v_mov_b32_e32 v56, v184
	v_mov_b32_e32 v57, v185
	v_mov_b32_e32 v58, v186
	v_mov_b32_e32 v59, v187
	s_waitcnt vmcnt(1)
	v_mov_b32_e32 v60, v188
	v_mov_b32_e32 v61, v34
	v_mov_b32_e32 v62, v116
	v_mov_b32_e32 v63, v117
	;; [unrolled: 5-line block ×3, first 2 shown]
	v_mov_b32_e32 v72, v222
	v_mov_b32_e32 v73, v223
	;; [unrolled: 1-line block ×26, first 2 shown]
	s_waitcnt lgkmcnt(0)
	v_pk_fma_f32 v[54:55], v[34:35], v[30:31], v[54:55] op_sel_hi:[0,1,1] neg_lo:[1,0,0] neg_hi:[1,0,0]
	v_mov_b32_e32 v74, v54
	v_mov_b32_e32 v75, v55
	scratch_store_dwordx4 off, v[56:59], off offset:2824 ; 16-byte Folded Spill
	s_nop 0
	scratch_store_dwordx4 off, v[60:63], off offset:2840 ; 16-byte Folded Spill
	scratch_store_dwordx4 off, v[64:67], off offset:2856 ; 16-byte Folded Spill
	;; [unrolled: 1-line block ×7, first 2 shown]
	scratch_load_dwordx4 v[56:59], off, off offset:4 ; 16-byte Folded Reload
	s_nop 0
	scratch_load_dwordx4 v[60:63], off, off offset:20 ; 16-byte Folded Reload
	scratch_load_dwordx4 v[64:67], off, off offset:36 ; 16-byte Folded Reload
	;; [unrolled: 1-line block ×7, first 2 shown]
	s_waitcnt vmcnt(1)
	v_mov_b32_e32 v82, v184
	v_mov_b32_e32 v83, v185
	s_waitcnt vmcnt(0)
	v_mov_b32_e32 v84, v186
	v_mov_b32_e32 v85, v187
	;; [unrolled: 1-line block ×30, first 2 shown]
	v_pk_fma_f32 v[76:77], v[34:35], v[32:33], v[76:77] op_sel_hi:[0,1,1] neg_lo:[1,0,0] neg_hi:[1,0,0]
	v_mov_b32_e32 v102, v76
	v_mov_b32_e32 v103, v77
	scratch_store_dwordx4 off, v[82:85], off offset:2568 ; 16-byte Folded Spill
	s_nop 0
	scratch_store_dwordx4 off, v[86:89], off offset:2584 ; 16-byte Folded Spill
	scratch_store_dwordx4 off, v[90:93], off offset:2600 ; 16-byte Folded Spill
	;; [unrolled: 1-line block ×7, first 2 shown]
	scratch_load_dwordx4 v[78:81], off, off offset:4 ; 16-byte Folded Reload
	s_nop 0
	scratch_load_dwordx4 v[82:85], off, off offset:20 ; 16-byte Folded Reload
	scratch_load_dwordx4 v[86:89], off, off offset:36 ; 16-byte Folded Reload
	;; [unrolled: 1-line block ×7, first 2 shown]
	s_waitcnt vmcnt(3)
	v_mov_b64_e32 v[94:95], v[70:71]
	v_mov_b64_e32 v[86:87], v[62:63]
	;; [unrolled: 1-line block ×5, first 2 shown]
	v_mov_b32_e32 v244, v76
	v_mov_b32_e32 v245, v77
	v_mov_b64_e32 v[92:93], v[68:69]
	v_mov_b64_e32 v[90:91], v[66:67]
	;; [unrolled: 1-line block ×3, first 2 shown]
	v_mov_b32_e32 v88, v116
	v_mov_b32_e32 v89, v117
	v_mov_b32_e32 v90, v152
	v_mov_b32_e32 v91, v153
	v_mov_b32_e32 v92, v178
	v_mov_b32_e32 v93, v179
	v_mov_b32_e32 v94, v166
	v_mov_b32_e32 v95, v167
	s_waitcnt vmcnt(2)
	v_pk_fma_f32 v[246:247], v[34:35], v[118:119], v[100:101] op_sel_hi:[0,1,1] neg_lo:[1,0,0] neg_hi:[1,0,0]
	v_mov_b64_e32 v[100:101], v[76:77]
	v_mov_b32_e32 v78, v246
	v_mov_b32_e32 v79, v247
	v_mov_b64_e32 v[98:99], v[74:75]
	v_mov_b64_e32 v[96:97], v[72:73]
	scratch_store_dwordx4 off, v[56:59], off offset:2440 ; 16-byte Folded Spill
	s_nop 0
	scratch_store_dwordx4 off, v[60:63], off offset:2456 ; 16-byte Folded Spill
	scratch_store_dwordx4 off, v[64:67], off offset:2472 ; 16-byte Folded Spill
	scratch_store_dwordx4 off, v[68:71], off offset:2488 ; 16-byte Folded Spill
	scratch_store_dwordx4 off, v[72:75], off offset:2504 ; 16-byte Folded Spill
	scratch_store_dwordx4 off, v[76:79], off offset:2520 ; 16-byte Folded Spill
	scratch_store_dwordx4 off, v[80:83], off offset:2536 ; 16-byte Folded Spill
	scratch_store_dwordx4 off, v[84:87], off offset:2552 ; 16-byte Folded Spill
	scratch_load_dwordx4 v[0:3], off, off offset:4 ; 16-byte Folded Reload
	scratch_load_dwordx4 v[4:7], off, off offset:20 ; 16-byte Folded Reload
	;; [unrolled: 1-line block ×8, first 2 shown]
	v_mov_b32_e32 v98, v222
	v_mov_b32_e32 v99, v223
	scratch_store_dwordx4 off, v[206:209], off offset:2056 ; 16-byte Folded Spill
	s_nop 0
	scratch_store_dwordx4 off, v[210:213], off offset:2072 ; 16-byte Folded Spill
	scratch_store_dwordx4 off, v[214:217], off offset:2088 ; 16-byte Folded Spill
	scratch_store_dwordx4 off, v[218:221], off offset:2104 ; 16-byte Folded Spill
	scratch_store_dwordx4 off, v[222:225], off offset:2120 ; 16-byte Folded Spill
	scratch_store_dwordx4 off, v[226:229], off offset:2136 ; 16-byte Folded Spill
	scratch_store_dwordx4 off, v[230:233], off offset:2152 ; 16-byte Folded Spill
	scratch_store_dwordx4 off, v[234:237], off offset:2168 ; 16-byte Folded Spill
	v_mov_b32_e32 v138, v100
	v_mov_b32_e32 v139, v101
	;; [unrolled: 1-line block ×16, first 2 shown]
	scratch_store_dwordx4 off, v[36:39], off offset:1672 ; 16-byte Folded Spill
	s_nop 0
	scratch_store_dwordx4 off, v[40:43], off offset:1688 ; 16-byte Folded Spill
	scratch_store_dwordx4 off, v[44:47], off offset:1704 ; 16-byte Folded Spill
	;; [unrolled: 1-line block ×7, first 2 shown]
	s_waitcnt vmcnt(18)
	v_mov_b64_e32 v[18:19], v[72:73]
	v_mov_b64_e32 v[22:23], v[76:77]
	v_mov_b32_e32 v102, v22
	v_mov_b64_e32 v[206:207], v[224:225]
	v_mov_b64_e32 v[208:209], v[226:227]
	;; [unrolled: 1-line block ×9, first 2 shown]
	s_waitcnt vmcnt(17)
	v_pk_fma_f32 v[142:143], v[34:35], v[120:121], v[24:25] op_sel_hi:[0,1,1] neg_lo:[1,0,0] neg_hi:[1,0,0]
	v_mov_b64_e32 v[228:229], v[246:247]
	v_mov_b32_e32 v103, v23
	v_mov_b32_e32 v104, v228
	;; [unrolled: 1-line block ×5, first 2 shown]
	v_mov_b64_e32 v[20:21], v[74:75]
	scratch_store_dwordx4 off, v[82:85], off offset:2184 ; 16-byte Folded Spill
	s_nop 0
	scratch_store_dwordx4 off, v[86:89], off offset:2200 ; 16-byte Folded Spill
	scratch_store_dwordx4 off, v[90:93], off offset:2216 ; 16-byte Folded Spill
	;; [unrolled: 1-line block ×7, first 2 shown]
	v_mov_b64_e32 v[224:225], v[242:243]
	v_mov_b64_e32 v[226:227], v[244:245]
	v_mov_b32_e32 v87, v34
	v_mov_b64_e32 v[72:73], v[144:145]
	v_mov_b64_e32 v[80:81], v[152:153]
	v_mov_b32_e32 v120, v186
	v_mov_b32_e32 v121, v187
	;; [unrolled: 1-line block ×9, first 2 shown]
	v_mov_b64_e32 v[74:75], v[146:147]
	v_mov_b64_e32 v[76:77], v[148:149]
	;; [unrolled: 1-line block ×3, first 2 shown]
	v_mov_b32_e32 v88, v116
	v_mov_b32_e32 v89, v117
	;; [unrolled: 1-line block ×9, first 2 shown]
	v_mov_b64_e32 v[36:37], v[56:57]
	v_mov_b64_e32 v[38:39], v[58:59]
	;; [unrolled: 1-line block ×11, first 2 shown]
	scratch_load_dwordx4 v[0:3], off, off offset:4 ; 16-byte Folded Reload
	scratch_load_dwordx4 v[4:7], off, off offset:20 ; 16-byte Folded Reload
	;; [unrolled: 1-line block ×8, first 2 shown]
	s_waitcnt vmcnt(1)
	v_pk_fma_f32 v[108:109], v[34:35], v[180:181], v[26:27] op_sel_hi:[0,1,1] neg_lo:[1,0,0] neg_hi:[1,0,0]
	scratch_load_dwordx4 v[0:3], off, off offset:2056 ; 16-byte Folded Reload
	scratch_load_dwordx4 v[4:7], off, off offset:2072 ; 16-byte Folded Reload
	;; [unrolled: 1-line block ×8, first 2 shown]
	s_waitcnt vmcnt(3)
	v_mov_b32_e32 v98, v16
	v_mov_b32_e32 v99, v17
	scratch_load_dwordx4 v[0:3], off, off offset:1672 ; 16-byte Folded Reload
	scratch_load_dwordx4 v[4:7], off, off offset:1688 ; 16-byte Folded Reload
	;; [unrolled: 1-line block ×8, first 2 shown]
	s_nop 0
	scratch_store_dwordx4 off, v[206:209], off offset:1416 ; 16-byte Folded Spill
	s_nop 0
	scratch_store_dwordx4 off, v[210:213], off offset:1432 ; 16-byte Folded Spill
	scratch_store_dwordx4 off, v[214:217], off offset:1448 ; 16-byte Folded Spill
	scratch_store_dwordx4 off, v[218:221], off offset:1464 ; 16-byte Folded Spill
	scratch_store_dwordx4 off, v[222:225], off offset:1480 ; 16-byte Folded Spill
	scratch_store_dwordx4 off, v[226:229], off offset:1496 ; 16-byte Folded Spill
	scratch_store_dwordx4 off, v[230:233], off offset:1512 ; 16-byte Folded Spill
	scratch_store_dwordx4 off, v[234:237], off offset:1528 ; 16-byte Folded Spill
	s_waitcnt vmcnt(9)
	v_mov_b64_e32 v[24:25], v[18:19]
	v_mov_b64_e32 v[22:23], v[16:17]
	;; [unrolled: 1-line block ×21, first 2 shown]
	scratch_load_dwordx4 v[36:39], off, off offset:4 ; 16-byte Folded Reload
	scratch_load_dwordx4 v[40:43], off, off offset:20 ; 16-byte Folded Reload
	;; [unrolled: 1-line block ×8, first 2 shown]
	s_waitcnt vmcnt(6)
	v_mov_b32_e32 v41, v34
	v_mov_b32_e32 v100, v24
	;; [unrolled: 1-line block ×3, first 2 shown]
	v_mov_b64_e32 v[26:27], v[20:21]
	v_mov_b32_e32 v102, v20
	v_mov_b32_e32 v103, v21
	v_mov_b64_e32 v[24:25], v[18:19]
	v_mov_b64_e32 v[22:23], v[16:17]
	;; [unrolled: 1-line block ×10, first 2 shown]
	scratch_store_dwordx4 off, v[36:39], off offset:4 ; 16-byte Folded Spill
	s_nop 0
	scratch_store_dwordx4 off, v[40:43], off offset:20 ; 16-byte Folded Spill
	s_waitcnt vmcnt(7)
	scratch_store_dwordx4 off, v[44:47], off offset:36 ; 16-byte Folded Spill
	s_waitcnt vmcnt(7)
	scratch_store_dwordx4 off, v[48:51], off offset:52 ; 16-byte Folded Spill
	s_waitcnt vmcnt(7)
	scratch_store_dwordx4 off, v[52:55], off offset:68 ; 16-byte Folded Spill
	s_waitcnt vmcnt(7)
	scratch_store_dwordx4 off, v[56:59], off offset:84 ; 16-byte Folded Spill
	s_waitcnt vmcnt(7)
	scratch_store_dwordx4 off, v[60:63], off offset:100 ; 16-byte Folded Spill
	s_waitcnt vmcnt(7)
	scratch_store_dwordx4 off, v[64:67], off offset:116 ; 16-byte Folded Spill
	scratch_load_dwordx4 v[206:209], off, off offset:2056 ; 16-byte Folded Reload
	scratch_load_dwordx4 v[210:213], off, off offset:2072 ; 16-byte Folded Reload
	;; [unrolled: 1-line block ×8, first 2 shown]
	v_mov_b32_e32 v36, v184
	v_mov_b32_e32 v37, v185
	;; [unrolled: 1-line block ×15, first 2 shown]
	s_waitcnt vmcnt(4)
	v_mov_b64_e32 v[54:55], v[206:207]
	v_mov_b64_e32 v[56:57], v[208:209]
	;; [unrolled: 1-line block ×8, first 2 shown]
	s_waitcnt vmcnt(3)
	v_mov_b64_e32 v[70:71], v[222:223]
	scratch_load_dwordx4 v[206:209], off, off offset:1672 ; 16-byte Folded Reload
	scratch_load_dwordx4 v[210:213], off, off offset:1688 ; 16-byte Folded Reload
	;; [unrolled: 1-line block ×8, first 2 shown]
	v_mov_b32_e32 v56, v26
	v_mov_b32_e32 v57, v27
	scratch_store_dwordx4 off, v[6:9], off offset:2696 ; 16-byte Folded Spill
	s_nop 0
	scratch_store_dwordx4 off, v[10:13], off offset:2712 ; 16-byte Folded Spill
	scratch_store_dwordx4 off, v[14:17], off offset:2728 ; 16-byte Folded Spill
	;; [unrolled: 1-line block ×7, first 2 shown]
	scratch_load_dwordx4 v[0:3], off, off offset:1416 ; 16-byte Folded Reload
	s_nop 0
	scratch_load_dwordx4 v[4:7], off, off offset:1432 ; 16-byte Folded Reload
	scratch_load_dwordx4 v[8:11], off, off offset:1448 ; 16-byte Folded Reload
	;; [unrolled: 1-line block ×7, first 2 shown]
	v_mov_b32_e32 v52, v70
	v_mov_b32_e32 v53, v71
	v_mov_b32_e32 v60, v142
	v_mov_b32_e32 v61, v143
	v_mov_b32_e32 v62, v108
	v_mov_b32_e32 v63, v109
	s_waitcnt vmcnt(19)
	v_mov_b32_e32 v54, v224
	v_mov_b32_e32 v55, v225
	s_waitcnt vmcnt(2)
	v_mov_b32_e32 v58, v22
	v_mov_b32_e32 v59, v23
	scratch_store_dwordx4 off, v[36:39], off offset:1800 ; 16-byte Folded Spill
	s_nop 0
	scratch_store_dwordx4 off, v[40:43], off offset:1816 ; 16-byte Folded Spill
	scratch_store_dwordx4 off, v[44:47], off offset:1832 ; 16-byte Folded Spill
	;; [unrolled: 1-line block ×7, first 2 shown]
	scratch_load_dwordx4 v[0:3], off, off offset:4 ; 16-byte Folded Reload
	scratch_load_dwordx4 v[4:7], off, off offset:20 ; 16-byte Folded Reload
	scratch_load_dwordx4 v[8:11], off, off offset:36 ; 16-byte Folded Reload
	scratch_load_dwordx4 v[12:15], off, off offset:52 ; 16-byte Folded Reload
	scratch_load_dwordx4 v[16:19], off, off offset:68 ; 16-byte Folded Reload
	scratch_load_dwordx4 v[20:23], off, off offset:84 ; 16-byte Folded Reload
	scratch_load_dwordx4 v[24:27], off, off offset:100 ; 16-byte Folded Reload
	scratch_load_dwordx4 v[28:31], off, off offset:116 ; 16-byte Folded Reload
	s_waitcnt vmcnt(7)
	v_mov_b32_e32 v0, v184
	v_mov_b64_e32 v[46:47], v[222:223]
	v_mov_b64_e32 v[48:49], v[224:225]
	scratch_store_dwordx4 off, v[0:3], off offset:4 ; 16-byte Folded Spill
	s_waitcnt vmcnt(7)
	scratch_store_dwordx4 off, v[4:7], off offset:20 ; 16-byte Folded Spill
	s_waitcnt vmcnt(7)
	scratch_store_dwordx4 off, v[8:11], off offset:36 ; 16-byte Folded Spill
	s_waitcnt vmcnt(7)
	scratch_store_dwordx4 off, v[12:15], off offset:52 ; 16-byte Folded Spill
	s_waitcnt vmcnt(7)
	scratch_store_dwordx4 off, v[16:19], off offset:68 ; 16-byte Folded Spill
	s_waitcnt vmcnt(7)
	scratch_store_dwordx4 off, v[20:23], off offset:84 ; 16-byte Folded Spill
	s_waitcnt vmcnt(7)
	scratch_store_dwordx4 off, v[24:27], off offset:100 ; 16-byte Folded Spill
	s_waitcnt vmcnt(7)
	scratch_store_dwordx4 off, v[28:31], off offset:116 ; 16-byte Folded Spill
	scratch_load_dwordx4 v[0:3], off, off offset:4 ; 16-byte Folded Reload
	s_nop 0
	scratch_load_dwordx4 v[4:7], off, off offset:20 ; 16-byte Folded Reload
	scratch_load_dwordx4 v[8:11], off, off offset:36 ; 16-byte Folded Reload
	scratch_load_dwordx4 v[12:15], off, off offset:52 ; 16-byte Folded Reload
	scratch_load_dwordx4 v[16:19], off, off offset:68 ; 16-byte Folded Reload
	scratch_load_dwordx4 v[20:23], off, off offset:84 ; 16-byte Folded Reload
	scratch_load_dwordx4 v[24:27], off, off offset:100 ; 16-byte Folded Reload
	scratch_load_dwordx4 v[28:31], off, off offset:116 ; 16-byte Folded Reload
	s_waitcnt vmcnt(7)
	v_mov_b32_e32 v1, v185
	scratch_store_dwordx4 off, v[0:3], off offset:4 ; 16-byte Folded Spill
	s_waitcnt vmcnt(7)
	scratch_store_dwordx4 off, v[4:7], off offset:20 ; 16-byte Folded Spill
	s_waitcnt vmcnt(7)
	scratch_store_dwordx4 off, v[8:11], off offset:36 ; 16-byte Folded Spill
	s_waitcnt vmcnt(7)
	scratch_store_dwordx4 off, v[12:15], off offset:52 ; 16-byte Folded Spill
	s_waitcnt vmcnt(7)
	scratch_store_dwordx4 off, v[16:19], off offset:68 ; 16-byte Folded Spill
	s_waitcnt vmcnt(7)
	scratch_store_dwordx4 off, v[20:23], off offset:84 ; 16-byte Folded Spill
	s_waitcnt vmcnt(7)
	scratch_store_dwordx4 off, v[24:27], off offset:100 ; 16-byte Folded Spill
	s_waitcnt vmcnt(7)
	scratch_store_dwordx4 off, v[28:31], off offset:116 ; 16-byte Folded Spill
	scratch_load_dwordx4 v[0:3], off, off offset:4 ; 16-byte Folded Reload
	s_nop 0
	scratch_load_dwordx4 v[4:7], off, off offset:20 ; 16-byte Folded Reload
	scratch_load_dwordx4 v[8:11], off, off offset:36 ; 16-byte Folded Reload
	scratch_load_dwordx4 v[12:15], off, off offset:52 ; 16-byte Folded Reload
	scratch_load_dwordx4 v[16:19], off, off offset:68 ; 16-byte Folded Reload
	scratch_load_dwordx4 v[20:23], off, off offset:84 ; 16-byte Folded Reload
	scratch_load_dwordx4 v[24:27], off, off offset:100 ; 16-byte Folded Reload
	scratch_load_dwordx4 v[28:31], off, off offset:116 ; 16-byte Folded Reload
	s_waitcnt vmcnt(7)
	v_mov_b32_e32 v2, v186
	;; [unrolled: 26-line block ×4, first 2 shown]
	scratch_store_dwordx4 off, v[0:3], off offset:4 ; 16-byte Folded Spill
	s_nop 0
	scratch_store_dwordx4 off, v[4:7], off offset:20 ; 16-byte Folded Spill
	s_waitcnt vmcnt(7)
	scratch_store_dwordx4 off, v[8:11], off offset:36 ; 16-byte Folded Spill
	s_waitcnt vmcnt(7)
	scratch_store_dwordx4 off, v[12:15], off offset:52 ; 16-byte Folded Spill
	s_waitcnt vmcnt(7)
	scratch_store_dwordx4 off, v[16:19], off offset:68 ; 16-byte Folded Spill
	s_waitcnt vmcnt(7)
	scratch_store_dwordx4 off, v[20:23], off offset:84 ; 16-byte Folded Spill
	s_waitcnt vmcnt(7)
	scratch_store_dwordx4 off, v[24:27], off offset:100 ; 16-byte Folded Spill
	s_waitcnt vmcnt(7)
	scratch_store_dwordx4 off, v[28:31], off offset:116 ; 16-byte Folded Spill
	scratch_load_dwordx4 v[0:3], off, off offset:4 ; 16-byte Folded Reload
	s_nop 0
	scratch_load_dwordx4 v[4:7], off, off offset:20 ; 16-byte Folded Reload
	scratch_load_dwordx4 v[8:11], off, off offset:36 ; 16-byte Folded Reload
	scratch_load_dwordx4 v[12:15], off, off offset:52 ; 16-byte Folded Reload
	scratch_load_dwordx4 v[16:19], off, off offset:68 ; 16-byte Folded Reload
	scratch_load_dwordx4 v[20:23], off, off offset:84 ; 16-byte Folded Reload
	scratch_load_dwordx4 v[24:27], off, off offset:100 ; 16-byte Folded Reload
	scratch_load_dwordx4 v[28:31], off, off offset:116 ; 16-byte Folded Reload
	s_waitcnt vmcnt(6)
	v_mov_b32_e32 v6, v116
	scratch_store_dwordx4 off, v[0:3], off offset:4 ; 16-byte Folded Spill
	s_nop 0
	scratch_store_dwordx4 off, v[4:7], off offset:20 ; 16-byte Folded Spill
	s_waitcnt vmcnt(7)
	scratch_store_dwordx4 off, v[8:11], off offset:36 ; 16-byte Folded Spill
	s_waitcnt vmcnt(7)
	scratch_store_dwordx4 off, v[12:15], off offset:52 ; 16-byte Folded Spill
	s_waitcnt vmcnt(7)
	scratch_store_dwordx4 off, v[16:19], off offset:68 ; 16-byte Folded Spill
	s_waitcnt vmcnt(7)
	scratch_store_dwordx4 off, v[20:23], off offset:84 ; 16-byte Folded Spill
	s_waitcnt vmcnt(7)
	scratch_store_dwordx4 off, v[24:27], off offset:100 ; 16-byte Folded Spill
	s_waitcnt vmcnt(7)
	scratch_store_dwordx4 off, v[28:31], off offset:116 ; 16-byte Folded Spill
	scratch_load_dwordx4 v[0:3], off, off offset:4 ; 16-byte Folded Reload
	s_nop 0
	scratch_load_dwordx4 v[4:7], off, off offset:20 ; 16-byte Folded Reload
	scratch_load_dwordx4 v[8:11], off, off offset:36 ; 16-byte Folded Reload
	scratch_load_dwordx4 v[12:15], off, off offset:52 ; 16-byte Folded Reload
	scratch_load_dwordx4 v[16:19], off, off offset:68 ; 16-byte Folded Reload
	scratch_load_dwordx4 v[20:23], off, off offset:84 ; 16-byte Folded Reload
	scratch_load_dwordx4 v[24:27], off, off offset:100 ; 16-byte Folded Reload
	scratch_load_dwordx4 v[28:31], off, off offset:116 ; 16-byte Folded Reload
	s_waitcnt vmcnt(6)
	v_mov_b32_e32 v7, v117
	;; [unrolled: 26-line block ×3, first 2 shown]
	scratch_store_dwordx4 off, v[0:3], off offset:4 ; 16-byte Folded Spill
	s_nop 0
	scratch_store_dwordx4 off, v[4:7], off offset:20 ; 16-byte Folded Spill
	scratch_store_dwordx4 off, v[8:11], off offset:36 ; 16-byte Folded Spill
	s_waitcnt vmcnt(7)
	scratch_store_dwordx4 off, v[12:15], off offset:52 ; 16-byte Folded Spill
	s_waitcnt vmcnt(7)
	scratch_store_dwordx4 off, v[16:19], off offset:68 ; 16-byte Folded Spill
	s_waitcnt vmcnt(7)
	scratch_store_dwordx4 off, v[20:23], off offset:84 ; 16-byte Folded Spill
	s_waitcnt vmcnt(7)
	scratch_store_dwordx4 off, v[24:27], off offset:100 ; 16-byte Folded Spill
	s_waitcnt vmcnt(7)
	scratch_store_dwordx4 off, v[28:31], off offset:116 ; 16-byte Folded Spill
	scratch_load_dwordx4 v[0:3], off, off offset:4 ; 16-byte Folded Reload
	s_nop 0
	scratch_load_dwordx4 v[4:7], off, off offset:20 ; 16-byte Folded Reload
	scratch_load_dwordx4 v[8:11], off, off offset:36 ; 16-byte Folded Reload
	scratch_load_dwordx4 v[12:15], off, off offset:52 ; 16-byte Folded Reload
	scratch_load_dwordx4 v[16:19], off, off offset:68 ; 16-byte Folded Reload
	scratch_load_dwordx4 v[20:23], off, off offset:84 ; 16-byte Folded Reload
	scratch_load_dwordx4 v[24:27], off, off offset:100 ; 16-byte Folded Reload
	scratch_load_dwordx4 v[28:31], off, off offset:116 ; 16-byte Folded Reload
	s_waitcnt vmcnt(5)
	v_mov_b32_e32 v9, v81
	scratch_store_dwordx4 off, v[0:3], off offset:4 ; 16-byte Folded Spill
	s_nop 0
	scratch_store_dwordx4 off, v[4:7], off offset:20 ; 16-byte Folded Spill
	scratch_store_dwordx4 off, v[8:11], off offset:36 ; 16-byte Folded Spill
	s_waitcnt vmcnt(7)
	scratch_store_dwordx4 off, v[12:15], off offset:52 ; 16-byte Folded Spill
	s_waitcnt vmcnt(7)
	scratch_store_dwordx4 off, v[16:19], off offset:68 ; 16-byte Folded Spill
	s_waitcnt vmcnt(7)
	scratch_store_dwordx4 off, v[20:23], off offset:84 ; 16-byte Folded Spill
	s_waitcnt vmcnt(7)
	scratch_store_dwordx4 off, v[24:27], off offset:100 ; 16-byte Folded Spill
	s_waitcnt vmcnt(7)
	scratch_store_dwordx4 off, v[28:31], off offset:116 ; 16-byte Folded Spill
	scratch_load_dwordx4 v[0:3], off, off offset:4 ; 16-byte Folded Reload
	s_nop 0
	scratch_load_dwordx4 v[4:7], off, off offset:20 ; 16-byte Folded Reload
	scratch_load_dwordx4 v[8:11], off, off offset:36 ; 16-byte Folded Reload
	scratch_load_dwordx4 v[12:15], off, off offset:52 ; 16-byte Folded Reload
	scratch_load_dwordx4 v[16:19], off, off offset:68 ; 16-byte Folded Reload
	scratch_load_dwordx4 v[20:23], off, off offset:84 ; 16-byte Folded Reload
	scratch_load_dwordx4 v[24:27], off, off offset:100 ; 16-byte Folded Reload
	scratch_load_dwordx4 v[28:31], off, off offset:116 ; 16-byte Folded Reload
	s_waitcnt vmcnt(5)
	v_mov_b32_e32 v10, v178
	;; [unrolled: 25-line block ×4, first 2 shown]
	scratch_store_dwordx4 off, v[0:3], off offset:4 ; 16-byte Folded Spill
	s_nop 0
	scratch_store_dwordx4 off, v[4:7], off offset:20 ; 16-byte Folded Spill
	scratch_store_dwordx4 off, v[8:11], off offset:36 ; 16-byte Folded Spill
	scratch_store_dwordx4 off, v[12:15], off offset:52 ; 16-byte Folded Spill
	s_waitcnt vmcnt(7)
	scratch_store_dwordx4 off, v[16:19], off offset:68 ; 16-byte Folded Spill
	s_waitcnt vmcnt(7)
	scratch_store_dwordx4 off, v[20:23], off offset:84 ; 16-byte Folded Spill
	s_waitcnt vmcnt(7)
	scratch_store_dwordx4 off, v[24:27], off offset:100 ; 16-byte Folded Spill
	s_waitcnt vmcnt(7)
	scratch_store_dwordx4 off, v[28:31], off offset:116 ; 16-byte Folded Spill
	scratch_load_dwordx4 v[0:3], off, off offset:4 ; 16-byte Folded Reload
	s_nop 0
	scratch_load_dwordx4 v[4:7], off, off offset:20 ; 16-byte Folded Reload
	scratch_load_dwordx4 v[8:11], off, off offset:36 ; 16-byte Folded Reload
	scratch_load_dwordx4 v[12:15], off, off offset:52 ; 16-byte Folded Reload
	scratch_load_dwordx4 v[16:19], off, off offset:68 ; 16-byte Folded Reload
	scratch_load_dwordx4 v[20:23], off, off offset:84 ; 16-byte Folded Reload
	scratch_load_dwordx4 v[24:27], off, off offset:100 ; 16-byte Folded Reload
	scratch_load_dwordx4 v[28:31], off, off offset:116 ; 16-byte Folded Reload
	s_waitcnt vmcnt(4)
	v_mov_b32_e32 v13, v167
	scratch_store_dwordx4 off, v[0:3], off offset:4 ; 16-byte Folded Spill
	s_nop 0
	scratch_store_dwordx4 off, v[4:7], off offset:20 ; 16-byte Folded Spill
	scratch_store_dwordx4 off, v[8:11], off offset:36 ; 16-byte Folded Spill
	scratch_store_dwordx4 off, v[12:15], off offset:52 ; 16-byte Folded Spill
	s_waitcnt vmcnt(7)
	scratch_store_dwordx4 off, v[16:19], off offset:68 ; 16-byte Folded Spill
	s_waitcnt vmcnt(7)
	scratch_store_dwordx4 off, v[20:23], off offset:84 ; 16-byte Folded Spill
	s_waitcnt vmcnt(7)
	scratch_store_dwordx4 off, v[24:27], off offset:100 ; 16-byte Folded Spill
	s_waitcnt vmcnt(7)
	scratch_store_dwordx4 off, v[28:31], off offset:116 ; 16-byte Folded Spill
	scratch_load_dwordx4 v[0:3], off, off offset:4 ; 16-byte Folded Reload
	s_nop 0
	scratch_load_dwordx4 v[4:7], off, off offset:20 ; 16-byte Folded Reload
	scratch_load_dwordx4 v[8:11], off, off offset:36 ; 16-byte Folded Reload
	scratch_load_dwordx4 v[12:15], off, off offset:52 ; 16-byte Folded Reload
	scratch_load_dwordx4 v[16:19], off, off offset:68 ; 16-byte Folded Reload
	scratch_load_dwordx4 v[20:23], off, off offset:84 ; 16-byte Folded Reload
	scratch_load_dwordx4 v[24:27], off, off offset:100 ; 16-byte Folded Reload
	scratch_load_dwordx4 v[28:31], off, off offset:116 ; 16-byte Folded Reload
	s_waitcnt vmcnt(4)
	v_mov_b32_e32 v14, v204
	;; [unrolled: 24-line block ×3, first 2 shown]
	scratch_store_dwordx4 off, v[0:3], off offset:4 ; 16-byte Folded Spill
	s_nop 0
	scratch_store_dwordx4 off, v[4:7], off offset:20 ; 16-byte Folded Spill
	scratch_store_dwordx4 off, v[8:11], off offset:36 ; 16-byte Folded Spill
	;; [unrolled: 1-line block ×3, first 2 shown]
	s_waitcnt vmcnt(7)
	scratch_store_dwordx4 off, v[16:19], off offset:68 ; 16-byte Folded Spill
	s_waitcnt vmcnt(7)
	scratch_store_dwordx4 off, v[20:23], off offset:84 ; 16-byte Folded Spill
	;; [unrolled: 2-line block ×4, first 2 shown]
	scratch_load_dwordx4 v[0:3], off, off offset:2056 ; 16-byte Folded Reload
	s_nop 0
	scratch_load_dwordx4 v[4:7], off, off offset:2072 ; 16-byte Folded Reload
	scratch_load_dwordx4 v[8:11], off, off offset:2088 ; 16-byte Folded Reload
	;; [unrolled: 1-line block ×7, first 2 shown]
	s_waitcnt vmcnt(4)
	v_mov_b64_e32 v[68:69], v[14:15]
	v_mov_b64_e32 v[66:67], v[12:13]
	;; [unrolled: 1-line block ×8, first 2 shown]
	s_waitcnt vmcnt(3)
	v_mov_b64_e32 v[70:71], v[16:17]
	scratch_load_dwordx4 v[0:3], off, off offset:4 ; 16-byte Folded Reload
	scratch_load_dwordx4 v[4:7], off, off offset:20 ; 16-byte Folded Reload
	;; [unrolled: 1-line block ×8, first 2 shown]
	s_waitcnt vmcnt(3)
	v_mov_b32_e32 v16, v70
	scratch_store_dwordx4 off, v[0:3], off offset:4 ; 16-byte Folded Spill
	s_nop 0
	scratch_store_dwordx4 off, v[4:7], off offset:20 ; 16-byte Folded Spill
	scratch_store_dwordx4 off, v[8:11], off offset:36 ; 16-byte Folded Spill
	;; [unrolled: 1-line block ×4, first 2 shown]
	s_waitcnt vmcnt(7)
	scratch_store_dwordx4 off, v[20:23], off offset:84 ; 16-byte Folded Spill
	s_waitcnt vmcnt(7)
	scratch_store_dwordx4 off, v[24:27], off offset:100 ; 16-byte Folded Spill
	;; [unrolled: 2-line block ×3, first 2 shown]
	scratch_load_dwordx4 v[0:3], off, off offset:4 ; 16-byte Folded Reload
	s_nop 0
	scratch_load_dwordx4 v[4:7], off, off offset:20 ; 16-byte Folded Reload
	scratch_load_dwordx4 v[8:11], off, off offset:36 ; 16-byte Folded Reload
	;; [unrolled: 1-line block ×7, first 2 shown]
	s_waitcnt vmcnt(3)
	v_mov_b32_e32 v17, v71
	scratch_store_dwordx4 off, v[0:3], off offset:4 ; 16-byte Folded Spill
	s_nop 0
	scratch_store_dwordx4 off, v[4:7], off offset:20 ; 16-byte Folded Spill
	scratch_store_dwordx4 off, v[8:11], off offset:36 ; 16-byte Folded Spill
	;; [unrolled: 1-line block ×4, first 2 shown]
	s_waitcnt vmcnt(7)
	scratch_store_dwordx4 off, v[20:23], off offset:84 ; 16-byte Folded Spill
	s_waitcnt vmcnt(7)
	scratch_store_dwordx4 off, v[24:27], off offset:100 ; 16-byte Folded Spill
	;; [unrolled: 2-line block ×3, first 2 shown]
	scratch_load_dwordx4 v[206:209], off, off offset:4 ; 16-byte Folded Reload
	scratch_load_dwordx4 v[210:213], off, off offset:20 ; 16-byte Folded Reload
	scratch_load_dwordx4 v[214:217], off, off offset:36 ; 16-byte Folded Reload
	scratch_load_dwordx4 v[218:221], off, off offset:52 ; 16-byte Folded Reload
	scratch_load_dwordx4 v[222:225], off, off offset:68 ; 16-byte Folded Reload
	scratch_load_dwordx4 v[226:229], off, off offset:84 ; 16-byte Folded Reload
	scratch_load_dwordx4 v[230:233], off, off offset:100 ; 16-byte Folded Reload
	scratch_load_dwordx4 v[234:237], off, off offset:116 ; 16-byte Folded Reload
	s_waitcnt vmcnt(3)
	v_mov_b32_e32 v224, v48
	scratch_store_dwordx4 off, v[206:209], off offset:4 ; 16-byte Folded Spill
	s_nop 0
	scratch_store_dwordx4 off, v[210:213], off offset:20 ; 16-byte Folded Spill
	scratch_store_dwordx4 off, v[214:217], off offset:36 ; 16-byte Folded Spill
	;; [unrolled: 1-line block ×4, first 2 shown]
	s_waitcnt vmcnt(7)
	scratch_store_dwordx4 off, v[226:229], off offset:84 ; 16-byte Folded Spill
	s_waitcnt vmcnt(7)
	scratch_store_dwordx4 off, v[230:233], off offset:100 ; 16-byte Folded Spill
	;; [unrolled: 2-line block ×3, first 2 shown]
	scratch_load_dwordx4 v[206:209], off, off offset:4 ; 16-byte Folded Reload
	s_nop 0
	scratch_load_dwordx4 v[210:213], off, off offset:20 ; 16-byte Folded Reload
	scratch_load_dwordx4 v[214:217], off, off offset:36 ; 16-byte Folded Reload
	;; [unrolled: 1-line block ×7, first 2 shown]
	s_waitcnt vmcnt(3)
	v_mov_b32_e32 v225, v49
	scratch_store_dwordx4 off, v[206:209], off offset:4 ; 16-byte Folded Spill
	s_nop 0
	scratch_store_dwordx4 off, v[210:213], off offset:20 ; 16-byte Folded Spill
	scratch_store_dwordx4 off, v[214:217], off offset:36 ; 16-byte Folded Spill
	;; [unrolled: 1-line block ×4, first 2 shown]
	s_waitcnt vmcnt(7)
	scratch_store_dwordx4 off, v[226:229], off offset:84 ; 16-byte Folded Spill
	s_waitcnt vmcnt(7)
	scratch_store_dwordx4 off, v[230:233], off offset:100 ; 16-byte Folded Spill
	;; [unrolled: 2-line block ×3, first 2 shown]
	scratch_load_dwordx4 v[0:3], off, off offset:2696 ; 16-byte Folded Reload
	scratch_load_dwordx4 v[4:7], off, off offset:2712 ; 16-byte Folded Reload
	;; [unrolled: 1-line block ×16, first 2 shown]
	s_waitcnt vmcnt(10)
	v_mov_b64_e32 v[50:51], v[20:21]
	s_waitcnt vmcnt(2)
	v_mov_b32_e32 v226, v50
	scratch_store_dwordx4 off, v[206:209], off offset:4 ; 16-byte Folded Spill
	s_nop 0
	scratch_store_dwordx4 off, v[210:213], off offset:20 ; 16-byte Folded Spill
	scratch_store_dwordx4 off, v[214:217], off offset:36 ; 16-byte Folded Spill
	;; [unrolled: 1-line block ×5, first 2 shown]
	s_waitcnt vmcnt(7)
	scratch_store_dwordx4 off, v[230:233], off offset:100 ; 16-byte Folded Spill
	s_waitcnt vmcnt(7)
	scratch_store_dwordx4 off, v[234:237], off offset:116 ; 16-byte Folded Spill
	scratch_load_dwordx4 v[206:209], off, off offset:4 ; 16-byte Folded Reload
	s_nop 0
	scratch_load_dwordx4 v[210:213], off, off offset:20 ; 16-byte Folded Reload
	scratch_load_dwordx4 v[214:217], off, off offset:36 ; 16-byte Folded Reload
	;; [unrolled: 1-line block ×7, first 2 shown]
	s_waitcnt vmcnt(2)
	v_mov_b32_e32 v227, v51
	v_mov_b64_e32 v[48:49], v[18:19]
	v_mov_b64_e32 v[46:47], v[16:17]
	scratch_store_dwordx4 off, v[206:209], off offset:4 ; 16-byte Folded Spill
	s_nop 0
	scratch_store_dwordx4 off, v[210:213], off offset:20 ; 16-byte Folded Spill
	scratch_store_dwordx4 off, v[214:217], off offset:36 ; 16-byte Folded Spill
	scratch_store_dwordx4 off, v[218:221], off offset:52 ; 16-byte Folded Spill
	scratch_store_dwordx4 off, v[222:225], off offset:68 ; 16-byte Folded Spill
	scratch_store_dwordx4 off, v[226:229], off offset:84 ; 16-byte Folded Spill
	s_waitcnt vmcnt(7)
	scratch_store_dwordx4 off, v[230:233], off offset:100 ; 16-byte Folded Spill
	s_waitcnt vmcnt(7)
	scratch_store_dwordx4 off, v[234:237], off offset:116 ; 16-byte Folded Spill
	scratch_load_dwordx4 v[0:3], off, off offset:1416 ; 16-byte Folded Reload
	scratch_load_dwordx4 v[4:7], off, off offset:1432 ; 16-byte Folded Reload
	scratch_load_dwordx4 v[8:11], off, off offset:1448 ; 16-byte Folded Reload
	scratch_load_dwordx4 v[12:15], off, off offset:1464 ; 16-byte Folded Reload
	scratch_load_dwordx4 v[16:19], off, off offset:1480 ; 16-byte Folded Reload
	scratch_load_dwordx4 v[20:23], off, off offset:1496 ; 16-byte Folded Reload
	scratch_load_dwordx4 v[24:27], off, off offset:1512 ; 16-byte Folded Reload
	scratch_load_dwordx4 v[28:31], off, off offset:1528 ; 16-byte Folded Reload
	scratch_load_dwordx4 v[206:209], off, off offset:4 ; 16-byte Folded Reload
	scratch_load_dwordx4 v[210:213], off, off offset:20 ; 16-byte Folded Reload
	scratch_load_dwordx4 v[214:217], off, off offset:36 ; 16-byte Folded Reload
	scratch_load_dwordx4 v[218:221], off, off offset:52 ; 16-byte Folded Reload
	scratch_load_dwordx4 v[222:225], off, off offset:68 ; 16-byte Folded Reload
	scratch_load_dwordx4 v[226:229], off, off offset:84 ; 16-byte Folded Reload
	scratch_load_dwordx4 v[230:233], off, off offset:100 ; 16-byte Folded Reload
	scratch_load_dwordx4 v[234:237], off, off offset:116 ; 16-byte Folded Reload
	s_waitcnt vmcnt(8)
	v_mov_b64_e32 v[44:45], v[14:15]
	v_mov_b64_e32 v[30:31], v[0:1]
	;; [unrolled: 1-line block ×3, first 2 shown]
	s_waitcnt vmcnt(2)
	v_mov_b32_e32 v228, v52
	scratch_store_dwordx4 off, v[206:209], off offset:4 ; 16-byte Folded Spill
	s_nop 0
	scratch_store_dwordx4 off, v[210:213], off offset:20 ; 16-byte Folded Spill
	scratch_store_dwordx4 off, v[214:217], off offset:36 ; 16-byte Folded Spill
	scratch_store_dwordx4 off, v[218:221], off offset:52 ; 16-byte Folded Spill
	scratch_store_dwordx4 off, v[222:225], off offset:68 ; 16-byte Folded Spill
	scratch_store_dwordx4 off, v[226:229], off offset:84 ; 16-byte Folded Spill
	s_waitcnt vmcnt(7)
	scratch_store_dwordx4 off, v[230:233], off offset:100 ; 16-byte Folded Spill
	s_waitcnt vmcnt(7)
	scratch_store_dwordx4 off, v[234:237], off offset:116 ; 16-byte Folded Spill
	scratch_load_dwordx4 v[206:209], off, off offset:4 ; 16-byte Folded Reload
	s_nop 0
	scratch_load_dwordx4 v[210:213], off, off offset:20 ; 16-byte Folded Reload
	scratch_load_dwordx4 v[214:217], off, off offset:36 ; 16-byte Folded Reload
	scratch_load_dwordx4 v[218:221], off, off offset:52 ; 16-byte Folded Reload
	scratch_load_dwordx4 v[222:225], off, off offset:68 ; 16-byte Folded Reload
	scratch_load_dwordx4 v[226:229], off, off offset:84 ; 16-byte Folded Reload
	scratch_load_dwordx4 v[230:233], off, off offset:100 ; 16-byte Folded Reload
	scratch_load_dwordx4 v[234:237], off, off offset:116 ; 16-byte Folded Reload
	s_waitcnt vmcnt(2)
	v_mov_b32_e32 v229, v53
	v_mov_b64_e32 v[42:43], v[12:13]
	v_mov_b64_e32 v[40:41], v[10:11]
	;; [unrolled: 1-line block ×5, first 2 shown]
	scratch_store_dwordx4 off, v[206:209], off offset:4 ; 16-byte Folded Spill
	s_nop 0
	scratch_store_dwordx4 off, v[210:213], off offset:20 ; 16-byte Folded Spill
	scratch_store_dwordx4 off, v[214:217], off offset:36 ; 16-byte Folded Spill
	scratch_store_dwordx4 off, v[218:221], off offset:52 ; 16-byte Folded Spill
	scratch_store_dwordx4 off, v[222:225], off offset:68 ; 16-byte Folded Spill
	scratch_store_dwordx4 off, v[226:229], off offset:84 ; 16-byte Folded Spill
	s_waitcnt vmcnt(7)
	scratch_store_dwordx4 off, v[230:233], off offset:100 ; 16-byte Folded Spill
	s_waitcnt vmcnt(7)
	scratch_store_dwordx4 off, v[234:237], off offset:116 ; 16-byte Folded Spill
	v_mov_b64_e32 v[32:33], v[2:3]
	v_mov_b64_e32 v[50:51], v[20:21]
	;; [unrolled: 1-line block ×4, first 2 shown]
	scratch_load_dwordx4 v[0:3], off, off offset:4 ; 16-byte Folded Reload
	scratch_load_dwordx4 v[4:7], off, off offset:20 ; 16-byte Folded Reload
	;; [unrolled: 1-line block ×8, first 2 shown]
	s_waitcnt vmcnt(1)
	v_mov_b32_e32 v24, v142
	v_mov_b64_e32 v[48:49], v[70:71]
	scratch_store_dwordx4 off, v[0:3], off offset:4 ; 16-byte Folded Spill
	s_nop 0
	scratch_store_dwordx4 off, v[4:7], off offset:20 ; 16-byte Folded Spill
	scratch_store_dwordx4 off, v[8:11], off offset:36 ; 16-byte Folded Spill
	scratch_store_dwordx4 off, v[12:15], off offset:52 ; 16-byte Folded Spill
	scratch_store_dwordx4 off, v[16:19], off offset:68 ; 16-byte Folded Spill
	scratch_store_dwordx4 off, v[20:23], off offset:84 ; 16-byte Folded Spill
	scratch_store_dwordx4 off, v[24:27], off offset:100 ; 16-byte Folded Spill
	s_waitcnt vmcnt(7)
	scratch_store_dwordx4 off, v[28:31], off offset:116 ; 16-byte Folded Spill
	scratch_load_dwordx4 v[0:3], off, off offset:4 ; 16-byte Folded Reload
	s_nop 0
	scratch_load_dwordx4 v[4:7], off, off offset:20 ; 16-byte Folded Reload
	scratch_load_dwordx4 v[8:11], off, off offset:36 ; 16-byte Folded Reload
	scratch_load_dwordx4 v[12:15], off, off offset:52 ; 16-byte Folded Reload
	scratch_load_dwordx4 v[16:19], off, off offset:68 ; 16-byte Folded Reload
	scratch_load_dwordx4 v[20:23], off, off offset:84 ; 16-byte Folded Reload
	scratch_load_dwordx4 v[24:27], off, off offset:100 ; 16-byte Folded Reload
	scratch_load_dwordx4 v[28:31], off, off offset:116 ; 16-byte Folded Reload
	s_waitcnt vmcnt(1)
	v_mov_b32_e32 v25, v143
	scratch_store_dwordx4 off, v[0:3], off offset:4 ; 16-byte Folded Spill
	s_nop 0
	scratch_store_dwordx4 off, v[4:7], off offset:20 ; 16-byte Folded Spill
	scratch_store_dwordx4 off, v[8:11], off offset:36 ; 16-byte Folded Spill
	scratch_store_dwordx4 off, v[12:15], off offset:52 ; 16-byte Folded Spill
	scratch_store_dwordx4 off, v[16:19], off offset:68 ; 16-byte Folded Spill
	scratch_store_dwordx4 off, v[20:23], off offset:84 ; 16-byte Folded Spill
	scratch_store_dwordx4 off, v[24:27], off offset:100 ; 16-byte Folded Spill
	s_waitcnt vmcnt(7)
	scratch_store_dwordx4 off, v[28:31], off offset:116 ; 16-byte Folded Spill
	scratch_load_dwordx4 v[0:3], off, off offset:4 ; 16-byte Folded Reload
	s_nop 0
	scratch_load_dwordx4 v[4:7], off, off offset:20 ; 16-byte Folded Reload
	scratch_load_dwordx4 v[8:11], off, off offset:36 ; 16-byte Folded Reload
	scratch_load_dwordx4 v[12:15], off, off offset:52 ; 16-byte Folded Reload
	scratch_load_dwordx4 v[16:19], off, off offset:68 ; 16-byte Folded Reload
	scratch_load_dwordx4 v[20:23], off, off offset:84 ; 16-byte Folded Reload
	scratch_load_dwordx4 v[24:27], off, off offset:100 ; 16-byte Folded Reload
	scratch_load_dwordx4 v[28:31], off, off offset:116 ; 16-byte Folded Reload
	s_waitcnt vmcnt(1)
	v_mov_b32_e32 v26, v108
	scratch_store_dwordx4 off, v[0:3], off offset:4 ; 16-byte Folded Spill
	s_nop 0
	scratch_store_dwordx4 off, v[4:7], off offset:20 ; 16-byte Folded Spill
	scratch_store_dwordx4 off, v[8:11], off offset:36 ; 16-byte Folded Spill
	scratch_store_dwordx4 off, v[12:15], off offset:52 ; 16-byte Folded Spill
	scratch_store_dwordx4 off, v[16:19], off offset:68 ; 16-byte Folded Spill
	scratch_store_dwordx4 off, v[20:23], off offset:84 ; 16-byte Folded Spill
	scratch_store_dwordx4 off, v[24:27], off offset:100 ; 16-byte Folded Spill
	s_waitcnt vmcnt(7)
	scratch_store_dwordx4 off, v[28:31], off offset:116 ; 16-byte Folded Spill
	scratch_load_dwordx4 v[0:3], off, off offset:4 ; 16-byte Folded Reload
	s_nop 0
	scratch_load_dwordx4 v[4:7], off, off offset:20 ; 16-byte Folded Reload
	scratch_load_dwordx4 v[8:11], off, off offset:36 ; 16-byte Folded Reload
	scratch_load_dwordx4 v[12:15], off, off offset:52 ; 16-byte Folded Reload
	scratch_load_dwordx4 v[16:19], off, off offset:68 ; 16-byte Folded Reload
	scratch_load_dwordx4 v[20:23], off, off offset:84 ; 16-byte Folded Reload
	scratch_load_dwordx4 v[24:27], off, off offset:100 ; 16-byte Folded Reload
	scratch_load_dwordx4 v[28:31], off, off offset:116 ; 16-byte Folded Reload
	s_waitcnt vmcnt(1)
	v_mov_b32_e32 v27, v109
	scratch_store_dwordx4 off, v[0:3], off offset:4 ; 16-byte Folded Spill
	s_nop 0
	scratch_store_dwordx4 off, v[4:7], off offset:20 ; 16-byte Folded Spill
	scratch_store_dwordx4 off, v[8:11], off offset:36 ; 16-byte Folded Spill
	;; [unrolled: 1-line block ×6, first 2 shown]
	s_waitcnt vmcnt(7)
	scratch_store_dwordx4 off, v[28:31], off offset:116 ; 16-byte Folded Spill
	scratch_store_dwordx4 off, v[184:187], s4 ; 16-byte Folded Spill
	s_nop 0
	scratch_store_dwordx4 off, v[188:191], s4 offset:16 ; 16-byte Folded Spill
	scratch_store_dwordx4 off, v[192:195], s4 offset:32 ; 16-byte Folded Spill
	;; [unrolled: 1-line block ×7, first 2 shown]
	scratch_load_dwordx4 v[206:209], off, off offset:4 ; 16-byte Folded Reload
	s_nop 0
	scratch_load_dwordx4 v[210:213], off, off offset:20 ; 16-byte Folded Reload
	scratch_load_dwordx4 v[214:217], off, off offset:36 ; 16-byte Folded Reload
	;; [unrolled: 1-line block ×7, first 2 shown]
	v_mov_b32_e32 v30, v108
	s_movk_i32 s4, 0x1588
	s_waitcnt vmcnt(0)
	v_mov_b32_e32 v32, v234
	scratch_load_dwordx4 v[206:209], off, off offset:4 ; 16-byte Folded Reload
	scratch_load_dwordx4 v[210:213], off, off offset:20 ; 16-byte Folded Reload
	;; [unrolled: 1-line block ×8, first 2 shown]
	s_waitcnt vmcnt(2)
	v_mov_b64_e32 v[226:227], v[80:81]
	v_mov_b64_e32 v[224:225], v[78:79]
	;; [unrolled: 1-line block ×5, first 2 shown]
	v_mov_b32_e32 v144, v226
	s_waitcnt vmcnt(0)
	v_mov_b32_e32 v33, v235
	scratch_store_dwordx4 off, v[4:7], off offset:260 ; 16-byte Folded Spill
	s_nop 0
	scratch_store_dwordx4 off, v[8:11], off offset:276 ; 16-byte Folded Spill
	scratch_store_dwordx4 off, v[12:15], off offset:292 ; 16-byte Folded Spill
	;; [unrolled: 1-line block ×7, first 2 shown]
	scratch_store_dwordx4 off, v[110:113], s4 ; 16-byte Folded Spill
	s_nop 0
	scratch_store_dwordx4 off, v[114:117], s4 offset:16 ; 16-byte Folded Spill
	scratch_store_dwordx4 off, v[118:121], s4 offset:32 ; 16-byte Folded Spill
	;; [unrolled: 1-line block ×7, first 2 shown]
	s_movk_i32 s4, 0x1408
	scratch_store_dwordx4 off, v[218:221], s4 ; 16-byte Folded Spill
	s_nop 0
	scratch_store_dwordx4 off, v[222:225], s4 offset:16 ; 16-byte Folded Spill
	scratch_store_dwordx4 off, v[226:229], s4 offset:32 ; 16-byte Folded Spill
	;; [unrolled: 1-line block ×7, first 2 shown]
	s_movk_i32 s4, 0x1188
	v_mov_b32_e32 v111, v179
	v_mov_b32_e32 v110, v166
	scratch_store_dwordx4 off, v[154:157], s4 ; 16-byte Folded Spill
	s_nop 0
	scratch_store_dwordx4 off, v[158:161], s4 offset:16 ; 16-byte Folded Spill
	scratch_store_dwordx4 off, v[162:165], s4 offset:32 ; 16-byte Folded Spill
	;; [unrolled: 1-line block ×7, first 2 shown]
	v_mov_b64_e32 v[32:33], v[54:55]
	v_mov_b32_e32 v158, v204
	v_mov_b64_e32 v[184:185], v[190:191]
	v_mov_b64_e32 v[186:187], v[192:193]
	v_mov_b64_e32 v[188:189], v[194:195]
	v_mov_b64_e32 v[190:191], v[196:197]
	v_mov_b64_e32 v[192:193], v[198:199]
	v_mov_b64_e32 v[194:195], v[200:201]
	v_mov_b32_e32 v196, v202
	v_mov_b32_e32 v197, v203
	;; [unrolled: 1-line block ×3, first 2 shown]
	scratch_store_dwordx4 off, v[184:187], off offset:3208 ; 16-byte Folded Spill
	s_nop 0
	scratch_store_dwordx4 off, v[188:191], off offset:3224 ; 16-byte Folded Spill
	scratch_store_dwordx4 off, v[192:195], off offset:3240 ; 16-byte Folded Spill
	;; [unrolled: 1-line block ×8, first 2 shown]
	s_nop 0
	scratch_store_dwordx4 off, v[194:197], off offset:1176 ; 16-byte Folded Spill
	scratch_store_dwordx4 off, v[198:201], off offset:1192 ; 16-byte Folded Spill
	;; [unrolled: 1-line block ×7, first 2 shown]
	v_mov_b64_e32 v[34:35], v[56:57]
	v_mov_b64_e32 v[36:37], v[58:59]
	;; [unrolled: 1-line block ×6, first 2 shown]
	v_mov_b32_e32 v30, v48
	scratch_store_dwordx4 off, v[14:17], off offset:776 ; 16-byte Folded Spill
	s_nop 0
	scratch_store_dwordx4 off, v[18:21], off offset:792 ; 16-byte Folded Spill
	scratch_store_dwordx4 off, v[22:25], off offset:808 ; 16-byte Folded Spill
	;; [unrolled: 1-line block ×7, first 2 shown]
                                        ; kill: def $vgpr200_vgpr201_vgpr202_vgpr203_vgpr204_vgpr205_vgpr206_vgpr207_vgpr208_vgpr209_vgpr210_vgpr211_vgpr212_vgpr213_vgpr214_vgpr215 killed $vgpr54_vgpr55_vgpr56_vgpr57_vgpr58_vgpr59_vgpr60_vgpr61_vgpr62_vgpr63_vgpr64_vgpr65_vgpr66_vgpr67_vgpr68_vgpr69 killed $exec
	scratch_load_dwordx4 v[182:185], off, off offset:4 ; 16-byte Folded Reload
	scratch_load_dwordx4 v[186:189], off, off offset:20 ; 16-byte Folded Reload
	;; [unrolled: 1-line block ×8, first 2 shown]
	v_mov_b64_e32 v[46:47], v[68:69]
	v_mov_b64_e32 v[46:47], v[70:71]
	v_mov_b32_e32 v216, v48
	v_mov_b32_e32 v217, v47
	;; [unrolled: 1-line block ×3, first 2 shown]
	s_waitcnt vmcnt(2)
	scratch_store_dwordx4 off, v[200:203], off offset:1544 ; 16-byte Folded Spill
	s_waitcnt vmcnt(2)
	scratch_store_dwordx4 off, v[204:207], off offset:1560 ; 16-byte Folded Spill
	;; [unrolled: 2-line block ×3, first 2 shown]
	scratch_store_dwordx4 off, v[212:215], off offset:1592 ; 16-byte Folded Spill
	scratch_store_dwordx4 off, v[216:219], off offset:1608 ; 16-byte Folded Spill
	;; [unrolled: 1-line block ×5, first 2 shown]
	scratch_load_dwordx4 v[0:3], off, off offset:2696 ; 16-byte Folded Reload
	scratch_load_dwordx4 v[4:7], off, off offset:2712 ; 16-byte Folded Reload
	;; [unrolled: 1-line block ×8, first 2 shown]
	v_mov_b64_e32 v[56:57], v[118:119]
	v_mov_b64_e32 v[72:73], v[134:135]
	;; [unrolled: 1-line block ×13, first 2 shown]
	v_mov_b32_e32 v138, v80
	v_mov_b32_e32 v153, v117
	s_waitcnt vmcnt(4)
	v_mov_b64_e32 v[226:227], v[14:15]
	v_mov_b64_e32 v[224:225], v[12:13]
	s_waitcnt vmcnt(2)
	v_mov_b64_e32 v[232:233], v[20:21]
	v_mov_b64_e32 v[222:223], v[10:11]
	;; [unrolled: 1-line block ×9, first 2 shown]
	scratch_load_dwordx4 v[0:3], off, off offset:1672 ; 16-byte Folded Reload
	scratch_load_dwordx4 v[4:7], off, off offset:1688 ; 16-byte Folded Reload
	;; [unrolled: 1-line block ×8, first 2 shown]
	s_waitcnt vmcnt(7)
	scratch_store_dwordx4 off, v[0:3], off offset:648 ; 16-byte Folded Spill
	s_waitcnt vmcnt(7)
	scratch_store_dwordx4 off, v[4:7], off offset:664 ; 16-byte Folded Spill
	;; [unrolled: 2-line block ×8, first 2 shown]
	scratch_store_dwordx4 off, v[0:3], off offset:392 ; 16-byte Folded Spill
	s_nop 0
	scratch_store_dwordx4 off, v[4:7], off offset:408 ; 16-byte Folded Spill
	scratch_store_dwordx4 off, v[8:11], off offset:424 ; 16-byte Folded Spill
	;; [unrolled: 1-line block ×7, first 2 shown]
	v_mov_b32_e32 v20, v232
	scratch_store_dwordx4 off, v[0:3], off offset:1288 ; 16-byte Folded Spill
	s_nop 0
	scratch_store_dwordx4 off, v[4:7], off offset:1304 ; 16-byte Folded Spill
	scratch_store_dwordx4 off, v[8:11], off offset:1320 ; 16-byte Folded Spill
	;; [unrolled: 1-line block ×8, first 2 shown]
	s_nop 0
	scratch_store_dwordx4 off, v[216:219], off offset:1048 ; 16-byte Folded Spill
	scratch_store_dwordx4 off, v[220:223], off offset:1064 ; 16-byte Folded Spill
	;; [unrolled: 1-line block ×7, first 2 shown]
	scratch_load_dwordx4 v[0:3], off, off offset:1416 ; 16-byte Folded Reload
	scratch_load_dwordx4 v[4:7], off, off offset:1432 ; 16-byte Folded Reload
	;; [unrolled: 1-line block ×8, first 2 shown]
	s_waitcnt vmcnt(7)
	scratch_store_dwordx4 off, v[0:3], off offset:904 ; 16-byte Folded Spill
	s_waitcnt vmcnt(7)
	scratch_store_dwordx4 off, v[4:7], off offset:920 ; 16-byte Folded Spill
	;; [unrolled: 2-line block ×8, first 2 shown]
	scratch_store_dwordx4 off, v[0:3], off offset:520 ; 16-byte Folded Spill
	s_nop 0
	scratch_store_dwordx4 off, v[4:7], off offset:536 ; 16-byte Folded Spill
	scratch_store_dwordx4 off, v[8:11], off offset:552 ; 16-byte Folded Spill
	scratch_store_dwordx4 off, v[12:15], off offset:568 ; 16-byte Folded Spill
	scratch_store_dwordx4 off, v[16:19], off offset:584 ; 16-byte Folded Spill
	scratch_store_dwordx4 off, v[20:23], off offset:600 ; 16-byte Folded Spill
	scratch_store_dwordx4 off, v[24:27], off offset:616 ; 16-byte Folded Spill
	scratch_store_dwordx4 off, v[28:31], off offset:632 ; 16-byte Folded Spill
	scratch_store_dwordx4 off, v[56:59], off offset:2312 ; 16-byte Folded Spill
	s_nop 0
	scratch_store_dwordx4 off, v[60:63], off offset:2328 ; 16-byte Folded Spill
	scratch_store_dwordx4 off, v[64:67], off offset:2344 ; 16-byte Folded Spill
	scratch_store_dwordx4 off, v[68:71], off offset:2360 ; 16-byte Folded Spill
	scratch_store_dwordx4 off, v[72:75], off offset:2376 ; 16-byte Folded Spill
	scratch_store_dwordx4 off, v[76:79], off offset:2392 ; 16-byte Folded Spill
	scratch_store_dwordx4 off, v[80:83], off offset:2408 ; 16-byte Folded Spill
	scratch_store_dwordx4 off, v[84:87], off offset:2424 ; 16-byte Folded Spill
	;; [unrolled: 9-line block ×3, first 2 shown]
	v_mov_b32_e32 v139, v81
	v_mov_b32_e32 v87, v109
.LBB59_33:
	s_or_b64 exec, exec, s[2:3]
	v_cmp_eq_u32_e32 vcc, 6, v255
	s_waitcnt vmcnt(63) expcnt(7) lgkmcnt(15)
	s_barrier
	s_and_saveexec_b64 s[2:3], vcc
	s_cbranch_execz .LBB59_36
; %bb.34:
	scratch_load_dword v0, off, off offset:388 ; 4-byte Folded Reload
	ds_write_b32 v254, v148
	s_waitcnt vmcnt(0)
	ds_write2_b32 v0, v189, v190 offset0:7 offset1:8
	ds_write2_b32 v0, v191, v192 offset0:9 offset1:10
	;; [unrolled: 1-line block ×11, first 2 shown]
	scratch_load_dwordx4 v[30:33], off, off offset:260 ; 16-byte Folded Reload
	scratch_load_dwordx4 v[34:37], off, off offset:276 ; 16-byte Folded Reload
	;; [unrolled: 1-line block ×8, first 2 shown]
	s_waitcnt vmcnt(0)
	ds_write_b32 v0, v59 offset:116
	ds_read_b32 v30, v254
	s_waitcnt lgkmcnt(0)
	v_cmp_neq_f32_e32 vcc, 0, v30
	s_and_b64 exec, exec, vcc
	s_cbranch_execz .LBB59_36
; %bb.35:
	v_div_scale_f32 v31, s[4:5], v30, v30, 1.0
	v_rcp_f32_e32 v32, v31
	v_div_scale_f32 v33, vcc, 1.0, v30, 1.0
	v_fma_f32 v34, -v31, v32, 1.0
	v_fmac_f32_e32 v32, v34, v32
	v_mul_f32_e32 v34, v33, v32
	v_fma_f32 v35, -v31, v34, v33
	v_fmac_f32_e32 v34, v35, v32
	v_fma_f32 v31, -v31, v34, v33
	v_div_fmas_f32 v31, v31, v32, v34
	v_div_fixup_f32 v30, v31, v30, 1.0
	ds_write_b32 v254, v30
.LBB59_36:
	s_or_b64 exec, exec, s[2:3]
	s_waitcnt lgkmcnt(0)
	s_barrier
	ds_read_b32 v0, v254
	v_cmp_lt_u32_e32 vcc, 6, v255
	s_waitcnt lgkmcnt(0)
	scratch_store_dword off, v0, off offset:3720 ; 4-byte Folded Spill
	s_and_saveexec_b64 s[2:3], vcc
	s_cbranch_execz .LBB59_38
; %bb.37:
	s_movk_i32 s4, 0x1688
	scratch_load_dwordx4 v[84:87], off, s4  ; 16-byte Folded Reload
	scratch_load_dwordx4 v[88:91], off, s4 offset:16 ; 16-byte Folded Reload
	scratch_load_dwordx4 v[92:95], off, s4 offset:32 ; 16-byte Folded Reload
	;; [unrolled: 1-line block ×7, first 2 shown]
	scratch_load_dword v0, off, off offset:3720 ; 4-byte Folded Reload
	scratch_load_dword v10, off, off offset:388 ; 4-byte Folded Reload
	v_mov_b32_e32 v2, v189
	v_mov_b32_e32 v3, v190
	s_movk_i32 s4, 0x1408
	s_waitcnt vmcnt(9)
	v_mov_b32_e32 v222, v84
	v_mov_b32_e32 v223, v85
	;; [unrolled: 1-line block ×4, first 2 shown]
	s_waitcnt vmcnt(8)
	v_mov_b32_e32 v226, v88
	v_mov_b32_e32 v227, v89
	;; [unrolled: 1-line block ×4, first 2 shown]
	s_waitcnt vmcnt(1)
	v_mul_f32_e32 v90, v148, v0
	s_waitcnt vmcnt(0)
	ds_read2_b32 v[0:1], v10 offset0:7 offset1:8
	ds_read2_b32 v[4:5], v10 offset0:9 offset1:10
	;; [unrolled: 1-line block ×4, first 2 shown]
	v_mov_b32_e32 v228, v90
	v_mov_b32_e32 v170, v86
	;; [unrolled: 1-line block ×3, first 2 shown]
	s_waitcnt lgkmcnt(3)
	v_pk_fma_f32 v[30:31], v[90:91], v[0:1], v[2:3] op_sel_hi:[0,1,1] neg_lo:[1,0,0] neg_hi:[1,0,0]
	v_mov_b32_e32 v0, v191
	v_mov_b32_e32 v1, v192
	s_waitcnt lgkmcnt(2)
	v_pk_fma_f32 v[32:33], v[90:91], v[4:5], v[0:1] op_sel_hi:[0,1,1] neg_lo:[1,0,0] neg_hi:[1,0,0]
	v_mov_b32_e32 v0, v193
	v_mov_b32_e32 v1, v194
	;; [unrolled: 4-line block ×3, first 2 shown]
	s_waitcnt lgkmcnt(0)
	v_pk_fma_f32 v[36:37], v[90:91], v[36:37], v[0:1] op_sel_hi:[0,1,1] neg_lo:[1,0,0] neg_hi:[1,0,0]
	ds_read2_b32 v[0:1], v10 offset0:15 offset1:16
	ds_read2_b32 v[4:5], v10 offset0:17 offset1:18
	;; [unrolled: 1-line block ×4, first 2 shown]
	v_mov_b32_e32 v2, v197
	v_mov_b32_e32 v3, v198
	;; [unrolled: 1-line block ×3, first 2 shown]
	s_waitcnt lgkmcnt(3)
	v_pk_fma_f32 v[38:39], v[90:91], v[0:1], v[2:3] op_sel_hi:[0,1,1] neg_lo:[1,0,0] neg_hi:[1,0,0]
	v_mov_b32_e32 v0, v199
	v_mov_b32_e32 v1, v200
	s_waitcnt lgkmcnt(2)
	v_pk_fma_f32 v[40:41], v[90:91], v[4:5], v[0:1] op_sel_hi:[0,1,1] neg_lo:[1,0,0] neg_hi:[1,0,0]
	v_mov_b32_e32 v0, v201
	v_mov_b32_e32 v1, v202
	;; [unrolled: 4-line block ×3, first 2 shown]
	s_waitcnt lgkmcnt(0)
	v_pk_fma_f32 v[44:45], v[90:91], v[8:9], v[0:1] op_sel_hi:[0,1,1] neg_lo:[1,0,0] neg_hi:[1,0,0]
	ds_read2_b32 v[0:1], v10 offset0:23 offset1:24
	ds_read2_b32 v[4:5], v10 offset0:25 offset1:26
	;; [unrolled: 1-line block ×3, first 2 shown]
	ds_read_b32 v8, v10 offset:116
	scratch_load_dwordx4 v[52:55], off, off offset:260 ; 16-byte Folded Reload
	scratch_load_dwordx4 v[56:59], off, off offset:276 ; 16-byte Folded Reload
	;; [unrolled: 1-line block ×8, first 2 shown]
	v_mov_b32_e32 v2, v205
	v_mov_b32_e32 v3, v206
	s_waitcnt lgkmcnt(3)
	v_pk_fma_f32 v[46:47], v[90:91], v[0:1], v[2:3] op_sel_hi:[0,1,1] neg_lo:[1,0,0] neg_hi:[1,0,0]
	v_mov_b32_e32 v0, v207
	v_mov_b32_e32 v1, v208
	s_waitcnt lgkmcnt(2)
	v_pk_fma_f32 v[48:49], v[90:91], v[4:5], v[0:1] op_sel_hi:[0,1,1] neg_lo:[1,0,0] neg_hi:[1,0,0]
	;; [unrolled: 4-line block ×3, first 2 shown]
	v_mov_b32_e32 v0, v84
	v_mov_b32_e32 v1, v85
	;; [unrolled: 1-line block ×26, first 2 shown]
	s_waitcnt vmcnt(7)
	v_mov_b32_e32 v52, v49
	v_mov_b32_e32 v54, v51
	v_mov_b32_e32 v177, v32
	v_mov_b32_e32 v178, v33
	v_mov_b32_e32 v191, v32
	v_mov_b32_e32 v192, v33
	v_mov_b32_e32 v193, v34
	v_mov_b32_e32 v194, v35
	v_mov_b32_e32 v195, v36
	v_mov_b32_e32 v196, v37
	v_mov_b32_e32 v197, v38
	v_mov_b32_e32 v198, v39
	v_mov_b32_e32 v199, v40
	v_mov_b32_e32 v200, v41
	v_mov_b32_e32 v201, v42
	v_mov_b32_e32 v202, v43
	v_mov_b32_e32 v203, v44
	v_mov_b32_e32 v204, v45
	v_mov_b32_e32 v205, v46
	v_mov_b32_e32 v206, v47
	v_mov_b32_e32 v207, v48
	v_mov_b32_e32 v208, v49
	v_mov_b32_e32 v209, v50
	v_mov_b32_e32 v210, v51
	s_waitcnt vmcnt(0) lgkmcnt(0)
	v_fma_f32 v211, -v90, v8, v81
	v_mov_b32_e32 v8, v31
	scratch_store_dwordx4 off, v[0:3], s4   ; 16-byte Folded Spill
	s_nop 0
	scratch_store_dwordx4 off, v[4:7], s4 offset:16 ; 16-byte Folded Spill
	scratch_store_dwordx4 off, v[8:11], s4 offset:32 ; 16-byte Folded Spill
	scratch_store_dwordx4 off, v[12:15], s4 offset:48 ; 16-byte Folded Spill
	scratch_store_dwordx4 off, v[16:19], s4 offset:64 ; 16-byte Folded Spill
	scratch_store_dwordx4 off, v[20:23], s4 offset:80 ; 16-byte Folded Spill
	scratch_store_dwordx4 off, v[24:27], s4 offset:96 ; 16-byte Folded Spill
	scratch_store_dwordx4 off, v[28:31], s4 offset:112 ; 16-byte Folded Spill
	v_mov_b32_e32 v9, v32
	s_movk_i32 s4, 0x1488
	v_mov_b32_e32 v55, v211
	scratch_store_dwordx4 off, v[0:3], s4   ; 16-byte Folded Spill
	s_nop 0
	scratch_store_dwordx4 off, v[4:7], s4 offset:16 ; 16-byte Folded Spill
	scratch_store_dwordx4 off, v[8:11], s4 offset:32 ; 16-byte Folded Spill
	;; [unrolled: 1-line block ×7, first 2 shown]
	v_mov_b32_e32 v10, v33
	v_mov_b32_e32 v11, v34
	s_movk_i32 s4, 0x1208
	v_mov_b32_e32 v175, v30
	v_mov_b32_e32 v176, v31
	scratch_store_dwordx4 off, v[0:3], s4   ; 16-byte Folded Spill
	s_nop 0
	scratch_store_dwordx4 off, v[4:7], s4 offset:16 ; 16-byte Folded Spill
	scratch_store_dwordx4 off, v[8:11], s4 offset:32 ; 16-byte Folded Spill
	scratch_store_dwordx4 off, v[12:15], s4 offset:48 ; 16-byte Folded Spill
	scratch_store_dwordx4 off, v[16:19], s4 offset:64 ; 16-byte Folded Spill
	scratch_store_dwordx4 off, v[20:23], s4 offset:80 ; 16-byte Folded Spill
	scratch_store_dwordx4 off, v[24:27], s4 offset:96 ; 16-byte Folded Spill
	scratch_store_dwordx4 off, v[28:31], s4 offset:112 ; 16-byte Folded Spill
	v_mov_b32_e32 v12, v35
	s_movk_i32 s4, 0x1188
	scratch_store_dwordx4 off, v[0:3], s4   ; 16-byte Folded Spill
	s_nop 0
	scratch_store_dwordx4 off, v[4:7], s4 offset:16 ; 16-byte Folded Spill
	scratch_store_dwordx4 off, v[8:11], s4 offset:32 ; 16-byte Folded Spill
	scratch_store_dwordx4 off, v[12:15], s4 offset:48 ; 16-byte Folded Spill
	scratch_store_dwordx4 off, v[16:19], s4 offset:64 ; 16-byte Folded Spill
	scratch_store_dwordx4 off, v[20:23], s4 offset:80 ; 16-byte Folded Spill
	scratch_store_dwordx4 off, v[24:27], s4 offset:96 ; 16-byte Folded Spill
	scratch_store_dwordx4 off, v[28:31], s4 offset:112 ; 16-byte Folded Spill
	v_mov_b32_e32 v13, v36
	s_movk_i32 s4, 0x1008
	scratch_store_dwordx4 off, v[0:3], s4   ; 16-byte Folded Spill
	s_nop 0
	scratch_store_dwordx4 off, v[4:7], s4 offset:16 ; 16-byte Folded Spill
	scratch_store_dwordx4 off, v[8:11], s4 offset:32 ; 16-byte Folded Spill
	scratch_store_dwordx4 off, v[12:15], s4 offset:48 ; 16-byte Folded Spill
	scratch_store_dwordx4 off, v[16:19], s4 offset:64 ; 16-byte Folded Spill
	scratch_store_dwordx4 off, v[20:23], s4 offset:80 ; 16-byte Folded Spill
	scratch_store_dwordx4 off, v[24:27], s4 offset:96 ; 16-byte Folded Spill
	scratch_store_dwordx4 off, v[28:31], s4 offset:112 ; 16-byte Folded Spill
	v_mov_b32_e32 v14, v37
	s_movk_i32 s4, 0x1608
	scratch_store_dwordx4 off, v[0:3], off offset:3208 ; 16-byte Folded Spill
	s_nop 0
	scratch_store_dwordx4 off, v[4:7], off offset:3224 ; 16-byte Folded Spill
	scratch_store_dwordx4 off, v[8:11], off offset:3240 ; 16-byte Folded Spill
	scratch_store_dwordx4 off, v[12:15], off offset:3256 ; 16-byte Folded Spill
	scratch_store_dwordx4 off, v[16:19], off offset:3272 ; 16-byte Folded Spill
	scratch_store_dwordx4 off, v[20:23], off offset:3288 ; 16-byte Folded Spill
	scratch_store_dwordx4 off, v[24:27], off offset:3304 ; 16-byte Folded Spill
	scratch_store_dwordx4 off, v[28:31], off offset:3320 ; 16-byte Folded Spill
	v_mov_b32_e32 v15, v38
	scratch_store_dwordx4 off, v[0:3], off offset:3336 ; 16-byte Folded Spill
	s_nop 0
	scratch_store_dwordx4 off, v[4:7], off offset:3352 ; 16-byte Folded Spill
	scratch_store_dwordx4 off, v[8:11], off offset:3368 ; 16-byte Folded Spill
	;; [unrolled: 1-line block ×7, first 2 shown]
	v_mov_b32_e32 v16, v39
	v_mov_b32_e32 v17, v40
	;; [unrolled: 1-line block ×4, first 2 shown]
	scratch_store_dwordx4 off, v[222:225], off offset:2056 ; 16-byte Folded Spill
	s_nop 0
	scratch_store_dwordx4 off, v[226:229], off offset:2072 ; 16-byte Folded Spill
	scratch_store_dwordx4 off, v[230:233], off offset:2088 ; 16-byte Folded Spill
	;; [unrolled: 1-line block ×8, first 2 shown]
	s_nop 0
	scratch_store_dwordx4 off, v[4:7], off offset:2968 ; 16-byte Folded Spill
	scratch_store_dwordx4 off, v[8:11], off offset:2984 ; 16-byte Folded Spill
	scratch_store_dwordx4 off, v[12:15], off offset:3000 ; 16-byte Folded Spill
	scratch_store_dwordx4 off, v[16:19], off offset:3016 ; 16-byte Folded Spill
	scratch_store_dwordx4 off, v[20:23], off offset:3032 ; 16-byte Folded Spill
	scratch_store_dwordx4 off, v[24:27], off offset:3048 ; 16-byte Folded Spill
	scratch_store_dwordx4 off, v[28:31], off offset:3064 ; 16-byte Folded Spill
	v_mov_b32_e32 v18, v41
	scratch_store_dwordx4 off, v[0:3], off offset:1672 ; 16-byte Folded Spill
	s_nop 0
	scratch_store_dwordx4 off, v[4:7], off offset:1688 ; 16-byte Folded Spill
	scratch_store_dwordx4 off, v[8:11], off offset:1704 ; 16-byte Folded Spill
	scratch_store_dwordx4 off, v[12:15], off offset:1720 ; 16-byte Folded Spill
	scratch_store_dwordx4 off, v[16:19], off offset:1736 ; 16-byte Folded Spill
	scratch_store_dwordx4 off, v[20:23], off offset:1752 ; 16-byte Folded Spill
	scratch_store_dwordx4 off, v[24:27], off offset:1768 ; 16-byte Folded Spill
	scratch_store_dwordx4 off, v[28:31], off offset:1784 ; 16-byte Folded Spill
	v_mov_b32_e32 v19, v42
	scratch_store_dwordx4 off, v[0:3], off offset:2824 ; 16-byte Folded Spill
	;; [unrolled: 10-line block ×6, first 2 shown]
	s_nop 0
	scratch_store_dwordx4 off, v[4:7], off offset:2456 ; 16-byte Folded Spill
	scratch_store_dwordx4 off, v[8:11], off offset:2472 ; 16-byte Folded Spill
	scratch_store_dwordx4 off, v[12:15], off offset:2488 ; 16-byte Folded Spill
	scratch_store_dwordx4 off, v[16:19], off offset:2504 ; 16-byte Folded Spill
	scratch_store_dwordx4 off, v[20:23], off offset:2520 ; 16-byte Folded Spill
	scratch_store_dwordx4 off, v[24:27], off offset:2536 ; 16-byte Folded Spill
	scratch_store_dwordx4 off, v[28:31], off offset:2552 ; 16-byte Folded Spill
	s_nop 0
	v_mov_b32_e32 v24, v47
	scratch_store_dwordx4 off, v[0:3], off offset:2312 ; 16-byte Folded Spill
	s_nop 0
	scratch_store_dwordx4 off, v[4:7], off offset:2328 ; 16-byte Folded Spill
	scratch_store_dwordx4 off, v[8:11], off offset:2344 ; 16-byte Folded Spill
	scratch_store_dwordx4 off, v[12:15], off offset:2360 ; 16-byte Folded Spill
	scratch_store_dwordx4 off, v[16:19], off offset:2376 ; 16-byte Folded Spill
	scratch_store_dwordx4 off, v[20:23], off offset:2392 ; 16-byte Folded Spill
	scratch_store_dwordx4 off, v[24:27], off offset:2408 ; 16-byte Folded Spill
	scratch_store_dwordx4 off, v[28:31], off offset:2424 ; 16-byte Folded Spill
	s_nop 0
	v_mov_b32_e32 v25, v48
	scratch_store_dwordx4 off, v[0:3], off offset:2184 ; 16-byte Folded Spill
	;; [unrolled: 11-line block ×4, first 2 shown]
	s_nop 0
	scratch_store_dwordx4 off, v[4:7], off offset:1816 ; 16-byte Folded Spill
	scratch_store_dwordx4 off, v[8:11], off offset:1832 ; 16-byte Folded Spill
	;; [unrolled: 1-line block ×7, first 2 shown]
	scratch_store_dwordx4 off, v[84:87], s4 ; 16-byte Folded Spill
	s_nop 0
	scratch_store_dwordx4 off, v[88:91], s4 offset:16 ; 16-byte Folded Spill
	scratch_store_dwordx4 off, v[92:95], s4 offset:32 ; 16-byte Folded Spill
	;; [unrolled: 1-line block ×7, first 2 shown]
	s_movk_i32 s4, 0x1588
	scratch_store_dwordx4 off, v[84:87], s4 ; 16-byte Folded Spill
	s_nop 0
	scratch_store_dwordx4 off, v[88:91], s4 offset:16 ; 16-byte Folded Spill
	scratch_store_dwordx4 off, v[92:95], s4 offset:32 ; 16-byte Folded Spill
	;; [unrolled: 1-line block ×7, first 2 shown]
	v_mov_b32_e32 v189, v30
	v_mov_b32_e32 v190, v31
	scratch_store_dwordx4 off, v[26:29], off offset:260 ; 16-byte Folded Spill
	s_nop 0
	scratch_store_dwordx4 off, v[30:33], off offset:276 ; 16-byte Folded Spill
	scratch_store_dwordx4 off, v[34:37], off offset:292 ; 16-byte Folded Spill
	;; [unrolled: 1-line block ×7, first 2 shown]
	v_mov_b32_e32 v153, v30
	v_mov_b32_e32 v144, v31
	;; [unrolled: 1-line block ×11, first 2 shown]
	scratch_store_dwordx4 off, v[0:3], off offset:1160 ; 16-byte Folded Spill
	s_nop 0
	scratch_store_dwordx4 off, v[4:7], off offset:1176 ; 16-byte Folded Spill
	scratch_store_dwordx4 off, v[8:11], off offset:1192 ; 16-byte Folded Spill
	scratch_store_dwordx4 off, v[12:15], off offset:1208 ; 16-byte Folded Spill
	scratch_store_dwordx4 off, v[16:19], off offset:1224 ; 16-byte Folded Spill
	scratch_store_dwordx4 off, v[20:23], off offset:1240 ; 16-byte Folded Spill
	scratch_store_dwordx4 off, v[24:27], off offset:1256 ; 16-byte Folded Spill
	scratch_store_dwordx4 off, v[28:31], off offset:1272 ; 16-byte Folded Spill
	scratch_store_dwordx4 off, v[0:3], off offset:776 ; 16-byte Folded Spill
	s_nop 0
	scratch_store_dwordx4 off, v[4:7], off offset:792 ; 16-byte Folded Spill
	scratch_store_dwordx4 off, v[8:11], off offset:808 ; 16-byte Folded Spill
	scratch_store_dwordx4 off, v[12:15], off offset:824 ; 16-byte Folded Spill
	scratch_store_dwordx4 off, v[16:19], off offset:840 ; 16-byte Folded Spill
	scratch_store_dwordx4 off, v[20:23], off offset:856 ; 16-byte Folded Spill
	scratch_store_dwordx4 off, v[24:27], off offset:872 ; 16-byte Folded Spill
	scratch_store_dwordx4 off, v[28:31], off offset:888 ; 16-byte Folded Spill
	;; [unrolled: 9-line block ×9, first 2 shown]
.LBB59_38:
	s_or_b64 exec, exec, s[2:3]
	v_cmp_eq_u32_e32 vcc, 7, v255
	s_waitcnt vmcnt(63) expcnt(7) lgkmcnt(15)
	s_barrier
	s_and_saveexec_b64 s[2:3], vcc
	s_cbranch_execz .LBB59_41
; %bb.39:
	scratch_load_dword v0, off, off offset:388 ; 4-byte Folded Reload
	ds_write_b32 v254, v153
	s_waitcnt vmcnt(0)
	ds_write2_b64 v0, v[190:191], v[192:193] offset0:4 offset1:5
	ds_write2_b64 v0, v[194:195], v[196:197] offset0:6 offset1:7
	;; [unrolled: 1-line block ×5, first 2 shown]
	ds_write_b64 v0, v[210:211] offset:112
	ds_read_b32 v30, v254
	s_waitcnt lgkmcnt(0)
	v_cmp_neq_f32_e32 vcc, 0, v30
	s_and_b64 exec, exec, vcc
	s_cbranch_execz .LBB59_41
; %bb.40:
	v_div_scale_f32 v31, s[4:5], v30, v30, 1.0
	v_rcp_f32_e32 v32, v31
	v_div_scale_f32 v33, vcc, 1.0, v30, 1.0
	v_fma_f32 v34, -v31, v32, 1.0
	v_fmac_f32_e32 v32, v34, v32
	v_mul_f32_e32 v34, v33, v32
	v_fma_f32 v35, -v31, v34, v33
	v_fmac_f32_e32 v34, v35, v32
	v_fma_f32 v31, -v31, v34, v33
	v_div_fmas_f32 v31, v31, v32, v34
	v_div_fixup_f32 v30, v31, v30, 1.0
	ds_write_b32 v254, v30
.LBB59_41:
	s_or_b64 exec, exec, s[2:3]
	s_waitcnt lgkmcnt(0)
	s_barrier
	ds_read_b32 v0, v254
	v_cmp_lt_u32_e32 vcc, 7, v255
	s_waitcnt lgkmcnt(0)
	scratch_store_dword off, v0, off offset:3848 ; 4-byte Folded Spill
	s_and_saveexec_b64 s[2:3], vcc
	s_cbranch_execz .LBB59_43
; %bb.42:
	scratch_load_dword v18, off, off offset:388 ; 4-byte Folded Reload
	s_movk_i32 s4, 0x1588
	s_waitcnt vmcnt(0)
	ds_read2_b64 v[4:7], v18 offset0:4 offset1:5
	ds_read2_b64 v[0:3], v18 offset0:6 offset1:7
	ds_read_b64 v[32:33], v18 offset:112
	scratch_load_dword v8, off, off offset:3848 ; 4-byte Folded Reload
	ds_read2_b64 v[24:27], v18 offset0:12 offset1:13
	s_waitcnt vmcnt(0)
	v_mul_f32_e32 v28, v153, v8
	s_waitcnt lgkmcnt(1)
	v_pk_fma_f32 v[210:211], v[28:29], v[32:33], v[210:211] op_sel_hi:[0,1,1] neg_lo:[1,0,0] neg_hi:[1,0,0]
	v_pk_fma_f32 v[12:13], v[28:29], v[4:5], v[190:191] op_sel_hi:[0,1,1] neg_lo:[1,0,0] neg_hi:[1,0,0]
	;; [unrolled: 1-line block ×4, first 2 shown]
	scratch_store_dwordx4 off, v[182:185], off offset:4 ; 16-byte Folded Spill
	s_nop 0
	scratch_store_dwordx4 off, v[186:189], off offset:20 ; 16-byte Folded Spill
	scratch_store_dwordx4 off, v[190:193], off offset:36 ; 16-byte Folded Spill
	;; [unrolled: 1-line block ×7, first 2 shown]
	scratch_load_dwordx4 v[184:187], off, s4 ; 16-byte Folded Reload
	s_nop 0
	scratch_load_dwordx4 v[188:191], off, s4 offset:16 ; 16-byte Folded Reload
	scratch_load_dwordx4 v[192:195], off, s4 offset:32 ; 16-byte Folded Reload
	;; [unrolled: 1-line block ×7, first 2 shown]
	v_mov_b32_e32 v11, v28
	s_movk_i32 s4, 0x1488
	s_waitcnt vmcnt(6)
	v_mov_b32_e32 v191, v28
	v_mov_b32_e32 v96, v220
	;; [unrolled: 1-line block ×5, first 2 shown]
	s_waitcnt vmcnt(2)
	v_mov_b32_e32 v204, v220
	v_mov_b32_e32 v205, v221
	;; [unrolled: 1-line block ×9, first 2 shown]
	v_mov_b64_e32 v[52:53], v[12:13]
	v_mov_b64_e32 v[50:51], v[10:11]
	;; [unrolled: 1-line block ×5, first 2 shown]
	scratch_store_dwordx4 off, v[4:7], s4   ; 16-byte Folded Spill
	s_nop 0
	scratch_store_dwordx4 off, v[8:11], s4 offset:16 ; 16-byte Folded Spill
	scratch_store_dwordx4 off, v[12:15], s4 offset:32 ; 16-byte Folded Spill
	;; [unrolled: 1-line block ×4, first 2 shown]
	s_waitcnt lgkmcnt(0)
	scratch_store_dwordx4 off, v[24:27], s4 offset:80 ; 16-byte Folded Spill
	scratch_store_dwordx4 off, v[28:31], s4 offset:96 ; 16-byte Folded Spill
	;; [unrolled: 1-line block ×3, first 2 shown]
	v_mov_b32_e32 v36, v188
	v_mov_b32_e32 v37, v189
	;; [unrolled: 1-line block ×9, first 2 shown]
	s_movk_i32 s4, 0x1208
	v_mov_b32_e32 v84, v184
	v_mov_b32_e32 v85, v185
	v_mov_b32_e32 v86, v186
	v_mov_b32_e32 v87, v187
	v_mov_b32_e32 v88, v188
	v_mov_b32_e32 v89, v189
	v_mov_b32_e32 v90, v190
	v_mov_b32_e32 v136, v184
	v_mov_b32_e32 v137, v185
	v_mov_b32_e32 v138, v186
	v_mov_b32_e32 v139, v187
	v_mov_b32_e32 v140, v188
	v_mov_b32_e32 v141, v189
	v_mov_b32_e32 v142, v190
	s_waitcnt vmcnt(9)
	v_mov_b32_e32 v208, v184
	v_mov_b32_e32 v209, v185
	;; [unrolled: 1-line block ×8, first 2 shown]
	s_waitcnt vmcnt(8)
	v_mov_b32_e32 v212, v188
	v_mov_b32_e32 v213, v189
	v_mov_b32_e32 v214, v190
	v_mov_b32_e32 v196, v188
	v_mov_b32_e32 v197, v189
	v_mov_b32_e32 v198, v190
	v_mov_b64_e32 v[64:65], v[14:15]
	v_mov_b64_e32 v[62:63], v[12:13]
	;; [unrolled: 1-line block ×6, first 2 shown]
	v_mov_b32_e32 v39, v28
	v_mov_b32_e32 v42, v64
	;; [unrolled: 1-line block ×3, first 2 shown]
	scratch_store_dwordx4 off, v[32:35], s4 ; 16-byte Folded Spill
	s_nop 0
	scratch_store_dwordx4 off, v[36:39], s4 offset:16 ; 16-byte Folded Spill
	scratch_store_dwordx4 off, v[40:43], s4 offset:32 ; 16-byte Folded Spill
	;; [unrolled: 1-line block ×7, first 2 shown]
	v_mov_b64_e32 v[164:165], v[12:13]
	v_mov_b32_e32 v40, v164
	v_mov_b32_e32 v41, v165
	;; [unrolled: 1-line block ×4, first 2 shown]
	s_movk_i32 s4, 0x1008
	v_mov_b64_e32 v[176:177], v[14:15]
	v_mov_b64_e32 v[162:163], v[10:11]
	v_mov_b64_e32 v[160:161], v[8:9]
	v_mov_b64_e32 v[158:159], v[6:7]
	v_mov_b64_e32 v[156:157], v[4:5]
	v_mov_b64_e32 v[174:175], v[12:13]
	v_mov_b64_e32 v[172:173], v[10:11]
	v_mov_b64_e32 v[170:171], v[8:9]
	v_mov_b64_e32 v[168:169], v[6:7]
	v_mov_b64_e32 v[166:167], v[4:5]
	v_mov_b32_e32 v218, v64
	v_mov_b32_e32 v219, v65
	;; [unrolled: 1-line block ×28, first 2 shown]
	scratch_store_dwordx4 off, v[32:35], s4 ; 16-byte Folded Spill
	s_nop 0
	scratch_store_dwordx4 off, v[36:39], s4 offset:16 ; 16-byte Folded Spill
	scratch_store_dwordx4 off, v[40:43], s4 offset:32 ; 16-byte Folded Spill
	;; [unrolled: 1-line block ×7, first 2 shown]
	scratch_load_dwordx4 v[30:33], off, off offset:4 ; 16-byte Folded Reload
	s_nop 0
	scratch_load_dwordx4 v[34:37], off, off offset:20 ; 16-byte Folded Reload
	scratch_load_dwordx4 v[38:41], off, off offset:36 ; 16-byte Folded Reload
	;; [unrolled: 1-line block ×7, first 2 shown]
	s_waitcnt vmcnt(7)
	v_mov_b32_e32 v32, v184
	v_mov_b32_e32 v33, v185
	s_waitcnt vmcnt(6)
	v_mov_b32_e32 v34, v186
	v_mov_b32_e32 v35, v187
	v_mov_b32_e32 v36, v188
	v_mov_b32_e32 v37, v189
	s_waitcnt vmcnt(5)
	v_mov_b32_e32 v38, v190
	v_mov_b32_e32 v39, v28
	;; [unrolled: 5-line block ×3, first 2 shown]
	s_movk_i32 s4, 0x1408
	v_pk_fma_f32 v[206:207], v[28:29], v[2:3], v[44:45] op_sel_hi:[0,1,1] neg_lo:[1,0,0] neg_hi:[1,0,0]
	v_mov_b32_e32 v44, v220
	v_mov_b32_e32 v45, v221
	s_waitcnt vmcnt(3)
	v_mov_b32_e32 v46, v206
	v_mov_b32_e32 v47, v207
	scratch_store_dwordx4 off, v[32:35], off offset:3336 ; 16-byte Folded Spill
	s_nop 0
	scratch_store_dwordx4 off, v[36:39], off offset:3352 ; 16-byte Folded Spill
	scratch_store_dwordx4 off, v[40:43], off offset:3368 ; 16-byte Folded Spill
	;; [unrolled: 1-line block ×3, first 2 shown]
	s_waitcnt vmcnt(6)
	scratch_store_dwordx4 off, v[48:51], off offset:3400 ; 16-byte Folded Spill
	s_waitcnt vmcnt(6)
	scratch_store_dwordx4 off, v[52:55], off offset:3416 ; 16-byte Folded Spill
	s_waitcnt vmcnt(6)
	scratch_store_dwordx4 off, v[56:59], off offset:3432 ; 16-byte Folded Spill
	scratch_store_dwordx4 off, v[60:63], off offset:3448 ; 16-byte Folded Spill
	ds_read2_b64 v[0:3], v18 offset0:8 offset1:9
	ds_read2_b64 v[8:11], v18 offset0:10 offset1:11
	scratch_load_dwordx4 v[30:33], off, off offset:4 ; 16-byte Folded Reload
	scratch_load_dwordx4 v[34:37], off, off offset:20 ; 16-byte Folded Reload
	scratch_load_dwordx4 v[38:41], off, off offset:36 ; 16-byte Folded Reload
	scratch_load_dwordx4 v[42:45], off, off offset:52 ; 16-byte Folded Reload
	scratch_load_dwordx4 v[46:49], off, off offset:68 ; 16-byte Folded Reload
	scratch_load_dwordx4 v[50:53], off, off offset:84 ; 16-byte Folded Reload
	scratch_load_dwordx4 v[54:57], off, off offset:100 ; 16-byte Folded Reload
	scratch_load_dwordx4 v[58:61], off, off offset:116 ; 16-byte Folded Reload
	s_waitcnt vmcnt(4)
	v_mov_b32_e32 v44, v206
	v_mov_b32_e32 v45, v207
	;; [unrolled: 1-line block ×16, first 2 shown]
	v_mov_b64_e32 v[132:133], v[44:45]
	v_mov_b64_e32 v[130:131], v[42:43]
	v_mov_b64_e32 v[128:129], v[40:41]
	v_mov_b64_e32 v[126:127], v[38:39]
	v_mov_b64_e32 v[124:125], v[36:37]
	v_mov_b64_e32 v[122:123], v[34:35]
	v_mov_b64_e32 v[120:121], v[32:33]
	v_mov_b64_e32 v[118:119], v[30:31]
	v_mov_b32_e32 v32, v184
	v_mov_b32_e32 v33, v185
	;; [unrolled: 1-line block ×22, first 2 shown]
	s_waitcnt vmcnt(3) lgkmcnt(1)
	v_pk_fma_f32 v[46:47], v[28:29], v[0:1], v[46:47] op_sel_hi:[0,1,1] neg_lo:[1,0,0] neg_hi:[1,0,0]
	v_mov_b64_e32 v[134:135], v[46:47]
	v_mov_b32_e32 v46, v206
	v_mov_b32_e32 v47, v207
	;; [unrolled: 1-line block ×4, first 2 shown]
	scratch_store_dwordx4 off, v[32:35], off offset:2952 ; 16-byte Folded Spill
	s_nop 0
	scratch_store_dwordx4 off, v[36:39], off offset:2968 ; 16-byte Folded Spill
	scratch_store_dwordx4 off, v[40:43], off offset:2984 ; 16-byte Folded Spill
	scratch_store_dwordx4 off, v[44:47], off offset:3000 ; 16-byte Folded Spill
	s_waitcnt vmcnt(6)
	scratch_store_dwordx4 off, v[48:51], off offset:3016 ; 16-byte Folded Spill
	s_waitcnt vmcnt(6)
	scratch_store_dwordx4 off, v[52:55], off offset:3032 ; 16-byte Folded Spill
	;; [unrolled: 2-line block ×3, first 2 shown]
	scratch_store_dwordx4 off, v[60:63], off offset:3064 ; 16-byte Folded Spill
	scratch_load_dwordx4 v[30:33], off, off offset:4 ; 16-byte Folded Reload
	s_nop 0
	scratch_load_dwordx4 v[34:37], off, off offset:20 ; 16-byte Folded Reload
	scratch_load_dwordx4 v[38:41], off, off offset:36 ; 16-byte Folded Reload
	;; [unrolled: 1-line block ×7, first 2 shown]
	s_waitcnt vmcnt(2)
	v_mov_b32_e32 v52, v184
	v_mov_b32_e32 v53, v185
	s_waitcnt vmcnt(1)
	v_mov_b32_e32 v54, v186
	v_mov_b32_e32 v55, v187
	;; [unrolled: 1-line block ×4, first 2 shown]
	s_waitcnt vmcnt(0)
	v_mov_b32_e32 v58, v190
	v_mov_b32_e32 v59, v28
	;; [unrolled: 1-line block ×16, first 2 shown]
	v_pk_fma_f32 v[154:155], v[28:29], v[2:3], v[48:49] op_sel_hi:[0,1,1] neg_lo:[1,0,0] neg_hi:[1,0,0]
	v_mov_b32_e32 v70, v154
	v_mov_b32_e32 v71, v155
	scratch_store_dwordx4 off, v[52:55], off offset:2824 ; 16-byte Folded Spill
	s_nop 0
	scratch_store_dwordx4 off, v[56:59], off offset:2840 ; 16-byte Folded Spill
	scratch_store_dwordx4 off, v[60:63], off offset:2856 ; 16-byte Folded Spill
	;; [unrolled: 1-line block ×7, first 2 shown]
	scratch_load_dwordx4 v[30:33], off, off offset:4 ; 16-byte Folded Reload
	s_nop 0
	scratch_load_dwordx4 v[34:37], off, off offset:20 ; 16-byte Folded Reload
	scratch_load_dwordx4 v[38:41], off, off offset:36 ; 16-byte Folded Reload
	;; [unrolled: 1-line block ×7, first 2 shown]
	s_waitcnt vmcnt(3)
	v_mov_b32_e32 v46, v134
	v_mov_b32_e32 v47, v135
	v_mov_b32_e32 v48, v154
	v_mov_b32_e32 v49, v155
	v_mov_b32_e32 v44, v206
	v_mov_b32_e32 v45, v207
	v_mov_b32_e32 v102, v154
	v_mov_b32_e32 v103, v155
	v_mov_b32_e32 v30, v184
	v_mov_b32_e32 v31, v185
	v_mov_b32_e32 v32, v186
	v_mov_b32_e32 v33, v187
	v_mov_b32_e32 v34, v188
	v_mov_b32_e32 v35, v189
	v_mov_b32_e32 v36, v190
	v_mov_b32_e32 v37, v28
	v_mov_b32_e32 v38, v164
	v_mov_b32_e32 v39, v165
	v_mov_b32_e32 v40, v176
	v_mov_b32_e32 v41, v177
	v_mov_b32_e32 v42, v220
	v_mov_b32_e32 v43, v221
	v_mov_b64_e32 v[236:237], v[44:45]
	v_mov_b64_e32 v[234:235], v[42:43]
	;; [unrolled: 1-line block ×8, first 2 shown]
	v_mov_b32_e32 v62, v176
	v_mov_b32_e32 v63, v177
	;; [unrolled: 1-line block ×7, first 2 shown]
	s_waitcnt vmcnt(2) lgkmcnt(0)
	v_pk_fma_f32 v[50:51], v[28:29], v[8:9], v[50:51] op_sel_hi:[0,1,1] neg_lo:[1,0,0] neg_hi:[1,0,0]
	v_mov_b64_e32 v[242:243], v[50:51]
	v_mov_b32_e32 v104, v242
	v_mov_b32_e32 v105, v243
	scratch_store_dwordx4 off, v[84:87], off offset:2568 ; 16-byte Folded Spill
	s_nop 0
	scratch_store_dwordx4 off, v[88:91], off offset:2584 ; 16-byte Folded Spill
	scratch_store_dwordx4 off, v[92:95], off offset:2600 ; 16-byte Folded Spill
	;; [unrolled: 1-line block ×7, first 2 shown]
	v_mov_b64_e32 v[240:241], v[48:49]
	v_mov_b64_e32 v[238:239], v[46:47]
	scratch_load_dwordx4 v[30:33], off, off offset:4 ; 16-byte Folded Reload
	scratch_load_dwordx4 v[34:37], off, off offset:20 ; 16-byte Folded Reload
	;; [unrolled: 1-line block ×8, first 2 shown]
	v_mov_b64_e32 v[92:93], v[152:153]
	v_mov_b64_e32 v[112:113], v[134:135]
	;; [unrolled: 1-line block ×7, first 2 shown]
	s_waitcnt vmcnt(1)
	v_mov_b32_e32 v54, v186
	v_mov_b32_e32 v55, v187
	;; [unrolled: 1-line block ×4, first 2 shown]
	s_waitcnt vmcnt(0)
	v_mov_b32_e32 v58, v190
	v_mov_b32_e32 v59, v28
	;; [unrolled: 1-line block ×10, first 2 shown]
	v_mov_b64_e32 v[96:97], v[118:119]
	v_mov_b64_e32 v[84:85], v[144:145]
	;; [unrolled: 1-line block ×5, first 2 shown]
	v_mov_b32_e32 v8, v164
	v_mov_b32_e32 v9, v165
	v_mov_b64_e32 v[98:99], v[120:121]
	v_mov_b64_e32 v[100:101], v[122:123]
	;; [unrolled: 1-line block ×7, first 2 shown]
	v_mov_b32_e32 v118, v184
	v_mov_b32_e32 v119, v185
	;; [unrolled: 1-line block ×26, first 2 shown]
	v_pk_fma_f32 v[22:23], v[28:29], v[10:11], v[52:53] op_sel_hi:[0,1,1] neg_lo:[1,0,0] neg_hi:[1,0,0]
	v_mov_b32_e32 v52, v184
	v_mov_b32_e32 v53, v185
	;; [unrolled: 1-line block ×4, first 2 shown]
	scratch_store_dwordx4 off, v[52:55], off offset:2440 ; 16-byte Folded Spill
	s_nop 0
	scratch_store_dwordx4 off, v[56:59], off offset:2456 ; 16-byte Folded Spill
	scratch_store_dwordx4 off, v[60:63], off offset:2472 ; 16-byte Folded Spill
	;; [unrolled: 1-line block ×7, first 2 shown]
	scratch_load_dwordx4 v[30:33], off, off offset:4 ; 16-byte Folded Reload
	s_nop 0
	scratch_load_dwordx4 v[34:37], off, off offset:20 ; 16-byte Folded Reload
	scratch_load_dwordx4 v[38:41], off, off offset:36 ; 16-byte Folded Reload
	;; [unrolled: 1-line block ×7, first 2 shown]
	v_mov_b32_e32 v10, v176
	v_mov_b32_e32 v11, v177
	s_waitcnt vmcnt(3)
	v_mov_b64_e32 v[46:47], v[152:153]
	v_mov_b64_e32 v[48:49], v[154:155]
	v_mov_b32_e32 v140, v22
	v_mov_b32_e32 v141, v23
	v_mov_b64_e32 v[62:63], v[208:209]
	v_mov_b64_e32 v[64:65], v[210:211]
	;; [unrolled: 1-line block ×15, first 2 shown]
	v_mov_b32_e32 v78, v184
	v_mov_b32_e32 v79, v185
	;; [unrolled: 1-line block ×4, first 2 shown]
	scratch_store_dwordx4 off, v[156:159], s4 ; 16-byte Folded Spill
	s_nop 0
	scratch_store_dwordx4 off, v[160:163], s4 offset:16 ; 16-byte Folded Spill
	scratch_store_dwordx4 off, v[164:167], s4 offset:32 ; 16-byte Folded Spill
	;; [unrolled: 1-line block ×7, first 2 shown]
	scratch_store_dwordx4 off, v[96:99], off offset:2056 ; 16-byte Folded Spill
	s_nop 0
	scratch_store_dwordx4 off, v[100:103], off offset:2072 ; 16-byte Folded Spill
	scratch_store_dwordx4 off, v[104:107], off offset:2088 ; 16-byte Folded Spill
	;; [unrolled: 1-line block ×7, first 2 shown]
	s_waitcnt vmcnt(17)
	v_pk_fma_f32 v[142:143], v[28:29], v[24:25], v[54:55] op_sel_hi:[0,1,1] neg_lo:[1,0,0] neg_hi:[1,0,0]
	v_mov_b64_e32 v[162:163], v[48:49]
	v_mov_b32_e32 v82, v188
	v_mov_b32_e32 v83, v189
	;; [unrolled: 1-line block ×6, first 2 shown]
	v_mov_b64_e32 v[158:159], v[44:45]
	v_mov_b32_e32 v96, v162
	v_mov_b32_e32 v97, v163
	;; [unrolled: 1-line block ×8, first 2 shown]
	v_mov_b64_e32 v[156:157], v[42:43]
	v_mov_b64_e32 v[154:155], v[40:41]
	;; [unrolled: 1-line block ×7, first 2 shown]
	scratch_store_dwordx4 off, v[222:225], off offset:2696 ; 16-byte Folded Spill
	s_nop 0
	scratch_store_dwordx4 off, v[226:229], off offset:2712 ; 16-byte Folded Spill
	scratch_store_dwordx4 off, v[230:233], off offset:2728 ; 16-byte Folded Spill
	;; [unrolled: 1-line block ×8, first 2 shown]
	s_nop 0
	scratch_store_dwordx4 off, v[4:7], off offset:1432 ; 16-byte Folded Spill
	scratch_store_dwordx4 off, v[8:11], off offset:1448 ; 16-byte Folded Spill
	;; [unrolled: 1-line block ×7, first 2 shown]
	v_mov_b64_e32 v[160:161], v[46:47]
	v_mov_b32_e32 v86, v164
	v_mov_b32_e32 v87, v165
	;; [unrolled: 1-line block ×4, first 2 shown]
	scratch_store_dwordx4 off, v[78:81], off offset:2184 ; 16-byte Folded Spill
	s_nop 0
	scratch_store_dwordx4 off, v[82:85], off offset:2200 ; 16-byte Folded Spill
	scratch_store_dwordx4 off, v[86:89], off offset:2216 ; 16-byte Folded Spill
	scratch_store_dwordx4 off, v[90:93], off offset:2232 ; 16-byte Folded Spill
	scratch_store_dwordx4 off, v[94:97], off offset:2248 ; 16-byte Folded Spill
	scratch_store_dwordx4 off, v[98:101], off offset:2264 ; 16-byte Folded Spill
	scratch_store_dwordx4 off, v[102:105], off offset:2280 ; 16-byte Folded Spill
	scratch_store_dwordx4 off, v[106:109], off offset:2296 ; 16-byte Folded Spill
	scratch_load_dwordx4 v[30:33], off, off offset:4 ; 16-byte Folded Reload
	scratch_load_dwordx4 v[34:37], off, off offset:20 ; 16-byte Folded Reload
	;; [unrolled: 1-line block ×8, first 2 shown]
	scratch_load_dwordx4 v[218:221], off, s4 ; 16-byte Folded Reload
	scratch_load_dwordx4 v[222:225], off, s4 offset:16 ; 16-byte Folded Reload
	scratch_load_dwordx4 v[226:229], off, s4 offset:32 ; 16-byte Folded Reload
	;; [unrolled: 1-line block ×7, first 2 shown]
	v_mov_b32_e32 v100, v162
	v_mov_b32_e32 v101, v163
	v_mov_b32_e32 v82, v184
	v_mov_b32_e32 v83, v185
	v_mov_b32_e32 v84, v186
	v_mov_b32_e32 v85, v187
	v_mov_b32_e32 v86, v188
	v_mov_b32_e32 v87, v189
	v_mov_b32_e32 v88, v190
	v_mov_b32_e32 v92, v176
	v_mov_b32_e32 v93, v177
	v_mov_b32_e32 v96, v206
	v_mov_b32_e32 v97, v207
	v_mov_b32_e32 v94, v74
	v_mov_b32_e32 v95, v75
	v_mov_b32_e32 v106, v142
	v_mov_b32_e32 v107, v143
	v_mov_b32_e32 v89, v28
	s_waitcnt vmcnt(5)
	v_mov_b64_e32 v[0:1], v[218:219]
	v_mov_b32_e32 v90, v226
	v_mov_b32_e32 v91, v227
	v_pk_fma_f32 v[108:109], v[28:29], v[26:27], v[56:57] op_sel_hi:[0,1,1] neg_lo:[1,0,0] neg_hi:[1,0,0]
	scratch_load_dwordx4 v[30:33], off, off offset:2056 ; 16-byte Folded Reload
	scratch_load_dwordx4 v[34:37], off, off offset:2072 ; 16-byte Folded Reload
	;; [unrolled: 1-line block ×8, first 2 shown]
	v_mov_b64_e32 v[2:3], v[220:221]
	v_mov_b64_e32 v[4:5], v[222:223]
	;; [unrolled: 1-line block ×4, first 2 shown]
	scratch_load_dwordx4 v[208:211], off, off offset:2696 ; 16-byte Folded Reload
	scratch_load_dwordx4 v[212:215], off, off offset:2712 ; 16-byte Folded Reload
	;; [unrolled: 1-line block ×8, first 2 shown]
	v_mov_b32_e32 v78, v108
	s_waitcnt vmcnt(12)
	v_mov_b64_e32 v[10:11], v[30:31]
	s_waitcnt vmcnt(11)
	v_mov_b32_e32 v98, v46
	v_mov_b32_e32 v99, v47
	v_mov_b64_e32 v[12:13], v[32:33]
	v_mov_b64_e32 v[14:15], v[34:35]
	;; [unrolled: 1-line block ×8, first 2 shown]
	scratch_load_dwordx4 v[30:33], off, off offset:1416 ; 16-byte Folded Reload
	scratch_load_dwordx4 v[34:37], off, off offset:1432 ; 16-byte Folded Reload
	;; [unrolled: 1-line block ×8, first 2 shown]
	s_waitcnt vmcnt(10)
	v_mov_b32_e32 v102, v228
	v_mov_b32_e32 v103, v229
	s_waitcnt vmcnt(2)
	v_mov_b32_e32 v104, v52
	v_mov_b32_e32 v105, v53
	scratch_load_dwordx4 v[30:33], off, off offset:4 ; 16-byte Folded Reload
	scratch_load_dwordx4 v[34:37], off, off offset:20 ; 16-byte Folded Reload
	;; [unrolled: 1-line block ×8, first 2 shown]
	s_waitcnt vmcnt(6)
	v_mov_b32_e32 v37, v28
	scratch_store_dwordx4 off, v[30:33], off offset:4 ; 16-byte Folded Spill
	s_nop 0
	scratch_store_dwordx4 off, v[34:37], off offset:20 ; 16-byte Folded Spill
	s_waitcnt vmcnt(7)
	scratch_store_dwordx4 off, v[38:41], off offset:36 ; 16-byte Folded Spill
	s_waitcnt vmcnt(7)
	;; [unrolled: 2-line block ×6, first 2 shown]
	scratch_store_dwordx4 off, v[58:61], off offset:116 ; 16-byte Folded Spill
	v_mov_b32_e32 v40, v8
	v_mov_b32_e32 v41, v9
	v_mov_b64_e32 v[0:1], v[10:11]
	v_mov_b64_e32 v[2:3], v[12:13]
	;; [unrolled: 1-line block ×9, first 2 shown]
	v_mov_b32_e32 v50, v162
	v_mov_b32_e32 v51, v163
	scratch_store_dwordx4 off, v[144:147], off offset:1672 ; 16-byte Folded Spill
	s_nop 0
	scratch_store_dwordx4 off, v[148:151], off offset:1688 ; 16-byte Folded Spill
	scratch_store_dwordx4 off, v[152:155], off offset:1704 ; 16-byte Folded Spill
	;; [unrolled: 1-line block ×7, first 2 shown]
	v_mov_b32_e32 v39, v28
	v_mov_b32_e32 v48, v16
	;; [unrolled: 1-line block ×3, first 2 shown]
	scratch_load_dwordx4 v[0:3], off, off offset:1416 ; 16-byte Folded Reload
	scratch_load_dwordx4 v[4:7], off, off offset:1432 ; 16-byte Folded Reload
	;; [unrolled: 1-line block ×8, first 2 shown]
	v_mov_b32_e32 v32, v184
	v_mov_b32_e32 v33, v185
	v_mov_b32_e32 v34, v186
	v_mov_b32_e32 v35, v187
	v_mov_b32_e32 v36, v188
	v_mov_b32_e32 v37, v189
	v_mov_b32_e32 v38, v190
	v_mov_b32_e32 v42, v176
	v_mov_b32_e32 v43, v177
	v_mov_b32_e32 v44, v74
	v_mov_b32_e32 v45, v75
	v_mov_b32_e32 v46, v206
	v_mov_b32_e32 v47, v207
	v_mov_b32_e32 v52, v228
	v_mov_b32_e32 v53, v229
	v_mov_b32_e32 v56, v142
	v_mov_b32_e32 v57, v143
	v_mov_b32_e32 v58, v108
	v_mov_b32_e32 v59, v109
	s_waitcnt vmcnt(2)
	v_mov_b32_e32 v54, v22
	v_mov_b32_e32 v55, v23
	scratch_store_dwordx4 off, v[32:35], off offset:1800 ; 16-byte Folded Spill
	s_nop 0
	scratch_store_dwordx4 off, v[36:39], off offset:1816 ; 16-byte Folded Spill
	scratch_store_dwordx4 off, v[40:43], off offset:1832 ; 16-byte Folded Spill
	;; [unrolled: 1-line block ×7, first 2 shown]
	scratch_load_dwordx4 v[24:27], off, off offset:4 ; 16-byte Folded Reload
	s_nop 0
	scratch_load_dwordx4 v[28:31], off, off offset:20 ; 16-byte Folded Reload
	scratch_load_dwordx4 v[32:35], off, off offset:36 ; 16-byte Folded Reload
	scratch_load_dwordx4 v[36:39], off, off offset:52 ; 16-byte Folded Reload
	scratch_load_dwordx4 v[40:43], off, off offset:68 ; 16-byte Folded Reload
	scratch_load_dwordx4 v[44:47], off, off offset:84 ; 16-byte Folded Reload
	scratch_load_dwordx4 v[48:51], off, off offset:100 ; 16-byte Folded Reload
	scratch_load_dwordx4 v[52:55], off, off offset:116 ; 16-byte Folded Reload
	s_waitcnt vmcnt(7)
	v_mov_b32_e32 v24, v184
	scratch_store_dwordx4 off, v[24:27], off offset:4 ; 16-byte Folded Spill
	s_waitcnt vmcnt(7)
	scratch_store_dwordx4 off, v[28:31], off offset:20 ; 16-byte Folded Spill
	s_waitcnt vmcnt(7)
	scratch_store_dwordx4 off, v[32:35], off offset:36 ; 16-byte Folded Spill
	s_waitcnt vmcnt(7)
	scratch_store_dwordx4 off, v[36:39], off offset:52 ; 16-byte Folded Spill
	s_waitcnt vmcnt(7)
	scratch_store_dwordx4 off, v[40:43], off offset:68 ; 16-byte Folded Spill
	s_waitcnt vmcnt(7)
	scratch_store_dwordx4 off, v[44:47], off offset:84 ; 16-byte Folded Spill
	s_waitcnt vmcnt(7)
	scratch_store_dwordx4 off, v[48:51], off offset:100 ; 16-byte Folded Spill
	s_waitcnt vmcnt(7)
	scratch_store_dwordx4 off, v[52:55], off offset:116 ; 16-byte Folded Spill
	scratch_load_dwordx4 v[24:27], off, off offset:4 ; 16-byte Folded Reload
	s_nop 0
	scratch_load_dwordx4 v[28:31], off, off offset:20 ; 16-byte Folded Reload
	scratch_load_dwordx4 v[32:35], off, off offset:36 ; 16-byte Folded Reload
	scratch_load_dwordx4 v[36:39], off, off offset:52 ; 16-byte Folded Reload
	scratch_load_dwordx4 v[40:43], off, off offset:68 ; 16-byte Folded Reload
	scratch_load_dwordx4 v[44:47], off, off offset:84 ; 16-byte Folded Reload
	scratch_load_dwordx4 v[48:51], off, off offset:100 ; 16-byte Folded Reload
	scratch_load_dwordx4 v[52:55], off, off offset:116 ; 16-byte Folded Reload
	s_waitcnt vmcnt(7)
	v_mov_b32_e32 v25, v185
	scratch_store_dwordx4 off, v[24:27], off offset:4 ; 16-byte Folded Spill
	s_waitcnt vmcnt(7)
	scratch_store_dwordx4 off, v[28:31], off offset:20 ; 16-byte Folded Spill
	s_waitcnt vmcnt(7)
	scratch_store_dwordx4 off, v[32:35], off offset:36 ; 16-byte Folded Spill
	s_waitcnt vmcnt(7)
	scratch_store_dwordx4 off, v[36:39], off offset:52 ; 16-byte Folded Spill
	s_waitcnt vmcnt(7)
	scratch_store_dwordx4 off, v[40:43], off offset:68 ; 16-byte Folded Spill
	s_waitcnt vmcnt(7)
	scratch_store_dwordx4 off, v[44:47], off offset:84 ; 16-byte Folded Spill
	s_waitcnt vmcnt(7)
	scratch_store_dwordx4 off, v[48:51], off offset:100 ; 16-byte Folded Spill
	s_waitcnt vmcnt(7)
	scratch_store_dwordx4 off, v[52:55], off offset:116 ; 16-byte Folded Spill
	;; [unrolled: 26-line block ×4, first 2 shown]
	scratch_load_dwordx4 v[24:27], off, off offset:4 ; 16-byte Folded Reload
	s_nop 0
	scratch_load_dwordx4 v[28:31], off, off offset:20 ; 16-byte Folded Reload
	scratch_load_dwordx4 v[32:35], off, off offset:36 ; 16-byte Folded Reload
	scratch_load_dwordx4 v[36:39], off, off offset:52 ; 16-byte Folded Reload
	scratch_load_dwordx4 v[40:43], off, off offset:68 ; 16-byte Folded Reload
	scratch_load_dwordx4 v[44:47], off, off offset:84 ; 16-byte Folded Reload
	scratch_load_dwordx4 v[48:51], off, off offset:100 ; 16-byte Folded Reload
	scratch_load_dwordx4 v[52:55], off, off offset:116 ; 16-byte Folded Reload
	s_waitcnt vmcnt(6)
	v_mov_b32_e32 v28, v188
	scratch_store_dwordx4 off, v[24:27], off offset:4 ; 16-byte Folded Spill
	s_nop 0
	scratch_store_dwordx4 off, v[28:31], off offset:20 ; 16-byte Folded Spill
	s_waitcnt vmcnt(7)
	scratch_store_dwordx4 off, v[32:35], off offset:36 ; 16-byte Folded Spill
	s_waitcnt vmcnt(7)
	scratch_store_dwordx4 off, v[36:39], off offset:52 ; 16-byte Folded Spill
	s_waitcnt vmcnt(7)
	scratch_store_dwordx4 off, v[40:43], off offset:68 ; 16-byte Folded Spill
	s_waitcnt vmcnt(7)
	scratch_store_dwordx4 off, v[44:47], off offset:84 ; 16-byte Folded Spill
	s_waitcnt vmcnt(7)
	scratch_store_dwordx4 off, v[48:51], off offset:100 ; 16-byte Folded Spill
	s_waitcnt vmcnt(7)
	scratch_store_dwordx4 off, v[52:55], off offset:116 ; 16-byte Folded Spill
	scratch_load_dwordx4 v[24:27], off, off offset:4 ; 16-byte Folded Reload
	s_nop 0
	scratch_load_dwordx4 v[28:31], off, off offset:20 ; 16-byte Folded Reload
	scratch_load_dwordx4 v[32:35], off, off offset:36 ; 16-byte Folded Reload
	scratch_load_dwordx4 v[36:39], off, off offset:52 ; 16-byte Folded Reload
	scratch_load_dwordx4 v[40:43], off, off offset:68 ; 16-byte Folded Reload
	scratch_load_dwordx4 v[44:47], off, off offset:84 ; 16-byte Folded Reload
	scratch_load_dwordx4 v[48:51], off, off offset:100 ; 16-byte Folded Reload
	scratch_load_dwordx4 v[52:55], off, off offset:116 ; 16-byte Folded Reload
	s_waitcnt vmcnt(6)
	v_mov_b32_e32 v29, v189
	scratch_store_dwordx4 off, v[24:27], off offset:4 ; 16-byte Folded Spill
	s_nop 0
	scratch_store_dwordx4 off, v[28:31], off offset:20 ; 16-byte Folded Spill
	s_waitcnt vmcnt(7)
	scratch_store_dwordx4 off, v[32:35], off offset:36 ; 16-byte Folded Spill
	s_waitcnt vmcnt(7)
	scratch_store_dwordx4 off, v[36:39], off offset:52 ; 16-byte Folded Spill
	s_waitcnt vmcnt(7)
	scratch_store_dwordx4 off, v[40:43], off offset:68 ; 16-byte Folded Spill
	s_waitcnt vmcnt(7)
	scratch_store_dwordx4 off, v[44:47], off offset:84 ; 16-byte Folded Spill
	s_waitcnt vmcnt(7)
	scratch_store_dwordx4 off, v[48:51], off offset:100 ; 16-byte Folded Spill
	s_waitcnt vmcnt(7)
	scratch_store_dwordx4 off, v[52:55], off offset:116 ; 16-byte Folded Spill
	;; [unrolled: 26-line block ×3, first 2 shown]
	scratch_load_dwordx4 v[24:27], off, off offset:4 ; 16-byte Folded Reload
	s_nop 0
	scratch_load_dwordx4 v[28:31], off, off offset:20 ; 16-byte Folded Reload
	scratch_load_dwordx4 v[32:35], off, off offset:36 ; 16-byte Folded Reload
	;; [unrolled: 1-line block ×7, first 2 shown]
	scratch_load_dwordx4 v[218:221], off, s4 ; 16-byte Folded Reload
	scratch_load_dwordx4 v[222:225], off, s4 offset:16 ; 16-byte Folded Reload
	scratch_load_dwordx4 v[226:229], off, s4 offset:32 ; 16-byte Folded Reload
	;; [unrolled: 1-line block ×7, first 2 shown]
	s_movk_i32 s4, 0x1608
	s_waitcnt vmcnt(5)
	v_mov_b32_e32 v32, v226
	scratch_store_dwordx4 off, v[24:27], off offset:4 ; 16-byte Folded Spill
	s_nop 0
	scratch_store_dwordx4 off, v[28:31], off offset:20 ; 16-byte Folded Spill
	scratch_store_dwordx4 off, v[32:35], off offset:36 ; 16-byte Folded Spill
	;; [unrolled: 1-line block ×7, first 2 shown]
	scratch_load_dwordx4 v[24:27], off, off offset:4 ; 16-byte Folded Reload
	s_nop 0
	scratch_load_dwordx4 v[28:31], off, off offset:20 ; 16-byte Folded Reload
	scratch_load_dwordx4 v[32:35], off, off offset:36 ; 16-byte Folded Reload
	;; [unrolled: 1-line block ×7, first 2 shown]
	s_waitcnt vmcnt(5)
	v_mov_b32_e32 v33, v227
	scratch_store_dwordx4 off, v[24:27], off offset:4 ; 16-byte Folded Spill
	s_nop 0
	scratch_store_dwordx4 off, v[28:31], off offset:20 ; 16-byte Folded Spill
	scratch_store_dwordx4 off, v[32:35], off offset:36 ; 16-byte Folded Spill
	s_waitcnt vmcnt(7)
	scratch_store_dwordx4 off, v[36:39], off offset:52 ; 16-byte Folded Spill
	s_waitcnt vmcnt(7)
	;; [unrolled: 2-line block ×5, first 2 shown]
	scratch_store_dwordx4 off, v[52:55], off offset:116 ; 16-byte Folded Spill
	scratch_load_dwordx4 v[24:27], off, off offset:4 ; 16-byte Folded Reload
	s_nop 0
	scratch_load_dwordx4 v[28:31], off, off offset:20 ; 16-byte Folded Reload
	scratch_load_dwordx4 v[32:35], off, off offset:36 ; 16-byte Folded Reload
	scratch_load_dwordx4 v[36:39], off, off offset:52 ; 16-byte Folded Reload
	scratch_load_dwordx4 v[40:43], off, off offset:68 ; 16-byte Folded Reload
	scratch_load_dwordx4 v[44:47], off, off offset:84 ; 16-byte Folded Reload
	scratch_load_dwordx4 v[48:51], off, off offset:100 ; 16-byte Folded Reload
	scratch_load_dwordx4 v[52:55], off, off offset:116 ; 16-byte Folded Reload
	s_nop 0
	scratch_store_dwordx4 off, v[166:169], off offset:3976 ; 16-byte Folded Spill
	s_nop 0
	scratch_store_dwordx4 off, v[170:173], off offset:3992 ; 16-byte Folded Spill
	scratch_store_dwordx4 off, v[174:177], off offset:4008 ; 16-byte Folded Spill
	;; [unrolled: 1-line block ×7, first 2 shown]
	s_waitcnt vmcnt(13)
	v_mov_b32_e32 v34, v176
	scratch_store_dwordx4 off, v[24:27], off offset:4 ; 16-byte Folded Spill
	s_nop 0
	scratch_store_dwordx4 off, v[28:31], off offset:20 ; 16-byte Folded Spill
	scratch_store_dwordx4 off, v[32:35], off offset:36 ; 16-byte Folded Spill
	s_waitcnt vmcnt(15)
	scratch_store_dwordx4 off, v[36:39], off offset:52 ; 16-byte Folded Spill
	s_waitcnt vmcnt(15)
	;; [unrolled: 2-line block ×5, first 2 shown]
	scratch_store_dwordx4 off, v[52:55], off offset:116 ; 16-byte Folded Spill
	scratch_load_dwordx4 v[24:27], off, off offset:4 ; 16-byte Folded Reload
	s_nop 0
	scratch_load_dwordx4 v[28:31], off, off offset:20 ; 16-byte Folded Reload
	scratch_load_dwordx4 v[32:35], off, off offset:36 ; 16-byte Folded Reload
	;; [unrolled: 1-line block ×7, first 2 shown]
	s_waitcnt vmcnt(5)
	v_mov_b32_e32 v35, v177
	scratch_store_dwordx4 off, v[24:27], off offset:4 ; 16-byte Folded Spill
	s_nop 0
	scratch_store_dwordx4 off, v[28:31], off offset:20 ; 16-byte Folded Spill
	scratch_store_dwordx4 off, v[32:35], off offset:36 ; 16-byte Folded Spill
	s_waitcnt vmcnt(7)
	scratch_store_dwordx4 off, v[36:39], off offset:52 ; 16-byte Folded Spill
	s_waitcnt vmcnt(7)
	;; [unrolled: 2-line block ×5, first 2 shown]
	scratch_store_dwordx4 off, v[52:55], off offset:116 ; 16-byte Folded Spill
	scratch_load_dwordx4 v[24:27], off, off offset:4 ; 16-byte Folded Reload
	s_nop 0
	scratch_load_dwordx4 v[28:31], off, off offset:20 ; 16-byte Folded Reload
	scratch_load_dwordx4 v[32:35], off, off offset:36 ; 16-byte Folded Reload
	scratch_load_dwordx4 v[36:39], off, off offset:52 ; 16-byte Folded Reload
	scratch_load_dwordx4 v[40:43], off, off offset:68 ; 16-byte Folded Reload
	scratch_load_dwordx4 v[44:47], off, off offset:84 ; 16-byte Folded Reload
	scratch_load_dwordx4 v[48:51], off, off offset:100 ; 16-byte Folded Reload
	scratch_load_dwordx4 v[52:55], off, off offset:116 ; 16-byte Folded Reload
	s_waitcnt vmcnt(4)
	v_mov_b32_e32 v36, v74
	scratch_store_dwordx4 off, v[24:27], off offset:4 ; 16-byte Folded Spill
	s_nop 0
	scratch_store_dwordx4 off, v[28:31], off offset:20 ; 16-byte Folded Spill
	scratch_store_dwordx4 off, v[32:35], off offset:36 ; 16-byte Folded Spill
	scratch_store_dwordx4 off, v[36:39], off offset:52 ; 16-byte Folded Spill
	s_waitcnt vmcnt(7)
	scratch_store_dwordx4 off, v[40:43], off offset:68 ; 16-byte Folded Spill
	s_waitcnt vmcnt(7)
	scratch_store_dwordx4 off, v[44:47], off offset:84 ; 16-byte Folded Spill
	s_waitcnt vmcnt(7)
	scratch_store_dwordx4 off, v[48:51], off offset:100 ; 16-byte Folded Spill
	s_waitcnt vmcnt(7)
	scratch_store_dwordx4 off, v[52:55], off offset:116 ; 16-byte Folded Spill
	scratch_load_dwordx4 v[24:27], off, off offset:4 ; 16-byte Folded Reload
	s_nop 0
	scratch_load_dwordx4 v[28:31], off, off offset:20 ; 16-byte Folded Reload
	scratch_load_dwordx4 v[32:35], off, off offset:36 ; 16-byte Folded Reload
	scratch_load_dwordx4 v[36:39], off, off offset:52 ; 16-byte Folded Reload
	scratch_load_dwordx4 v[40:43], off, off offset:68 ; 16-byte Folded Reload
	scratch_load_dwordx4 v[44:47], off, off offset:84 ; 16-byte Folded Reload
	scratch_load_dwordx4 v[48:51], off, off offset:100 ; 16-byte Folded Reload
	scratch_load_dwordx4 v[52:55], off, off offset:116 ; 16-byte Folded Reload
	s_waitcnt vmcnt(4)
	v_mov_b32_e32 v37, v75
	scratch_store_dwordx4 off, v[24:27], off offset:4 ; 16-byte Folded Spill
	s_nop 0
	scratch_store_dwordx4 off, v[28:31], off offset:20 ; 16-byte Folded Spill
	scratch_store_dwordx4 off, v[32:35], off offset:36 ; 16-byte Folded Spill
	scratch_store_dwordx4 off, v[36:39], off offset:52 ; 16-byte Folded Spill
	s_waitcnt vmcnt(7)
	scratch_store_dwordx4 off, v[40:43], off offset:68 ; 16-byte Folded Spill
	s_waitcnt vmcnt(7)
	scratch_store_dwordx4 off, v[44:47], off offset:84 ; 16-byte Folded Spill
	s_waitcnt vmcnt(7)
	scratch_store_dwordx4 off, v[48:51], off offset:100 ; 16-byte Folded Spill
	s_waitcnt vmcnt(7)
	;; [unrolled: 24-line block ×4, first 2 shown]
	scratch_store_dwordx4 off, v[52:55], off offset:116 ; 16-byte Folded Spill
	scratch_load_dwordx4 v[24:27], off, off offset:4 ; 16-byte Folded Reload
	s_nop 0
	scratch_load_dwordx4 v[28:31], off, off offset:20 ; 16-byte Folded Reload
	scratch_load_dwordx4 v[32:35], off, off offset:36 ; 16-byte Folded Reload
	;; [unrolled: 1-line block ×15, first 2 shown]
	s_waitcnt vmcnt(3)
	v_mov_b32_e32 v40, v160
	scratch_store_dwordx4 off, v[24:27], off offset:4 ; 16-byte Folded Spill
	s_nop 0
	scratch_store_dwordx4 off, v[28:31], off offset:20 ; 16-byte Folded Spill
	scratch_store_dwordx4 off, v[32:35], off offset:36 ; 16-byte Folded Spill
	;; [unrolled: 1-line block ×7, first 2 shown]
	scratch_load_dwordx4 v[24:27], off, off offset:4 ; 16-byte Folded Reload
	s_nop 0
	scratch_load_dwordx4 v[28:31], off, off offset:20 ; 16-byte Folded Reload
	scratch_load_dwordx4 v[32:35], off, off offset:36 ; 16-byte Folded Reload
	;; [unrolled: 1-line block ×7, first 2 shown]
	s_waitcnt vmcnt(3)
	v_mov_b32_e32 v41, v161
	scratch_store_dwordx4 off, v[24:27], off offset:4 ; 16-byte Folded Spill
	s_nop 0
	scratch_store_dwordx4 off, v[28:31], off offset:20 ; 16-byte Folded Spill
	scratch_store_dwordx4 off, v[32:35], off offset:36 ; 16-byte Folded Spill
	;; [unrolled: 1-line block ×4, first 2 shown]
	s_waitcnt vmcnt(7)
	scratch_store_dwordx4 off, v[44:47], off offset:84 ; 16-byte Folded Spill
	s_waitcnt vmcnt(7)
	scratch_store_dwordx4 off, v[48:51], off offset:100 ; 16-byte Folded Spill
	;; [unrolled: 2-line block ×3, first 2 shown]
	scratch_load_dwordx4 v[24:27], off, off offset:4 ; 16-byte Folded Reload
	s_nop 0
	scratch_load_dwordx4 v[28:31], off, off offset:20 ; 16-byte Folded Reload
	scratch_load_dwordx4 v[32:35], off, off offset:36 ; 16-byte Folded Reload
	;; [unrolled: 1-line block ×15, first 2 shown]
	s_waitcnt vmcnt(3)
	v_mov_b32_e32 v42, v162
	scratch_store_dwordx4 off, v[24:27], off offset:4 ; 16-byte Folded Spill
	s_nop 0
	scratch_store_dwordx4 off, v[28:31], off offset:20 ; 16-byte Folded Spill
	scratch_store_dwordx4 off, v[32:35], off offset:36 ; 16-byte Folded Spill
	scratch_store_dwordx4 off, v[36:39], off offset:52 ; 16-byte Folded Spill
	scratch_store_dwordx4 off, v[40:43], off offset:68 ; 16-byte Folded Spill
	scratch_store_dwordx4 off, v[44:47], off offset:84 ; 16-byte Folded Spill
	scratch_store_dwordx4 off, v[48:51], off offset:100 ; 16-byte Folded Spill
	scratch_store_dwordx4 off, v[52:55], off offset:116 ; 16-byte Folded Spill
	scratch_load_dwordx4 v[24:27], off, off offset:4 ; 16-byte Folded Reload
	s_nop 0
	scratch_load_dwordx4 v[28:31], off, off offset:20 ; 16-byte Folded Reload
	scratch_load_dwordx4 v[32:35], off, off offset:36 ; 16-byte Folded Reload
	;; [unrolled: 1-line block ×7, first 2 shown]
	s_waitcnt vmcnt(3)
	v_mov_b32_e32 v43, v163
	scratch_store_dwordx4 off, v[24:27], off offset:4 ; 16-byte Folded Spill
	s_nop 0
	scratch_store_dwordx4 off, v[28:31], off offset:20 ; 16-byte Folded Spill
	scratch_store_dwordx4 off, v[32:35], off offset:36 ; 16-byte Folded Spill
	;; [unrolled: 1-line block ×4, first 2 shown]
	s_waitcnt vmcnt(7)
	scratch_store_dwordx4 off, v[44:47], off offset:84 ; 16-byte Folded Spill
	s_waitcnt vmcnt(7)
	scratch_store_dwordx4 off, v[48:51], off offset:100 ; 16-byte Folded Spill
	;; [unrolled: 2-line block ×3, first 2 shown]
	scratch_load_dwordx4 v[24:27], off, off offset:4 ; 16-byte Folded Reload
	s_nop 0
	scratch_load_dwordx4 v[28:31], off, off offset:20 ; 16-byte Folded Reload
	scratch_load_dwordx4 v[32:35], off, off offset:36 ; 16-byte Folded Reload
	;; [unrolled: 1-line block ×15, first 2 shown]
	s_waitcnt vmcnt(2)
	v_mov_b32_e32 v44, v164
	scratch_store_dwordx4 off, v[24:27], off offset:4 ; 16-byte Folded Spill
	s_nop 0
	scratch_store_dwordx4 off, v[28:31], off offset:20 ; 16-byte Folded Spill
	scratch_store_dwordx4 off, v[32:35], off offset:36 ; 16-byte Folded Spill
	scratch_store_dwordx4 off, v[36:39], off offset:52 ; 16-byte Folded Spill
	scratch_store_dwordx4 off, v[40:43], off offset:68 ; 16-byte Folded Spill
	scratch_store_dwordx4 off, v[44:47], off offset:84 ; 16-byte Folded Spill
	scratch_store_dwordx4 off, v[48:51], off offset:100 ; 16-byte Folded Spill
	scratch_store_dwordx4 off, v[52:55], off offset:116 ; 16-byte Folded Spill
	scratch_load_dwordx4 v[24:27], off, off offset:4 ; 16-byte Folded Reload
	s_nop 0
	scratch_load_dwordx4 v[28:31], off, off offset:20 ; 16-byte Folded Reload
	scratch_load_dwordx4 v[32:35], off, off offset:36 ; 16-byte Folded Reload
	scratch_load_dwordx4 v[36:39], off, off offset:52 ; 16-byte Folded Reload
	scratch_load_dwordx4 v[40:43], off, off offset:68 ; 16-byte Folded Reload
	scratch_load_dwordx4 v[44:47], off, off offset:84 ; 16-byte Folded Reload
	scratch_load_dwordx4 v[48:51], off, off offset:100 ; 16-byte Folded Reload
	scratch_load_dwordx4 v[52:55], off, off offset:116 ; 16-byte Folded Reload
	s_waitcnt vmcnt(2)
	v_mov_b32_e32 v45, v165
	scratch_store_dwordx4 off, v[24:27], off offset:4 ; 16-byte Folded Spill
	s_nop 0
	scratch_store_dwordx4 off, v[28:31], off offset:20 ; 16-byte Folded Spill
	scratch_store_dwordx4 off, v[32:35], off offset:36 ; 16-byte Folded Spill
	scratch_store_dwordx4 off, v[36:39], off offset:52 ; 16-byte Folded Spill
	scratch_store_dwordx4 off, v[40:43], off offset:68 ; 16-byte Folded Spill
	scratch_store_dwordx4 off, v[44:47], off offset:84 ; 16-byte Folded Spill
	s_waitcnt vmcnt(7)
	scratch_store_dwordx4 off, v[48:51], off offset:100 ; 16-byte Folded Spill
	s_waitcnt vmcnt(7)
	scratch_store_dwordx4 off, v[52:55], off offset:116 ; 16-byte Folded Spill
	scratch_load_dwordx4 v[24:27], off, off offset:4 ; 16-byte Folded Reload
	s_nop 0
	scratch_load_dwordx4 v[28:31], off, off offset:20 ; 16-byte Folded Reload
	scratch_load_dwordx4 v[32:35], off, off offset:36 ; 16-byte Folded Reload
	scratch_load_dwordx4 v[36:39], off, off offset:52 ; 16-byte Folded Reload
	scratch_load_dwordx4 v[40:43], off, off offset:68 ; 16-byte Folded Reload
	scratch_load_dwordx4 v[44:47], off, off offset:84 ; 16-byte Folded Reload
	scratch_load_dwordx4 v[48:51], off, off offset:100 ; 16-byte Folded Reload
	scratch_load_dwordx4 v[52:55], off, off offset:116 ; 16-byte Folded Reload
	s_waitcnt vmcnt(2)
	v_mov_b32_e32 v46, v22
	scratch_store_dwordx4 off, v[24:27], off offset:4 ; 16-byte Folded Spill
	s_nop 0
	scratch_store_dwordx4 off, v[28:31], off offset:20 ; 16-byte Folded Spill
	scratch_store_dwordx4 off, v[32:35], off offset:36 ; 16-byte Folded Spill
	scratch_store_dwordx4 off, v[36:39], off offset:52 ; 16-byte Folded Spill
	scratch_store_dwordx4 off, v[40:43], off offset:68 ; 16-byte Folded Spill
	scratch_store_dwordx4 off, v[44:47], off offset:84 ; 16-byte Folded Spill
	s_waitcnt vmcnt(7)
	scratch_store_dwordx4 off, v[48:51], off offset:100 ; 16-byte Folded Spill
	s_waitcnt vmcnt(7)
	scratch_store_dwordx4 off, v[52:55], off offset:116 ; 16-byte Folded Spill
	;; [unrolled: 22-line block ×3, first 2 shown]
	scratch_load_dwordx4 v[24:27], off, off offset:4 ; 16-byte Folded Reload
	s_nop 0
	scratch_load_dwordx4 v[28:31], off, off offset:20 ; 16-byte Folded Reload
	scratch_load_dwordx4 v[32:35], off, off offset:36 ; 16-byte Folded Reload
	scratch_load_dwordx4 v[36:39], off, off offset:52 ; 16-byte Folded Reload
	scratch_load_dwordx4 v[40:43], off, off offset:68 ; 16-byte Folded Reload
	scratch_load_dwordx4 v[44:47], off, off offset:84 ; 16-byte Folded Reload
	scratch_load_dwordx4 v[48:51], off, off offset:100 ; 16-byte Folded Reload
	scratch_load_dwordx4 v[52:55], off, off offset:116 ; 16-byte Folded Reload
	s_waitcnt vmcnt(1)
	v_mov_b32_e32 v48, v142
	scratch_store_dwordx4 off, v[24:27], off offset:4 ; 16-byte Folded Spill
	s_nop 0
	scratch_store_dwordx4 off, v[28:31], off offset:20 ; 16-byte Folded Spill
	scratch_store_dwordx4 off, v[32:35], off offset:36 ; 16-byte Folded Spill
	scratch_store_dwordx4 off, v[36:39], off offset:52 ; 16-byte Folded Spill
	scratch_store_dwordx4 off, v[40:43], off offset:68 ; 16-byte Folded Spill
	scratch_store_dwordx4 off, v[44:47], off offset:84 ; 16-byte Folded Spill
	scratch_store_dwordx4 off, v[48:51], off offset:100 ; 16-byte Folded Spill
	s_waitcnt vmcnt(7)
	scratch_store_dwordx4 off, v[52:55], off offset:116 ; 16-byte Folded Spill
	scratch_load_dwordx4 v[24:27], off, off offset:4 ; 16-byte Folded Reload
	s_nop 0
	scratch_load_dwordx4 v[28:31], off, off offset:20 ; 16-byte Folded Reload
	scratch_load_dwordx4 v[32:35], off, off offset:36 ; 16-byte Folded Reload
	scratch_load_dwordx4 v[36:39], off, off offset:52 ; 16-byte Folded Reload
	scratch_load_dwordx4 v[40:43], off, off offset:68 ; 16-byte Folded Reload
	scratch_load_dwordx4 v[44:47], off, off offset:84 ; 16-byte Folded Reload
	scratch_load_dwordx4 v[48:51], off, off offset:100 ; 16-byte Folded Reload
	scratch_load_dwordx4 v[52:55], off, off offset:116 ; 16-byte Folded Reload
	s_waitcnt vmcnt(1)
	v_mov_b32_e32 v49, v143
	scratch_store_dwordx4 off, v[24:27], off offset:4 ; 16-byte Folded Spill
	s_nop 0
	scratch_store_dwordx4 off, v[28:31], off offset:20 ; 16-byte Folded Spill
	scratch_store_dwordx4 off, v[32:35], off offset:36 ; 16-byte Folded Spill
	scratch_store_dwordx4 off, v[36:39], off offset:52 ; 16-byte Folded Spill
	scratch_store_dwordx4 off, v[40:43], off offset:68 ; 16-byte Folded Spill
	scratch_store_dwordx4 off, v[44:47], off offset:84 ; 16-byte Folded Spill
	scratch_store_dwordx4 off, v[48:51], off offset:100 ; 16-byte Folded Spill
	s_waitcnt vmcnt(7)
	scratch_store_dwordx4 off, v[52:55], off offset:116 ; 16-byte Folded Spill
	scratch_load_dwordx4 v[24:27], off, off offset:4 ; 16-byte Folded Reload
	s_nop 0
	scratch_load_dwordx4 v[28:31], off, off offset:20 ; 16-byte Folded Reload
	scratch_load_dwordx4 v[32:35], off, off offset:36 ; 16-byte Folded Reload
	scratch_load_dwordx4 v[36:39], off, off offset:52 ; 16-byte Folded Reload
	scratch_load_dwordx4 v[40:43], off, off offset:68 ; 16-byte Folded Reload
	scratch_load_dwordx4 v[44:47], off, off offset:84 ; 16-byte Folded Reload
	scratch_load_dwordx4 v[48:51], off, off offset:100 ; 16-byte Folded Reload
	scratch_load_dwordx4 v[52:55], off, off offset:116 ; 16-byte Folded Reload
	s_waitcnt vmcnt(1)
	v_mov_b32_e32 v50, v108
	scratch_store_dwordx4 off, v[24:27], off offset:4 ; 16-byte Folded Spill
	s_nop 0
	scratch_store_dwordx4 off, v[28:31], off offset:20 ; 16-byte Folded Spill
	scratch_store_dwordx4 off, v[32:35], off offset:36 ; 16-byte Folded Spill
	scratch_store_dwordx4 off, v[36:39], off offset:52 ; 16-byte Folded Spill
	scratch_store_dwordx4 off, v[40:43], off offset:68 ; 16-byte Folded Spill
	scratch_store_dwordx4 off, v[44:47], off offset:84 ; 16-byte Folded Spill
	scratch_store_dwordx4 off, v[48:51], off offset:100 ; 16-byte Folded Spill
	s_waitcnt vmcnt(7)
	scratch_store_dwordx4 off, v[52:55], off offset:116 ; 16-byte Folded Spill
	scratch_load_dwordx4 v[24:27], off, off offset:4 ; 16-byte Folded Reload
	s_nop 0
	scratch_load_dwordx4 v[28:31], off, off offset:20 ; 16-byte Folded Reload
	scratch_load_dwordx4 v[32:35], off, off offset:36 ; 16-byte Folded Reload
	scratch_load_dwordx4 v[36:39], off, off offset:52 ; 16-byte Folded Reload
	scratch_load_dwordx4 v[40:43], off, off offset:68 ; 16-byte Folded Reload
	scratch_load_dwordx4 v[44:47], off, off offset:84 ; 16-byte Folded Reload
	scratch_load_dwordx4 v[48:51], off, off offset:100 ; 16-byte Folded Reload
	scratch_load_dwordx4 v[52:55], off, off offset:116 ; 16-byte Folded Reload
	s_waitcnt vmcnt(1)
	v_mov_b32_e32 v51, v109
	scratch_store_dwordx4 off, v[24:27], off offset:4 ; 16-byte Folded Spill
	s_nop 0
	scratch_store_dwordx4 off, v[28:31], off offset:20 ; 16-byte Folded Spill
	scratch_store_dwordx4 off, v[32:35], off offset:36 ; 16-byte Folded Spill
	scratch_store_dwordx4 off, v[36:39], off offset:52 ; 16-byte Folded Spill
	scratch_store_dwordx4 off, v[40:43], off offset:68 ; 16-byte Folded Spill
	scratch_store_dwordx4 off, v[44:47], off offset:84 ; 16-byte Folded Spill
	scratch_store_dwordx4 off, v[48:51], off offset:100 ; 16-byte Folded Spill
	s_waitcnt vmcnt(7)
	scratch_store_dwordx4 off, v[52:55], off offset:116 ; 16-byte Folded Spill
	scratch_store_dwordx4 off, v[184:187], s4 ; 16-byte Folded Spill
	s_nop 0
	scratch_store_dwordx4 off, v[188:191], s4 offset:16 ; 16-byte Folded Spill
	scratch_store_dwordx4 off, v[192:195], s4 offset:32 ; 16-byte Folded Spill
	;; [unrolled: 1-line block ×7, first 2 shown]
	scratch_load_dwordx4 v[24:27], off, off offset:4 ; 16-byte Folded Reload
	scratch_load_dwordx4 v[28:31], off, off offset:20 ; 16-byte Folded Reload
	;; [unrolled: 1-line block ×8, first 2 shown]
	s_movk_i32 s4, 0x1188
	s_waitcnt vmcnt(0)
	v_mov_b32_e32 v80, v52
	scratch_load_dwordx4 v[24:27], off, off offset:4 ; 16-byte Folded Reload
	scratch_load_dwordx4 v[28:31], off, off offset:20 ; 16-byte Folded Reload
	;; [unrolled: 1-line block ×8, first 2 shown]
	s_waitcnt vmcnt(5)
	v_mov_b64_e32 v[24:25], v[218:219]
	v_mov_b64_e32 v[26:27], v[220:221]
	v_mov_b64_e32 v[28:29], v[222:223]
	v_mov_b64_e32 v[30:31], v[224:225]
	v_mov_b64_e32 v[32:33], v[226:227]
	v_mov_b32_e32 v144, v32
	v_mov_b32_e32 v145, v33
	s_waitcnt vmcnt(0)
	v_mov_b32_e32 v81, v53
	scratch_store_dwordx4 off, v[52:55], off offset:260 ; 16-byte Folded Spill
	s_nop 0
	scratch_store_dwordx4 off, v[56:59], off offset:276 ; 16-byte Folded Spill
	scratch_store_dwordx4 off, v[60:63], off offset:292 ; 16-byte Folded Spill
	;; [unrolled: 1-line block ×7, first 2 shown]
	scratch_load_dwordx4 v[24:27], off, off offset:3976 ; 16-byte Folded Reload
	s_nop 0
	scratch_load_dwordx4 v[28:31], off, off offset:3992 ; 16-byte Folded Reload
	scratch_load_dwordx4 v[32:35], off, off offset:4008 ; 16-byte Folded Reload
	;; [unrolled: 1-line block ×7, first 2 shown]
	v_mov_b64_e32 v[164:165], v[72:73]
	v_mov_b64_e32 v[162:163], v[70:71]
	;; [unrolled: 1-line block ×3, first 2 shown]
	s_waitcnt vmcnt(5)
	v_mov_b64_e32 v[178:179], v[34:35]
	v_mov_b64_e32 v[176:177], v[32:33]
	;; [unrolled: 1-line block ×10, first 2 shown]
	v_mov_b32_e32 v146, v178
	v_mov_b32_e32 v111, v179
	;; [unrolled: 1-line block ×3, first 2 shown]
	scratch_store_dwordx4 off, v[154:157], s4 ; 16-byte Folded Spill
	s_nop 0
	scratch_store_dwordx4 off, v[158:161], s4 offset:16 ; 16-byte Folded Spill
	scratch_store_dwordx4 off, v[162:165], s4 offset:32 ; 16-byte Folded Spill
	scratch_store_dwordx4 off, v[166:169], s4 offset:48 ; 16-byte Folded Spill
	scratch_store_dwordx4 off, v[170:173], s4 offset:64 ; 16-byte Folded Spill
	scratch_store_dwordx4 off, v[174:177], s4 offset:80 ; 16-byte Folded Spill
	scratch_store_dwordx4 off, v[178:181], s4 offset:96 ; 16-byte Folded Spill
	scratch_store_dwordx4 off, v[182:185], s4 offset:112 ; 16-byte Folded Spill
	v_mov_b32_e32 v158, v206
	v_mov_b64_e32 v[68:69], v[134:135]
	v_mov_b64_e32 v[184:185], v[192:193]
	;; [unrolled: 1-line block ×7, first 2 shown]
	v_mov_b32_e32 v196, v204
	v_mov_b32_e32 v197, v205
	;; [unrolled: 1-line block ×3, first 2 shown]
	scratch_store_dwordx4 off, v[184:187], off offset:3208 ; 16-byte Folded Spill
	s_nop 0
	scratch_store_dwordx4 off, v[188:191], off offset:3224 ; 16-byte Folded Spill
	scratch_store_dwordx4 off, v[192:195], off offset:3240 ; 16-byte Folded Spill
	;; [unrolled: 1-line block ×8, first 2 shown]
	s_nop 0
	scratch_store_dwordx4 off, v[196:199], off offset:1176 ; 16-byte Folded Spill
	scratch_store_dwordx4 off, v[200:203], off offset:1192 ; 16-byte Folded Spill
	;; [unrolled: 1-line block ×7, first 2 shown]
	scratch_load_dwordx4 v[24:27], off, off offset:2056 ; 16-byte Folded Reload
	scratch_load_dwordx4 v[28:31], off, off offset:2072 ; 16-byte Folded Reload
	;; [unrolled: 1-line block ×8, first 2 shown]
	s_waitcnt vmcnt(0)
	v_mov_b64_e32 v[52:53], v[118:119]
	v_mov_b64_e32 v[54:55], v[120:121]
	;; [unrolled: 1-line block ×21, first 2 shown]
	v_mov_b32_e32 v24, v42
	scratch_store_dwordx4 off, v[8:11], off offset:776 ; 16-byte Folded Spill
	s_nop 0
	scratch_store_dwordx4 off, v[12:15], off offset:792 ; 16-byte Folded Spill
	scratch_store_dwordx4 off, v[16:19], off offset:808 ; 16-byte Folded Spill
	;; [unrolled: 1-line block ×7, first 2 shown]
	scratch_load_dwordx4 v[182:185], off, off offset:4 ; 16-byte Folded Reload
	scratch_load_dwordx4 v[186:189], off, off offset:20 ; 16-byte Folded Reload
	;; [unrolled: 1-line block ×8, first 2 shown]
	v_mov_b64_e32 v[24:25], v[26:27]
	v_mov_b64_e32 v[26:27], v[28:29]
	;; [unrolled: 1-line block ×9, first 2 shown]
	v_mov_b32_e32 v25, v41
	scratch_store_dwordx4 off, v[8:11], off offset:1544 ; 16-byte Folded Spill
	s_nop 0
	scratch_store_dwordx4 off, v[12:15], off offset:1560 ; 16-byte Folded Spill
	scratch_store_dwordx4 off, v[16:19], off offset:1576 ; 16-byte Folded Spill
	;; [unrolled: 1-line block ×7, first 2 shown]
	scratch_load_dwordx4 v[112:115], off, off offset:2696 ; 16-byte Folded Reload
	scratch_load_dwordx4 v[116:119], off, off offset:2712 ; 16-byte Folded Reload
	;; [unrolled: 1-line block ×8, first 2 shown]
	s_waitcnt vmcnt(4)
	v_mov_b64_e32 v[226:227], v[126:127]
	v_mov_b64_e32 v[224:225], v[124:125]
	s_waitcnt vmcnt(2)
	v_mov_b64_e32 v[232:233], v[132:133]
	v_mov_b64_e32 v[222:223], v[122:123]
	;; [unrolled: 1-line block ×9, first 2 shown]
	scratch_load_dwordx4 v[112:115], off, off offset:1672 ; 16-byte Folded Reload
	scratch_load_dwordx4 v[116:119], off, off offset:1688 ; 16-byte Folded Reload
	;; [unrolled: 1-line block ×8, first 2 shown]
	s_waitcnt vmcnt(3)
	v_mov_b32_e32 v24, v130
	scratch_store_dwordx4 off, v[6:9], off offset:648 ; 16-byte Folded Spill
	s_nop 0
	scratch_store_dwordx4 off, v[10:13], off offset:664 ; 16-byte Folded Spill
	scratch_store_dwordx4 off, v[14:17], off offset:680 ; 16-byte Folded Spill
	;; [unrolled: 1-line block ×8, first 2 shown]
	s_nop 0
	scratch_store_dwordx4 off, v[116:119], off offset:408 ; 16-byte Folded Spill
	scratch_store_dwordx4 off, v[120:123], off offset:424 ; 16-byte Folded Spill
	;; [unrolled: 1-line block ×4, first 2 shown]
	s_waitcnt vmcnt(15)
	scratch_store_dwordx4 off, v[132:135], off offset:472 ; 16-byte Folded Spill
	s_waitcnt vmcnt(15)
	scratch_store_dwordx4 off, v[136:139], off offset:488 ; 16-byte Folded Spill
	s_waitcnt vmcnt(15)
	scratch_store_dwordx4 off, v[140:143], off offset:504 ; 16-byte Folded Spill
	v_mov_b32_e32 v24, v232
	scratch_store_dwordx4 off, v[4:7], off offset:1288 ; 16-byte Folded Spill
	s_nop 0
	scratch_store_dwordx4 off, v[8:11], off offset:1304 ; 16-byte Folded Spill
	scratch_store_dwordx4 off, v[12:15], off offset:1320 ; 16-byte Folded Spill
	;; [unrolled: 1-line block ×8, first 2 shown]
	s_nop 0
	scratch_store_dwordx4 off, v[216:219], off offset:1048 ; 16-byte Folded Spill
	scratch_store_dwordx4 off, v[220:223], off offset:1064 ; 16-byte Folded Spill
	;; [unrolled: 1-line block ×7, first 2 shown]
	v_mov_b64_e32 v[140:141], v[22:23]
	v_mov_b64_e32 v[138:139], v[20:21]
	v_mov_b32_e32 v24, v140
	v_mov_b64_e32 v[136:137], v[18:19]
	v_mov_b64_e32 v[134:135], v[16:17]
	scratch_store_dwordx4 off, v[2:5], off offset:904 ; 16-byte Folded Spill
	s_nop 0
	scratch_store_dwordx4 off, v[6:9], off offset:920 ; 16-byte Folded Spill
	scratch_store_dwordx4 off, v[10:13], off offset:936 ; 16-byte Folded Spill
	;; [unrolled: 1-line block ×8, first 2 shown]
	s_nop 0
	scratch_store_dwordx4 off, v[4:7], off offset:536 ; 16-byte Folded Spill
	scratch_store_dwordx4 off, v[8:11], off offset:552 ; 16-byte Folded Spill
	;; [unrolled: 1-line block ×7, first 2 shown]
	v_mov_b32_e32 v138, v76
	scratch_store_dwordx4 off, v[52:55], off offset:2312 ; 16-byte Folded Spill
	s_nop 0
	scratch_store_dwordx4 off, v[56:59], off offset:2328 ; 16-byte Folded Spill
	scratch_store_dwordx4 off, v[60:63], off offset:2344 ; 16-byte Folded Spill
	;; [unrolled: 1-line block ×8, first 2 shown]
	s_nop 0
	scratch_store_dwordx4 off, v[86:89], off offset:1944 ; 16-byte Folded Spill
	scratch_store_dwordx4 off, v[90:93], off offset:1960 ; 16-byte Folded Spill
	;; [unrolled: 1-line block ×7, first 2 shown]
	v_mov_b32_e32 v139, v77
	v_mov_b32_e32 v87, v109
.LBB59_43:
	s_or_b64 exec, exec, s[2:3]
	v_cmp_eq_u32_e32 vcc, 8, v255
	s_waitcnt vmcnt(63) expcnt(7) lgkmcnt(15)
	s_barrier
	s_and_saveexec_b64 s[2:3], vcc
	s_cbranch_execz .LBB59_46
; %bb.44:
	scratch_load_dword v0, off, off offset:388 ; 4-byte Folded Reload
	ds_write_b32 v254, v144
	s_waitcnt vmcnt(0)
	ds_write2_b32 v0, v191, v192 offset0:9 offset1:10
	ds_write2_b32 v0, v193, v194 offset0:11 offset1:12
	;; [unrolled: 1-line block ×10, first 2 shown]
	scratch_load_dwordx4 v[30:33], off, off offset:260 ; 16-byte Folded Reload
	scratch_load_dwordx4 v[34:37], off, off offset:276 ; 16-byte Folded Reload
	;; [unrolled: 1-line block ×8, first 2 shown]
	s_waitcnt vmcnt(0)
	ds_write_b32 v0, v59 offset:116
	ds_read_b32 v30, v254
	s_waitcnt lgkmcnt(0)
	v_cmp_neq_f32_e32 vcc, 0, v30
	s_and_b64 exec, exec, vcc
	s_cbranch_execz .LBB59_46
; %bb.45:
	v_div_scale_f32 v31, s[4:5], v30, v30, 1.0
	v_rcp_f32_e32 v32, v31
	v_div_scale_f32 v33, vcc, 1.0, v30, 1.0
	v_fma_f32 v34, -v31, v32, 1.0
	v_fmac_f32_e32 v32, v34, v32
	v_mul_f32_e32 v34, v33, v32
	v_fma_f32 v35, -v31, v34, v33
	v_fmac_f32_e32 v34, v35, v32
	v_fma_f32 v31, -v31, v34, v33
	v_div_fmas_f32 v31, v31, v32, v34
	v_div_fixup_f32 v30, v31, v30, 1.0
	ds_write_b32 v254, v30
.LBB59_46:
	s_or_b64 exec, exec, s[2:3]
	s_waitcnt lgkmcnt(0)
	s_barrier
	ds_read_b32 v148, v254
	v_cmp_lt_u32_e32 vcc, 8, v255
	s_and_saveexec_b64 s[2:3], vcc
	s_cbranch_execz .LBB59_48
; %bb.47:
	s_movk_i32 s4, 0x1608
	scratch_load_dwordx4 v[82:85], off, s4  ; 16-byte Folded Reload
	scratch_load_dwordx4 v[86:89], off, s4 offset:16 ; 16-byte Folded Reload
	scratch_load_dwordx4 v[90:93], off, s4 offset:32 ; 16-byte Folded Reload
	scratch_load_dwordx4 v[94:97], off, s4 offset:48 ; 16-byte Folded Reload
	scratch_load_dwordx4 v[98:101], off, s4 offset:64 ; 16-byte Folded Reload
	scratch_load_dwordx4 v[102:105], off, s4 offset:80 ; 16-byte Folded Reload
	scratch_load_dwordx4 v[106:109], off, s4 offset:96 ; 16-byte Folded Reload
	scratch_load_dwordx4 v[110:113], off, s4 offset:112 ; 16-byte Folded Reload
	scratch_load_dword v10, off, off offset:388 ; 4-byte Folded Reload
	s_waitcnt vmcnt(6) lgkmcnt(0)
	v_mul_f32_e32 v90, v144, v148
	v_mov_b32_e32 v2, v191
	v_mov_b32_e32 v3, v192
	s_movk_i32 s4, 0x1208
	v_mov_b32_e32 v230, v90
	v_mov_b32_e32 v176, v90
	;; [unrolled: 1-line block ×11, first 2 shown]
	s_waitcnt vmcnt(0)
	ds_read2_b32 v[0:1], v10 offset0:9 offset1:10
	ds_read2_b32 v[4:5], v10 offset0:11 offset1:12
	;; [unrolled: 1-line block ×4, first 2 shown]
	v_mov_b32_e32 v168, v82
	v_mov_b32_e32 v169, v83
	;; [unrolled: 1-line block ×3, first 2 shown]
	s_waitcnt lgkmcnt(3)
	v_pk_fma_f32 v[30:31], v[90:91], v[0:1], v[2:3] op_sel_hi:[0,1,1] neg_lo:[1,0,0] neg_hi:[1,0,0]
	v_mov_b32_e32 v0, v193
	v_mov_b32_e32 v1, v194
	s_waitcnt lgkmcnt(2)
	v_pk_fma_f32 v[32:33], v[90:91], v[4:5], v[0:1] op_sel_hi:[0,1,1] neg_lo:[1,0,0] neg_hi:[1,0,0]
	v_mov_b32_e32 v0, v195
	v_mov_b32_e32 v1, v196
	;; [unrolled: 4-line block ×3, first 2 shown]
	s_waitcnt lgkmcnt(0)
	v_pk_fma_f32 v[36:37], v[90:91], v[8:9], v[0:1] op_sel_hi:[0,1,1] neg_lo:[1,0,0] neg_hi:[1,0,0]
	ds_read2_b32 v[0:1], v10 offset0:17 offset1:18
	ds_read2_b32 v[4:5], v10 offset0:19 offset1:20
	;; [unrolled: 1-line block ×4, first 2 shown]
	v_mov_b32_e32 v2, v199
	v_mov_b32_e32 v3, v200
	;; [unrolled: 1-line block ×3, first 2 shown]
	s_waitcnt lgkmcnt(3)
	v_pk_fma_f32 v[38:39], v[90:91], v[0:1], v[2:3] op_sel_hi:[0,1,1] neg_lo:[1,0,0] neg_hi:[1,0,0]
	v_mov_b32_e32 v0, v201
	v_mov_b32_e32 v1, v202
	s_waitcnt lgkmcnt(2)
	v_pk_fma_f32 v[40:41], v[90:91], v[4:5], v[0:1] op_sel_hi:[0,1,1] neg_lo:[1,0,0] neg_hi:[1,0,0]
	v_mov_b32_e32 v0, v203
	v_mov_b32_e32 v1, v204
	;; [unrolled: 4-line block ×3, first 2 shown]
	s_waitcnt lgkmcnt(0)
	v_pk_fma_f32 v[44:45], v[90:91], v[8:9], v[0:1] op_sel_hi:[0,1,1] neg_lo:[1,0,0] neg_hi:[1,0,0]
	ds_read2_b32 v[0:1], v10 offset0:25 offset1:26
	ds_read2_b32 v[4:5], v10 offset0:27 offset1:28
	ds_read_b32 v6, v10 offset:116
	scratch_load_dwordx4 v[50:53], off, off offset:260 ; 16-byte Folded Reload
	scratch_load_dwordx4 v[54:57], off, off offset:276 ; 16-byte Folded Reload
	scratch_load_dwordx4 v[58:61], off, off offset:292 ; 16-byte Folded Reload
	scratch_load_dwordx4 v[62:65], off, off offset:308 ; 16-byte Folded Reload
	scratch_load_dwordx4 v[66:69], off, off offset:324 ; 16-byte Folded Reload
	scratch_load_dwordx4 v[70:73], off, off offset:340 ; 16-byte Folded Reload
	scratch_load_dwordx4 v[74:77], off, off offset:356 ; 16-byte Folded Reload
	scratch_load_dwordx4 v[78:81], off, off offset:372 ; 16-byte Folded Reload
	v_mov_b32_e32 v2, v207
	v_mov_b32_e32 v3, v208
	s_waitcnt lgkmcnt(2)
	v_pk_fma_f32 v[46:47], v[90:91], v[0:1], v[2:3] op_sel_hi:[0,1,1] neg_lo:[1,0,0] neg_hi:[1,0,0]
	v_mov_b32_e32 v0, v209
	v_mov_b32_e32 v1, v210
	s_waitcnt lgkmcnt(1)
	v_pk_fma_f32 v[48:49], v[90:91], v[4:5], v[0:1] op_sel_hi:[0,1,1] neg_lo:[1,0,0] neg_hi:[1,0,0]
	v_mov_b32_e32 v0, v82
	v_mov_b32_e32 v1, v83
	;; [unrolled: 1-line block ×32, first 2 shown]
	s_waitcnt vmcnt(7)
	v_mov_b32_e32 v50, v47
	v_mov_b32_e32 v52, v49
	;; [unrolled: 1-line block ×20, first 2 shown]
	s_waitcnt vmcnt(0) lgkmcnt(0)
	v_fma_f32 v211, -v90, v6, v79
	v_mov_b32_e32 v6, v88
	scratch_store_dwordx4 off, v[0:3], s4   ; 16-byte Folded Spill
	s_nop 0
	scratch_store_dwordx4 off, v[4:7], s4 offset:16 ; 16-byte Folded Spill
	scratch_store_dwordx4 off, v[8:11], s4 offset:32 ; 16-byte Folded Spill
	;; [unrolled: 1-line block ×7, first 2 shown]
	v_mov_b32_e32 v12, v33
	s_movk_i32 s4, 0x1188
	v_mov_b32_e32 v53, v211
	scratch_store_dwordx4 off, v[0:3], s4   ; 16-byte Folded Spill
	s_nop 0
	scratch_store_dwordx4 off, v[4:7], s4 offset:16 ; 16-byte Folded Spill
	scratch_store_dwordx4 off, v[8:11], s4 offset:32 ; 16-byte Folded Spill
	;; [unrolled: 1-line block ×7, first 2 shown]
	v_mov_b32_e32 v13, v34
	s_movk_i32 s4, 0x1008
	scratch_store_dwordx4 off, v[0:3], s4   ; 16-byte Folded Spill
	s_nop 0
	scratch_store_dwordx4 off, v[4:7], s4 offset:16 ; 16-byte Folded Spill
	scratch_store_dwordx4 off, v[8:11], s4 offset:32 ; 16-byte Folded Spill
	;; [unrolled: 1-line block ×7, first 2 shown]
	v_mov_b32_e32 v14, v35
	s_movk_i32 s4, 0x1488
	scratch_store_dwordx4 off, v[0:3], off offset:3208 ; 16-byte Folded Spill
	s_nop 0
	scratch_store_dwordx4 off, v[4:7], off offset:3224 ; 16-byte Folded Spill
	scratch_store_dwordx4 off, v[8:11], off offset:3240 ; 16-byte Folded Spill
	;; [unrolled: 1-line block ×7, first 2 shown]
	v_mov_b32_e32 v15, v36
	scratch_store_dwordx4 off, v[0:3], off offset:3336 ; 16-byte Folded Spill
	s_nop 0
	scratch_store_dwordx4 off, v[4:7], off offset:3352 ; 16-byte Folded Spill
	scratch_store_dwordx4 off, v[8:11], off offset:3368 ; 16-byte Folded Spill
	;; [unrolled: 1-line block ×7, first 2 shown]
	v_mov_b32_e32 v16, v37
	v_mov_b32_e32 v17, v38
	;; [unrolled: 1-line block ×4, first 2 shown]
	scratch_store_dwordx4 off, v[222:225], off offset:2056 ; 16-byte Folded Spill
	s_nop 0
	scratch_store_dwordx4 off, v[226:229], off offset:2072 ; 16-byte Folded Spill
	scratch_store_dwordx4 off, v[230:233], off offset:2088 ; 16-byte Folded Spill
	;; [unrolled: 1-line block ×8, first 2 shown]
	s_nop 0
	scratch_store_dwordx4 off, v[4:7], off offset:2968 ; 16-byte Folded Spill
	scratch_store_dwordx4 off, v[8:11], off offset:2984 ; 16-byte Folded Spill
	scratch_store_dwordx4 off, v[12:15], off offset:3000 ; 16-byte Folded Spill
	scratch_store_dwordx4 off, v[16:19], off offset:3016 ; 16-byte Folded Spill
	scratch_store_dwordx4 off, v[20:23], off offset:3032 ; 16-byte Folded Spill
	scratch_store_dwordx4 off, v[24:27], off offset:3048 ; 16-byte Folded Spill
	scratch_store_dwordx4 off, v[28:31], off offset:3064 ; 16-byte Folded Spill
	v_mov_b32_e32 v18, v39
	scratch_store_dwordx4 off, v[0:3], off offset:1672 ; 16-byte Folded Spill
	s_nop 0
	scratch_store_dwordx4 off, v[4:7], off offset:1688 ; 16-byte Folded Spill
	scratch_store_dwordx4 off, v[8:11], off offset:1704 ; 16-byte Folded Spill
	scratch_store_dwordx4 off, v[12:15], off offset:1720 ; 16-byte Folded Spill
	scratch_store_dwordx4 off, v[16:19], off offset:1736 ; 16-byte Folded Spill
	scratch_store_dwordx4 off, v[20:23], off offset:1752 ; 16-byte Folded Spill
	scratch_store_dwordx4 off, v[24:27], off offset:1768 ; 16-byte Folded Spill
	scratch_store_dwordx4 off, v[28:31], off offset:1784 ; 16-byte Folded Spill
	v_mov_b32_e32 v19, v40
	scratch_store_dwordx4 off, v[0:3], off offset:2824 ; 16-byte Folded Spill
	;; [unrolled: 10-line block ×6, first 2 shown]
	s_nop 0
	scratch_store_dwordx4 off, v[4:7], off offset:2456 ; 16-byte Folded Spill
	scratch_store_dwordx4 off, v[8:11], off offset:2472 ; 16-byte Folded Spill
	scratch_store_dwordx4 off, v[12:15], off offset:2488 ; 16-byte Folded Spill
	scratch_store_dwordx4 off, v[16:19], off offset:2504 ; 16-byte Folded Spill
	scratch_store_dwordx4 off, v[20:23], off offset:2520 ; 16-byte Folded Spill
	scratch_store_dwordx4 off, v[24:27], off offset:2536 ; 16-byte Folded Spill
	scratch_store_dwordx4 off, v[28:31], off offset:2552 ; 16-byte Folded Spill
	s_nop 0
	v_mov_b32_e32 v24, v45
	scratch_store_dwordx4 off, v[0:3], off offset:2312 ; 16-byte Folded Spill
	s_nop 0
	scratch_store_dwordx4 off, v[4:7], off offset:2328 ; 16-byte Folded Spill
	scratch_store_dwordx4 off, v[8:11], off offset:2344 ; 16-byte Folded Spill
	scratch_store_dwordx4 off, v[12:15], off offset:2360 ; 16-byte Folded Spill
	scratch_store_dwordx4 off, v[16:19], off offset:2376 ; 16-byte Folded Spill
	scratch_store_dwordx4 off, v[20:23], off offset:2392 ; 16-byte Folded Spill
	scratch_store_dwordx4 off, v[24:27], off offset:2408 ; 16-byte Folded Spill
	scratch_store_dwordx4 off, v[28:31], off offset:2424 ; 16-byte Folded Spill
	s_nop 0
	v_mov_b32_e32 v25, v46
	scratch_store_dwordx4 off, v[0:3], off offset:2184 ; 16-byte Folded Spill
	;; [unrolled: 11-line block ×4, first 2 shown]
	s_nop 0
	scratch_store_dwordx4 off, v[4:7], off offset:1816 ; 16-byte Folded Spill
	scratch_store_dwordx4 off, v[8:11], off offset:1832 ; 16-byte Folded Spill
	;; [unrolled: 1-line block ×7, first 2 shown]
	scratch_store_dwordx4 off, v[82:85], s4 ; 16-byte Folded Spill
	s_nop 0
	scratch_store_dwordx4 off, v[86:89], s4 offset:16 ; 16-byte Folded Spill
	scratch_store_dwordx4 off, v[90:93], s4 offset:32 ; 16-byte Folded Spill
	scratch_store_dwordx4 off, v[94:97], s4 offset:48 ; 16-byte Folded Spill
	scratch_store_dwordx4 off, v[98:101], s4 offset:64 ; 16-byte Folded Spill
	scratch_store_dwordx4 off, v[102:105], s4 offset:80 ; 16-byte Folded Spill
	scratch_store_dwordx4 off, v[106:109], s4 offset:96 ; 16-byte Folded Spill
	scratch_store_dwordx4 off, v[110:113], s4 offset:112 ; 16-byte Folded Spill
	s_movk_i32 s4, 0x1408
	scratch_store_dwordx4 off, v[82:85], s4 ; 16-byte Folded Spill
	s_nop 0
	scratch_store_dwordx4 off, v[86:89], s4 offset:16 ; 16-byte Folded Spill
	scratch_store_dwordx4 off, v[90:93], s4 offset:32 ; 16-byte Folded Spill
	;; [unrolled: 1-line block ×7, first 2 shown]
	v_mov_b32_e32 v191, v30
	v_mov_b32_e32 v192, v31
	scratch_store_dwordx4 off, v[24:27], off offset:260 ; 16-byte Folded Spill
	s_nop 0
	scratch_store_dwordx4 off, v[28:31], off offset:276 ; 16-byte Folded Spill
	scratch_store_dwordx4 off, v[32:35], off offset:292 ; 16-byte Folded Spill
	;; [unrolled: 1-line block ×7, first 2 shown]
	v_mov_b32_e32 v145, v30
	v_mov_b32_e32 v146, v31
	;; [unrolled: 1-line block ×9, first 2 shown]
	scratch_store_dwordx4 off, v[0:3], off offset:1160 ; 16-byte Folded Spill
	s_nop 0
	scratch_store_dwordx4 off, v[4:7], off offset:1176 ; 16-byte Folded Spill
	scratch_store_dwordx4 off, v[8:11], off offset:1192 ; 16-byte Folded Spill
	scratch_store_dwordx4 off, v[12:15], off offset:1208 ; 16-byte Folded Spill
	scratch_store_dwordx4 off, v[16:19], off offset:1224 ; 16-byte Folded Spill
	scratch_store_dwordx4 off, v[20:23], off offset:1240 ; 16-byte Folded Spill
	scratch_store_dwordx4 off, v[24:27], off offset:1256 ; 16-byte Folded Spill
	scratch_store_dwordx4 off, v[28:31], off offset:1272 ; 16-byte Folded Spill
	scratch_store_dwordx4 off, v[0:3], off offset:776 ; 16-byte Folded Spill
	s_nop 0
	scratch_store_dwordx4 off, v[4:7], off offset:792 ; 16-byte Folded Spill
	scratch_store_dwordx4 off, v[8:11], off offset:808 ; 16-byte Folded Spill
	scratch_store_dwordx4 off, v[12:15], off offset:824 ; 16-byte Folded Spill
	scratch_store_dwordx4 off, v[16:19], off offset:840 ; 16-byte Folded Spill
	scratch_store_dwordx4 off, v[20:23], off offset:856 ; 16-byte Folded Spill
	scratch_store_dwordx4 off, v[24:27], off offset:872 ; 16-byte Folded Spill
	scratch_store_dwordx4 off, v[28:31], off offset:888 ; 16-byte Folded Spill
	;; [unrolled: 9-line block ×9, first 2 shown]
.LBB59_48:
	s_or_b64 exec, exec, s[2:3]
	v_cmp_eq_u32_e32 vcc, 9, v255
	s_waitcnt lgkmcnt(0)
	s_barrier
	s_and_saveexec_b64 s[2:3], vcc
	s_cbranch_execz .LBB59_51
; %bb.49:
	scratch_load_dword v0, off, off offset:388 ; 4-byte Folded Reload
	ds_write_b32 v254, v145
	s_waitcnt vmcnt(0)
	ds_write2_b64 v0, v[192:193], v[194:195] offset0:5 offset1:6
	ds_write2_b64 v0, v[196:197], v[198:199] offset0:7 offset1:8
	;; [unrolled: 1-line block ×5, first 2 shown]
	ds_read_b32 v30, v254
	s_waitcnt lgkmcnt(0)
	v_cmp_neq_f32_e32 vcc, 0, v30
	s_and_b64 exec, exec, vcc
	s_cbranch_execz .LBB59_51
; %bb.50:
	v_div_scale_f32 v31, s[4:5], v30, v30, 1.0
	v_rcp_f32_e32 v32, v31
	v_div_scale_f32 v33, vcc, 1.0, v30, 1.0
	v_fma_f32 v34, -v31, v32, 1.0
	v_fmac_f32_e32 v32, v34, v32
	v_mul_f32_e32 v34, v33, v32
	v_fma_f32 v35, -v31, v34, v33
	v_fmac_f32_e32 v34, v35, v32
	v_fma_f32 v31, -v31, v34, v33
	v_div_fmas_f32 v31, v31, v32, v34
	v_div_fixup_f32 v30, v31, v30, 1.0
	ds_write_b32 v254, v30
.LBB59_51:
	s_or_b64 exec, exec, s[2:3]
	s_waitcnt lgkmcnt(0)
	s_barrier
	ds_read_b32 v153, v254
	v_cmp_lt_u32_e32 vcc, 9, v255
	s_and_saveexec_b64 s[2:3], vcc
	s_cbranch_execz .LBB59_53
; %bb.52:
	scratch_load_dword v50, off, off offset:388 ; 4-byte Folded Reload
	s_waitcnt lgkmcnt(0)
	v_mul_f32_e32 v112, v145, v153
	s_movk_i32 s4, 0x1408
	v_mov_b32_e32 v43, v112
	v_mov_b32_e32 v127, v112
	;; [unrolled: 1-line block ×4, first 2 shown]
	s_waitcnt vmcnt(0)
	ds_read2_b64 v[6:9], v50 offset0:5 offset1:6
	ds_read2_b64 v[30:33], v50 offset0:7 offset1:8
	;; [unrolled: 1-line block ×3, first 2 shown]
	s_waitcnt lgkmcnt(2)
	v_pk_fma_f32 v[10:11], v[112:113], v[6:7], v[192:193] op_sel_hi:[0,1,1] neg_lo:[1,0,0] neg_hi:[1,0,0]
	v_pk_fma_f32 v[166:167], v[112:113], v[8:9], v[194:195] op_sel_hi:[0,1,1] neg_lo:[1,0,0] neg_hi:[1,0,0]
	s_waitcnt lgkmcnt(0)
	v_pk_fma_f32 v[210:211], v[112:113], v[110:111], v[210:211] op_sel_hi:[0,1,1] neg_lo:[1,0,0] neg_hi:[1,0,0]
	v_pk_fma_f32 v[142:143], v[112:113], v[30:31], v[196:197] op_sel_hi:[0,1,1] neg_lo:[1,0,0] neg_hi:[1,0,0]
	scratch_store_dwordx4 off, v[182:185], off offset:4 ; 16-byte Folded Spill
	s_nop 0
	scratch_store_dwordx4 off, v[186:189], off offset:20 ; 16-byte Folded Spill
	scratch_store_dwordx4 off, v[190:193], off offset:36 ; 16-byte Folded Spill
	;; [unrolled: 1-line block ×7, first 2 shown]
	scratch_load_dwordx4 v[168:171], off, s4 ; 16-byte Folded Reload
	s_nop 0
	scratch_load_dwordx4 v[172:175], off, s4 offset:16 ; 16-byte Folded Reload
	scratch_load_dwordx4 v[176:179], off, s4 offset:32 ; 16-byte Folded Reload
	;; [unrolled: 1-line block ×7, first 2 shown]
	v_mov_b32_e32 v9, v112
	s_movk_i32 s4, 0x1208
	v_mov_b32_e32 v96, v166
	v_mov_b32_e32 v97, v167
	;; [unrolled: 1-line block ×6, first 2 shown]
	s_waitcnt vmcnt(5)
	v_mov_b32_e32 v118, v168
	v_mov_b32_e32 v119, v169
	;; [unrolled: 1-line block ×18, first 2 shown]
	v_mov_b64_e32 v[210:211], v[10:11]
	v_mov_b32_e32 v34, v118
	v_mov_b32_e32 v35, v119
	;; [unrolled: 1-line block ×11, first 2 shown]
	scratch_store_dwordx4 off, v[34:37], s4 ; 16-byte Folded Spill
	s_nop 0
	scratch_store_dwordx4 off, v[38:41], s4 offset:16 ; 16-byte Folded Spill
	scratch_store_dwordx4 off, v[42:45], s4 offset:32 ; 16-byte Folded Spill
	;; [unrolled: 1-line block ×7, first 2 shown]
	v_mov_b32_e32 v46, v166
	v_mov_b32_e32 v47, v167
	s_movk_i32 s4, 0x1008
	v_mov_b64_e32 v[208:209], v[8:9]
	v_mov_b64_e32 v[206:207], v[6:7]
	;; [unrolled: 1-line block ×5, first 2 shown]
	v_mov_b32_e32 v164, v210
	v_mov_b32_e32 v165, v211
	;; [unrolled: 1-line block ×22, first 2 shown]
	scratch_store_dwordx4 off, v[34:37], s4 ; 16-byte Folded Spill
	s_nop 0
	scratch_store_dwordx4 off, v[38:41], s4 offset:16 ; 16-byte Folded Spill
	scratch_store_dwordx4 off, v[42:45], s4 offset:32 ; 16-byte Folded Spill
	;; [unrolled: 1-line block ×7, first 2 shown]
	v_mov_b32_e32 v48, v142
	v_mov_b32_e32 v49, v143
	s_movk_i32 s4, 0x1488
	scratch_store_dwordx4 off, v[34:37], off offset:3336 ; 16-byte Folded Spill
	s_nop 0
	scratch_store_dwordx4 off, v[38:41], off offset:3352 ; 16-byte Folded Spill
	scratch_store_dwordx4 off, v[42:45], off offset:3368 ; 16-byte Folded Spill
	;; [unrolled: 1-line block ×7, first 2 shown]
	scratch_load_dwordx4 v[0:3], off, off offset:4 ; 16-byte Folded Reload
	scratch_load_dwordx4 v[4:7], off, off offset:20 ; 16-byte Folded Reload
	;; [unrolled: 1-line block ×8, first 2 shown]
	s_waitcnt vmcnt(0)
	v_mov_b32_e32 v30, v118
	v_mov_b32_e32 v31, v119
	;; [unrolled: 1-line block ×30, first 2 shown]
	v_mov_b64_e32 v[226:227], v[14:15]
	v_mov_b64_e32 v[224:225], v[12:13]
	;; [unrolled: 1-line block ×8, first 2 shown]
	v_mov_b32_e32 v62, v166
	v_mov_b32_e32 v63, v167
	v_mov_b32_e32 v64, v142
	v_mov_b32_e32 v65, v143
	v_pk_fma_f32 v[16:17], v[112:113], v[32:33], v[16:17] op_sel_hi:[0,1,1] neg_lo:[1,0,0] neg_hi:[1,0,0]
	v_mov_b64_e32 v[228:229], v[16:17]
	v_mov_b32_e32 v32, v120
	v_mov_b32_e32 v33, v121
	;; [unrolled: 1-line block ×4, first 2 shown]
	scratch_store_dwordx4 off, v[30:33], off offset:2952 ; 16-byte Folded Spill
	s_nop 0
	scratch_store_dwordx4 off, v[34:37], off offset:2968 ; 16-byte Folded Spill
	scratch_store_dwordx4 off, v[38:41], off offset:2984 ; 16-byte Folded Spill
	;; [unrolled: 1-line block ×7, first 2 shown]
	v_mov_b32_e32 v51, v119
	v_mov_b32_e32 v52, v120
	;; [unrolled: 1-line block ×15, first 2 shown]
	ds_read2_b64 v[6:9], v50 offset0:9 offset1:10
	ds_read2_b64 v[72:75], v50 offset0:11 offset1:12
	scratch_load_dwordx4 v[10:13], off, off offset:4 ; 16-byte Folded Reload
	scratch_load_dwordx4 v[14:17], off, off offset:20 ; 16-byte Folded Reload
	;; [unrolled: 1-line block ×8, first 2 shown]
	s_waitcnt vmcnt(4)
	v_mov_b32_e32 v24, v142
	v_mov_b32_e32 v25, v143
	;; [unrolled: 1-line block ×16, first 2 shown]
	s_waitcnt vmcnt(3)
	v_mov_b32_e32 v26, v228
	v_mov_b32_e32 v27, v229
	v_mov_b64_e32 v[90:91], v[24:25]
	v_mov_b64_e32 v[80:81], v[14:15]
	;; [unrolled: 1-line block ×4, first 2 shown]
	v_mov_b32_e32 v50, v118
	v_mov_b64_e32 v[88:89], v[22:23]
	v_mov_b64_e32 v[86:87], v[20:21]
	;; [unrolled: 1-line block ×4, first 2 shown]
	s_waitcnt lgkmcnt(1)
	v_pk_fma_f32 v[28:29], v[112:113], v[6:7], v[28:29] op_sel_hi:[0,1,1] neg_lo:[1,0,0] neg_hi:[1,0,0]
	v_mov_b64_e32 v[94:95], v[28:29]
	v_mov_b32_e32 v68, v94
	v_mov_b32_e32 v69, v95
	scratch_store_dwordx4 off, v[50:53], off offset:2824 ; 16-byte Folded Spill
	s_nop 0
	scratch_store_dwordx4 off, v[54:57], off offset:2840 ; 16-byte Folded Spill
	scratch_store_dwordx4 off, v[58:61], off offset:2856 ; 16-byte Folded Spill
	;; [unrolled: 1-line block ×4, first 2 shown]
	s_waitcnt lgkmcnt(0)
	scratch_store_dwordx4 off, v[70:73], off offset:2904 ; 16-byte Folded Spill
	scratch_store_dwordx4 off, v[74:77], off offset:2920 ; 16-byte Folded Spill
	;; [unrolled: 1-line block ×3, first 2 shown]
	v_mov_b64_e32 v[92:93], v[26:27]
	scratch_load_dwordx4 v[10:13], off, off offset:4 ; 16-byte Folded Reload
	scratch_load_dwordx4 v[14:17], off, off offset:20 ; 16-byte Folded Reload
	;; [unrolled: 1-line block ×8, first 2 shown]
	v_mov_b64_e32 v[186:187], v[94:95]
	s_waitcnt vmcnt(5)
	v_mov_b32_e32 v18, v94
	v_mov_b32_e32 v19, v95
	v_mov_b64_e32 v[184:185], v[92:93]
	v_mov_b32_e32 v92, v126
	v_mov_b32_e32 v93, v112
	;; [unrolled: 1-line block ×16, first 2 shown]
	v_mov_b64_e32 v[182:183], v[90:91]
	v_mov_b64_e32 v[180:181], v[88:89]
	v_mov_b64_e32 v[178:179], v[86:87]
	v_mov_b64_e32 v[176:177], v[84:85]
	v_mov_b64_e32 v[174:175], v[82:83]
	v_mov_b64_e32 v[172:173], v[80:81]
	v_mov_b64_e32 v[170:171], v[78:79]
	s_waitcnt vmcnt(2)
	v_pk_fma_f32 v[20:21], v[112:113], v[8:9], v[30:31] op_sel_hi:[0,1,1] neg_lo:[1,0,0] neg_hi:[1,0,0]
	v_mov_b64_e32 v[168:169], v[76:77]
	v_mov_b32_e32 v84, v118
	v_mov_b32_e32 v85, v119
	;; [unrolled: 1-line block ×11, first 2 shown]
	scratch_store_dwordx4 off, v[84:87], off offset:2568 ; 16-byte Folded Spill
	s_nop 0
	scratch_store_dwordx4 off, v[88:91], off offset:2584 ; 16-byte Folded Spill
	scratch_store_dwordx4 off, v[92:95], off offset:2600 ; 16-byte Folded Spill
	scratch_store_dwordx4 off, v[96:99], off offset:2616 ; 16-byte Folded Spill
	scratch_store_dwordx4 off, v[100:103], off offset:2632 ; 16-byte Folded Spill
	scratch_store_dwordx4 off, v[104:107], off offset:2648 ; 16-byte Folded Spill
	scratch_store_dwordx4 off, v[108:111], off offset:2664 ; 16-byte Folded Spill
	scratch_store_dwordx4 off, v[112:115], off offset:2680 ; 16-byte Folded Spill
	scratch_load_dwordx4 v[22:25], off, off offset:4 ; 16-byte Folded Reload
	scratch_load_dwordx4 v[26:29], off, off offset:20 ; 16-byte Folded Reload
	;; [unrolled: 1-line block ×8, first 2 shown]
	v_mov_b64_e32 v[92:93], v[184:185]
	s_waitcnt vmcnt(3)
	v_mov_b32_e32 v38, v228
	v_mov_b32_e32 v39, v229
	;; [unrolled: 1-line block ×4, first 2 shown]
	v_mov_b64_e32 v[76:77], v[168:169]
	v_mov_b64_e32 v[94:95], v[186:187]
	s_waitcnt vmcnt(2)
	v_mov_b32_e32 v42, v20
	v_mov_b32_e32 v43, v21
	;; [unrolled: 1-line block ×4, first 2 shown]
	v_mov_b64_e32 v[78:79], v[170:171]
	v_mov_b64_e32 v[80:81], v[172:173]
	s_waitcnt vmcnt(0)
	v_mov_b32_e32 v50, v118
	v_mov_b32_e32 v51, v119
	;; [unrolled: 1-line block ×21, first 2 shown]
	v_mov_b64_e32 v[82:83], v[174:175]
	v_mov_b64_e32 v[84:85], v[176:177]
	v_mov_b64_e32 v[86:87], v[178:179]
	v_mov_b64_e32 v[88:89], v[180:181]
	v_mov_b64_e32 v[90:91], v[182:183]
	v_mov_b32_e32 v96, v20
	v_mov_b32_e32 v97, v21
	;; [unrolled: 1-line block ×5, first 2 shown]
	v_mov_b64_e32 v[182:183], v[36:37]
	v_mov_b64_e32 v[180:181], v[34:35]
	;; [unrolled: 1-line block ×5, first 2 shown]
	v_pk_fma_f32 v[44:45], v[112:113], v[72:73], v[44:45] op_sel_hi:[0,1,1] neg_lo:[1,0,0] neg_hi:[1,0,0]
	v_mov_b64_e32 v[190:191], v[44:45]
	v_mov_b32_e32 v72, v190
	v_mov_b32_e32 v73, v191
	scratch_store_dwordx4 off, v[50:53], off offset:2440 ; 16-byte Folded Spill
	s_nop 0
	scratch_store_dwordx4 off, v[54:57], off offset:2456 ; 16-byte Folded Spill
	scratch_store_dwordx4 off, v[58:61], off offset:2472 ; 16-byte Folded Spill
	;; [unrolled: 1-line block ×7, first 2 shown]
	v_mov_b64_e32 v[172:173], v[26:27]
	v_mov_b64_e32 v[170:171], v[24:25]
	;; [unrolled: 1-line block ×6, first 2 shown]
	scratch_load_dwordx4 v[22:25], off, off offset:4 ; 16-byte Folded Reload
	scratch_load_dwordx4 v[26:29], off, off offset:20 ; 16-byte Folded Reload
	;; [unrolled: 1-line block ×8, first 2 shown]
	s_waitcnt vmcnt(3)
	v_mov_b64_e32 v[38:39], v[92:93]
	v_mov_b64_e32 v[40:41], v[94:95]
	v_mov_b32_e32 v92, v228
	v_mov_b32_e32 v93, v229
	;; [unrolled: 1-line block ×6, first 2 shown]
	s_waitcnt vmcnt(0)
	v_mov_b32_e32 v50, v118
	v_mov_b32_e32 v51, v119
	;; [unrolled: 1-line block ×4, first 2 shown]
	v_mov_b64_e32 v[22:23], v[76:77]
	v_mov_b64_e32 v[24:25], v[78:79]
	;; [unrolled: 1-line block ×8, first 2 shown]
	v_mov_b32_e32 v76, v118
	v_mov_b32_e32 v77, v119
	;; [unrolled: 1-line block ×5, first 2 shown]
	v_pk_fma_f32 v[74:75], v[112:113], v[74:75], v[46:47] op_sel_hi:[0,1,1] neg_lo:[1,0,0] neg_hi:[1,0,0]
	v_mov_b32_e32 v81, v123
	v_mov_b32_e32 v82, v124
	v_mov_b32_e32 v83, v125
	v_mov_b32_e32 v84, v126
	v_mov_b32_e32 v85, v112
	v_mov_b32_e32 v86, v210
	v_mov_b32_e32 v87, v211
	v_mov_b32_e32 v88, v166
	v_mov_b32_e32 v89, v167
	v_mov_b32_e32 v90, v142
	v_mov_b32_e32 v91, v143
	v_mov_b32_e32 v100, v74
	v_mov_b32_e32 v101, v75
	scratch_store_dwordx4 off, v[76:79], off offset:2184 ; 16-byte Folded Spill
	s_nop 0
	scratch_store_dwordx4 off, v[80:83], off offset:2200 ; 16-byte Folded Spill
	scratch_store_dwordx4 off, v[84:87], off offset:2216 ; 16-byte Folded Spill
	;; [unrolled: 1-line block ×7, first 2 shown]
	scratch_load_dwordx4 v[76:79], off, off offset:4 ; 16-byte Folded Reload
	s_nop 0
	scratch_load_dwordx4 v[80:83], off, off offset:20 ; 16-byte Folded Reload
	scratch_load_dwordx4 v[84:87], off, off offset:36 ; 16-byte Folded Reload
	;; [unrolled: 1-line block ×7, first 2 shown]
	s_waitcnt vmcnt(2)
	v_mov_b32_e32 v98, v40
	v_mov_b32_e32 v99, v41
	scratch_store_dwordx4 off, v[22:25], off offset:1672 ; 16-byte Folded Spill
	s_nop 0
	scratch_store_dwordx4 off, v[26:29], off offset:1688 ; 16-byte Folded Spill
	scratch_store_dwordx4 off, v[30:33], off offset:1704 ; 16-byte Folded Spill
	;; [unrolled: 1-line block ×7, first 2 shown]
	v_mov_b32_e32 v96, v228
	v_mov_b32_e32 v97, v229
	v_mov_b64_e32 v[22:23], v[200:201]
	v_mov_b32_e32 v90, v210
	v_mov_b32_e32 v91, v211
	v_mov_b64_e32 v[24:25], v[202:203]
	v_mov_b64_e32 v[26:27], v[204:205]
	;; [unrolled: 1-line block ×5, first 2 shown]
	v_mov_b32_e32 v80, v118
	v_mov_b32_e32 v81, v119
	;; [unrolled: 1-line block ×13, first 2 shown]
	s_waitcnt vmcnt(9)
	v_mov_b32_e32 v100, v20
	v_mov_b32_e32 v101, v21
	s_waitcnt vmcnt(8)
	v_mov_b32_e32 v104, v74
	v_mov_b32_e32 v105, v75
	;; [unrolled: 1-line block ×3, first 2 shown]
	v_pk_fma_f32 v[106:107], v[112:113], v[108:109], v[102:103] op_sel_hi:[0,1,1] neg_lo:[1,0,0] neg_hi:[1,0,0]
	v_mov_b32_e32 v102, v190
	v_mov_b32_e32 v103, v191
	scratch_store_dwordx4 off, v[168:171], off offset:1416 ; 16-byte Folded Spill
	s_nop 0
	scratch_store_dwordx4 off, v[172:175], off offset:1432 ; 16-byte Folded Spill
	scratch_store_dwordx4 off, v[176:179], off offset:1448 ; 16-byte Folded Spill
	;; [unrolled: 1-line block ×7, first 2 shown]
	scratch_load_dwordx4 v[168:171], off, off offset:4 ; 16-byte Folded Reload
	s_nop 0
	scratch_load_dwordx4 v[172:175], off, off offset:20 ; 16-byte Folded Reload
	scratch_load_dwordx4 v[176:179], off, off offset:36 ; 16-byte Folded Reload
	scratch_load_dwordx4 v[180:183], off, off offset:52 ; 16-byte Folded Reload
	scratch_load_dwordx4 v[184:187], off, off offset:68 ; 16-byte Folded Reload
	scratch_load_dwordx4 v[188:191], off, off offset:84 ; 16-byte Folded Reload
	scratch_load_dwordx4 v[192:195], off, off offset:100 ; 16-byte Folded Reload
	scratch_load_dwordx4 v[196:199], off, off offset:116 ; 16-byte Folded Reload
	s_waitcnt vmcnt(5)
	v_mov_b32_e32 v177, v112
	v_mov_b32_e32 v76, v106
	scratch_store_dwordx4 off, v[168:171], off offset:4 ; 16-byte Folded Spill
	s_nop 0
	scratch_store_dwordx4 off, v[172:175], off offset:20 ; 16-byte Folded Spill
	scratch_store_dwordx4 off, v[176:179], off offset:36 ; 16-byte Folded Spill
	s_waitcnt vmcnt(7)
	scratch_store_dwordx4 off, v[180:183], off offset:52 ; 16-byte Folded Spill
	s_waitcnt vmcnt(7)
	;; [unrolled: 2-line block ×5, first 2 shown]
	scratch_store_dwordx4 off, v[196:199], off offset:116 ; 16-byte Folded Spill
	v_mov_b32_e32 v184, v228
	v_mov_b32_e32 v185, v229
	scratch_store_dwordx4 off, v[212:215], off offset:2056 ; 16-byte Folded Spill
	s_nop 0
	scratch_store_dwordx4 off, v[216:219], off offset:2072 ; 16-byte Folded Spill
	scratch_store_dwordx4 off, v[220:223], off offset:2088 ; 16-byte Folded Spill
	scratch_store_dwordx4 off, v[224:227], off offset:2104 ; 16-byte Folded Spill
	scratch_store_dwordx4 off, v[228:231], off offset:2120 ; 16-byte Folded Spill
	scratch_store_dwordx4 off, v[232:235], off offset:2136 ; 16-byte Folded Spill
	scratch_store_dwordx4 off, v[236:239], off offset:2152 ; 16-byte Folded Spill
	scratch_store_dwordx4 off, v[240:243], off offset:2168 ; 16-byte Folded Spill
	scratch_load_dwordx4 v[188:191], off, off offset:1672 ; 16-byte Folded Reload
	s_nop 0
	scratch_load_dwordx4 v[192:195], off, off offset:1688 ; 16-byte Folded Reload
	scratch_load_dwordx4 v[196:199], off, off offset:1704 ; 16-byte Folded Reload
	;; [unrolled: 1-line block ×7, first 2 shown]
	v_mov_b32_e32 v168, v118
	v_mov_b32_e32 v169, v119
	;; [unrolled: 1-line block ×15, first 2 shown]
	s_waitcnt vmcnt(7)
	v_mov_b32_e32 v188, v20
	v_mov_b32_e32 v189, v21
	s_waitcnt vmcnt(3)
	v_mov_b32_e32 v186, v206
	v_mov_b32_e32 v187, v207
	scratch_load_dwordx4 v[190:193], off, off offset:1416 ; 16-byte Folded Reload
	scratch_load_dwordx4 v[194:197], off, off offset:1432 ; 16-byte Folded Reload
	;; [unrolled: 1-line block ×8, first 2 shown]
	s_waitcnt vmcnt(1)
	v_mov_b64_e32 v[214:215], v[212:213]
	v_mov_b64_e32 v[212:213], v[210:211]
	;; [unrolled: 1-line block ×12, first 2 shown]
	v_mov_b32_e32 v190, v214
	v_mov_b32_e32 v191, v215
	;; [unrolled: 1-line block ×6, first 2 shown]
	scratch_store_dwordx4 off, v[168:171], off offset:1800 ; 16-byte Folded Spill
	s_nop 0
	scratch_store_dwordx4 off, v[172:175], off offset:1816 ; 16-byte Folded Spill
	scratch_store_dwordx4 off, v[176:179], off offset:1832 ; 16-byte Folded Spill
	;; [unrolled: 1-line block ×7, first 2 shown]
	scratch_load_dwordx4 v[196:199], off, off offset:4 ; 16-byte Folded Reload
	s_nop 0
	scratch_load_dwordx4 v[200:203], off, off offset:20 ; 16-byte Folded Reload
	scratch_load_dwordx4 v[204:207], off, off offset:36 ; 16-byte Folded Reload
	scratch_load_dwordx4 v[208:211], off, off offset:52 ; 16-byte Folded Reload
	scratch_load_dwordx4 v[212:215], off, off offset:68 ; 16-byte Folded Reload
	scratch_load_dwordx4 v[216:219], off, off offset:84 ; 16-byte Folded Reload
	scratch_load_dwordx4 v[220:223], off, off offset:100 ; 16-byte Folded Reload
	scratch_load_dwordx4 v[224:227], off, off offset:116 ; 16-byte Folded Reload
	s_waitcnt vmcnt(7)
	v_mov_b32_e32 v196, v118
	scratch_store_dwordx4 off, v[196:199], off offset:4 ; 16-byte Folded Spill
	s_waitcnt vmcnt(7)
	scratch_store_dwordx4 off, v[200:203], off offset:20 ; 16-byte Folded Spill
	s_waitcnt vmcnt(7)
	scratch_store_dwordx4 off, v[204:207], off offset:36 ; 16-byte Folded Spill
	s_waitcnt vmcnt(7)
	scratch_store_dwordx4 off, v[208:211], off offset:52 ; 16-byte Folded Spill
	s_waitcnt vmcnt(7)
	scratch_store_dwordx4 off, v[212:215], off offset:68 ; 16-byte Folded Spill
	s_waitcnt vmcnt(7)
	scratch_store_dwordx4 off, v[216:219], off offset:84 ; 16-byte Folded Spill
	s_waitcnt vmcnt(7)
	scratch_store_dwordx4 off, v[220:223], off offset:100 ; 16-byte Folded Spill
	s_waitcnt vmcnt(7)
	scratch_store_dwordx4 off, v[224:227], off offset:116 ; 16-byte Folded Spill
	scratch_load_dwordx4 v[168:171], off, off offset:4 ; 16-byte Folded Reload
	s_nop 0
	scratch_load_dwordx4 v[172:175], off, off offset:20 ; 16-byte Folded Reload
	scratch_load_dwordx4 v[176:179], off, off offset:36 ; 16-byte Folded Reload
	scratch_load_dwordx4 v[180:183], off, off offset:52 ; 16-byte Folded Reload
	scratch_load_dwordx4 v[184:187], off, off offset:68 ; 16-byte Folded Reload
	scratch_load_dwordx4 v[188:191], off, off offset:84 ; 16-byte Folded Reload
	scratch_load_dwordx4 v[192:195], off, off offset:100 ; 16-byte Folded Reload
	scratch_load_dwordx4 v[196:199], off, off offset:116 ; 16-byte Folded Reload
	s_waitcnt vmcnt(7)
	v_mov_b32_e32 v169, v119
	scratch_store_dwordx4 off, v[168:171], off offset:4 ; 16-byte Folded Spill
	s_waitcnt vmcnt(7)
	scratch_store_dwordx4 off, v[172:175], off offset:20 ; 16-byte Folded Spill
	s_waitcnt vmcnt(7)
	scratch_store_dwordx4 off, v[176:179], off offset:36 ; 16-byte Folded Spill
	s_waitcnt vmcnt(7)
	scratch_store_dwordx4 off, v[180:183], off offset:52 ; 16-byte Folded Spill
	s_waitcnt vmcnt(7)
	scratch_store_dwordx4 off, v[184:187], off offset:68 ; 16-byte Folded Spill
	s_waitcnt vmcnt(7)
	scratch_store_dwordx4 off, v[188:191], off offset:84 ; 16-byte Folded Spill
	s_waitcnt vmcnt(7)
	scratch_store_dwordx4 off, v[192:195], off offset:100 ; 16-byte Folded Spill
	s_waitcnt vmcnt(7)
	scratch_store_dwordx4 off, v[196:199], off offset:116 ; 16-byte Folded Spill
	;; [unrolled: 26-line block ×4, first 2 shown]
	scratch_load_dwordx4 v[168:171], off, off offset:4 ; 16-byte Folded Reload
	s_nop 0
	scratch_load_dwordx4 v[172:175], off, off offset:20 ; 16-byte Folded Reload
	scratch_load_dwordx4 v[176:179], off, off offset:36 ; 16-byte Folded Reload
	scratch_load_dwordx4 v[180:183], off, off offset:52 ; 16-byte Folded Reload
	scratch_load_dwordx4 v[184:187], off, off offset:68 ; 16-byte Folded Reload
	scratch_load_dwordx4 v[188:191], off, off offset:84 ; 16-byte Folded Reload
	scratch_load_dwordx4 v[192:195], off, off offset:100 ; 16-byte Folded Reload
	scratch_load_dwordx4 v[196:199], off, off offset:116 ; 16-byte Folded Reload
	s_waitcnt vmcnt(6)
	v_mov_b32_e32 v172, v122
	scratch_store_dwordx4 off, v[168:171], off offset:4 ; 16-byte Folded Spill
	s_nop 0
	scratch_store_dwordx4 off, v[172:175], off offset:20 ; 16-byte Folded Spill
	s_waitcnt vmcnt(7)
	scratch_store_dwordx4 off, v[176:179], off offset:36 ; 16-byte Folded Spill
	s_waitcnt vmcnt(7)
	scratch_store_dwordx4 off, v[180:183], off offset:52 ; 16-byte Folded Spill
	s_waitcnt vmcnt(7)
	scratch_store_dwordx4 off, v[184:187], off offset:68 ; 16-byte Folded Spill
	s_waitcnt vmcnt(7)
	scratch_store_dwordx4 off, v[188:191], off offset:84 ; 16-byte Folded Spill
	s_waitcnt vmcnt(7)
	scratch_store_dwordx4 off, v[192:195], off offset:100 ; 16-byte Folded Spill
	s_waitcnt vmcnt(7)
	scratch_store_dwordx4 off, v[196:199], off offset:116 ; 16-byte Folded Spill
	scratch_load_dwordx4 v[168:171], off, off offset:4 ; 16-byte Folded Reload
	s_nop 0
	scratch_load_dwordx4 v[172:175], off, off offset:20 ; 16-byte Folded Reload
	scratch_load_dwordx4 v[176:179], off, off offset:36 ; 16-byte Folded Reload
	scratch_load_dwordx4 v[180:183], off, off offset:52 ; 16-byte Folded Reload
	scratch_load_dwordx4 v[184:187], off, off offset:68 ; 16-byte Folded Reload
	scratch_load_dwordx4 v[188:191], off, off offset:84 ; 16-byte Folded Reload
	scratch_load_dwordx4 v[192:195], off, off offset:100 ; 16-byte Folded Reload
	scratch_load_dwordx4 v[196:199], off, off offset:116 ; 16-byte Folded Reload
	s_waitcnt vmcnt(6)
	v_mov_b32_e32 v173, v123
	scratch_store_dwordx4 off, v[168:171], off offset:4 ; 16-byte Folded Spill
	s_nop 0
	scratch_store_dwordx4 off, v[172:175], off offset:20 ; 16-byte Folded Spill
	s_waitcnt vmcnt(7)
	scratch_store_dwordx4 off, v[176:179], off offset:36 ; 16-byte Folded Spill
	s_waitcnt vmcnt(7)
	scratch_store_dwordx4 off, v[180:183], off offset:52 ; 16-byte Folded Spill
	s_waitcnt vmcnt(7)
	scratch_store_dwordx4 off, v[184:187], off offset:68 ; 16-byte Folded Spill
	s_waitcnt vmcnt(7)
	scratch_store_dwordx4 off, v[188:191], off offset:84 ; 16-byte Folded Spill
	s_waitcnt vmcnt(7)
	scratch_store_dwordx4 off, v[192:195], off offset:100 ; 16-byte Folded Spill
	s_waitcnt vmcnt(7)
	scratch_store_dwordx4 off, v[196:199], off offset:116 ; 16-byte Folded Spill
	scratch_load_dwordx4 v[168:171], off, off offset:4 ; 16-byte Folded Reload
	s_nop 0
	scratch_load_dwordx4 v[172:175], off, off offset:20 ; 16-byte Folded Reload
	scratch_load_dwordx4 v[176:179], off, off offset:36 ; 16-byte Folded Reload
	scratch_load_dwordx4 v[180:183], off, off offset:52 ; 16-byte Folded Reload
	scratch_load_dwordx4 v[184:187], off, off offset:68 ; 16-byte Folded Reload
	scratch_load_dwordx4 v[188:191], off, off offset:84 ; 16-byte Folded Reload
	scratch_load_dwordx4 v[192:195], off, off offset:100 ; 16-byte Folded Reload
	scratch_load_dwordx4 v[196:199], off, off offset:116 ; 16-byte Folded Reload
	s_waitcnt vmcnt(6)
	v_mov_b32_e32 v174, v124
	scratch_store_dwordx4 off, v[168:171], off offset:4 ; 16-byte Folded Spill
	s_nop 0
	scratch_store_dwordx4 off, v[172:175], off offset:20 ; 16-byte Folded Spill
	s_waitcnt vmcnt(7)
	scratch_store_dwordx4 off, v[176:179], off offset:36 ; 16-byte Folded Spill
	s_waitcnt vmcnt(7)
	scratch_store_dwordx4 off, v[180:183], off offset:52 ; 16-byte Folded Spill
	s_waitcnt vmcnt(7)
	scratch_store_dwordx4 off, v[184:187], off offset:68 ; 16-byte Folded Spill
	s_waitcnt vmcnt(7)
	scratch_store_dwordx4 off, v[188:191], off offset:84 ; 16-byte Folded Spill
	s_waitcnt vmcnt(7)
	scratch_store_dwordx4 off, v[192:195], off offset:100 ; 16-byte Folded Spill
	s_waitcnt vmcnt(7)
	scratch_store_dwordx4 off, v[196:199], off offset:116 ; 16-byte Folded Spill
	scratch_load_dwordx4 v[168:171], off, off offset:4 ; 16-byte Folded Reload
	s_nop 0
	scratch_load_dwordx4 v[172:175], off, off offset:20 ; 16-byte Folded Reload
	scratch_load_dwordx4 v[176:179], off, off offset:36 ; 16-byte Folded Reload
	scratch_load_dwordx4 v[180:183], off, off offset:52 ; 16-byte Folded Reload
	scratch_load_dwordx4 v[184:187], off, off offset:68 ; 16-byte Folded Reload
	scratch_load_dwordx4 v[188:191], off, off offset:84 ; 16-byte Folded Reload
	scratch_load_dwordx4 v[192:195], off, off offset:100 ; 16-byte Folded Reload
	scratch_load_dwordx4 v[196:199], off, off offset:116 ; 16-byte Folded Reload
	s_waitcnt vmcnt(6)
	v_mov_b32_e32 v175, v125
	scratch_store_dwordx4 off, v[168:171], off offset:4 ; 16-byte Folded Spill
	s_nop 0
	scratch_store_dwordx4 off, v[172:175], off offset:20 ; 16-byte Folded Spill
	s_waitcnt vmcnt(7)
	scratch_store_dwordx4 off, v[176:179], off offset:36 ; 16-byte Folded Spill
	s_waitcnt vmcnt(7)
	scratch_store_dwordx4 off, v[180:183], off offset:52 ; 16-byte Folded Spill
	s_waitcnt vmcnt(7)
	scratch_store_dwordx4 off, v[184:187], off offset:68 ; 16-byte Folded Spill
	s_waitcnt vmcnt(7)
	scratch_store_dwordx4 off, v[188:191], off offset:84 ; 16-byte Folded Spill
	s_waitcnt vmcnt(7)
	scratch_store_dwordx4 off, v[192:195], off offset:100 ; 16-byte Folded Spill
	s_waitcnt vmcnt(7)
	scratch_store_dwordx4 off, v[196:199], off offset:116 ; 16-byte Folded Spill
	scratch_load_dwordx4 v[168:171], off, off offset:4 ; 16-byte Folded Reload
	s_nop 0
	scratch_load_dwordx4 v[172:175], off, off offset:20 ; 16-byte Folded Reload
	scratch_load_dwordx4 v[176:179], off, off offset:36 ; 16-byte Folded Reload
	scratch_load_dwordx4 v[180:183], off, off offset:52 ; 16-byte Folded Reload
	scratch_load_dwordx4 v[184:187], off, off offset:68 ; 16-byte Folded Reload
	scratch_load_dwordx4 v[188:191], off, off offset:84 ; 16-byte Folded Reload
	scratch_load_dwordx4 v[192:195], off, off offset:100 ; 16-byte Folded Reload
	scratch_load_dwordx4 v[196:199], off, off offset:116 ; 16-byte Folded Reload
	s_waitcnt vmcnt(5)
	v_mov_b32_e32 v176, v126
	scratch_store_dwordx4 off, v[168:171], off offset:4 ; 16-byte Folded Spill
	s_nop 0
	scratch_store_dwordx4 off, v[172:175], off offset:20 ; 16-byte Folded Spill
	scratch_store_dwordx4 off, v[176:179], off offset:36 ; 16-byte Folded Spill
	s_waitcnt vmcnt(7)
	scratch_store_dwordx4 off, v[180:183], off offset:52 ; 16-byte Folded Spill
	s_waitcnt vmcnt(7)
	scratch_store_dwordx4 off, v[184:187], off offset:68 ; 16-byte Folded Spill
	s_waitcnt vmcnt(7)
	scratch_store_dwordx4 off, v[188:191], off offset:84 ; 16-byte Folded Spill
	s_waitcnt vmcnt(7)
	scratch_store_dwordx4 off, v[192:195], off offset:100 ; 16-byte Folded Spill
	s_waitcnt vmcnt(7)
	scratch_store_dwordx4 off, v[196:199], off offset:116 ; 16-byte Folded Spill
	scratch_load_dwordx4 v[168:171], off, off offset:4 ; 16-byte Folded Reload
	s_nop 0
	scratch_load_dwordx4 v[172:175], off, off offset:20 ; 16-byte Folded Reload
	scratch_load_dwordx4 v[176:179], off, off offset:36 ; 16-byte Folded Reload
	scratch_load_dwordx4 v[180:183], off, off offset:52 ; 16-byte Folded Reload
	scratch_load_dwordx4 v[184:187], off, off offset:68 ; 16-byte Folded Reload
	scratch_load_dwordx4 v[188:191], off, off offset:84 ; 16-byte Folded Reload
	scratch_load_dwordx4 v[192:195], off, off offset:100 ; 16-byte Folded Reload
	scratch_load_dwordx4 v[196:199], off, off offset:116 ; 16-byte Folded Reload
	s_waitcnt vmcnt(5)
	v_mov_b32_e32 v178, v32
	scratch_store_dwordx4 off, v[168:171], off offset:4 ; 16-byte Folded Spill
	s_nop 0
	scratch_store_dwordx4 off, v[172:175], off offset:20 ; 16-byte Folded Spill
	scratch_store_dwordx4 off, v[176:179], off offset:36 ; 16-byte Folded Spill
	s_waitcnt vmcnt(7)
	scratch_store_dwordx4 off, v[180:183], off offset:52 ; 16-byte Folded Spill
	s_waitcnt vmcnt(7)
	scratch_store_dwordx4 off, v[184:187], off offset:68 ; 16-byte Folded Spill
	s_waitcnt vmcnt(7)
	scratch_store_dwordx4 off, v[188:191], off offset:84 ; 16-byte Folded Spill
	s_waitcnt vmcnt(7)
	scratch_store_dwordx4 off, v[192:195], off offset:100 ; 16-byte Folded Spill
	s_waitcnt vmcnt(7)
	scratch_store_dwordx4 off, v[196:199], off offset:116 ; 16-byte Folded Spill
	;; [unrolled: 25-line block ×3, first 2 shown]
	scratch_load_dwordx4 v[168:171], off, off offset:4 ; 16-byte Folded Reload
	s_nop 0
	scratch_load_dwordx4 v[172:175], off, off offset:20 ; 16-byte Folded Reload
	scratch_load_dwordx4 v[176:179], off, off offset:36 ; 16-byte Folded Reload
	scratch_load_dwordx4 v[180:183], off, off offset:52 ; 16-byte Folded Reload
	scratch_load_dwordx4 v[184:187], off, off offset:68 ; 16-byte Folded Reload
	scratch_load_dwordx4 v[188:191], off, off offset:84 ; 16-byte Folded Reload
	scratch_load_dwordx4 v[192:195], off, off offset:100 ; 16-byte Folded Reload
	scratch_load_dwordx4 v[196:199], off, off offset:116 ; 16-byte Folded Reload
	s_waitcnt vmcnt(4)
	v_mov_b32_e32 v180, v166
	scratch_store_dwordx4 off, v[168:171], off offset:4 ; 16-byte Folded Spill
	s_nop 0
	scratch_store_dwordx4 off, v[172:175], off offset:20 ; 16-byte Folded Spill
	scratch_store_dwordx4 off, v[176:179], off offset:36 ; 16-byte Folded Spill
	scratch_store_dwordx4 off, v[180:183], off offset:52 ; 16-byte Folded Spill
	s_waitcnt vmcnt(7)
	scratch_store_dwordx4 off, v[184:187], off offset:68 ; 16-byte Folded Spill
	s_waitcnt vmcnt(7)
	scratch_store_dwordx4 off, v[188:191], off offset:84 ; 16-byte Folded Spill
	s_waitcnt vmcnt(7)
	scratch_store_dwordx4 off, v[192:195], off offset:100 ; 16-byte Folded Spill
	s_waitcnt vmcnt(7)
	scratch_store_dwordx4 off, v[196:199], off offset:116 ; 16-byte Folded Spill
	scratch_load_dwordx4 v[168:171], off, off offset:4 ; 16-byte Folded Reload
	s_nop 0
	scratch_load_dwordx4 v[172:175], off, off offset:20 ; 16-byte Folded Reload
	scratch_load_dwordx4 v[176:179], off, off offset:36 ; 16-byte Folded Reload
	scratch_load_dwordx4 v[180:183], off, off offset:52 ; 16-byte Folded Reload
	scratch_load_dwordx4 v[184:187], off, off offset:68 ; 16-byte Folded Reload
	scratch_load_dwordx4 v[188:191], off, off offset:84 ; 16-byte Folded Reload
	scratch_load_dwordx4 v[192:195], off, off offset:100 ; 16-byte Folded Reload
	scratch_load_dwordx4 v[196:199], off, off offset:116 ; 16-byte Folded Reload
	s_waitcnt vmcnt(4)
	v_mov_b32_e32 v181, v167
	scratch_store_dwordx4 off, v[168:171], off offset:4 ; 16-byte Folded Spill
	s_nop 0
	scratch_store_dwordx4 off, v[172:175], off offset:20 ; 16-byte Folded Spill
	scratch_store_dwordx4 off, v[176:179], off offset:36 ; 16-byte Folded Spill
	scratch_store_dwordx4 off, v[180:183], off offset:52 ; 16-byte Folded Spill
	s_waitcnt vmcnt(7)
	scratch_store_dwordx4 off, v[184:187], off offset:68 ; 16-byte Folded Spill
	s_waitcnt vmcnt(7)
	scratch_store_dwordx4 off, v[188:191], off offset:84 ; 16-byte Folded Spill
	s_waitcnt vmcnt(7)
	scratch_store_dwordx4 off, v[192:195], off offset:100 ; 16-byte Folded Spill
	s_waitcnt vmcnt(7)
	scratch_store_dwordx4 off, v[196:199], off offset:116 ; 16-byte Folded Spill
	;; [unrolled: 24-line block ×4, first 2 shown]
	scratch_load_dwordx4 v[168:171], off, off offset:4 ; 16-byte Folded Reload
	s_nop 0
	scratch_load_dwordx4 v[172:175], off, off offset:20 ; 16-byte Folded Reload
	scratch_load_dwordx4 v[176:179], off, off offset:36 ; 16-byte Folded Reload
	;; [unrolled: 1-line block ×15, first 2 shown]
	s_waitcnt vmcnt(3)
	v_mov_b32_e32 v184, v216
	scratch_store_dwordx4 off, v[168:171], off offset:4 ; 16-byte Folded Spill
	s_nop 0
	scratch_store_dwordx4 off, v[172:175], off offset:20 ; 16-byte Folded Spill
	scratch_store_dwordx4 off, v[176:179], off offset:36 ; 16-byte Folded Spill
	;; [unrolled: 1-line block ×7, first 2 shown]
	scratch_load_dwordx4 v[168:171], off, off offset:4 ; 16-byte Folded Reload
	s_nop 0
	scratch_load_dwordx4 v[172:175], off, off offset:20 ; 16-byte Folded Reload
	scratch_load_dwordx4 v[176:179], off, off offset:36 ; 16-byte Folded Reload
	scratch_load_dwordx4 v[180:183], off, off offset:52 ; 16-byte Folded Reload
	scratch_load_dwordx4 v[184:187], off, off offset:68 ; 16-byte Folded Reload
	scratch_load_dwordx4 v[188:191], off, off offset:84 ; 16-byte Folded Reload
	scratch_load_dwordx4 v[192:195], off, off offset:100 ; 16-byte Folded Reload
	scratch_load_dwordx4 v[196:199], off, off offset:116 ; 16-byte Folded Reload
	s_waitcnt vmcnt(3)
	v_mov_b32_e32 v185, v217
	scratch_store_dwordx4 off, v[168:171], off offset:4 ; 16-byte Folded Spill
	s_nop 0
	scratch_store_dwordx4 off, v[172:175], off offset:20 ; 16-byte Folded Spill
	scratch_store_dwordx4 off, v[176:179], off offset:36 ; 16-byte Folded Spill
	;; [unrolled: 1-line block ×4, first 2 shown]
	s_waitcnt vmcnt(7)
	scratch_store_dwordx4 off, v[188:191], off offset:84 ; 16-byte Folded Spill
	s_waitcnt vmcnt(7)
	scratch_store_dwordx4 off, v[192:195], off offset:100 ; 16-byte Folded Spill
	;; [unrolled: 2-line block ×3, first 2 shown]
	scratch_load_dwordx4 v[168:171], off, off offset:4 ; 16-byte Folded Reload
	s_nop 0
	scratch_load_dwordx4 v[172:175], off, off offset:20 ; 16-byte Folded Reload
	scratch_load_dwordx4 v[176:179], off, off offset:36 ; 16-byte Folded Reload
	;; [unrolled: 1-line block ×15, first 2 shown]
	s_waitcnt vmcnt(3)
	v_mov_b32_e32 v186, v218
	scratch_store_dwordx4 off, v[168:171], off offset:4 ; 16-byte Folded Spill
	s_nop 0
	scratch_store_dwordx4 off, v[172:175], off offset:20 ; 16-byte Folded Spill
	scratch_store_dwordx4 off, v[176:179], off offset:36 ; 16-byte Folded Spill
	;; [unrolled: 1-line block ×7, first 2 shown]
	scratch_load_dwordx4 v[168:171], off, off offset:4 ; 16-byte Folded Reload
	s_nop 0
	scratch_load_dwordx4 v[172:175], off, off offset:20 ; 16-byte Folded Reload
	scratch_load_dwordx4 v[176:179], off, off offset:36 ; 16-byte Folded Reload
	;; [unrolled: 1-line block ×7, first 2 shown]
	s_waitcnt vmcnt(3)
	v_mov_b32_e32 v187, v219
	scratch_store_dwordx4 off, v[168:171], off offset:4 ; 16-byte Folded Spill
	s_nop 0
	scratch_store_dwordx4 off, v[172:175], off offset:20 ; 16-byte Folded Spill
	scratch_store_dwordx4 off, v[176:179], off offset:36 ; 16-byte Folded Spill
	;; [unrolled: 1-line block ×4, first 2 shown]
	s_waitcnt vmcnt(7)
	scratch_store_dwordx4 off, v[188:191], off offset:84 ; 16-byte Folded Spill
	s_waitcnt vmcnt(7)
	scratch_store_dwordx4 off, v[192:195], off offset:100 ; 16-byte Folded Spill
	s_waitcnt vmcnt(7)
	scratch_store_dwordx4 off, v[196:199], off offset:116 ; 16-byte Folded Spill
	scratch_load_dwordx4 v[168:171], off, off offset:4 ; 16-byte Folded Reload
	s_nop 0
	scratch_load_dwordx4 v[172:175], off, off offset:20 ; 16-byte Folded Reload
	scratch_load_dwordx4 v[176:179], off, off offset:36 ; 16-byte Folded Reload
	;; [unrolled: 1-line block ×7, first 2 shown]
	s_waitcnt vmcnt(2)
	v_mov_b32_e32 v188, v20
	scratch_store_dwordx4 off, v[168:171], off offset:4 ; 16-byte Folded Spill
	s_nop 0
	scratch_store_dwordx4 off, v[172:175], off offset:20 ; 16-byte Folded Spill
	scratch_store_dwordx4 off, v[176:179], off offset:36 ; 16-byte Folded Spill
	;; [unrolled: 1-line block ×5, first 2 shown]
	s_waitcnt vmcnt(7)
	scratch_store_dwordx4 off, v[192:195], off offset:100 ; 16-byte Folded Spill
	s_waitcnt vmcnt(7)
	scratch_store_dwordx4 off, v[196:199], off offset:116 ; 16-byte Folded Spill
	scratch_load_dwordx4 v[168:171], off, off offset:4 ; 16-byte Folded Reload
	s_nop 0
	scratch_load_dwordx4 v[172:175], off, off offset:20 ; 16-byte Folded Reload
	scratch_load_dwordx4 v[176:179], off, off offset:36 ; 16-byte Folded Reload
	;; [unrolled: 1-line block ×7, first 2 shown]
	s_waitcnt vmcnt(2)
	v_mov_b32_e32 v189, v21
	scratch_store_dwordx4 off, v[168:171], off offset:4 ; 16-byte Folded Spill
	s_nop 0
	scratch_store_dwordx4 off, v[172:175], off offset:20 ; 16-byte Folded Spill
	scratch_store_dwordx4 off, v[176:179], off offset:36 ; 16-byte Folded Spill
	scratch_store_dwordx4 off, v[180:183], off offset:52 ; 16-byte Folded Spill
	scratch_store_dwordx4 off, v[184:187], off offset:68 ; 16-byte Folded Spill
	scratch_store_dwordx4 off, v[188:191], off offset:84 ; 16-byte Folded Spill
	s_waitcnt vmcnt(7)
	scratch_store_dwordx4 off, v[192:195], off offset:100 ; 16-byte Folded Spill
	s_waitcnt vmcnt(7)
	scratch_store_dwordx4 off, v[196:199], off offset:116 ; 16-byte Folded Spill
	scratch_load_dwordx4 v[168:171], off, off offset:4 ; 16-byte Folded Reload
	s_nop 0
	scratch_load_dwordx4 v[172:175], off, off offset:20 ; 16-byte Folded Reload
	scratch_load_dwordx4 v[176:179], off, off offset:36 ; 16-byte Folded Reload
	;; [unrolled: 1-line block ×15, first 2 shown]
	s_waitcnt vmcnt(2)
	v_mov_b32_e32 v190, v222
	scratch_store_dwordx4 off, v[168:171], off offset:4 ; 16-byte Folded Spill
	s_nop 0
	scratch_store_dwordx4 off, v[172:175], off offset:20 ; 16-byte Folded Spill
	scratch_store_dwordx4 off, v[176:179], off offset:36 ; 16-byte Folded Spill
	;; [unrolled: 1-line block ×7, first 2 shown]
	scratch_load_dwordx4 v[168:171], off, off offset:4 ; 16-byte Folded Reload
	s_nop 0
	scratch_load_dwordx4 v[172:175], off, off offset:20 ; 16-byte Folded Reload
	scratch_load_dwordx4 v[176:179], off, off offset:36 ; 16-byte Folded Reload
	;; [unrolled: 1-line block ×7, first 2 shown]
	s_waitcnt vmcnt(2)
	v_mov_b32_e32 v191, v223
	scratch_store_dwordx4 off, v[168:171], off offset:4 ; 16-byte Folded Spill
	s_nop 0
	scratch_store_dwordx4 off, v[172:175], off offset:20 ; 16-byte Folded Spill
	scratch_store_dwordx4 off, v[176:179], off offset:36 ; 16-byte Folded Spill
	;; [unrolled: 1-line block ×5, first 2 shown]
	s_waitcnt vmcnt(7)
	scratch_store_dwordx4 off, v[192:195], off offset:100 ; 16-byte Folded Spill
	s_waitcnt vmcnt(7)
	scratch_store_dwordx4 off, v[196:199], off offset:116 ; 16-byte Folded Spill
	scratch_load_dwordx4 v[168:171], off, off offset:4 ; 16-byte Folded Reload
	s_nop 0
	scratch_load_dwordx4 v[172:175], off, off offset:20 ; 16-byte Folded Reload
	scratch_load_dwordx4 v[176:179], off, off offset:36 ; 16-byte Folded Reload
	scratch_load_dwordx4 v[180:183], off, off offset:52 ; 16-byte Folded Reload
	scratch_load_dwordx4 v[184:187], off, off offset:68 ; 16-byte Folded Reload
	scratch_load_dwordx4 v[188:191], off, off offset:84 ; 16-byte Folded Reload
	scratch_load_dwordx4 v[192:195], off, off offset:100 ; 16-byte Folded Reload
	scratch_load_dwordx4 v[196:199], off, off offset:116 ; 16-byte Folded Reload
	s_waitcnt vmcnt(1)
	v_mov_b32_e32 v192, v74
	scratch_store_dwordx4 off, v[168:171], off offset:4 ; 16-byte Folded Spill
	s_nop 0
	scratch_store_dwordx4 off, v[172:175], off offset:20 ; 16-byte Folded Spill
	scratch_store_dwordx4 off, v[176:179], off offset:36 ; 16-byte Folded Spill
	scratch_store_dwordx4 off, v[180:183], off offset:52 ; 16-byte Folded Spill
	scratch_store_dwordx4 off, v[184:187], off offset:68 ; 16-byte Folded Spill
	scratch_store_dwordx4 off, v[188:191], off offset:84 ; 16-byte Folded Spill
	scratch_store_dwordx4 off, v[192:195], off offset:100 ; 16-byte Folded Spill
	s_waitcnt vmcnt(7)
	scratch_store_dwordx4 off, v[196:199], off offset:116 ; 16-byte Folded Spill
	scratch_load_dwordx4 v[168:171], off, off offset:4 ; 16-byte Folded Reload
	s_nop 0
	scratch_load_dwordx4 v[172:175], off, off offset:20 ; 16-byte Folded Reload
	scratch_load_dwordx4 v[176:179], off, off offset:36 ; 16-byte Folded Reload
	scratch_load_dwordx4 v[180:183], off, off offset:52 ; 16-byte Folded Reload
	scratch_load_dwordx4 v[184:187], off, off offset:68 ; 16-byte Folded Reload
	scratch_load_dwordx4 v[188:191], off, off offset:84 ; 16-byte Folded Reload
	scratch_load_dwordx4 v[192:195], off, off offset:100 ; 16-byte Folded Reload
	scratch_load_dwordx4 v[196:199], off, off offset:116 ; 16-byte Folded Reload
	s_waitcnt vmcnt(1)
	v_mov_b32_e32 v193, v75
	scratch_store_dwordx4 off, v[168:171], off offset:4 ; 16-byte Folded Spill
	s_nop 0
	scratch_store_dwordx4 off, v[172:175], off offset:20 ; 16-byte Folded Spill
	scratch_store_dwordx4 off, v[176:179], off offset:36 ; 16-byte Folded Spill
	scratch_store_dwordx4 off, v[180:183], off offset:52 ; 16-byte Folded Spill
	scratch_store_dwordx4 off, v[184:187], off offset:68 ; 16-byte Folded Spill
	scratch_store_dwordx4 off, v[188:191], off offset:84 ; 16-byte Folded Spill
	;; [unrolled: 21-line block ×4, first 2 shown]
	scratch_store_dwordx4 off, v[192:195], off offset:100 ; 16-byte Folded Spill
	s_waitcnt vmcnt(7)
	scratch_store_dwordx4 off, v[196:199], off offset:116 ; 16-byte Folded Spill
	scratch_store_dwordx4 off, v[118:121], s4 ; 16-byte Folded Spill
	s_nop 0
	scratch_store_dwordx4 off, v[122:125], s4 offset:16 ; 16-byte Folded Spill
	scratch_store_dwordx4 off, v[126:129], s4 offset:32 ; 16-byte Folded Spill
	scratch_store_dwordx4 off, v[130:133], s4 offset:48 ; 16-byte Folded Spill
	scratch_store_dwordx4 off, v[134:137], s4 offset:64 ; 16-byte Folded Spill
	scratch_store_dwordx4 off, v[138:141], s4 offset:80 ; 16-byte Folded Spill
	scratch_store_dwordx4 off, v[142:145], s4 offset:96 ; 16-byte Folded Spill
	scratch_store_dwordx4 off, v[146:149], s4 offset:112 ; 16-byte Folded Spill
	scratch_load_dwordx4 v[168:171], off, off offset:4 ; 16-byte Folded Reload
	scratch_load_dwordx4 v[172:175], off, off offset:20 ; 16-byte Folded Reload
	;; [unrolled: 1-line block ×8, first 2 shown]
	s_movk_i32 s4, 0x1188
	v_mov_b64_e32 v[220:221], v[138:139]
	v_mov_b32_e32 v224, v142
	v_mov_b64_e32 v[218:219], v[136:137]
	v_mov_b64_e32 v[216:217], v[134:135]
	;; [unrolled: 1-line block ×5, first 2 shown]
	v_mov_b32_e32 v223, v141
	s_waitcnt vmcnt(0)
	v_mov_b32_e32 v78, v196
	scratch_load_dwordx4 v[168:171], off, off offset:4 ; 16-byte Folded Reload
	scratch_load_dwordx4 v[172:175], off, off offset:20 ; 16-byte Folded Reload
	;; [unrolled: 1-line block ×8, first 2 shown]
	s_waitcnt vmcnt(5)
	v_mov_b64_e32 v[178:179], v[32:33]
	v_mov_b64_e32 v[176:177], v[30:31]
	;; [unrolled: 1-line block ×6, first 2 shown]
	v_mov_b32_e32 v222, v140
	v_mov_b32_e32 v23, v143
	;; [unrolled: 1-line block ×4, first 2 shown]
	s_waitcnt vmcnt(0)
	v_mov_b32_e32 v79, v197
	scratch_store_dwordx4 off, v[50:53], off offset:260 ; 16-byte Folded Spill
	s_nop 0
	scratch_store_dwordx4 off, v[54:57], off offset:276 ; 16-byte Folded Spill
	scratch_store_dwordx4 off, v[58:61], off offset:292 ; 16-byte Folded Spill
	;; [unrolled: 1-line block ×7, first 2 shown]
	scratch_store_dwordx4 off, v[154:157], s4 ; 16-byte Folded Spill
	s_nop 0
	scratch_store_dwordx4 off, v[158:161], s4 offset:16 ; 16-byte Folded Spill
	scratch_store_dwordx4 off, v[162:165], s4 offset:32 ; 16-byte Folded Spill
	;; [unrolled: 1-line block ×7, first 2 shown]
	scratch_store_dwordx4 off, v[210:213], off offset:3208 ; 16-byte Folded Spill
	s_nop 0
	scratch_store_dwordx4 off, v[214:217], off offset:3224 ; 16-byte Folded Spill
	scratch_store_dwordx4 off, v[218:221], off offset:3240 ; 16-byte Folded Spill
	;; [unrolled: 1-line block ×8, first 2 shown]
	s_nop 0
	scratch_store_dwordx4 off, v[12:15], off offset:1176 ; 16-byte Folded Spill
	scratch_store_dwordx4 off, v[16:19], off offset:1192 ; 16-byte Folded Spill
	;; [unrolled: 1-line block ×7, first 2 shown]
	v_mov_b32_e32 v158, v142
	v_mov_b32_e32 v138, v74
	v_mov_b64_e32 v[232:233], v[20:21]
	v_mov_b64_e32 v[230:231], v[18:19]
	;; [unrolled: 1-line block ×3, first 2 shown]
	scratch_load_dwordx4 v[18:21], off, off offset:2056 ; 16-byte Folded Reload
	scratch_load_dwordx4 v[22:25], off, off offset:2072 ; 16-byte Folded Reload
	;; [unrolled: 1-line block ×8, first 2 shown]
	v_mov_b64_e32 v[226:227], v[14:15]
	v_mov_b64_e32 v[224:225], v[12:13]
	;; [unrolled: 1-line block ×8, first 2 shown]
	s_waitcnt vmcnt(3)
	v_mov_b32_e32 v16, v34
	scratch_store_dwordx4 off, v[0:3], off offset:776 ; 16-byte Folded Spill
	s_nop 0
	scratch_store_dwordx4 off, v[4:7], off offset:792 ; 16-byte Folded Spill
	scratch_store_dwordx4 off, v[8:11], off offset:808 ; 16-byte Folded Spill
	;; [unrolled: 1-line block ×7, first 2 shown]
	scratch_load_dwordx4 v[0:3], off, off offset:4 ; 16-byte Folded Reload
	s_nop 0
	scratch_load_dwordx4 v[4:7], off, off offset:20 ; 16-byte Folded Reload
	scratch_load_dwordx4 v[8:11], off, off offset:36 ; 16-byte Folded Reload
	;; [unrolled: 1-line block ×7, first 2 shown]
	s_waitcnt vmcnt(4)
	v_mov_b64_e32 v[196:197], v[14:15]
	v_mov_b64_e32 v[194:195], v[12:13]
	;; [unrolled: 1-line block ×3, first 2 shown]
	s_waitcnt vmcnt(1)
	v_mov_b64_e32 v[208:209], v[26:27]
	v_mov_b64_e32 v[206:207], v[24:25]
	;; [unrolled: 1-line block ×6, first 2 shown]
	v_mov_b32_e32 v17, v35
	v_mov_b64_e32 v[190:191], v[8:9]
	v_mov_b64_e32 v[188:189], v[6:7]
	;; [unrolled: 1-line block ×5, first 2 shown]
	s_waitcnt vmcnt(0)
	v_mov_b64_e32 v[210:211], v[28:29]
	scratch_store_dwordx4 off, v[0:3], off offset:1544 ; 16-byte Folded Spill
	s_nop 0
	scratch_store_dwordx4 off, v[4:7], off offset:1560 ; 16-byte Folded Spill
	scratch_store_dwordx4 off, v[8:11], off offset:1576 ; 16-byte Folded Spill
	;; [unrolled: 1-line block ×7, first 2 shown]
	scratch_load_dwordx4 v[0:3], off, off offset:1672 ; 16-byte Folded Reload
	s_nop 0
	scratch_load_dwordx4 v[4:7], off, off offset:1688 ; 16-byte Folded Reload
	scratch_load_dwordx4 v[8:11], off, off offset:1704 ; 16-byte Folded Reload
	;; [unrolled: 1-line block ×7, first 2 shown]
	s_waitcnt vmcnt(0)
	v_mov_b64_e32 v[44:45], v[14:15]
	v_mov_b64_e32 v[30:31], v[0:1]
	;; [unrolled: 1-line block ×8, first 2 shown]
	scratch_store_dwordx4 off, v[0:3], off offset:648 ; 16-byte Folded Spill
	s_nop 0
	scratch_store_dwordx4 off, v[4:7], off offset:664 ; 16-byte Folded Spill
	scratch_store_dwordx4 off, v[8:11], off offset:680 ; 16-byte Folded Spill
	;; [unrolled: 1-line block ×8, first 2 shown]
	s_nop 0
	scratch_store_dwordx4 off, v[4:7], off offset:408 ; 16-byte Folded Spill
	scratch_store_dwordx4 off, v[8:11], off offset:424 ; 16-byte Folded Spill
	;; [unrolled: 1-line block ×7, first 2 shown]
	v_mov_b32_e32 v20, v232
	scratch_store_dwordx4 off, v[0:3], off offset:1288 ; 16-byte Folded Spill
	s_nop 0
	scratch_store_dwordx4 off, v[4:7], off offset:1304 ; 16-byte Folded Spill
	scratch_store_dwordx4 off, v[8:11], off offset:1320 ; 16-byte Folded Spill
	scratch_store_dwordx4 off, v[12:15], off offset:1336 ; 16-byte Folded Spill
	scratch_store_dwordx4 off, v[16:19], off offset:1352 ; 16-byte Folded Spill
	scratch_store_dwordx4 off, v[20:23], off offset:1368 ; 16-byte Folded Spill
	scratch_store_dwordx4 off, v[24:27], off offset:1384 ; 16-byte Folded Spill
	scratch_store_dwordx4 off, v[28:31], off offset:1400 ; 16-byte Folded Spill
	scratch_store_dwordx4 off, v[212:215], off offset:2696 ; 16-byte Folded Spill
	s_nop 0
	scratch_store_dwordx4 off, v[216:219], off offset:2712 ; 16-byte Folded Spill
	scratch_store_dwordx4 off, v[220:223], off offset:2728 ; 16-byte Folded Spill
	scratch_store_dwordx4 off, v[224:227], off offset:2744 ; 16-byte Folded Spill
	scratch_store_dwordx4 off, v[228:231], off offset:2760 ; 16-byte Folded Spill
	scratch_store_dwordx4 off, v[232:235], off offset:2776 ; 16-byte Folded Spill
	scratch_store_dwordx4 off, v[236:239], off offset:2792 ; 16-byte Folded Spill
	scratch_store_dwordx4 off, v[240:243], off offset:2808 ; 16-byte Folded Spill
	;; [unrolled: 9-line block ×3, first 2 shown]
	scratch_load_dwordx4 v[0:3], off, off offset:1416 ; 16-byte Folded Reload
	scratch_load_dwordx4 v[4:7], off, off offset:1432 ; 16-byte Folded Reload
	;; [unrolled: 1-line block ×8, first 2 shown]
	s_waitcnt vmcnt(7)
	scratch_store_dwordx4 off, v[0:3], off offset:904 ; 16-byte Folded Spill
	s_waitcnt vmcnt(7)
	scratch_store_dwordx4 off, v[4:7], off offset:920 ; 16-byte Folded Spill
	;; [unrolled: 2-line block ×8, first 2 shown]
	scratch_store_dwordx4 off, v[0:3], off offset:520 ; 16-byte Folded Spill
	s_nop 0
	scratch_store_dwordx4 off, v[4:7], off offset:536 ; 16-byte Folded Spill
	scratch_store_dwordx4 off, v[8:11], off offset:552 ; 16-byte Folded Spill
	scratch_store_dwordx4 off, v[12:15], off offset:568 ; 16-byte Folded Spill
	scratch_store_dwordx4 off, v[16:19], off offset:584 ; 16-byte Folded Spill
	scratch_store_dwordx4 off, v[20:23], off offset:600 ; 16-byte Folded Spill
	scratch_store_dwordx4 off, v[24:27], off offset:616 ; 16-byte Folded Spill
	scratch_store_dwordx4 off, v[28:31], off offset:632 ; 16-byte Folded Spill
	scratch_store_dwordx4 off, v[50:53], off offset:2312 ; 16-byte Folded Spill
	s_nop 0
	scratch_store_dwordx4 off, v[54:57], off offset:2328 ; 16-byte Folded Spill
	scratch_store_dwordx4 off, v[58:61], off offset:2344 ; 16-byte Folded Spill
	scratch_store_dwordx4 off, v[62:65], off offset:2360 ; 16-byte Folded Spill
	scratch_store_dwordx4 off, v[66:69], off offset:2376 ; 16-byte Folded Spill
	scratch_store_dwordx4 off, v[70:73], off offset:2392 ; 16-byte Folded Spill
	scratch_store_dwordx4 off, v[74:77], off offset:2408 ; 16-byte Folded Spill
	scratch_store_dwordx4 off, v[78:81], off offset:2424 ; 16-byte Folded Spill
	;; [unrolled: 9-line block ×3, first 2 shown]
	v_mov_b32_e32 v139, v75
	v_mov_b32_e32 v87, v107
.LBB59_53:
	s_or_b64 exec, exec, s[2:3]
	v_cmp_eq_u32_e32 vcc, 10, v255
	s_waitcnt lgkmcnt(0)
	s_barrier
	s_and_saveexec_b64 s[2:3], vcc
	s_cbranch_execz .LBB59_56
; %bb.54:
	scratch_load_dword v0, off, off offset:388 ; 4-byte Folded Reload
	ds_write_b32 v254, v146
	s_waitcnt vmcnt(0)
	ds_write2_b32 v0, v193, v194 offset0:11 offset1:12
	ds_write2_b32 v0, v195, v196 offset0:13 offset1:14
	;; [unrolled: 1-line block ×9, first 2 shown]
	scratch_load_dwordx4 v[30:33], off, off offset:260 ; 16-byte Folded Reload
	scratch_load_dwordx4 v[34:37], off, off offset:276 ; 16-byte Folded Reload
	;; [unrolled: 1-line block ×8, first 2 shown]
	s_waitcnt vmcnt(0)
	ds_write_b32 v0, v59 offset:116
	ds_read_b32 v30, v254
	s_waitcnt lgkmcnt(0)
	v_cmp_neq_f32_e32 vcc, 0, v30
	s_and_b64 exec, exec, vcc
	s_cbranch_execz .LBB59_56
; %bb.55:
	v_div_scale_f32 v31, s[4:5], v30, v30, 1.0
	v_rcp_f32_e32 v32, v31
	v_div_scale_f32 v33, vcc, 1.0, v30, 1.0
	v_fma_f32 v34, -v31, v32, 1.0
	v_fmac_f32_e32 v32, v34, v32
	v_mul_f32_e32 v34, v33, v32
	v_fma_f32 v35, -v31, v34, v33
	v_fmac_f32_e32 v34, v35, v32
	v_fma_f32 v31, -v31, v34, v33
	v_div_fmas_f32 v31, v31, v32, v34
	v_div_fixup_f32 v30, v31, v30, 1.0
	ds_write_b32 v254, v30
.LBB59_56:
	s_or_b64 exec, exec, s[2:3]
	s_waitcnt lgkmcnt(0)
	s_barrier
	ds_read_b32 v150, v254
	v_cmp_lt_u32_e32 vcc, 10, v255
	s_and_saveexec_b64 s[2:3], vcc
	s_cbranch_execz .LBB59_58
; %bb.57:
	s_movk_i32 s4, 0x1488
	scratch_load_dwordx4 v[0:3], off, s4    ; 16-byte Folded Reload
	scratch_load_dwordx4 v[4:7], off, s4 offset:16 ; 16-byte Folded Reload
	scratch_load_dwordx4 v[8:11], off, s4 offset:32 ; 16-byte Folded Reload
	;; [unrolled: 1-line block ×7, first 2 shown]
	scratch_load_dword v10, off, off offset:388 ; 4-byte Folded Reload
	s_waitcnt lgkmcnt(0)
	v_mul_f32_e32 v178, v146, v150
	s_movk_i32 s4, 0x1188
	v_mov_b32_e32 v232, v178
	s_waitcnt vmcnt(6)
	v_mov_b64_e32 v[176:177], v[8:9]
	v_mov_b64_e32 v[174:175], v[6:7]
	;; [unrolled: 1-line block ×5, first 2 shown]
	v_mov_b32_e32 v2, v193
	s_waitcnt vmcnt(0)
	ds_read2_b32 v[0:1], v10 offset0:11 offset1:12
	ds_read2_b32 v[4:5], v10 offset0:13 offset1:14
	;; [unrolled: 1-line block ×4, first 2 shown]
	v_mov_b32_e32 v3, v194
	v_mov_b32_e32 v222, v168
	;; [unrolled: 1-line block ×3, first 2 shown]
	s_waitcnt lgkmcnt(3)
	v_pk_fma_f32 v[30:31], v[178:179], v[0:1], v[2:3] op_sel_hi:[0,1,1] neg_lo:[1,0,0] neg_hi:[1,0,0]
	v_mov_b32_e32 v0, v195
	v_mov_b32_e32 v1, v196
	s_waitcnt lgkmcnt(2)
	v_pk_fma_f32 v[32:33], v[178:179], v[4:5], v[0:1] op_sel_hi:[0,1,1] neg_lo:[1,0,0] neg_hi:[1,0,0]
	v_mov_b32_e32 v0, v197
	v_mov_b32_e32 v1, v198
	;; [unrolled: 4-line block ×3, first 2 shown]
	s_waitcnt lgkmcnt(0)
	v_pk_fma_f32 v[36:37], v[178:179], v[8:9], v[0:1] op_sel_hi:[0,1,1] neg_lo:[1,0,0] neg_hi:[1,0,0]
	ds_read2_b32 v[0:1], v10 offset0:19 offset1:20
	ds_read2_b32 v[4:5], v10 offset0:21 offset1:22
	ds_read2_b32 v[6:7], v10 offset0:23 offset1:24
	ds_read2_b32 v[8:9], v10 offset0:25 offset1:26
	v_mov_b32_e32 v2, v201
	v_mov_b32_e32 v3, v202
	;; [unrolled: 1-line block ×3, first 2 shown]
	s_waitcnt lgkmcnt(3)
	v_pk_fma_f32 v[38:39], v[178:179], v[0:1], v[2:3] op_sel_hi:[0,1,1] neg_lo:[1,0,0] neg_hi:[1,0,0]
	v_mov_b32_e32 v0, v203
	v_mov_b32_e32 v1, v204
	s_waitcnt lgkmcnt(2)
	v_pk_fma_f32 v[40:41], v[178:179], v[4:5], v[0:1] op_sel_hi:[0,1,1] neg_lo:[1,0,0] neg_hi:[1,0,0]
	ds_read2_b32 v[2:3], v10 offset0:27 offset1:28
	ds_read_b32 v4, v10 offset:116
	scratch_load_dwordx4 v[48:51], off, off offset:260 ; 16-byte Folded Reload
	scratch_load_dwordx4 v[52:55], off, off offset:276 ; 16-byte Folded Reload
	;; [unrolled: 1-line block ×8, first 2 shown]
	v_mov_b32_e32 v0, v205
	v_mov_b32_e32 v1, v206
	s_waitcnt lgkmcnt(3)
	v_pk_fma_f32 v[42:43], v[178:179], v[6:7], v[0:1] op_sel_hi:[0,1,1] neg_lo:[1,0,0] neg_hi:[1,0,0]
	v_mov_b32_e32 v0, v207
	v_mov_b32_e32 v1, v208
	s_waitcnt lgkmcnt(2)
	v_pk_fma_f32 v[44:45], v[178:179], v[8:9], v[0:1] op_sel_hi:[0,1,1] neg_lo:[1,0,0] neg_hi:[1,0,0]
	;; [unrolled: 4-line block ×3, first 2 shown]
	v_mov_b32_e32 v0, v168
	v_mov_b32_e32 v1, v169
	;; [unrolled: 1-line block ×24, first 2 shown]
	s_waitcnt vmcnt(7)
	v_mov_b32_e32 v48, v45
	v_mov_b32_e32 v50, v47
	s_waitcnt vmcnt(0) lgkmcnt(0)
	v_fma_f32 v29, -v178, v4, v77
	v_mov_b32_e32 v4, v172
	scratch_store_dwordx4 off, v[0:3], s4   ; 16-byte Folded Spill
	s_nop 0
	scratch_store_dwordx4 off, v[4:7], s4 offset:16 ; 16-byte Folded Spill
	scratch_store_dwordx4 off, v[8:11], s4 offset:32 ; 16-byte Folded Spill
	;; [unrolled: 1-line block ×7, first 2 shown]
	v_mov_b32_e32 v13, v32
	s_movk_i32 s4, 0x1008
	scratch_store_dwordx4 off, v[0:3], s4   ; 16-byte Folded Spill
	s_nop 0
	scratch_store_dwordx4 off, v[4:7], s4 offset:16 ; 16-byte Folded Spill
	scratch_store_dwordx4 off, v[8:11], s4 offset:32 ; 16-byte Folded Spill
	;; [unrolled: 1-line block ×7, first 2 shown]
	v_mov_b32_e32 v14, v33
	s_movk_i32 s4, 0x1208
	scratch_store_dwordx4 off, v[0:3], off offset:3208 ; 16-byte Folded Spill
	s_nop 0
	scratch_store_dwordx4 off, v[4:7], off offset:3224 ; 16-byte Folded Spill
	scratch_store_dwordx4 off, v[8:11], off offset:3240 ; 16-byte Folded Spill
	;; [unrolled: 1-line block ×7, first 2 shown]
	v_mov_b32_e32 v15, v34
	scratch_store_dwordx4 off, v[0:3], off offset:3336 ; 16-byte Folded Spill
	s_nop 0
	scratch_store_dwordx4 off, v[4:7], off offset:3352 ; 16-byte Folded Spill
	scratch_store_dwordx4 off, v[8:11], off offset:3368 ; 16-byte Folded Spill
	;; [unrolled: 1-line block ×7, first 2 shown]
	v_mov_b32_e32 v16, v35
	v_mov_b32_e32 v17, v36
	;; [unrolled: 1-line block ×4, first 2 shown]
	scratch_store_dwordx4 off, v[222:225], off offset:2056 ; 16-byte Folded Spill
	s_nop 0
	scratch_store_dwordx4 off, v[226:229], off offset:2072 ; 16-byte Folded Spill
	scratch_store_dwordx4 off, v[230:233], off offset:2088 ; 16-byte Folded Spill
	;; [unrolled: 1-line block ×8, first 2 shown]
	s_nop 0
	scratch_store_dwordx4 off, v[4:7], off offset:2968 ; 16-byte Folded Spill
	scratch_store_dwordx4 off, v[8:11], off offset:2984 ; 16-byte Folded Spill
	scratch_store_dwordx4 off, v[12:15], off offset:3000 ; 16-byte Folded Spill
	scratch_store_dwordx4 off, v[16:19], off offset:3016 ; 16-byte Folded Spill
	scratch_store_dwordx4 off, v[20:23], off offset:3032 ; 16-byte Folded Spill
	scratch_store_dwordx4 off, v[24:27], off offset:3048 ; 16-byte Folded Spill
	scratch_store_dwordx4 off, v[28:31], off offset:3064 ; 16-byte Folded Spill
	v_mov_b32_e32 v18, v37
	scratch_store_dwordx4 off, v[0:3], off offset:1672 ; 16-byte Folded Spill
	s_nop 0
	scratch_store_dwordx4 off, v[4:7], off offset:1688 ; 16-byte Folded Spill
	scratch_store_dwordx4 off, v[8:11], off offset:1704 ; 16-byte Folded Spill
	scratch_store_dwordx4 off, v[12:15], off offset:1720 ; 16-byte Folded Spill
	scratch_store_dwordx4 off, v[16:19], off offset:1736 ; 16-byte Folded Spill
	scratch_store_dwordx4 off, v[20:23], off offset:1752 ; 16-byte Folded Spill
	scratch_store_dwordx4 off, v[24:27], off offset:1768 ; 16-byte Folded Spill
	scratch_store_dwordx4 off, v[28:31], off offset:1784 ; 16-byte Folded Spill
	v_mov_b32_e32 v19, v38
	scratch_store_dwordx4 off, v[0:3], off offset:2824 ; 16-byte Folded Spill
	;; [unrolled: 10-line block ×6, first 2 shown]
	s_nop 0
	scratch_store_dwordx4 off, v[4:7], off offset:2456 ; 16-byte Folded Spill
	scratch_store_dwordx4 off, v[8:11], off offset:2472 ; 16-byte Folded Spill
	scratch_store_dwordx4 off, v[12:15], off offset:2488 ; 16-byte Folded Spill
	scratch_store_dwordx4 off, v[16:19], off offset:2504 ; 16-byte Folded Spill
	scratch_store_dwordx4 off, v[20:23], off offset:2520 ; 16-byte Folded Spill
	scratch_store_dwordx4 off, v[24:27], off offset:2536 ; 16-byte Folded Spill
	scratch_store_dwordx4 off, v[28:31], off offset:2552 ; 16-byte Folded Spill
	s_nop 0
	v_mov_b32_e32 v24, v43
	scratch_store_dwordx4 off, v[0:3], off offset:2312 ; 16-byte Folded Spill
	s_nop 0
	scratch_store_dwordx4 off, v[4:7], off offset:2328 ; 16-byte Folded Spill
	scratch_store_dwordx4 off, v[8:11], off offset:2344 ; 16-byte Folded Spill
	scratch_store_dwordx4 off, v[12:15], off offset:2360 ; 16-byte Folded Spill
	scratch_store_dwordx4 off, v[16:19], off offset:2376 ; 16-byte Folded Spill
	scratch_store_dwordx4 off, v[20:23], off offset:2392 ; 16-byte Folded Spill
	scratch_store_dwordx4 off, v[24:27], off offset:2408 ; 16-byte Folded Spill
	scratch_store_dwordx4 off, v[28:31], off offset:2424 ; 16-byte Folded Spill
	s_nop 0
	v_mov_b32_e32 v25, v44
	scratch_store_dwordx4 off, v[0:3], off offset:2184 ; 16-byte Folded Spill
	;; [unrolled: 11-line block ×4, first 2 shown]
	s_nop 0
	scratch_store_dwordx4 off, v[4:7], off offset:1816 ; 16-byte Folded Spill
	scratch_store_dwordx4 off, v[8:11], off offset:1832 ; 16-byte Folded Spill
	;; [unrolled: 1-line block ×7, first 2 shown]
	s_nop 1
	v_mov_b32_e32 v28, v47
	scratch_store_dwordx4 off, v[168:171], s4 ; 16-byte Folded Spill
	s_nop 0
	scratch_store_dwordx4 off, v[172:175], s4 offset:16 ; 16-byte Folded Spill
	scratch_store_dwordx4 off, v[176:179], s4 offset:32 ; 16-byte Folded Spill
	;; [unrolled: 1-line block ×7, first 2 shown]
	v_mov_b64_e32 v[210:211], v[28:29]
	v_mov_b64_e32 v[208:209], v[26:27]
	v_mov_b32_e32 v51, v211
	v_mov_b64_e32 v[206:207], v[24:25]
	v_mov_b64_e32 v[204:205], v[22:23]
	;; [unrolled: 1-line block ×5, first 2 shown]
	scratch_store_dwordx4 off, v[22:25], off offset:260 ; 16-byte Folded Spill
	s_nop 0
	scratch_store_dwordx4 off, v[26:29], off offset:276 ; 16-byte Folded Spill
	scratch_store_dwordx4 off, v[30:33], off offset:292 ; 16-byte Folded Spill
	;; [unrolled: 1-line block ×7, first 2 shown]
	v_mov_b64_e32 v[196:197], v[14:15]
	v_mov_b64_e32 v[194:195], v[12:13]
	;; [unrolled: 1-line block ×8, first 2 shown]
	v_mov_b32_e32 v111, v30
	v_mov_b32_e32 v110, v31
	;; [unrolled: 1-line block ×7, first 2 shown]
	scratch_store_dwordx4 off, v[0:3], off offset:1160 ; 16-byte Folded Spill
	s_nop 0
	scratch_store_dwordx4 off, v[4:7], off offset:1176 ; 16-byte Folded Spill
	scratch_store_dwordx4 off, v[8:11], off offset:1192 ; 16-byte Folded Spill
	scratch_store_dwordx4 off, v[12:15], off offset:1208 ; 16-byte Folded Spill
	scratch_store_dwordx4 off, v[16:19], off offset:1224 ; 16-byte Folded Spill
	scratch_store_dwordx4 off, v[20:23], off offset:1240 ; 16-byte Folded Spill
	scratch_store_dwordx4 off, v[24:27], off offset:1256 ; 16-byte Folded Spill
	scratch_store_dwordx4 off, v[28:31], off offset:1272 ; 16-byte Folded Spill
	scratch_store_dwordx4 off, v[0:3], off offset:776 ; 16-byte Folded Spill
	s_nop 0
	scratch_store_dwordx4 off, v[4:7], off offset:792 ; 16-byte Folded Spill
	scratch_store_dwordx4 off, v[8:11], off offset:808 ; 16-byte Folded Spill
	scratch_store_dwordx4 off, v[12:15], off offset:824 ; 16-byte Folded Spill
	scratch_store_dwordx4 off, v[16:19], off offset:840 ; 16-byte Folded Spill
	scratch_store_dwordx4 off, v[20:23], off offset:856 ; 16-byte Folded Spill
	scratch_store_dwordx4 off, v[24:27], off offset:872 ; 16-byte Folded Spill
	scratch_store_dwordx4 off, v[28:31], off offset:888 ; 16-byte Folded Spill
	;; [unrolled: 9-line block ×9, first 2 shown]
.LBB59_58:
	s_or_b64 exec, exec, s[2:3]
	v_cmp_eq_u32_e32 vcc, 11, v255
	s_waitcnt lgkmcnt(0)
	s_barrier
	s_and_saveexec_b64 s[2:3], vcc
	s_cbranch_execz .LBB59_61
; %bb.59:
	scratch_load_dword v0, off, off offset:388 ; 4-byte Folded Reload
	ds_write_b32 v254, v111
	s_waitcnt vmcnt(0)
	ds_write2_b64 v0, v[194:195], v[196:197] offset0:6 offset1:7
	ds_write2_b64 v0, v[198:199], v[200:201] offset0:8 offset1:9
	;; [unrolled: 1-line block ×4, first 2 shown]
	ds_write_b64 v0, v[210:211] offset:112
	ds_read_b32 v30, v254
	s_waitcnt lgkmcnt(0)
	v_cmp_neq_f32_e32 vcc, 0, v30
	s_and_b64 exec, exec, vcc
	s_cbranch_execz .LBB59_61
; %bb.60:
	v_div_scale_f32 v31, s[4:5], v30, v30, 1.0
	v_rcp_f32_e32 v32, v31
	v_div_scale_f32 v33, vcc, 1.0, v30, 1.0
	v_fma_f32 v34, -v31, v32, 1.0
	v_fmac_f32_e32 v32, v34, v32
	v_mul_f32_e32 v34, v33, v32
	v_fma_f32 v35, -v31, v34, v33
	v_fmac_f32_e32 v34, v35, v32
	v_fma_f32 v31, -v31, v34, v33
	v_div_fmas_f32 v31, v31, v32, v34
	v_div_fixup_f32 v30, v31, v30, 1.0
	ds_write_b32 v254, v30
.LBB59_61:
	s_or_b64 exec, exec, s[2:3]
	s_waitcnt lgkmcnt(0)
	s_barrier
	ds_read_b32 v252, v254
	v_cmp_lt_u32_e32 vcc, 11, v255
	s_and_saveexec_b64 s[2:3], vcc
	s_cbranch_execz .LBB59_63
; %bb.62:
	scratch_load_dword v0, off, off offset:388 ; 4-byte Folded Reload
	s_waitcnt lgkmcnt(0)
	v_mul_f32_e32 v108, v111, v252
	s_movk_i32 s4, 0x1008
	v_mov_b32_e32 v84, v168
	v_mov_b32_e32 v85, v169
	;; [unrolled: 1-line block ×41, first 2 shown]
	s_waitcnt vmcnt(0)
	ds_read2_b64 v[2:5], v0 offset0:6 offset1:7
	ds_read2_b64 v[6:9], v0 offset0:8 offset1:9
	ds_read_b64 v[10:11], v0 offset:112
	s_waitcnt lgkmcnt(2)
	v_pk_fma_f32 v[166:167], v[108:109], v[2:3], v[194:195] op_sel_hi:[0,1,1] neg_lo:[1,0,0] neg_hi:[1,0,0]
	scratch_store_dwordx4 off, v[182:185], off offset:4 ; 16-byte Folded Spill
	s_nop 0
	scratch_store_dwordx4 off, v[186:189], off offset:20 ; 16-byte Folded Spill
	scratch_store_dwordx4 off, v[190:193], off offset:36 ; 16-byte Folded Spill
	;; [unrolled: 1-line block ×7, first 2 shown]
	scratch_load_dwordx4 v[12:15], off, off offset:4 ; 16-byte Folded Reload
	scratch_load_dwordx4 v[16:19], off, off offset:20 ; 16-byte Folded Reload
	;; [unrolled: 1-line block ×8, first 2 shown]
	v_mov_b32_e32 v62, v166
	v_mov_b32_e32 v63, v167
	;; [unrolled: 1-line block ×34, first 2 shown]
	s_waitcnt vmcnt(4)
	v_pk_fma_f32 v[202:203], v[108:109], v[4:5], v[26:27] op_sel_hi:[0,1,1] neg_lo:[1,0,0] neg_hi:[1,0,0]
	scratch_load_dwordx4 v[12:15], off, off offset:4 ; 16-byte Folded Reload
	scratch_load_dwordx4 v[16:19], off, off offset:20 ; 16-byte Folded Reload
	;; [unrolled: 1-line block ×8, first 2 shown]
	v_mov_b32_e32 v64, v202
	v_mov_b32_e32 v65, v203
	;; [unrolled: 1-line block ×10, first 2 shown]
	s_waitcnt vmcnt(3) lgkmcnt(1)
	v_pk_fma_f32 v[220:221], v[108:109], v[6:7], v[28:29] op_sel_hi:[0,1,1] neg_lo:[1,0,0] neg_hi:[1,0,0]
	scratch_load_dwordx4 v[12:15], off, off offset:4 ; 16-byte Folded Reload
	scratch_load_dwordx4 v[16:19], off, off offset:20 ; 16-byte Folded Reload
	;; [unrolled: 1-line block ×8, first 2 shown]
	v_mov_b32_e32 v66, v220
	v_mov_b32_e32 v67, v221
	;; [unrolled: 1-line block ×8, first 2 shown]
	s_waitcnt vmcnt(0) lgkmcnt(0)
	v_pk_fma_f32 v[40:41], v[108:109], v[10:11], v[40:41] op_sel_hi:[0,1,1] neg_lo:[1,0,0] neg_hi:[1,0,0]
	scratch_store_dwordx4 off, v[12:15], off offset:4 ; 16-byte Folded Spill
	s_nop 0
	scratch_store_dwordx4 off, v[16:19], off offset:20 ; 16-byte Folded Spill
	scratch_store_dwordx4 off, v[20:23], off offset:36 ; 16-byte Folded Spill
	;; [unrolled: 1-line block ×7, first 2 shown]
	v_mov_b32_e32 v30, v168
	v_mov_b32_e32 v31, v169
	;; [unrolled: 1-line block ×14, first 2 shown]
	scratch_store_dwordx4 off, v[30:33], s4 ; 16-byte Folded Spill
	s_nop 0
	scratch_store_dwordx4 off, v[34:37], s4 offset:16 ; 16-byte Folded Spill
	scratch_store_dwordx4 off, v[38:41], s4 offset:32 ; 16-byte Folded Spill
	;; [unrolled: 1-line block ×7, first 2 shown]
	v_mov_b32_e32 v44, v202
	v_mov_b32_e32 v45, v203
	s_movk_i32 s4, 0x1208
	scratch_store_dwordx4 off, v[30:33], off offset:3336 ; 16-byte Folded Spill
	s_nop 0
	scratch_store_dwordx4 off, v[34:37], off offset:3352 ; 16-byte Folded Spill
	scratch_store_dwordx4 off, v[38:41], off offset:3368 ; 16-byte Folded Spill
	;; [unrolled: 1-line block ×7, first 2 shown]
	v_mov_b32_e32 v46, v220
	v_mov_b32_e32 v47, v221
	scratch_store_dwordx4 off, v[30:33], off offset:2952 ; 16-byte Folded Spill
	s_nop 0
	scratch_store_dwordx4 off, v[34:37], off offset:2968 ; 16-byte Folded Spill
	scratch_store_dwordx4 off, v[38:41], off offset:2984 ; 16-byte Folded Spill
	;; [unrolled: 1-line block ×7, first 2 shown]
	scratch_load_dwordx4 v[10:13], off, off offset:4 ; 16-byte Folded Reload
	s_nop 0
	scratch_load_dwordx4 v[14:17], off, off offset:20 ; 16-byte Folded Reload
	scratch_load_dwordx4 v[18:21], off, off offset:36 ; 16-byte Folded Reload
	;; [unrolled: 1-line block ×7, first 2 shown]
	v_mov_b32_e32 v50, v168
	v_mov_b32_e32 v51, v169
	;; [unrolled: 1-line block ×12, first 2 shown]
	s_waitcnt vmcnt(0)
	v_mov_b32_e32 v41, v108
	v_mov_b32_e32 v11, v108
	;; [unrolled: 1-line block ×20, first 2 shown]
	v_pk_fma_f32 v[48:49], v[108:109], v[8:9], v[28:29] op_sel_hi:[0,1,1] neg_lo:[1,0,0] neg_hi:[1,0,0]
	v_mov_b32_e32 v68, v48
	v_mov_b32_e32 v69, v49
	scratch_store_dwordx4 off, v[50:53], off offset:2824 ; 16-byte Folded Spill
	s_nop 0
	scratch_store_dwordx4 off, v[54:57], off offset:2840 ; 16-byte Folded Spill
	scratch_store_dwordx4 off, v[58:61], off offset:2856 ; 16-byte Folded Spill
	;; [unrolled: 1-line block ×7, first 2 shown]
	ds_read2_b64 v[20:23], v0 offset0:10 offset1:11
	ds_read2_b64 v[24:27], v0 offset0:12 offset1:13
	scratch_load_dwordx4 v[50:53], off, off offset:4 ; 16-byte Folded Reload
	scratch_load_dwordx4 v[54:57], off, off offset:20 ; 16-byte Folded Reload
	;; [unrolled: 1-line block ×8, first 2 shown]
	v_mov_b32_e32 v102, v48
	v_mov_b32_e32 v103, v49
	;; [unrolled: 1-line block ×9, first 2 shown]
	s_waitcnt vmcnt(2) lgkmcnt(1)
	v_pk_fma_f32 v[20:21], v[108:109], v[20:21], v[70:71] op_sel_hi:[0,1,1] neg_lo:[1,0,0] neg_hi:[1,0,0]
	v_mov_b32_e32 v104, v20
	v_mov_b32_e32 v105, v21
	scratch_store_dwordx4 off, v[84:87], off offset:2568 ; 16-byte Folded Spill
	s_nop 0
	scratch_store_dwordx4 off, v[88:91], off offset:2584 ; 16-byte Folded Spill
	scratch_store_dwordx4 off, v[92:95], off offset:2600 ; 16-byte Folded Spill
	;; [unrolled: 1-line block ×7, first 2 shown]
	scratch_load_dwordx4 v[50:53], off, off offset:4 ; 16-byte Folded Reload
	scratch_load_dwordx4 v[54:57], off, off offset:20 ; 16-byte Folded Reload
	;; [unrolled: 1-line block ×8, first 2 shown]
	s_waitcnt vmcnt(7)
	v_mov_b32_e32 v50, v168
	v_mov_b32_e32 v51, v169
	;; [unrolled: 1-line block ×4, first 2 shown]
	s_waitcnt vmcnt(6)
	v_mov_b32_e32 v54, v172
	v_mov_b32_e32 v55, v173
	;; [unrolled: 1-line block ×4, first 2 shown]
	s_waitcnt vmcnt(5)
	v_mov_b32_e32 v58, v176
	v_mov_b32_e32 v59, v177
	v_mov_b32_e32 v60, v178
	s_waitcnt vmcnt(4)
	v_mov_b32_e32 v62, v166
	v_mov_b32_e32 v63, v167
	v_mov_b32_e32 v64, v202
	v_mov_b32_e32 v65, v203
	s_waitcnt vmcnt(3)
	v_mov_b32_e32 v66, v220
	;; [unrolled: 5-line block ×3, first 2 shown]
	v_mov_b32_e32 v71, v21
	v_mov_b32_e32 v84, v176
	;; [unrolled: 1-line block ×20, first 2 shown]
	v_pk_fma_f32 v[140:141], v[108:109], v[22:23], v[72:73] op_sel_hi:[0,1,1] neg_lo:[1,0,0] neg_hi:[1,0,0]
	v_mov_b32_e32 v72, v140
	v_mov_b32_e32 v73, v141
	scratch_store_dwordx4 off, v[50:53], off offset:2440 ; 16-byte Folded Spill
	s_nop 0
	scratch_store_dwordx4 off, v[54:57], off offset:2456 ; 16-byte Folded Spill
	scratch_store_dwordx4 off, v[58:61], off offset:2472 ; 16-byte Folded Spill
	;; [unrolled: 1-line block ×5, first 2 shown]
	s_waitcnt vmcnt(7)
	scratch_store_dwordx4 off, v[74:77], off offset:2536 ; 16-byte Folded Spill
	s_waitcnt vmcnt(7)
	scratch_store_dwordx4 off, v[78:81], off offset:2552 ; 16-byte Folded Spill
	scratch_load_dwordx4 v[50:53], off, off offset:4 ; 16-byte Folded Reload
	s_nop 0
	scratch_load_dwordx4 v[54:57], off, off offset:20 ; 16-byte Folded Reload
	scratch_load_dwordx4 v[58:61], off, off offset:36 ; 16-byte Folded Reload
	;; [unrolled: 1-line block ×7, first 2 shown]
	s_waitcnt vmcnt(1)
	v_mov_b32_e32 v76, v168
	v_mov_b32_e32 v77, v169
	s_waitcnt vmcnt(0)
	v_mov_b32_e32 v78, v170
	v_mov_b32_e32 v79, v171
	;; [unrolled: 1-line block ×31, first 2 shown]
	s_waitcnt lgkmcnt(0)
	v_pk_fma_f32 v[74:75], v[108:109], v[24:25], v[74:75] op_sel_hi:[0,1,1] neg_lo:[1,0,0] neg_hi:[1,0,0]
	v_mov_b32_e32 v100, v74
	v_mov_b32_e32 v101, v75
	scratch_store_dwordx4 off, v[76:79], off offset:2184 ; 16-byte Folded Spill
	s_nop 0
	scratch_store_dwordx4 off, v[80:83], off offset:2200 ; 16-byte Folded Spill
	scratch_store_dwordx4 off, v[84:87], off offset:2216 ; 16-byte Folded Spill
	;; [unrolled: 1-line block ×7, first 2 shown]
	scratch_load_dwordx4 v[76:79], off, off offset:4 ; 16-byte Folded Reload
	s_nop 0
	scratch_load_dwordx4 v[80:83], off, off offset:20 ; 16-byte Folded Reload
	scratch_load_dwordx4 v[84:87], off, off offset:36 ; 16-byte Folded Reload
	;; [unrolled: 1-line block ×15, first 2 shown]
	s_waitcnt vmcnt(5)
	v_mov_b32_e32 v233, v108
	v_mov_b32_e32 v80, v168
	;; [unrolled: 1-line block ×25, first 2 shown]
	scratch_store_dwordx4 off, v[222:225], off offset:4 ; 16-byte Folded Spill
	s_nop 0
	scratch_store_dwordx4 off, v[226:229], off offset:20 ; 16-byte Folded Spill
	scratch_store_dwordx4 off, v[230:233], off offset:36 ; 16-byte Folded Spill
	s_waitcnt vmcnt(7)
	scratch_store_dwordx4 off, v[234:237], off offset:52 ; 16-byte Folded Spill
	s_waitcnt vmcnt(7)
	;; [unrolled: 2-line block ×5, first 2 shown]
	scratch_store_dwordx4 off, v[250:253], off offset:116 ; 16-byte Folded Spill
	v_pk_fma_f32 v[106:107], v[108:109], v[26:27], v[102:103] op_sel_hi:[0,1,1] neg_lo:[1,0,0] neg_hi:[1,0,0]
	v_mov_b32_e32 v222, v168
	v_mov_b32_e32 v223, v169
	;; [unrolled: 1-line block ×30, first 2 shown]
	scratch_store_dwordx4 off, v[222:225], off offset:1800 ; 16-byte Folded Spill
	s_nop 0
	scratch_store_dwordx4 off, v[226:229], off offset:1816 ; 16-byte Folded Spill
	scratch_store_dwordx4 off, v[230:233], off offset:1832 ; 16-byte Folded Spill
	;; [unrolled: 1-line block ×7, first 2 shown]
	scratch_load_dwordx4 v[222:225], off, off offset:4 ; 16-byte Folded Reload
	s_nop 0
	scratch_load_dwordx4 v[226:229], off, off offset:20 ; 16-byte Folded Reload
	scratch_load_dwordx4 v[230:233], off, off offset:36 ; 16-byte Folded Reload
	scratch_load_dwordx4 v[234:237], off, off offset:52 ; 16-byte Folded Reload
	scratch_load_dwordx4 v[238:241], off, off offset:68 ; 16-byte Folded Reload
	scratch_load_dwordx4 v[242:245], off, off offset:84 ; 16-byte Folded Reload
	scratch_load_dwordx4 v[246:249], off, off offset:100 ; 16-byte Folded Reload
	scratch_load_dwordx4 v[250:253], off, off offset:116 ; 16-byte Folded Reload
	s_waitcnt vmcnt(7)
	v_mov_b32_e32 v222, v168
	scratch_store_dwordx4 off, v[222:225], off offset:4 ; 16-byte Folded Spill
	s_waitcnt vmcnt(7)
	scratch_store_dwordx4 off, v[226:229], off offset:20 ; 16-byte Folded Spill
	s_waitcnt vmcnt(7)
	scratch_store_dwordx4 off, v[230:233], off offset:36 ; 16-byte Folded Spill
	s_waitcnt vmcnt(7)
	scratch_store_dwordx4 off, v[234:237], off offset:52 ; 16-byte Folded Spill
	s_waitcnt vmcnt(7)
	scratch_store_dwordx4 off, v[238:241], off offset:68 ; 16-byte Folded Spill
	s_waitcnt vmcnt(7)
	scratch_store_dwordx4 off, v[242:245], off offset:84 ; 16-byte Folded Spill
	s_waitcnt vmcnt(7)
	scratch_store_dwordx4 off, v[246:249], off offset:100 ; 16-byte Folded Spill
	s_waitcnt vmcnt(7)
	scratch_store_dwordx4 off, v[250:253], off offset:116 ; 16-byte Folded Spill
	scratch_load_dwordx4 v[222:225], off, off offset:4 ; 16-byte Folded Reload
	s_nop 0
	scratch_load_dwordx4 v[226:229], off, off offset:20 ; 16-byte Folded Reload
	scratch_load_dwordx4 v[230:233], off, off offset:36 ; 16-byte Folded Reload
	scratch_load_dwordx4 v[234:237], off, off offset:52 ; 16-byte Folded Reload
	scratch_load_dwordx4 v[238:241], off, off offset:68 ; 16-byte Folded Reload
	scratch_load_dwordx4 v[242:245], off, off offset:84 ; 16-byte Folded Reload
	scratch_load_dwordx4 v[246:249], off, off offset:100 ; 16-byte Folded Reload
	scratch_load_dwordx4 v[250:253], off, off offset:116 ; 16-byte Folded Reload
	s_waitcnt vmcnt(7)
	v_mov_b32_e32 v223, v169
	scratch_store_dwordx4 off, v[222:225], off offset:4 ; 16-byte Folded Spill
	s_waitcnt vmcnt(7)
	scratch_store_dwordx4 off, v[226:229], off offset:20 ; 16-byte Folded Spill
	s_waitcnt vmcnt(7)
	scratch_store_dwordx4 off, v[230:233], off offset:36 ; 16-byte Folded Spill
	s_waitcnt vmcnt(7)
	scratch_store_dwordx4 off, v[234:237], off offset:52 ; 16-byte Folded Spill
	s_waitcnt vmcnt(7)
	scratch_store_dwordx4 off, v[238:241], off offset:68 ; 16-byte Folded Spill
	s_waitcnt vmcnt(7)
	scratch_store_dwordx4 off, v[242:245], off offset:84 ; 16-byte Folded Spill
	s_waitcnt vmcnt(7)
	scratch_store_dwordx4 off, v[246:249], off offset:100 ; 16-byte Folded Spill
	s_waitcnt vmcnt(7)
	scratch_store_dwordx4 off, v[250:253], off offset:116 ; 16-byte Folded Spill
	;; [unrolled: 26-line block ×4, first 2 shown]
	scratch_load_dwordx4 v[222:225], off, off offset:4 ; 16-byte Folded Reload
	s_nop 0
	scratch_load_dwordx4 v[226:229], off, off offset:20 ; 16-byte Folded Reload
	scratch_load_dwordx4 v[230:233], off, off offset:36 ; 16-byte Folded Reload
	scratch_load_dwordx4 v[234:237], off, off offset:52 ; 16-byte Folded Reload
	scratch_load_dwordx4 v[238:241], off, off offset:68 ; 16-byte Folded Reload
	scratch_load_dwordx4 v[242:245], off, off offset:84 ; 16-byte Folded Reload
	scratch_load_dwordx4 v[246:249], off, off offset:100 ; 16-byte Folded Reload
	scratch_load_dwordx4 v[250:253], off, off offset:116 ; 16-byte Folded Reload
	s_waitcnt vmcnt(6)
	v_mov_b32_e32 v226, v172
	scratch_store_dwordx4 off, v[222:225], off offset:4 ; 16-byte Folded Spill
	s_nop 0
	scratch_store_dwordx4 off, v[226:229], off offset:20 ; 16-byte Folded Spill
	s_waitcnt vmcnt(7)
	scratch_store_dwordx4 off, v[230:233], off offset:36 ; 16-byte Folded Spill
	s_waitcnt vmcnt(7)
	scratch_store_dwordx4 off, v[234:237], off offset:52 ; 16-byte Folded Spill
	s_waitcnt vmcnt(7)
	scratch_store_dwordx4 off, v[238:241], off offset:68 ; 16-byte Folded Spill
	s_waitcnt vmcnt(7)
	scratch_store_dwordx4 off, v[242:245], off offset:84 ; 16-byte Folded Spill
	s_waitcnt vmcnt(7)
	scratch_store_dwordx4 off, v[246:249], off offset:100 ; 16-byte Folded Spill
	s_waitcnt vmcnt(7)
	scratch_store_dwordx4 off, v[250:253], off offset:116 ; 16-byte Folded Spill
	scratch_load_dwordx4 v[222:225], off, off offset:4 ; 16-byte Folded Reload
	s_nop 0
	scratch_load_dwordx4 v[226:229], off, off offset:20 ; 16-byte Folded Reload
	scratch_load_dwordx4 v[230:233], off, off offset:36 ; 16-byte Folded Reload
	scratch_load_dwordx4 v[234:237], off, off offset:52 ; 16-byte Folded Reload
	scratch_load_dwordx4 v[238:241], off, off offset:68 ; 16-byte Folded Reload
	scratch_load_dwordx4 v[242:245], off, off offset:84 ; 16-byte Folded Reload
	scratch_load_dwordx4 v[246:249], off, off offset:100 ; 16-byte Folded Reload
	scratch_load_dwordx4 v[250:253], off, off offset:116 ; 16-byte Folded Reload
	s_waitcnt vmcnt(6)
	v_mov_b32_e32 v227, v173
	scratch_store_dwordx4 off, v[222:225], off offset:4 ; 16-byte Folded Spill
	s_nop 0
	scratch_store_dwordx4 off, v[226:229], off offset:20 ; 16-byte Folded Spill
	s_waitcnt vmcnt(7)
	scratch_store_dwordx4 off, v[230:233], off offset:36 ; 16-byte Folded Spill
	s_waitcnt vmcnt(7)
	scratch_store_dwordx4 off, v[234:237], off offset:52 ; 16-byte Folded Spill
	s_waitcnt vmcnt(7)
	scratch_store_dwordx4 off, v[238:241], off offset:68 ; 16-byte Folded Spill
	s_waitcnt vmcnt(7)
	scratch_store_dwordx4 off, v[242:245], off offset:84 ; 16-byte Folded Spill
	s_waitcnt vmcnt(7)
	scratch_store_dwordx4 off, v[246:249], off offset:100 ; 16-byte Folded Spill
	s_waitcnt vmcnt(7)
	scratch_store_dwordx4 off, v[250:253], off offset:116 ; 16-byte Folded Spill
	;; [unrolled: 26-line block ×4, first 2 shown]
	scratch_load_dwordx4 v[222:225], off, off offset:4 ; 16-byte Folded Reload
	s_nop 0
	scratch_load_dwordx4 v[226:229], off, off offset:20 ; 16-byte Folded Reload
	scratch_load_dwordx4 v[230:233], off, off offset:36 ; 16-byte Folded Reload
	scratch_load_dwordx4 v[234:237], off, off offset:52 ; 16-byte Folded Reload
	scratch_load_dwordx4 v[238:241], off, off offset:68 ; 16-byte Folded Reload
	scratch_load_dwordx4 v[242:245], off, off offset:84 ; 16-byte Folded Reload
	scratch_load_dwordx4 v[246:249], off, off offset:100 ; 16-byte Folded Reload
	scratch_load_dwordx4 v[250:253], off, off offset:116 ; 16-byte Folded Reload
	s_waitcnt vmcnt(5)
	v_mov_b32_e32 v230, v176
	scratch_store_dwordx4 off, v[222:225], off offset:4 ; 16-byte Folded Spill
	s_nop 0
	scratch_store_dwordx4 off, v[226:229], off offset:20 ; 16-byte Folded Spill
	scratch_store_dwordx4 off, v[230:233], off offset:36 ; 16-byte Folded Spill
	s_waitcnt vmcnt(7)
	scratch_store_dwordx4 off, v[234:237], off offset:52 ; 16-byte Folded Spill
	s_waitcnt vmcnt(7)
	scratch_store_dwordx4 off, v[238:241], off offset:68 ; 16-byte Folded Spill
	s_waitcnt vmcnt(7)
	scratch_store_dwordx4 off, v[242:245], off offset:84 ; 16-byte Folded Spill
	s_waitcnt vmcnt(7)
	scratch_store_dwordx4 off, v[246:249], off offset:100 ; 16-byte Folded Spill
	s_waitcnt vmcnt(7)
	scratch_store_dwordx4 off, v[250:253], off offset:116 ; 16-byte Folded Spill
	scratch_load_dwordx4 v[222:225], off, off offset:4 ; 16-byte Folded Reload
	s_nop 0
	scratch_load_dwordx4 v[226:229], off, off offset:20 ; 16-byte Folded Reload
	scratch_load_dwordx4 v[230:233], off, off offset:36 ; 16-byte Folded Reload
	scratch_load_dwordx4 v[234:237], off, off offset:52 ; 16-byte Folded Reload
	scratch_load_dwordx4 v[238:241], off, off offset:68 ; 16-byte Folded Reload
	scratch_load_dwordx4 v[242:245], off, off offset:84 ; 16-byte Folded Reload
	scratch_load_dwordx4 v[246:249], off, off offset:100 ; 16-byte Folded Reload
	scratch_load_dwordx4 v[250:253], off, off offset:116 ; 16-byte Folded Reload
	s_waitcnt vmcnt(5)
	v_mov_b32_e32 v231, v177
	scratch_store_dwordx4 off, v[222:225], off offset:4 ; 16-byte Folded Spill
	s_nop 0
	scratch_store_dwordx4 off, v[226:229], off offset:20 ; 16-byte Folded Spill
	scratch_store_dwordx4 off, v[230:233], off offset:36 ; 16-byte Folded Spill
	s_waitcnt vmcnt(7)
	scratch_store_dwordx4 off, v[234:237], off offset:52 ; 16-byte Folded Spill
	s_waitcnt vmcnt(7)
	scratch_store_dwordx4 off, v[238:241], off offset:68 ; 16-byte Folded Spill
	s_waitcnt vmcnt(7)
	scratch_store_dwordx4 off, v[242:245], off offset:84 ; 16-byte Folded Spill
	s_waitcnt vmcnt(7)
	scratch_store_dwordx4 off, v[246:249], off offset:100 ; 16-byte Folded Spill
	s_waitcnt vmcnt(7)
	scratch_store_dwordx4 off, v[250:253], off offset:116 ; 16-byte Folded Spill
	;; [unrolled: 25-line block ×3, first 2 shown]
	scratch_load_dwordx4 v[222:225], off, off offset:4 ; 16-byte Folded Reload
	s_nop 0
	scratch_load_dwordx4 v[226:229], off, off offset:20 ; 16-byte Folded Reload
	scratch_load_dwordx4 v[230:233], off, off offset:36 ; 16-byte Folded Reload
	scratch_load_dwordx4 v[234:237], off, off offset:52 ; 16-byte Folded Reload
	scratch_load_dwordx4 v[238:241], off, off offset:68 ; 16-byte Folded Reload
	scratch_load_dwordx4 v[242:245], off, off offset:84 ; 16-byte Folded Reload
	scratch_load_dwordx4 v[246:249], off, off offset:100 ; 16-byte Folded Reload
	scratch_load_dwordx4 v[250:253], off, off offset:116 ; 16-byte Folded Reload
	s_waitcnt vmcnt(4)
	v_mov_b32_e32 v234, v166
	scratch_store_dwordx4 off, v[222:225], off offset:4 ; 16-byte Folded Spill
	s_nop 0
	scratch_store_dwordx4 off, v[226:229], off offset:20 ; 16-byte Folded Spill
	scratch_store_dwordx4 off, v[230:233], off offset:36 ; 16-byte Folded Spill
	scratch_store_dwordx4 off, v[234:237], off offset:52 ; 16-byte Folded Spill
	s_waitcnt vmcnt(7)
	scratch_store_dwordx4 off, v[238:241], off offset:68 ; 16-byte Folded Spill
	s_waitcnt vmcnt(7)
	scratch_store_dwordx4 off, v[242:245], off offset:84 ; 16-byte Folded Spill
	s_waitcnt vmcnt(7)
	scratch_store_dwordx4 off, v[246:249], off offset:100 ; 16-byte Folded Spill
	s_waitcnt vmcnt(7)
	scratch_store_dwordx4 off, v[250:253], off offset:116 ; 16-byte Folded Spill
	scratch_load_dwordx4 v[222:225], off, off offset:4 ; 16-byte Folded Reload
	s_nop 0
	scratch_load_dwordx4 v[226:229], off, off offset:20 ; 16-byte Folded Reload
	scratch_load_dwordx4 v[230:233], off, off offset:36 ; 16-byte Folded Reload
	scratch_load_dwordx4 v[234:237], off, off offset:52 ; 16-byte Folded Reload
	scratch_load_dwordx4 v[238:241], off, off offset:68 ; 16-byte Folded Reload
	scratch_load_dwordx4 v[242:245], off, off offset:84 ; 16-byte Folded Reload
	scratch_load_dwordx4 v[246:249], off, off offset:100 ; 16-byte Folded Reload
	scratch_load_dwordx4 v[250:253], off, off offset:116 ; 16-byte Folded Reload
	s_waitcnt vmcnt(4)
	v_mov_b32_e32 v235, v167
	scratch_store_dwordx4 off, v[222:225], off offset:4 ; 16-byte Folded Spill
	s_nop 0
	scratch_store_dwordx4 off, v[226:229], off offset:20 ; 16-byte Folded Spill
	scratch_store_dwordx4 off, v[230:233], off offset:36 ; 16-byte Folded Spill
	scratch_store_dwordx4 off, v[234:237], off offset:52 ; 16-byte Folded Spill
	s_waitcnt vmcnt(7)
	scratch_store_dwordx4 off, v[238:241], off offset:68 ; 16-byte Folded Spill
	s_waitcnt vmcnt(7)
	scratch_store_dwordx4 off, v[242:245], off offset:84 ; 16-byte Folded Spill
	s_waitcnt vmcnt(7)
	scratch_store_dwordx4 off, v[246:249], off offset:100 ; 16-byte Folded Spill
	s_waitcnt vmcnt(7)
	scratch_store_dwordx4 off, v[250:253], off offset:116 ; 16-byte Folded Spill
	;; [unrolled: 24-line block ×4, first 2 shown]
	scratch_load_dwordx4 v[222:225], off, off offset:4 ; 16-byte Folded Reload
	s_nop 0
	scratch_load_dwordx4 v[226:229], off, off offset:20 ; 16-byte Folded Reload
	scratch_load_dwordx4 v[230:233], off, off offset:36 ; 16-byte Folded Reload
	scratch_load_dwordx4 v[234:237], off, off offset:52 ; 16-byte Folded Reload
	scratch_load_dwordx4 v[238:241], off, off offset:68 ; 16-byte Folded Reload
	scratch_load_dwordx4 v[242:245], off, off offset:84 ; 16-byte Folded Reload
	scratch_load_dwordx4 v[246:249], off, off offset:100 ; 16-byte Folded Reload
	scratch_load_dwordx4 v[250:253], off, off offset:116 ; 16-byte Folded Reload
	s_waitcnt vmcnt(3)
	v_mov_b32_e32 v238, v220
	scratch_store_dwordx4 off, v[222:225], off offset:4 ; 16-byte Folded Spill
	s_nop 0
	scratch_store_dwordx4 off, v[226:229], off offset:20 ; 16-byte Folded Spill
	scratch_store_dwordx4 off, v[230:233], off offset:36 ; 16-byte Folded Spill
	scratch_store_dwordx4 off, v[234:237], off offset:52 ; 16-byte Folded Spill
	scratch_store_dwordx4 off, v[238:241], off offset:68 ; 16-byte Folded Spill
	s_waitcnt vmcnt(7)
	scratch_store_dwordx4 off, v[242:245], off offset:84 ; 16-byte Folded Spill
	s_waitcnt vmcnt(7)
	scratch_store_dwordx4 off, v[246:249], off offset:100 ; 16-byte Folded Spill
	s_waitcnt vmcnt(7)
	scratch_store_dwordx4 off, v[250:253], off offset:116 ; 16-byte Folded Spill
	scratch_load_dwordx4 v[222:225], off, off offset:4 ; 16-byte Folded Reload
	s_nop 0
	scratch_load_dwordx4 v[226:229], off, off offset:20 ; 16-byte Folded Reload
	scratch_load_dwordx4 v[230:233], off, off offset:36 ; 16-byte Folded Reload
	scratch_load_dwordx4 v[234:237], off, off offset:52 ; 16-byte Folded Reload
	scratch_load_dwordx4 v[238:241], off, off offset:68 ; 16-byte Folded Reload
	scratch_load_dwordx4 v[242:245], off, off offset:84 ; 16-byte Folded Reload
	scratch_load_dwordx4 v[246:249], off, off offset:100 ; 16-byte Folded Reload
	scratch_load_dwordx4 v[250:253], off, off offset:116 ; 16-byte Folded Reload
	s_waitcnt vmcnt(3)
	v_mov_b32_e32 v239, v221
	scratch_store_dwordx4 off, v[222:225], off offset:4 ; 16-byte Folded Spill
	s_nop 0
	scratch_store_dwordx4 off, v[226:229], off offset:20 ; 16-byte Folded Spill
	scratch_store_dwordx4 off, v[230:233], off offset:36 ; 16-byte Folded Spill
	scratch_store_dwordx4 off, v[234:237], off offset:52 ; 16-byte Folded Spill
	scratch_store_dwordx4 off, v[238:241], off offset:68 ; 16-byte Folded Spill
	s_waitcnt vmcnt(7)
	scratch_store_dwordx4 off, v[242:245], off offset:84 ; 16-byte Folded Spill
	s_waitcnt vmcnt(7)
	scratch_store_dwordx4 off, v[246:249], off offset:100 ; 16-byte Folded Spill
	s_waitcnt vmcnt(7)
	scratch_store_dwordx4 off, v[250:253], off offset:116 ; 16-byte Folded Spill
	;; [unrolled: 23-line block ×4, first 2 shown]
	scratch_load_dwordx4 v[222:225], off, off offset:4 ; 16-byte Folded Reload
	s_nop 0
	scratch_load_dwordx4 v[226:229], off, off offset:20 ; 16-byte Folded Reload
	scratch_load_dwordx4 v[230:233], off, off offset:36 ; 16-byte Folded Reload
	scratch_load_dwordx4 v[234:237], off, off offset:52 ; 16-byte Folded Reload
	scratch_load_dwordx4 v[238:241], off, off offset:68 ; 16-byte Folded Reload
	scratch_load_dwordx4 v[242:245], off, off offset:84 ; 16-byte Folded Reload
	scratch_load_dwordx4 v[246:249], off, off offset:100 ; 16-byte Folded Reload
	scratch_load_dwordx4 v[250:253], off, off offset:116 ; 16-byte Folded Reload
	s_waitcnt vmcnt(2)
	v_mov_b32_e32 v242, v20
	scratch_store_dwordx4 off, v[222:225], off offset:4 ; 16-byte Folded Spill
	s_nop 0
	scratch_store_dwordx4 off, v[226:229], off offset:20 ; 16-byte Folded Spill
	scratch_store_dwordx4 off, v[230:233], off offset:36 ; 16-byte Folded Spill
	scratch_store_dwordx4 off, v[234:237], off offset:52 ; 16-byte Folded Spill
	scratch_store_dwordx4 off, v[238:241], off offset:68 ; 16-byte Folded Spill
	scratch_store_dwordx4 off, v[242:245], off offset:84 ; 16-byte Folded Spill
	s_waitcnt vmcnt(7)
	scratch_store_dwordx4 off, v[246:249], off offset:100 ; 16-byte Folded Spill
	s_waitcnt vmcnt(7)
	scratch_store_dwordx4 off, v[250:253], off offset:116 ; 16-byte Folded Spill
	scratch_load_dwordx4 v[222:225], off, off offset:4 ; 16-byte Folded Reload
	s_nop 0
	scratch_load_dwordx4 v[226:229], off, off offset:20 ; 16-byte Folded Reload
	scratch_load_dwordx4 v[230:233], off, off offset:36 ; 16-byte Folded Reload
	scratch_load_dwordx4 v[234:237], off, off offset:52 ; 16-byte Folded Reload
	scratch_load_dwordx4 v[238:241], off, off offset:68 ; 16-byte Folded Reload
	scratch_load_dwordx4 v[242:245], off, off offset:84 ; 16-byte Folded Reload
	scratch_load_dwordx4 v[246:249], off, off offset:100 ; 16-byte Folded Reload
	scratch_load_dwordx4 v[250:253], off, off offset:116 ; 16-byte Folded Reload
	s_waitcnt vmcnt(2)
	v_mov_b32_e32 v243, v21
	scratch_store_dwordx4 off, v[222:225], off offset:4 ; 16-byte Folded Spill
	s_nop 0
	scratch_store_dwordx4 off, v[226:229], off offset:20 ; 16-byte Folded Spill
	scratch_store_dwordx4 off, v[230:233], off offset:36 ; 16-byte Folded Spill
	scratch_store_dwordx4 off, v[234:237], off offset:52 ; 16-byte Folded Spill
	scratch_store_dwordx4 off, v[238:241], off offset:68 ; 16-byte Folded Spill
	scratch_store_dwordx4 off, v[242:245], off offset:84 ; 16-byte Folded Spill
	s_waitcnt vmcnt(7)
	scratch_store_dwordx4 off, v[246:249], off offset:100 ; 16-byte Folded Spill
	s_waitcnt vmcnt(7)
	scratch_store_dwordx4 off, v[250:253], off offset:116 ; 16-byte Folded Spill
	scratch_load_dwordx4 v[222:225], off, off offset:4 ; 16-byte Folded Reload
	s_nop 0
	scratch_load_dwordx4 v[226:229], off, off offset:20 ; 16-byte Folded Reload
	scratch_load_dwordx4 v[230:233], off, off offset:36 ; 16-byte Folded Reload
	scratch_load_dwordx4 v[234:237], off, off offset:52 ; 16-byte Folded Reload
	scratch_load_dwordx4 v[238:241], off, off offset:68 ; 16-byte Folded Reload
	scratch_load_dwordx4 v[242:245], off, off offset:84 ; 16-byte Folded Reload
	scratch_load_dwordx4 v[246:249], off, off offset:100 ; 16-byte Folded Reload
	scratch_load_dwordx4 v[250:253], off, off offset:116 ; 16-byte Folded Reload
	s_waitcnt vmcnt(2)
	v_mov_b32_e32 v244, v140
	scratch_store_dwordx4 off, v[222:225], off offset:4 ; 16-byte Folded Spill
	s_nop 0
	scratch_store_dwordx4 off, v[226:229], off offset:20 ; 16-byte Folded Spill
	scratch_store_dwordx4 off, v[230:233], off offset:36 ; 16-byte Folded Spill
	scratch_store_dwordx4 off, v[234:237], off offset:52 ; 16-byte Folded Spill
	scratch_store_dwordx4 off, v[238:241], off offset:68 ; 16-byte Folded Spill
	scratch_store_dwordx4 off, v[242:245], off offset:84 ; 16-byte Folded Spill
	s_waitcnt vmcnt(7)
	scratch_store_dwordx4 off, v[246:249], off offset:100 ; 16-byte Folded Spill
	s_waitcnt vmcnt(7)
	scratch_store_dwordx4 off, v[250:253], off offset:116 ; 16-byte Folded Spill
	scratch_load_dwordx4 v[222:225], off, off offset:4 ; 16-byte Folded Reload
	s_nop 0
	scratch_load_dwordx4 v[226:229], off, off offset:20 ; 16-byte Folded Reload
	scratch_load_dwordx4 v[230:233], off, off offset:36 ; 16-byte Folded Reload
	scratch_load_dwordx4 v[234:237], off, off offset:52 ; 16-byte Folded Reload
	scratch_load_dwordx4 v[238:241], off, off offset:68 ; 16-byte Folded Reload
	scratch_load_dwordx4 v[242:245], off, off offset:84 ; 16-byte Folded Reload
	scratch_load_dwordx4 v[246:249], off, off offset:100 ; 16-byte Folded Reload
	scratch_load_dwordx4 v[250:253], off, off offset:116 ; 16-byte Folded Reload
	s_waitcnt vmcnt(2)
	v_mov_b32_e32 v245, v141
	scratch_store_dwordx4 off, v[222:225], off offset:4 ; 16-byte Folded Spill
	s_nop 0
	scratch_store_dwordx4 off, v[226:229], off offset:20 ; 16-byte Folded Spill
	scratch_store_dwordx4 off, v[230:233], off offset:36 ; 16-byte Folded Spill
	scratch_store_dwordx4 off, v[234:237], off offset:52 ; 16-byte Folded Spill
	scratch_store_dwordx4 off, v[238:241], off offset:68 ; 16-byte Folded Spill
	scratch_store_dwordx4 off, v[242:245], off offset:84 ; 16-byte Folded Spill
	s_waitcnt vmcnt(7)
	scratch_store_dwordx4 off, v[246:249], off offset:100 ; 16-byte Folded Spill
	s_waitcnt vmcnt(7)
	scratch_store_dwordx4 off, v[250:253], off offset:116 ; 16-byte Folded Spill
	scratch_load_dwordx4 v[222:225], off, off offset:4 ; 16-byte Folded Reload
	s_nop 0
	scratch_load_dwordx4 v[226:229], off, off offset:20 ; 16-byte Folded Reload
	scratch_load_dwordx4 v[230:233], off, off offset:36 ; 16-byte Folded Reload
	scratch_load_dwordx4 v[234:237], off, off offset:52 ; 16-byte Folded Reload
	scratch_load_dwordx4 v[238:241], off, off offset:68 ; 16-byte Folded Reload
	scratch_load_dwordx4 v[242:245], off, off offset:84 ; 16-byte Folded Reload
	scratch_load_dwordx4 v[246:249], off, off offset:100 ; 16-byte Folded Reload
	scratch_load_dwordx4 v[250:253], off, off offset:116 ; 16-byte Folded Reload
	s_waitcnt vmcnt(1)
	v_mov_b32_e32 v246, v74
	scratch_store_dwordx4 off, v[222:225], off offset:4 ; 16-byte Folded Spill
	s_nop 0
	scratch_store_dwordx4 off, v[226:229], off offset:20 ; 16-byte Folded Spill
	scratch_store_dwordx4 off, v[230:233], off offset:36 ; 16-byte Folded Spill
	scratch_store_dwordx4 off, v[234:237], off offset:52 ; 16-byte Folded Spill
	scratch_store_dwordx4 off, v[238:241], off offset:68 ; 16-byte Folded Spill
	scratch_store_dwordx4 off, v[242:245], off offset:84 ; 16-byte Folded Spill
	scratch_store_dwordx4 off, v[246:249], off offset:100 ; 16-byte Folded Spill
	s_waitcnt vmcnt(7)
	scratch_store_dwordx4 off, v[250:253], off offset:116 ; 16-byte Folded Spill
	scratch_load_dwordx4 v[222:225], off, off offset:4 ; 16-byte Folded Reload
	s_nop 0
	scratch_load_dwordx4 v[226:229], off, off offset:20 ; 16-byte Folded Reload
	scratch_load_dwordx4 v[230:233], off, off offset:36 ; 16-byte Folded Reload
	scratch_load_dwordx4 v[234:237], off, off offset:52 ; 16-byte Folded Reload
	scratch_load_dwordx4 v[238:241], off, off offset:68 ; 16-byte Folded Reload
	scratch_load_dwordx4 v[242:245], off, off offset:84 ; 16-byte Folded Reload
	scratch_load_dwordx4 v[246:249], off, off offset:100 ; 16-byte Folded Reload
	scratch_load_dwordx4 v[250:253], off, off offset:116 ; 16-byte Folded Reload
	s_waitcnt vmcnt(1)
	v_mov_b32_e32 v247, v75
	scratch_store_dwordx4 off, v[222:225], off offset:4 ; 16-byte Folded Spill
	s_nop 0
	scratch_store_dwordx4 off, v[226:229], off offset:20 ; 16-byte Folded Spill
	scratch_store_dwordx4 off, v[230:233], off offset:36 ; 16-byte Folded Spill
	scratch_store_dwordx4 off, v[234:237], off offset:52 ; 16-byte Folded Spill
	scratch_store_dwordx4 off, v[238:241], off offset:68 ; 16-byte Folded Spill
	scratch_store_dwordx4 off, v[242:245], off offset:84 ; 16-byte Folded Spill
	scratch_store_dwordx4 off, v[246:249], off offset:100 ; 16-byte Folded Spill
	s_waitcnt vmcnt(7)
	scratch_store_dwordx4 off, v[250:253], off offset:116 ; 16-byte Folded Spill
	;; [unrolled: 21-line block ×4, first 2 shown]
	scratch_store_dwordx4 off, v[168:171], s4 ; 16-byte Folded Spill
	s_nop 0
	scratch_store_dwordx4 off, v[172:175], s4 offset:16 ; 16-byte Folded Spill
	scratch_store_dwordx4 off, v[176:179], s4 offset:32 ; 16-byte Folded Spill
	;; [unrolled: 1-line block ×7, first 2 shown]
	scratch_load_dwordx4 v[222:225], off, off offset:4 ; 16-byte Folded Reload
	scratch_load_dwordx4 v[226:229], off, off offset:20 ; 16-byte Folded Reload
	;; [unrolled: 1-line block ×8, first 2 shown]
	s_movk_i32 s4, 0x1188
	s_waitcnt vmcnt(0)
	v_mov_b32_e32 v78, v250
	scratch_load_dwordx4 v[222:225], off, off offset:4 ; 16-byte Folded Reload
	scratch_load_dwordx4 v[226:229], off, off offset:20 ; 16-byte Folded Reload
	;; [unrolled: 1-line block ×8, first 2 shown]
	s_waitcnt vmcnt(0)
	v_mov_b32_e32 v252, v22
	v_mov_b32_e32 v22, v220
	v_mov_b32_e32 v79, v251
	scratch_store_dwordx4 off, v[50:53], off offset:260 ; 16-byte Folded Spill
	s_nop 0
	scratch_store_dwordx4 off, v[54:57], off offset:276 ; 16-byte Folded Spill
	scratch_store_dwordx4 off, v[58:61], off offset:292 ; 16-byte Folded Spill
	;; [unrolled: 1-line block ×7, first 2 shown]
	scratch_store_dwordx4 off, v[154:157], s4 ; 16-byte Folded Spill
	s_nop 0
	scratch_store_dwordx4 off, v[158:161], s4 offset:16 ; 16-byte Folded Spill
	scratch_store_dwordx4 off, v[162:165], s4 offset:32 ; 16-byte Folded Spill
	;; [unrolled: 1-line block ×7, first 2 shown]
	v_mov_b32_e32 v158, v202
	scratch_store_dwordx4 off, v[188:191], off offset:3208 ; 16-byte Folded Spill
	s_nop 0
	scratch_store_dwordx4 off, v[192:195], off offset:3224 ; 16-byte Folded Spill
	scratch_store_dwordx4 off, v[196:199], off offset:3240 ; 16-byte Folded Spill
	scratch_store_dwordx4 off, v[200:203], off offset:3256 ; 16-byte Folded Spill
	scratch_store_dwordx4 off, v[204:207], off offset:3272 ; 16-byte Folded Spill
	scratch_store_dwordx4 off, v[208:211], off offset:3288 ; 16-byte Folded Spill
	scratch_store_dwordx4 off, v[212:215], off offset:3304 ; 16-byte Folded Spill
	scratch_store_dwordx4 off, v[216:219], off offset:3320 ; 16-byte Folded Spill
	scratch_store_dwordx4 off, v[188:191], off offset:1160 ; 16-byte Folded Spill
	s_nop 0
	scratch_store_dwordx4 off, v[192:195], off offset:1176 ; 16-byte Folded Spill
	scratch_store_dwordx4 off, v[196:199], off offset:1192 ; 16-byte Folded Spill
	scratch_store_dwordx4 off, v[200:203], off offset:1208 ; 16-byte Folded Spill
	scratch_store_dwordx4 off, v[204:207], off offset:1224 ; 16-byte Folded Spill
	scratch_store_dwordx4 off, v[208:211], off offset:1240 ; 16-byte Folded Spill
	scratch_store_dwordx4 off, v[212:215], off offset:1256 ; 16-byte Folded Spill
	scratch_store_dwordx4 off, v[216:219], off offset:1272 ; 16-byte Folded Spill
	;; [unrolled: 9-line block ×4, first 2 shown]
	scratch_load_dwordx4 v[182:185], off, off offset:4 ; 16-byte Folded Reload
	s_nop 0
	scratch_load_dwordx4 v[186:189], off, off offset:20 ; 16-byte Folded Reload
	scratch_load_dwordx4 v[190:193], off, off offset:36 ; 16-byte Folded Reload
	;; [unrolled: 1-line block ×7, first 2 shown]
	s_waitcnt vmcnt(1)
	scratch_store_dwordx4 off, v[204:207], off offset:1544 ; 16-byte Folded Spill
	s_waitcnt vmcnt(1)
	scratch_store_dwordx4 off, v[208:211], off offset:1560 ; 16-byte Folded Spill
	scratch_store_dwordx4 off, v[212:215], off offset:1576 ; 16-byte Folded Spill
	;; [unrolled: 1-line block ×7, first 2 shown]
	v_mov_b64_e32 v[226:227], v[14:15]
	s_nop 0
	v_mov_b64_e32 v[232:233], v[20:21]
	v_mov_b64_e32 v[224:225], v[12:13]
	;; [unrolled: 1-line block ×10, first 2 shown]
	scratch_store_dwordx4 off, v[0:3], off offset:648 ; 16-byte Folded Spill
	s_nop 0
	scratch_store_dwordx4 off, v[4:7], off offset:664 ; 16-byte Folded Spill
	scratch_store_dwordx4 off, v[8:11], off offset:680 ; 16-byte Folded Spill
	scratch_store_dwordx4 off, v[12:15], off offset:696 ; 16-byte Folded Spill
	scratch_store_dwordx4 off, v[16:19], off offset:712 ; 16-byte Folded Spill
	scratch_store_dwordx4 off, v[20:23], off offset:728 ; 16-byte Folded Spill
	scratch_store_dwordx4 off, v[24:27], off offset:744 ; 16-byte Folded Spill
	scratch_store_dwordx4 off, v[28:31], off offset:760 ; 16-byte Folded Spill
	scratch_store_dwordx4 off, v[30:33], off offset:1672 ; 16-byte Folded Spill
	s_nop 0
	scratch_store_dwordx4 off, v[34:37], off offset:1688 ; 16-byte Folded Spill
	scratch_store_dwordx4 off, v[38:41], off offset:1704 ; 16-byte Folded Spill
	scratch_store_dwordx4 off, v[42:45], off offset:1720 ; 16-byte Folded Spill
	scratch_store_dwordx4 off, v[46:49], off offset:1736 ; 16-byte Folded Spill
	scratch_store_dwordx4 off, v[50:53], off offset:1752 ; 16-byte Folded Spill
	scratch_store_dwordx4 off, v[54:57], off offset:1768 ; 16-byte Folded Spill
	scratch_store_dwordx4 off, v[58:61], off offset:1784 ; 16-byte Folded Spill
	;; [unrolled: 9-line block ×6, first 2 shown]
	v_mov_b32_e32 v22, v140
	scratch_store_dwordx4 off, v[0:3], off offset:904 ; 16-byte Folded Spill
	s_nop 0
	scratch_store_dwordx4 off, v[4:7], off offset:920 ; 16-byte Folded Spill
	scratch_store_dwordx4 off, v[8:11], off offset:936 ; 16-byte Folded Spill
	scratch_store_dwordx4 off, v[12:15], off offset:952 ; 16-byte Folded Spill
	scratch_store_dwordx4 off, v[16:19], off offset:968 ; 16-byte Folded Spill
	scratch_store_dwordx4 off, v[20:23], off offset:984 ; 16-byte Folded Spill
	scratch_store_dwordx4 off, v[24:27], off offset:1000 ; 16-byte Folded Spill
	scratch_store_dwordx4 off, v[28:31], off offset:1016 ; 16-byte Folded Spill
	scratch_store_dwordx4 off, v[118:121], off offset:1416 ; 16-byte Folded Spill
	s_nop 0
	scratch_store_dwordx4 off, v[122:125], off offset:1432 ; 16-byte Folded Spill
	scratch_store_dwordx4 off, v[126:129], off offset:1448 ; 16-byte Folded Spill
	scratch_store_dwordx4 off, v[130:133], off offset:1464 ; 16-byte Folded Spill
	scratch_store_dwordx4 off, v[134:137], off offset:1480 ; 16-byte Folded Spill
	scratch_store_dwordx4 off, v[138:141], off offset:1496 ; 16-byte Folded Spill
	scratch_store_dwordx4 off, v[142:145], off offset:1512 ; 16-byte Folded Spill
	scratch_store_dwordx4 off, v[146:149], off offset:1528 ; 16-byte Folded Spill
	;; [unrolled: 9-line block ×3, first 2 shown]
	v_mov_b32_e32 v138, v74
	scratch_store_dwordx4 off, v[50:53], off offset:2312 ; 16-byte Folded Spill
	s_nop 0
	scratch_store_dwordx4 off, v[54:57], off offset:2328 ; 16-byte Folded Spill
	scratch_store_dwordx4 off, v[58:61], off offset:2344 ; 16-byte Folded Spill
	;; [unrolled: 1-line block ×8, first 2 shown]
	s_nop 0
	scratch_store_dwordx4 off, v[84:87], off offset:1944 ; 16-byte Folded Spill
	scratch_store_dwordx4 off, v[88:91], off offset:1960 ; 16-byte Folded Spill
	;; [unrolled: 1-line block ×7, first 2 shown]
	v_mov_b32_e32 v139, v75
	v_mov_b32_e32 v87, v107
.LBB59_63:
	s_or_b64 exec, exec, s[2:3]
	v_cmp_eq_u32_e32 vcc, 12, v255
	s_waitcnt lgkmcnt(0)
	s_barrier
	s_and_saveexec_b64 s[2:3], vcc
	s_cbranch_execz .LBB59_66
; %bb.64:
	scratch_load_dword v0, off, off offset:388 ; 4-byte Folded Reload
	ds_write_b32 v254, v110
	s_waitcnt vmcnt(0)
	ds_write2_b32 v0, v195, v196 offset0:13 offset1:14
	ds_write2_b32 v0, v197, v198 offset0:15 offset1:16
	;; [unrolled: 1-line block ×8, first 2 shown]
	scratch_load_dwordx4 v[30:33], off, off offset:260 ; 16-byte Folded Reload
	scratch_load_dwordx4 v[34:37], off, off offset:276 ; 16-byte Folded Reload
	;; [unrolled: 1-line block ×8, first 2 shown]
	s_waitcnt vmcnt(0)
	ds_write_b32 v0, v59 offset:116
	ds_read_b32 v30, v254
	s_waitcnt lgkmcnt(0)
	v_cmp_neq_f32_e32 vcc, 0, v30
	s_and_b64 exec, exec, vcc
	s_cbranch_execz .LBB59_66
; %bb.65:
	v_div_scale_f32 v31, s[4:5], v30, v30, 1.0
	v_rcp_f32_e32 v32, v31
	v_div_scale_f32 v33, vcc, 1.0, v30, 1.0
	v_fma_f32 v34, -v31, v32, 1.0
	v_fmac_f32_e32 v32, v34, v32
	v_mul_f32_e32 v34, v33, v32
	v_fma_f32 v35, -v31, v34, v33
	v_fmac_f32_e32 v34, v35, v32
	v_fma_f32 v31, -v31, v34, v33
	v_div_fmas_f32 v31, v31, v32, v34
	v_div_fixup_f32 v30, v31, v30, 1.0
	ds_write_b32 v254, v30
.LBB59_66:
	s_or_b64 exec, exec, s[2:3]
	s_waitcnt lgkmcnt(0)
	s_barrier
	ds_read_b32 v145, v254
	v_cmp_lt_u32_e32 vcc, 12, v255
	s_and_saveexec_b64 s[2:3], vcc
	s_cbranch_execz .LBB59_68
; %bb.67:
	s_movk_i32 s4, 0x1208
	scratch_load_dwordx4 v[78:81], off, s4  ; 16-byte Folded Reload
	scratch_load_dwordx4 v[82:85], off, s4 offset:16 ; 16-byte Folded Reload
	scratch_load_dwordx4 v[86:89], off, s4 offset:32 ; 16-byte Folded Reload
	;; [unrolled: 1-line block ×7, first 2 shown]
	scratch_load_dword v10, off, off offset:388 ; 4-byte Folded Reload
	s_waitcnt vmcnt(5) lgkmcnt(0)
	v_mul_f32_e32 v90, v110, v145
	v_mov_b32_e32 v2, v195
	v_mov_b32_e32 v3, v196
	v_mov_b32_e32 v12, v90
	v_mov_b32_e32 v234, v90
	s_movk_i32 s4, 0x1008
	v_mov_b32_e32 v194, v90
	v_mov_b32_e32 v222, v78
	;; [unrolled: 1-line block ×9, first 2 shown]
	s_waitcnt vmcnt(0)
	ds_read2_b32 v[0:1], v10 offset0:13 offset1:14
	ds_read2_b32 v[4:5], v10 offset0:15 offset1:16
	;; [unrolled: 1-line block ×4, first 2 shown]
	v_mov_b32_e32 v229, v85
	v_mov_b32_e32 v230, v86
	;; [unrolled: 1-line block ×3, first 2 shown]
	s_waitcnt lgkmcnt(3)
	v_pk_fma_f32 v[30:31], v[90:91], v[0:1], v[2:3] op_sel_hi:[0,1,1] neg_lo:[1,0,0] neg_hi:[1,0,0]
	v_mov_b32_e32 v0, v197
	v_mov_b32_e32 v1, v198
	s_waitcnt lgkmcnt(2)
	v_pk_fma_f32 v[32:33], v[90:91], v[4:5], v[0:1] op_sel_hi:[0,1,1] neg_lo:[1,0,0] neg_hi:[1,0,0]
	v_mov_b32_e32 v0, v199
	v_mov_b32_e32 v1, v200
	;; [unrolled: 4-line block ×3, first 2 shown]
	s_waitcnt lgkmcnt(0)
	v_pk_fma_f32 v[36:37], v[90:91], v[8:9], v[0:1] op_sel_hi:[0,1,1] neg_lo:[1,0,0] neg_hi:[1,0,0]
	ds_read2_b32 v[0:1], v10 offset0:21 offset1:22
	v_mov_b32_e32 v2, v203
	v_mov_b32_e32 v3, v204
	ds_read2_b32 v[4:5], v10 offset0:23 offset1:24
	ds_read2_b32 v[6:7], v10 offset0:25 offset1:26
	;; [unrolled: 1-line block ×3, first 2 shown]
	v_mov_b32_e32 v13, v30
	s_waitcnt lgkmcnt(3)
	v_pk_fma_f32 v[38:39], v[90:91], v[0:1], v[2:3] op_sel_hi:[0,1,1] neg_lo:[1,0,0] neg_hi:[1,0,0]
	ds_read_b32 v2, v10 offset:116
	scratch_load_dwordx4 v[46:49], off, off offset:260 ; 16-byte Folded Reload
	scratch_load_dwordx4 v[50:53], off, off offset:276 ; 16-byte Folded Reload
	;; [unrolled: 1-line block ×8, first 2 shown]
	v_mov_b32_e32 v0, v205
	v_mov_b32_e32 v1, v206
	s_waitcnt lgkmcnt(3)
	v_pk_fma_f32 v[40:41], v[90:91], v[4:5], v[0:1] op_sel_hi:[0,1,1] neg_lo:[1,0,0] neg_hi:[1,0,0]
	v_mov_b32_e32 v0, v207
	v_mov_b32_e32 v1, v208
	s_waitcnt lgkmcnt(2)
	v_pk_fma_f32 v[42:43], v[90:91], v[6:7], v[0:1] op_sel_hi:[0,1,1] neg_lo:[1,0,0] neg_hi:[1,0,0]
	;; [unrolled: 4-line block ×3, first 2 shown]
	v_mov_b32_e32 v0, v78
	v_mov_b32_e32 v1, v79
	;; [unrolled: 1-line block ×28, first 2 shown]
	s_waitcnt vmcnt(7)
	v_mov_b32_e32 v46, v43
	v_mov_b32_e32 v48, v45
	;; [unrolled: 1-line block ×16, first 2 shown]
	s_waitcnt vmcnt(0) lgkmcnt(0)
	v_fma_f32 v211, -v90, v2, v75
	v_mov_b32_e32 v2, v80
	scratch_store_dwordx4 off, v[0:3], off offset:3208 ; 16-byte Folded Spill
	s_nop 0
	scratch_store_dwordx4 off, v[4:7], off offset:3224 ; 16-byte Folded Spill
	scratch_store_dwordx4 off, v[8:11], off offset:3240 ; 16-byte Folded Spill
	;; [unrolled: 1-line block ×7, first 2 shown]
	v_mov_b32_e32 v15, v32
	v_mov_b32_e32 v49, v211
	scratch_store_dwordx4 off, v[0:3], off offset:3336 ; 16-byte Folded Spill
	s_nop 0
	scratch_store_dwordx4 off, v[4:7], off offset:3352 ; 16-byte Folded Spill
	scratch_store_dwordx4 off, v[8:11], off offset:3368 ; 16-byte Folded Spill
	;; [unrolled: 1-line block ×7, first 2 shown]
	v_mov_b32_e32 v16, v33
	v_mov_b32_e32 v17, v34
	;; [unrolled: 1-line block ×4, first 2 shown]
	scratch_store_dwordx4 off, v[222:225], off offset:2056 ; 16-byte Folded Spill
	s_nop 0
	scratch_store_dwordx4 off, v[226:229], off offset:2072 ; 16-byte Folded Spill
	scratch_store_dwordx4 off, v[230:233], off offset:2088 ; 16-byte Folded Spill
	;; [unrolled: 1-line block ×8, first 2 shown]
	s_nop 0
	scratch_store_dwordx4 off, v[4:7], off offset:2968 ; 16-byte Folded Spill
	scratch_store_dwordx4 off, v[8:11], off offset:2984 ; 16-byte Folded Spill
	scratch_store_dwordx4 off, v[12:15], off offset:3000 ; 16-byte Folded Spill
	scratch_store_dwordx4 off, v[16:19], off offset:3016 ; 16-byte Folded Spill
	scratch_store_dwordx4 off, v[20:23], off offset:3032 ; 16-byte Folded Spill
	scratch_store_dwordx4 off, v[24:27], off offset:3048 ; 16-byte Folded Spill
	scratch_store_dwordx4 off, v[28:31], off offset:3064 ; 16-byte Folded Spill
	v_mov_b32_e32 v18, v35
	scratch_store_dwordx4 off, v[0:3], off offset:1672 ; 16-byte Folded Spill
	s_nop 0
	scratch_store_dwordx4 off, v[4:7], off offset:1688 ; 16-byte Folded Spill
	scratch_store_dwordx4 off, v[8:11], off offset:1704 ; 16-byte Folded Spill
	scratch_store_dwordx4 off, v[12:15], off offset:1720 ; 16-byte Folded Spill
	scratch_store_dwordx4 off, v[16:19], off offset:1736 ; 16-byte Folded Spill
	scratch_store_dwordx4 off, v[20:23], off offset:1752 ; 16-byte Folded Spill
	scratch_store_dwordx4 off, v[24:27], off offset:1768 ; 16-byte Folded Spill
	scratch_store_dwordx4 off, v[28:31], off offset:1784 ; 16-byte Folded Spill
	v_mov_b32_e32 v19, v36
	scratch_store_dwordx4 off, v[0:3], off offset:2824 ; 16-byte Folded Spill
	;; [unrolled: 10-line block ×6, first 2 shown]
	s_nop 0
	scratch_store_dwordx4 off, v[4:7], off offset:2456 ; 16-byte Folded Spill
	scratch_store_dwordx4 off, v[8:11], off offset:2472 ; 16-byte Folded Spill
	scratch_store_dwordx4 off, v[12:15], off offset:2488 ; 16-byte Folded Spill
	scratch_store_dwordx4 off, v[16:19], off offset:2504 ; 16-byte Folded Spill
	scratch_store_dwordx4 off, v[20:23], off offset:2520 ; 16-byte Folded Spill
	scratch_store_dwordx4 off, v[24:27], off offset:2536 ; 16-byte Folded Spill
	scratch_store_dwordx4 off, v[28:31], off offset:2552 ; 16-byte Folded Spill
	s_nop 0
	v_mov_b32_e32 v24, v41
	scratch_store_dwordx4 off, v[0:3], off offset:2312 ; 16-byte Folded Spill
	s_nop 0
	scratch_store_dwordx4 off, v[4:7], off offset:2328 ; 16-byte Folded Spill
	scratch_store_dwordx4 off, v[8:11], off offset:2344 ; 16-byte Folded Spill
	scratch_store_dwordx4 off, v[12:15], off offset:2360 ; 16-byte Folded Spill
	scratch_store_dwordx4 off, v[16:19], off offset:2376 ; 16-byte Folded Spill
	scratch_store_dwordx4 off, v[20:23], off offset:2392 ; 16-byte Folded Spill
	scratch_store_dwordx4 off, v[24:27], off offset:2408 ; 16-byte Folded Spill
	scratch_store_dwordx4 off, v[28:31], off offset:2424 ; 16-byte Folded Spill
	s_nop 0
	v_mov_b32_e32 v25, v42
	scratch_store_dwordx4 off, v[0:3], off offset:2184 ; 16-byte Folded Spill
	;; [unrolled: 11-line block ×4, first 2 shown]
	s_nop 0
	scratch_store_dwordx4 off, v[4:7], off offset:1816 ; 16-byte Folded Spill
	scratch_store_dwordx4 off, v[8:11], off offset:1832 ; 16-byte Folded Spill
	;; [unrolled: 1-line block ×7, first 2 shown]
	scratch_store_dwordx4 off, v[78:81], s4 ; 16-byte Folded Spill
	s_nop 0
	scratch_store_dwordx4 off, v[82:85], s4 offset:16 ; 16-byte Folded Spill
	scratch_store_dwordx4 off, v[86:89], s4 offset:32 ; 16-byte Folded Spill
	;; [unrolled: 1-line block ×7, first 2 shown]
	s_movk_i32 s4, 0x1188
	scratch_store_dwordx4 off, v[78:81], s4 ; 16-byte Folded Spill
	s_nop 0
	scratch_store_dwordx4 off, v[82:85], s4 offset:16 ; 16-byte Folded Spill
	scratch_store_dwordx4 off, v[86:89], s4 offset:32 ; 16-byte Folded Spill
	;; [unrolled: 1-line block ×7, first 2 shown]
	v_mov_b32_e32 v195, v30
	v_mov_b32_e32 v196, v31
	scratch_store_dwordx4 off, v[20:23], off offset:260 ; 16-byte Folded Spill
	s_nop 0
	scratch_store_dwordx4 off, v[24:27], off offset:276 ; 16-byte Folded Spill
	scratch_store_dwordx4 off, v[28:31], off offset:292 ; 16-byte Folded Spill
	;; [unrolled: 1-line block ×7, first 2 shown]
	v_mov_b32_e32 v167, v30
	v_mov_b32_e32 v158, v31
	;; [unrolled: 1-line block ×5, first 2 shown]
	scratch_store_dwordx4 off, v[0:3], off offset:1160 ; 16-byte Folded Spill
	s_nop 0
	scratch_store_dwordx4 off, v[4:7], off offset:1176 ; 16-byte Folded Spill
	scratch_store_dwordx4 off, v[8:11], off offset:1192 ; 16-byte Folded Spill
	scratch_store_dwordx4 off, v[12:15], off offset:1208 ; 16-byte Folded Spill
	scratch_store_dwordx4 off, v[16:19], off offset:1224 ; 16-byte Folded Spill
	scratch_store_dwordx4 off, v[20:23], off offset:1240 ; 16-byte Folded Spill
	scratch_store_dwordx4 off, v[24:27], off offset:1256 ; 16-byte Folded Spill
	scratch_store_dwordx4 off, v[28:31], off offset:1272 ; 16-byte Folded Spill
	scratch_store_dwordx4 off, v[0:3], off offset:776 ; 16-byte Folded Spill
	s_nop 0
	scratch_store_dwordx4 off, v[4:7], off offset:792 ; 16-byte Folded Spill
	scratch_store_dwordx4 off, v[8:11], off offset:808 ; 16-byte Folded Spill
	scratch_store_dwordx4 off, v[12:15], off offset:824 ; 16-byte Folded Spill
	scratch_store_dwordx4 off, v[16:19], off offset:840 ; 16-byte Folded Spill
	scratch_store_dwordx4 off, v[20:23], off offset:856 ; 16-byte Folded Spill
	scratch_store_dwordx4 off, v[24:27], off offset:872 ; 16-byte Folded Spill
	scratch_store_dwordx4 off, v[28:31], off offset:888 ; 16-byte Folded Spill
	;; [unrolled: 9-line block ×9, first 2 shown]
.LBB59_68:
	s_or_b64 exec, exec, s[2:3]
	v_cmp_eq_u32_e32 vcc, 13, v255
	s_waitcnt lgkmcnt(0)
	s_barrier
	s_and_saveexec_b64 s[2:3], vcc
	s_cbranch_execz .LBB59_71
; %bb.69:
	scratch_load_dword v0, off, off offset:388 ; 4-byte Folded Reload
	ds_write_b32 v254, v167
	s_waitcnt vmcnt(0)
	ds_write2_b64 v0, v[196:197], v[198:199] offset0:7 offset1:8
	ds_write2_b64 v0, v[200:201], v[202:203] offset0:9 offset1:10
	;; [unrolled: 1-line block ×4, first 2 shown]
	ds_read_b32 v30, v254
	s_waitcnt lgkmcnt(0)
	v_cmp_neq_f32_e32 vcc, 0, v30
	s_and_b64 exec, exec, vcc
	s_cbranch_execz .LBB59_71
; %bb.70:
	v_div_scale_f32 v31, s[4:5], v30, v30, 1.0
	v_rcp_f32_e32 v32, v31
	v_div_scale_f32 v33, vcc, 1.0, v30, 1.0
	v_fma_f32 v34, -v31, v32, 1.0
	v_fmac_f32_e32 v32, v34, v32
	v_mul_f32_e32 v34, v33, v32
	v_fma_f32 v35, -v31, v34, v33
	v_fmac_f32_e32 v34, v35, v32
	v_fma_f32 v31, -v31, v34, v33
	v_div_fmas_f32 v31, v31, v32, v34
	v_div_fixup_f32 v30, v31, v30, 1.0
	ds_write_b32 v254, v30
.LBB59_71:
	s_or_b64 exec, exec, s[2:3]
	s_waitcnt lgkmcnt(0)
	s_barrier
	ds_read_b32 v151, v254
	v_cmp_lt_u32_e32 vcc, 13, v255
	s_and_saveexec_b64 s[2:3], vcc
	s_cbranch_execz .LBB59_73
; %bb.72:
	scratch_load_dword v9, off, off offset:388 ; 4-byte Folded Reload
	s_waitcnt lgkmcnt(0)
	v_mul_f32_e32 v8, v167, v151
	s_movk_i32 s4, 0x1188
	v_mov_b32_e32 v43, v8
	s_waitcnt vmcnt(25)
	v_mov_b32_e32 v63, v8
	v_mov_b32_e32 v97, v8
	;; [unrolled: 1-line block ×3, first 2 shown]
	s_waitcnt vmcnt(0)
	ds_read2_b64 v[10:13], v9 offset0:7 offset1:8
	ds_read2_b64 v[4:7], v9 offset0:9 offset1:10
	;; [unrolled: 1-line block ×3, first 2 shown]
	s_waitcnt lgkmcnt(2)
	v_pk_fma_f32 v[44:45], v[8:9], v[10:11], v[196:197] op_sel_hi:[0,1,1] neg_lo:[1,0,0] neg_hi:[1,0,0]
	v_pk_fma_f32 v[46:47], v[8:9], v[12:13], v[198:199] op_sel_hi:[0,1,1] neg_lo:[1,0,0] neg_hi:[1,0,0]
	ds_read2_b64 v[10:13], v9 offset0:11 offset1:12
	scratch_load_dwordx4 v[156:159], off, s4 ; 16-byte Folded Reload
	scratch_load_dwordx4 v[160:163], off, s4 offset:16 ; 16-byte Folded Reload
	scratch_load_dwordx4 v[164:167], off, s4 offset:32 ; 16-byte Folded Reload
	;; [unrolled: 1-line block ×7, first 2 shown]
	s_waitcnt lgkmcnt(2)
	v_pk_fma_f32 v[48:49], v[8:9], v[4:5], v[200:201] op_sel_hi:[0,1,1] neg_lo:[1,0,0] neg_hi:[1,0,0]
	s_waitcnt lgkmcnt(1)
	v_pk_fma_f32 v[210:211], v[8:9], v[2:3], v[210:211] op_sel_hi:[0,1,1] neg_lo:[1,0,0] neg_hi:[1,0,0]
	v_mov_b64_e32 v[20:21], v[202:203]
	v_mov_b64_e32 v[22:23], v[204:205]
	v_pk_fma_f32 v[218:219], v[8:9], v[6:7], v[20:21] op_sel_hi:[0,1,1] neg_lo:[1,0,0] neg_hi:[1,0,0]
	s_waitcnt lgkmcnt(0)
	v_pk_fma_f32 v[140:141], v[8:9], v[10:11], v[22:23] op_sel_hi:[0,1,1] neg_lo:[1,0,0] neg_hi:[1,0,0]
	v_mov_b32_e32 v104, v218
	v_mov_b32_e32 v105, v219
	v_mov_b64_e32 v[24:25], v[206:207]
	v_mov_b64_e32 v[26:27], v[208:209]
	;; [unrolled: 1-line block ×3, first 2 shown]
	s_waitcnt vmcnt(4)
	v_mov_b32_e32 v169, v8
	s_movk_i32 s4, 0x1008
	v_mov_b32_e32 v211, v8
	v_mov_b32_e32 v20, v218
	;; [unrolled: 1-line block ×20, first 2 shown]
	v_mov_b64_e32 v[234:235], v[44:45]
	v_mov_b64_e32 v[232:233], v[42:43]
	;; [unrolled: 1-line block ×8, first 2 shown]
	scratch_store_dwordx4 off, v[30:33], off offset:3336 ; 16-byte Folded Spill
	s_nop 0
	scratch_store_dwordx4 off, v[34:37], off offset:3352 ; 16-byte Folded Spill
	scratch_store_dwordx4 off, v[38:41], off offset:3368 ; 16-byte Folded Spill
	;; [unrolled: 1-line block ×7, first 2 shown]
	v_mov_b32_e32 v62, v168
	v_mov_b32_e32 v64, v234
	;; [unrolled: 1-line block ×58, first 2 shown]
	s_waitcnt vmcnt(8)
	v_mov_b64_e32 v[184:185], v[44:45]
	v_mov_b64_e32 v[182:183], v[42:43]
	v_mov_b64_e32 v[180:181], v[40:41]
	v_mov_b64_e32 v[178:179], v[38:39]
	v_mov_b64_e32 v[176:177], v[36:37]
	v_mov_b64_e32 v[174:175], v[34:35]
	v_mov_b64_e32 v[172:173], v[32:33]
	v_mov_b64_e32 v[170:171], v[30:31]
	v_mov_b64_e32 v[186:187], v[46:47]
	scratch_store_dwordx4 off, v[30:33], off offset:2952 ; 16-byte Folded Spill
	s_nop 0
	scratch_store_dwordx4 off, v[34:37], off offset:2968 ; 16-byte Folded Spill
	scratch_store_dwordx4 off, v[38:41], off offset:2984 ; 16-byte Folded Spill
	;; [unrolled: 1-line block ×7, first 2 shown]
	v_mov_b32_e32 v50, v156
	v_mov_b32_e32 v51, v157
	;; [unrolled: 1-line block ×22, first 2 shown]
	scratch_store_dwordx4 off, v[50:53], off offset:2824 ; 16-byte Folded Spill
	s_nop 0
	scratch_store_dwordx4 off, v[54:57], off offset:2840 ; 16-byte Folded Spill
	scratch_store_dwordx4 off, v[58:61], off offset:2856 ; 16-byte Folded Spill
	;; [unrolled: 1-line block ×7, first 2 shown]
	v_mov_b32_e32 v102, v48
	v_mov_b32_e32 v103, v49
	;; [unrolled: 1-line block ×6, first 2 shown]
	scratch_store_dwordx4 off, v[84:87], off offset:2568 ; 16-byte Folded Spill
	s_nop 0
	scratch_store_dwordx4 off, v[88:91], off offset:2584 ; 16-byte Folded Spill
	scratch_store_dwordx4 off, v[92:95], off offset:2600 ; 16-byte Folded Spill
	scratch_store_dwordx4 off, v[96:99], off offset:2616 ; 16-byte Folded Spill
	scratch_store_dwordx4 off, v[100:103], off offset:2632 ; 16-byte Folded Spill
	scratch_store_dwordx4 off, v[104:107], off offset:2648 ; 16-byte Folded Spill
	scratch_store_dwordx4 off, v[108:111], off offset:2664 ; 16-byte Folded Spill
	scratch_store_dwordx4 off, v[112:115], off offset:2680 ; 16-byte Folded Spill
	v_pk_fma_f32 v[106:107], v[8:9], v[12:13], v[24:25] op_sel_hi:[0,1,1] neg_lo:[1,0,0] neg_hi:[1,0,0]
	v_mov_b32_e32 v98, v186
	v_mov_b32_e32 v99, v187
	;; [unrolled: 1-line block ×32, first 2 shown]
	scratch_store_dwordx4 off, v[50:53], off offset:2440 ; 16-byte Folded Spill
	s_nop 0
	scratch_store_dwordx4 off, v[54:57], off offset:2456 ; 16-byte Folded Spill
	scratch_store_dwordx4 off, v[58:61], off offset:2472 ; 16-byte Folded Spill
	;; [unrolled: 1-line block ×7, first 2 shown]
	s_nop 0
	v_mov_b32_e32 v74, v106
	v_mov_b32_e32 v75, v107
	scratch_store_dwordx4 off, v[170:173], off offset:2056 ; 16-byte Folded Spill
	s_nop 0
	scratch_store_dwordx4 off, v[174:177], off offset:2072 ; 16-byte Folded Spill
	scratch_store_dwordx4 off, v[178:181], off offset:2088 ; 16-byte Folded Spill
	;; [unrolled: 1-line block ×7, first 2 shown]
	v_mov_b32_e32 v184, v234
	v_mov_b32_e32 v185, v235
	v_pk_fma_f32 v[196:197], v[8:9], v[0:1], v[26:27] op_sel_hi:[0,1,1] neg_lo:[1,0,0] neg_hi:[1,0,0]
	v_mov_b32_e32 v170, v156
	v_mov_b32_e32 v171, v157
	;; [unrolled: 1-line block ×27, first 2 shown]
	scratch_store_dwordx4 off, v[50:53], off offset:2184 ; 16-byte Folded Spill
	s_nop 0
	scratch_store_dwordx4 off, v[54:57], off offset:2200 ; 16-byte Folded Spill
	scratch_store_dwordx4 off, v[58:61], off offset:2216 ; 16-byte Folded Spill
	;; [unrolled: 1-line block ×7, first 2 shown]
	v_mov_b64_e32 v[64:65], v[44:45]
	v_mov_b64_e32 v[62:63], v[42:43]
	;; [unrolled: 1-line block ×8, first 2 shown]
	scratch_store_dwordx4 off, v[50:53], off offset:3208 ; 16-byte Folded Spill
	s_nop 0
	scratch_store_dwordx4 off, v[54:57], off offset:3224 ; 16-byte Folded Spill
	scratch_store_dwordx4 off, v[58:61], off offset:3240 ; 16-byte Folded Spill
	scratch_store_dwordx4 off, v[62:65], off offset:3256 ; 16-byte Folded Spill
	scratch_store_dwordx4 off, v[66:69], off offset:3272 ; 16-byte Folded Spill
	scratch_store_dwordx4 off, v[70:73], off offset:3288 ; 16-byte Folded Spill
	scratch_store_dwordx4 off, v[74:77], off offset:3304 ; 16-byte Folded Spill
	scratch_store_dwordx4 off, v[78:81], off offset:3320 ; 16-byte Folded Spill
	scratch_load_dwordx4 v[220:223], off, off offset:2056 ; 16-byte Folded Reload
	scratch_load_dwordx4 v[224:227], off, off offset:2072 ; 16-byte Folded Reload
	;; [unrolled: 1-line block ×8, first 2 shown]
	v_mov_b32_e32 v63, v8
	v_mov_b32_e32 v50, v156
	;; [unrolled: 1-line block ×17, first 2 shown]
	s_waitcnt vmcnt(3)
	v_mov_b32_e32 v66, v236
	v_mov_b32_e32 v67, v237
	scratch_store_dwordx4 off, v[50:53], off offset:1800 ; 16-byte Folded Spill
	s_nop 0
	scratch_store_dwordx4 off, v[54:57], off offset:1816 ; 16-byte Folded Spill
	scratch_store_dwordx4 off, v[58:61], off offset:1832 ; 16-byte Folded Spill
	;; [unrolled: 1-line block ×7, first 2 shown]
	scratch_load_dwordx4 v[50:53], off, off offset:3208 ; 16-byte Folded Reload
	s_nop 0
	scratch_load_dwordx4 v[54:57], off, off offset:3224 ; 16-byte Folded Reload
	scratch_load_dwordx4 v[58:61], off, off offset:3240 ; 16-byte Folded Reload
	;; [unrolled: 1-line block ×7, first 2 shown]
	v_mov_b32_e32 v186, v236
	v_mov_b32_e32 v187, v237
	s_waitcnt vmcnt(7)
	v_mov_b32_e32 v50, v196
	v_mov_b32_e32 v52, v28
	;; [unrolled: 1-line block ×3, first 2 shown]
	scratch_store_dwordx4 off, v[156:159], s4 ; 16-byte Folded Spill
	s_nop 0
	scratch_store_dwordx4 off, v[160:163], s4 offset:16 ; 16-byte Folded Spill
	scratch_store_dwordx4 off, v[164:167], s4 offset:32 ; 16-byte Folded Spill
	;; [unrolled: 1-line block ×7, first 2 shown]
	v_mov_b32_e32 v16, v236
	v_mov_b32_e32 v17, v237
	s_waitcnt vmcnt(10)
	v_mov_b64_e32 v[70:71], v[236:237]
	v_mov_b32_e32 v14, v64
	v_mov_b32_e32 v15, v65
	v_mov_b64_e32 v[54:55], v[220:221]
	scratch_store_dwordx4 off, v[24:27], off offset:260 ; 16-byte Folded Spill
	s_nop 0
	scratch_store_dwordx4 off, v[28:31], off offset:276 ; 16-byte Folded Spill
	scratch_store_dwordx4 off, v[32:35], off offset:292 ; 16-byte Folded Spill
	;; [unrolled: 1-line block ×7, first 2 shown]
	v_mov_b64_e32 v[56:57], v[222:223]
	v_mov_b64_e32 v[58:59], v[224:225]
	;; [unrolled: 1-line block ×7, first 2 shown]
	scratch_load_dwordx4 v[220:223], off, off offset:3208 ; 16-byte Folded Reload
	scratch_load_dwordx4 v[224:227], off, off offset:3224 ; 16-byte Folded Reload
	;; [unrolled: 1-line block ×8, first 2 shown]
	v_mov_b32_e32 v50, v70
	s_waitcnt vmcnt(4)
	v_mov_b32_e32 v158, v234
	scratch_store_dwordx4 off, v[220:223], off offset:1160 ; 16-byte Folded Spill
	s_nop 0
	scratch_store_dwordx4 off, v[224:227], off offset:1176 ; 16-byte Folded Spill
	scratch_store_dwordx4 off, v[228:231], off offset:1192 ; 16-byte Folded Spill
	;; [unrolled: 1-line block ×3, first 2 shown]
	s_waitcnt vmcnt(7)
	scratch_store_dwordx4 off, v[236:239], off offset:1224 ; 16-byte Folded Spill
	s_waitcnt vmcnt(7)
	scratch_store_dwordx4 off, v[240:243], off offset:1240 ; 16-byte Folded Spill
	s_waitcnt vmcnt(7)
	scratch_store_dwordx4 off, v[244:247], off offset:1256 ; 16-byte Folded Spill
	s_waitcnt vmcnt(7)
	scratch_store_dwordx4 off, v[248:251], off offset:1272 ; 16-byte Folded Spill
	scratch_store_dwordx4 off, v[34:37], off offset:776 ; 16-byte Folded Spill
	s_nop 0
	scratch_store_dwordx4 off, v[38:41], off offset:792 ; 16-byte Folded Spill
	scratch_store_dwordx4 off, v[42:45], off offset:808 ; 16-byte Folded Spill
	;; [unrolled: 1-line block ×7, first 2 shown]
                                        ; kill: def $vgpr50_vgpr51_vgpr52_vgpr53_vgpr54_vgpr55_vgpr56_vgpr57_vgpr58_vgpr59_vgpr60_vgpr61_vgpr62_vgpr63_vgpr64_vgpr65 killed $vgpr54_vgpr55_vgpr56_vgpr57_vgpr58_vgpr59_vgpr60_vgpr61_vgpr62_vgpr63_vgpr64_vgpr65_vgpr66_vgpr67_vgpr68_vgpr69 killed $exec
	v_mov_b32_e32 v51, v71
	scratch_store_dwordx4 off, v[34:37], off offset:1544 ; 16-byte Folded Spill
	s_nop 0
	scratch_store_dwordx4 off, v[38:41], off offset:1560 ; 16-byte Folded Spill
	scratch_store_dwordx4 off, v[42:45], off offset:1576 ; 16-byte Folded Spill
	;; [unrolled: 1-line block ×7, first 2 shown]
	v_mov_b32_e32 v50, v48
	scratch_store_dwordx4 off, v[32:35], off offset:648 ; 16-byte Folded Spill
	s_nop 0
	scratch_store_dwordx4 off, v[36:39], off offset:664 ; 16-byte Folded Spill
	scratch_store_dwordx4 off, v[40:43], off offset:680 ; 16-byte Folded Spill
	scratch_store_dwordx4 off, v[44:47], off offset:696 ; 16-byte Folded Spill
	scratch_store_dwordx4 off, v[48:51], off offset:712 ; 16-byte Folded Spill
	scratch_store_dwordx4 off, v[52:55], off offset:728 ; 16-byte Folded Spill
	scratch_store_dwordx4 off, v[56:59], off offset:744 ; 16-byte Folded Spill
	scratch_store_dwordx4 off, v[60:63], off offset:760 ; 16-byte Folded Spill
	scratch_store_dwordx4 off, v[30:33], off offset:1672 ; 16-byte Folded Spill
	s_nop 0
	scratch_store_dwordx4 off, v[34:37], off offset:1688 ; 16-byte Folded Spill
	scratch_store_dwordx4 off, v[38:41], off offset:1704 ; 16-byte Folded Spill
	scratch_store_dwordx4 off, v[42:45], off offset:1720 ; 16-byte Folded Spill
	scratch_store_dwordx4 off, v[46:49], off offset:1736 ; 16-byte Folded Spill
	scratch_store_dwordx4 off, v[50:53], off offset:1752 ; 16-byte Folded Spill
	scratch_store_dwordx4 off, v[54:57], off offset:1768 ; 16-byte Folded Spill
	scratch_store_dwordx4 off, v[58:61], off offset:1784 ; 16-byte Folded Spill
	;; [unrolled: 9-line block ×3, first 2 shown]
	v_mov_b32_e32 v30, v218
	scratch_store_dwordx4 off, v[10:13], off offset:1288 ; 16-byte Folded Spill
	s_nop 0
	scratch_store_dwordx4 off, v[14:17], off offset:1304 ; 16-byte Folded Spill
	scratch_store_dwordx4 off, v[18:21], off offset:1320 ; 16-byte Folded Spill
	;; [unrolled: 1-line block ×8, first 2 shown]
	s_nop 0
	scratch_store_dwordx4 off, v[202:205], off offset:2712 ; 16-byte Folded Spill
	scratch_store_dwordx4 off, v[206:209], off offset:2728 ; 16-byte Folded Spill
	;; [unrolled: 1-line block ×7, first 2 shown]
	v_mov_b32_e32 v30, v140
	v_mov_b32_e32 v233, v219
	scratch_store_dwordx4 off, v[212:215], off offset:1032 ; 16-byte Folded Spill
	s_nop 0
	scratch_store_dwordx4 off, v[216:219], off offset:1048 ; 16-byte Folded Spill
	scratch_store_dwordx4 off, v[220:223], off offset:1064 ; 16-byte Folded Spill
	scratch_store_dwordx4 off, v[224:227], off offset:1080 ; 16-byte Folded Spill
	scratch_store_dwordx4 off, v[228:231], off offset:1096 ; 16-byte Folded Spill
	scratch_store_dwordx4 off, v[232:235], off offset:1112 ; 16-byte Folded Spill
	scratch_store_dwordx4 off, v[236:239], off offset:1128 ; 16-byte Folded Spill
	scratch_store_dwordx4 off, v[240:243], off offset:1144 ; 16-byte Folded Spill
	scratch_store_dwordx4 off, v[8:11], off offset:904 ; 16-byte Folded Spill
	s_nop 0
	scratch_store_dwordx4 off, v[12:15], off offset:920 ; 16-byte Folded Spill
	scratch_store_dwordx4 off, v[16:19], off offset:936 ; 16-byte Folded Spill
	scratch_store_dwordx4 off, v[20:23], off offset:952 ; 16-byte Folded Spill
	scratch_store_dwordx4 off, v[24:27], off offset:968 ; 16-byte Folded Spill
	scratch_store_dwordx4 off, v[28:31], off offset:984 ; 16-byte Folded Spill
	scratch_store_dwordx4 off, v[32:35], off offset:1000 ; 16-byte Folded Spill
	scratch_store_dwordx4 off, v[36:39], off offset:1016 ; 16-byte Folded Spill
	;; [unrolled: 9-line block ×4, first 2 shown]
	v_mov_b32_e32 v138, v106
	scratch_store_dwordx4 off, v[82:85], off offset:2312 ; 16-byte Folded Spill
	s_nop 0
	scratch_store_dwordx4 off, v[86:89], off offset:2328 ; 16-byte Folded Spill
	scratch_store_dwordx4 off, v[90:93], off offset:2344 ; 16-byte Folded Spill
	;; [unrolled: 1-line block ×8, first 2 shown]
	s_nop 0
	scratch_store_dwordx4 off, v[174:177], off offset:1944 ; 16-byte Folded Spill
	scratch_store_dwordx4 off, v[178:181], off offset:1960 ; 16-byte Folded Spill
	;; [unrolled: 1-line block ×7, first 2 shown]
	v_mov_b64_e32 v[208:209], v[26:27]
	v_mov_b64_e32 v[206:207], v[24:25]
	;; [unrolled: 1-line block ×7, first 2 shown]
	v_mov_b32_e32 v139, v107
	v_mov_b32_e32 v87, v197
	v_mov_b64_e32 v[196:197], v[14:15]
	v_mov_b64_e32 v[194:195], v[12:13]
	;; [unrolled: 1-line block ×8, first 2 shown]
.LBB59_73:
	s_or_b64 exec, exec, s[2:3]
	scratch_load_dwordx4 v[0:3], off, off offset:2696 ; 16-byte Folded Reload
	scratch_load_dwordx4 v[4:7], off, off offset:2712 ; 16-byte Folded Reload
	;; [unrolled: 1-line block ×8, first 2 shown]
	v_cmp_eq_u32_e32 vcc, 14, v255
	s_waitcnt lgkmcnt(0)
	s_barrier
	s_waitcnt vmcnt(4)
	v_mov_b64_e32 v[74:75], v[14:15]
	v_mov_b64_e32 v[72:73], v[12:13]
	s_waitcnt vmcnt(2)
	v_mov_b32_e32 v80, v20
	v_mov_b64_e32 v[70:71], v[10:11]
	v_mov_b64_e32 v[68:69], v[8:9]
	;; [unrolled: 1-line block ×6, first 2 shown]
	v_mov_b32_e32 v79, v19
	v_mov_b32_e32 v78, v18
	;; [unrolled: 1-line block ×4, first 2 shown]
	s_and_saveexec_b64 s[2:3], vcc
	s_cbranch_execz .LBB59_76
; %bb.74:
	scratch_load_dword v0, off, off offset:388 ; 4-byte Folded Reload
	ds_write_b32 v254, v158
	s_waitcnt vmcnt(2)
	v_mov_b32_e32 v27, v87
	s_waitcnt vmcnt(0)
	ds_write2_b32 v0, v197, v198 offset0:15 offset1:16
	ds_write2_b32 v0, v199, v200 offset0:17 offset1:18
	;; [unrolled: 1-line block ×7, first 2 shown]
	scratch_load_dwordx4 v[82:85], off, off offset:260 ; 16-byte Folded Reload
	scratch_load_dwordx4 v[86:89], off, off offset:276 ; 16-byte Folded Reload
	scratch_load_dwordx4 v[90:93], off, off offset:292 ; 16-byte Folded Reload
	scratch_load_dwordx4 v[94:97], off, off offset:308 ; 16-byte Folded Reload
	scratch_load_dwordx4 v[98:101], off, off offset:324 ; 16-byte Folded Reload
	scratch_load_dwordx4 v[102:105], off, off offset:340 ; 16-byte Folded Reload
	scratch_load_dwordx4 v[106:109], off, off offset:356 ; 16-byte Folded Reload
	scratch_load_dwordx4 v[110:113], off, off offset:372 ; 16-byte Folded Reload
	s_waitcnt vmcnt(6)
	v_mov_b32_e32 v87, v27
	s_waitcnt vmcnt(0)
	ds_write_b32 v0, v111 offset:116
	ds_read_b32 v30, v254
	s_waitcnt lgkmcnt(0)
	v_cmp_neq_f32_e32 vcc, 0, v30
	s_and_b64 exec, exec, vcc
	s_cbranch_execz .LBB59_76
; %bb.75:
	v_div_scale_f32 v31, s[4:5], v30, v30, 1.0
	v_rcp_f32_e32 v32, v31
	v_div_scale_f32 v33, vcc, 1.0, v30, 1.0
	v_fma_f32 v34, -v31, v32, 1.0
	v_fmac_f32_e32 v32, v34, v32
	v_mul_f32_e32 v34, v33, v32
	v_fma_f32 v35, -v31, v34, v33
	v_fmac_f32_e32 v34, v35, v32
	v_fma_f32 v31, -v31, v34, v33
	v_div_fmas_f32 v31, v31, v32, v34
	v_div_fixup_f32 v30, v31, v30, 1.0
	ds_write_b32 v254, v30
.LBB59_76:
	s_or_b64 exec, exec, s[2:3]
	s_waitcnt lgkmcnt(0)
	s_barrier
	ds_read_b32 v144, v254
	v_cmp_lt_u32_e32 vcc, 14, v255
	s_and_saveexec_b64 s[2:3], vcc
	s_cbranch_execz .LBB59_78
; %bb.77:
	s_movk_i32 s4, 0x1008
	scratch_load_dwordx4 v[36:39], off, s4  ; 16-byte Folded Reload
	scratch_load_dwordx4 v[40:43], off, s4 offset:16 ; 16-byte Folded Reload
	scratch_load_dwordx4 v[44:47], off, s4 offset:32 ; 16-byte Folded Reload
	;; [unrolled: 1-line block ×7, first 2 shown]
	scratch_load_dword v10, off, off offset:388 ; 4-byte Folded Reload
	s_waitcnt vmcnt(5) lgkmcnt(0)
	v_mul_f32_e32 v50, v158, v144
	v_mov_b32_e32 v2, v197
	v_mov_b32_e32 v3, v198
	;; [unrolled: 1-line block ×4, first 2 shown]
	s_waitcnt vmcnt(2)
	v_mov_b32_e32 v60, v36
	v_mov_b32_e32 v61, v37
	;; [unrolled: 1-line block ×7, first 2 shown]
	s_waitcnt vmcnt(1)
	v_mov_b32_e32 v64, v40
	s_waitcnt vmcnt(0)
	ds_read2_b32 v[0:1], v10 offset0:15 offset1:16
	ds_read2_b32 v[4:5], v10 offset0:17 offset1:18
	;; [unrolled: 1-line block ×4, first 2 shown]
	v_mov_b32_e32 v65, v41
	v_mov_b32_e32 v66, v42
	v_mov_b32_e32 v67, v43
	s_waitcnt lgkmcnt(3)
	v_pk_fma_f32 v[32:33], v[50:51], v[0:1], v[2:3] op_sel_hi:[0,1,1] neg_lo:[1,0,0] neg_hi:[1,0,0]
	v_mov_b32_e32 v0, v199
	v_mov_b32_e32 v1, v200
	s_waitcnt lgkmcnt(2)
	v_pk_fma_f32 v[34:35], v[50:51], v[4:5], v[0:1] op_sel_hi:[0,1,1] neg_lo:[1,0,0] neg_hi:[1,0,0]
	v_mov_b32_e32 v0, v201
	v_mov_b32_e32 v1, v202
	;; [unrolled: 4-line block ×3, first 2 shown]
	s_waitcnt lgkmcnt(0)
	v_pk_fma_f32 v[124:125], v[50:51], v[8:9], v[0:1] op_sel_hi:[0,1,1] neg_lo:[1,0,0] neg_hi:[1,0,0]
	ds_read2_b32 v[0:1], v10 offset0:23 offset1:24
	ds_read2_b32 v[4:5], v10 offset0:25 offset1:26
	;; [unrolled: 1-line block ×3, first 2 shown]
	ds_read_b32 v8, v10 offset:116
	scratch_load_dwordx4 v[220:223], off, off offset:260 ; 16-byte Folded Reload
	scratch_load_dwordx4 v[224:227], off, off offset:276 ; 16-byte Folded Reload
	;; [unrolled: 1-line block ×8, first 2 shown]
	v_mov_b32_e32 v3, v206
	v_mov_b32_e32 v2, v205
	s_waitcnt lgkmcnt(3)
	v_pk_fma_f32 v[118:119], v[50:51], v[0:1], v[2:3] op_sel_hi:[0,1,1] neg_lo:[1,0,0] neg_hi:[1,0,0]
	v_mov_b32_e32 v1, v208
	v_mov_b32_e32 v0, v207
	s_waitcnt lgkmcnt(2)
	v_pk_fma_f32 v[120:121], v[50:51], v[4:5], v[0:1] op_sel_hi:[0,1,1] neg_lo:[1,0,0] neg_hi:[1,0,0]
	;; [unrolled: 4-line block ×3, first 2 shown]
	s_waitcnt vmcnt(7)
	v_mov_b32_e32 v222, v36
	v_mov_b32_e32 v223, v37
	s_waitcnt vmcnt(6)
	v_mov_b32_e32 v224, v38
	v_mov_b32_e32 v225, v39
	v_mov_b32_e32 v226, v40
	v_mov_b32_e32 v227, v41
	s_waitcnt vmcnt(5)
	v_mov_b32_e32 v228, v42
	v_mov_b32_e32 v229, v43
	;; [unrolled: 5-line block ×4, first 2 shown]
	v_mov_b32_e32 v238, v33
	v_mov_b32_e32 v0, v36
	;; [unrolled: 1-line block ×32, first 2 shown]
	s_waitcnt vmcnt(0) lgkmcnt(0)
	v_fma_f32 v249, -v50, v8, v249
	v_mov_b32_e32 v8, v44
	scratch_store_dwordx4 off, v[222:225], off offset:2056 ; 16-byte Folded Spill
	s_nop 0
	scratch_store_dwordx4 off, v[226:229], off offset:2072 ; 16-byte Folded Spill
	scratch_store_dwordx4 off, v[230:233], off offset:2088 ; 16-byte Folded Spill
	scratch_store_dwordx4 off, v[234:237], off offset:2104 ; 16-byte Folded Spill
	scratch_store_dwordx4 off, v[238:241], off offset:2120 ; 16-byte Folded Spill
	scratch_store_dwordx4 off, v[242:245], off offset:2136 ; 16-byte Folded Spill
	scratch_store_dwordx4 off, v[246:249], off offset:2152 ; 16-byte Folded Spill
	scratch_store_dwordx4 off, v[250:253], off offset:2168 ; 16-byte Folded Spill
	scratch_store_dwordx4 off, v[0:3], off offset:2952 ; 16-byte Folded Spill
	s_nop 0
	scratch_store_dwordx4 off, v[4:7], off offset:2968 ; 16-byte Folded Spill
	scratch_store_dwordx4 off, v[8:11], off offset:2984 ; 16-byte Folded Spill
	;; [unrolled: 1-line block ×7, first 2 shown]
	v_mov_b32_e32 v18, v35
	v_mov_b32_e32 v222, v38
	;; [unrolled: 1-line block ×28, first 2 shown]
	scratch_store_dwordx4 off, v[0:3], off offset:1672 ; 16-byte Folded Spill
	s_nop 0
	scratch_store_dwordx4 off, v[4:7], off offset:1688 ; 16-byte Folded Spill
	scratch_store_dwordx4 off, v[8:11], off offset:1704 ; 16-byte Folded Spill
	;; [unrolled: 1-line block ×7, first 2 shown]
	v_mov_b32_e32 v19, v114
	v_mov_b64_e32 v[182:183], v[220:221]
	v_mov_b64_e32 v[184:185], v[222:223]
	;; [unrolled: 1-line block ×16, first 2 shown]
	scratch_store_dwordx4 off, v[0:3], off offset:2824 ; 16-byte Folded Spill
	s_nop 0
	scratch_store_dwordx4 off, v[4:7], off offset:2840 ; 16-byte Folded Spill
	scratch_store_dwordx4 off, v[8:11], off offset:2856 ; 16-byte Folded Spill
	;; [unrolled: 1-line block ×7, first 2 shown]
	v_mov_b32_e32 v20, v115
	v_mov_b32_e32 v21, v124
	scratch_store_dwordx4 off, v[0:3], off offset:2568 ; 16-byte Folded Spill
	s_nop 0
	scratch_store_dwordx4 off, v[4:7], off offset:2584 ; 16-byte Folded Spill
	scratch_store_dwordx4 off, v[8:11], off offset:2600 ; 16-byte Folded Spill
	scratch_store_dwordx4 off, v[12:15], off offset:2616 ; 16-byte Folded Spill
	scratch_store_dwordx4 off, v[16:19], off offset:2632 ; 16-byte Folded Spill
	scratch_store_dwordx4 off, v[20:23], off offset:2648 ; 16-byte Folded Spill
	scratch_store_dwordx4 off, v[24:27], off offset:2664 ; 16-byte Folded Spill
	scratch_store_dwordx4 off, v[28:31], off offset:2680 ; 16-byte Folded Spill
	v_mov_b32_e32 v22, v125
	scratch_store_dwordx4 off, v[0:3], off offset:1416 ; 16-byte Folded Spill
	s_nop 0
	scratch_store_dwordx4 off, v[4:7], off offset:1432 ; 16-byte Folded Spill
	scratch_store_dwordx4 off, v[8:11], off offset:1448 ; 16-byte Folded Spill
	scratch_store_dwordx4 off, v[12:15], off offset:1464 ; 16-byte Folded Spill
	scratch_store_dwordx4 off, v[16:19], off offset:1480 ; 16-byte Folded Spill
	scratch_store_dwordx4 off, v[20:23], off offset:1496 ; 16-byte Folded Spill
	scratch_store_dwordx4 off, v[24:27], off offset:1512 ; 16-byte Folded Spill
	scratch_store_dwordx4 off, v[28:31], off offset:1528 ; 16-byte Folded Spill
	;; [unrolled: 10-line block ×3, first 2 shown]
	s_nop 0
	v_mov_b32_e32 v24, v119
	scratch_store_dwordx4 off, v[0:3], off offset:2312 ; 16-byte Folded Spill
	s_nop 0
	scratch_store_dwordx4 off, v[4:7], off offset:2328 ; 16-byte Folded Spill
	scratch_store_dwordx4 off, v[8:11], off offset:2344 ; 16-byte Folded Spill
	scratch_store_dwordx4 off, v[12:15], off offset:2360 ; 16-byte Folded Spill
	scratch_store_dwordx4 off, v[16:19], off offset:2376 ; 16-byte Folded Spill
	scratch_store_dwordx4 off, v[20:23], off offset:2392 ; 16-byte Folded Spill
	scratch_store_dwordx4 off, v[24:27], off offset:2408 ; 16-byte Folded Spill
	scratch_store_dwordx4 off, v[28:31], off offset:2424 ; 16-byte Folded Spill
	s_nop 0
	v_mov_b32_e32 v25, v120
	scratch_store_dwordx4 off, v[0:3], off offset:2184 ; 16-byte Folded Spill
	s_nop 0
	scratch_store_dwordx4 off, v[4:7], off offset:2200 ; 16-byte Folded Spill
	scratch_store_dwordx4 off, v[8:11], off offset:2216 ; 16-byte Folded Spill
	scratch_store_dwordx4 off, v[12:15], off offset:2232 ; 16-byte Folded Spill
	scratch_store_dwordx4 off, v[16:19], off offset:2248 ; 16-byte Folded Spill
	scratch_store_dwordx4 off, v[20:23], off offset:2264 ; 16-byte Folded Spill
	scratch_store_dwordx4 off, v[24:27], off offset:2280 ; 16-byte Folded Spill
	scratch_store_dwordx4 off, v[28:31], off offset:2296 ; 16-byte Folded Spill
	;; [unrolled: 11-line block ×4, first 2 shown]
	scratch_store_dwordx4 off, v[36:39], off offset:3336 ; 16-byte Folded Spill
	s_nop 0
	scratch_store_dwordx4 off, v[40:43], off offset:3352 ; 16-byte Folded Spill
	scratch_store_dwordx4 off, v[44:47], off offset:3368 ; 16-byte Folded Spill
	scratch_store_dwordx4 off, v[48:51], off offset:3384 ; 16-byte Folded Spill
	scratch_store_dwordx4 off, v[52:55], off offset:3400 ; 16-byte Folded Spill
	scratch_store_dwordx4 off, v[56:59], off offset:3416 ; 16-byte Folded Spill
	scratch_store_dwordx4 off, v[60:63], off offset:3432 ; 16-byte Folded Spill
	scratch_store_dwordx4 off, v[64:67], off offset:3448 ; 16-byte Folded Spill
	scratch_store_dwordx4 off, v[36:39], off offset:3208 ; 16-byte Folded Spill
	s_nop 0
	scratch_store_dwordx4 off, v[40:43], off offset:3224 ; 16-byte Folded Spill
	scratch_store_dwordx4 off, v[44:47], off offset:3240 ; 16-byte Folded Spill
	scratch_store_dwordx4 off, v[48:51], off offset:3256 ; 16-byte Folded Spill
	scratch_store_dwordx4 off, v[52:55], off offset:3272 ; 16-byte Folded Spill
	scratch_store_dwordx4 off, v[56:59], off offset:3288 ; 16-byte Folded Spill
	scratch_store_dwordx4 off, v[60:63], off offset:3304 ; 16-byte Folded Spill
	scratch_store_dwordx4 off, v[64:67], off offset:3320 ; 16-byte Folded Spill
	;; [unrolled: 9-line block ×12, first 2 shown]
.LBB59_78:
	s_or_b64 exec, exec, s[2:3]
	v_cmp_eq_u32_e32 vcc, 15, v255
	s_waitcnt lgkmcnt(0)
	s_barrier
	s_and_saveexec_b64 s[2:3], vcc
	s_cbranch_execz .LBB59_81
; %bb.79:
	scratch_load_dwordx4 v[0:3], off, off offset:1160 ; 16-byte Folded Reload
	scratch_load_dwordx4 v[4:7], off, off offset:1176 ; 16-byte Folded Reload
	;; [unrolled: 1-line block ×8, first 2 shown]
	scratch_load_dword v0, off, off offset:388 ; 4-byte Folded Reload
	s_waitcnt vmcnt(5)
	ds_write_b32 v254, v15
	s_waitcnt vmcnt(0)
	ds_write2_b64 v0, v[198:199], v[200:201] offset0:8 offset1:9
	ds_write2_b64 v0, v[202:203], v[204:205] offset0:10 offset1:11
	;; [unrolled: 1-line block ×3, first 2 shown]
	ds_write_b64 v0, v[210:211] offset:112
	ds_read_b32 v30, v254
	s_waitcnt lgkmcnt(0)
	v_cmp_neq_f32_e32 vcc, 0, v30
	s_and_b64 exec, exec, vcc
	s_cbranch_execz .LBB59_81
; %bb.80:
	v_div_scale_f32 v31, s[4:5], v30, v30, 1.0
	v_rcp_f32_e32 v32, v31
	v_div_scale_f32 v33, vcc, 1.0, v30, 1.0
	v_fma_f32 v34, -v31, v32, 1.0
	v_fmac_f32_e32 v32, v34, v32
	v_mul_f32_e32 v34, v33, v32
	v_fma_f32 v35, -v31, v34, v33
	v_fmac_f32_e32 v34, v35, v32
	v_fma_f32 v31, -v31, v34, v33
	v_div_fmas_f32 v31, v31, v32, v34
	v_div_fixup_f32 v30, v31, v30, 1.0
	ds_write_b32 v254, v30
.LBB59_81:
	s_or_b64 exec, exec, s[2:3]
	s_waitcnt lgkmcnt(0)
	s_barrier
	ds_read_b32 v0, v254
	v_cmp_lt_u32_e32 vcc, 15, v255
	s_waitcnt lgkmcnt(0)
	scratch_store_dword off, v0, off offset:4 ; 4-byte Folded Spill
	s_mov_b64 s[2:3], exec
	v_mov_b64_e32 v[0:1], v[60:61]
	v_mov_b32_e32 v16, v76
	s_and_b64 s[4:5], s[2:3], vcc
	v_mov_b64_e32 v[2:3], v[62:63]
	v_mov_b64_e32 v[4:5], v[64:65]
	;; [unrolled: 1-line block ×7, first 2 shown]
	v_mov_b32_e32 v17, v77
	v_mov_b32_e32 v18, v78
	;; [unrolled: 1-line block ×4, first 2 shown]
	s_mov_b64 exec, s[4:5]
	s_cbranch_execz .LBB59_83
; %bb.82:
	scratch_load_dword v1, off, off offset:388 ; 4-byte Folded Reload
	s_waitcnt vmcnt(0)
	ds_read2_b64 v[2:5], v1 offset0:8 offset1:9
	scratch_load_dword v0, off, off offset:4 ; 4-byte Folded Reload
	scratch_load_dwordx4 v[6:9], off, off offset:1160 ; 16-byte Folded Reload
	scratch_load_dwordx4 v[10:13], off, off offset:1176 ; 16-byte Folded Reload
	scratch_load_dwordx4 v[14:17], off, off offset:1192 ; 16-byte Folded Reload
	scratch_load_dwordx4 v[18:21], off, off offset:1208 ; 16-byte Folded Reload
	scratch_load_dwordx4 v[22:25], off, off offset:1224 ; 16-byte Folded Reload
	scratch_load_dwordx4 v[26:29], off, off offset:1240 ; 16-byte Folded Reload
	scratch_load_dwordx4 v[30:33], off, off offset:1256 ; 16-byte Folded Reload
	scratch_load_dwordx4 v[34:37], off, off offset:1272 ; 16-byte Folded Reload
	s_waitcnt vmcnt(7)
	ds_read2_b64 v[6:9], v1 offset0:10 offset1:11
	s_waitcnt vmcnt(6)
	v_mov_b32_e32 v10, v198
	v_mov_b32_e32 v11, v199
	s_waitcnt vmcnt(4)
	v_mul_f32_e32 v0, v21, v0
	s_waitcnt lgkmcnt(1)
	v_pk_fma_f32 v[220:221], v[0:1], v[2:3], v[10:11] op_sel_hi:[0,1,1] neg_lo:[1,0,0] neg_hi:[1,0,0]
	v_mov_b32_e32 v2, v200
	v_mov_b32_e32 v3, v201
	s_waitcnt vmcnt(1)
	v_pk_fma_f32 v[30:31], v[0:1], v[4:5], v[2:3] op_sel_hi:[0,1,1] neg_lo:[1,0,0] neg_hi:[1,0,0]
	v_mov_b32_e32 v2, v202
	v_mov_b32_e32 v3, v203
	s_waitcnt lgkmcnt(0)
	v_pk_fma_f32 v[72:73], v[0:1], v[6:7], v[2:3] op_sel_hi:[0,1,1] neg_lo:[1,0,0] neg_hi:[1,0,0]
	v_mov_b32_e32 v6, v204
	v_mov_b32_e32 v7, v205
	;; [unrolled: 1-line block ×8, first 2 shown]
	scratch_load_dwordx4 v[188:191], off, off offset:3208 ; 16-byte Folded Reload
	scratch_load_dwordx4 v[192:195], off, off offset:3224 ; 16-byte Folded Reload
	;; [unrolled: 1-line block ×8, first 2 shown]
	v_mov_b32_e32 v27, v0
	v_mov_b32_e32 v28, v220
	;; [unrolled: 1-line block ×6, first 2 shown]
	s_waitcnt vmcnt(4)
	v_mov_b32_e32 v203, v0
	s_waitcnt vmcnt(0)
	v_mov_b32_e32 v219, v0
	v_mov_b32_e32 v133, v0
	;; [unrolled: 1-line block ×25, first 2 shown]
	scratch_store_dwordx4 off, v[12:15], off offset:2952 ; 16-byte Folded Spill
	s_nop 0
	scratch_store_dwordx4 off, v[16:19], off offset:2968 ; 16-byte Folded Spill
	scratch_store_dwordx4 off, v[20:23], off offset:2984 ; 16-byte Folded Spill
	;; [unrolled: 1-line block ×7, first 2 shown]
	v_mov_b32_e32 v66, v202
	v_mov_b32_e32 v52, v188
	v_mov_b32_e32 v53, v189
	v_mov_b32_e32 v54, v190
	v_mov_b32_e32 v55, v191
	v_mov_b32_e32 v56, v192
	v_mov_b32_e32 v57, v193
	v_mov_b32_e32 v58, v194
	v_mov_b32_e32 v59, v195
	v_mov_b32_e32 v60, v196
	v_mov_b32_e32 v61, v197
	v_mov_b32_e32 v62, v198
	v_mov_b32_e32 v63, v199
	v_mov_b32_e32 v64, v200
	v_mov_b32_e32 v65, v201
	v_mov_b64_e32 v[108:109], v[66:67]
	v_mov_b64_e32 v[94:95], v[52:53]
	;; [unrolled: 1-line block ×8, first 2 shown]
	v_mov_b32_e32 v204, v188
	v_mov_b32_e32 v205, v189
	;; [unrolled: 1-line block ×49, first 2 shown]
	v_mov_b64_e32 v[46:47], v[26:27]
	v_mov_b64_e32 v[42:43], v[22:23]
	;; [unrolled: 1-line block ×10, first 2 shown]
	scratch_store_dwordx4 off, v[12:15], off offset:2824 ; 16-byte Folded Spill
	s_nop 0
	scratch_store_dwordx4 off, v[16:19], off offset:2840 ; 16-byte Folded Spill
	scratch_store_dwordx4 off, v[20:23], off offset:2856 ; 16-byte Folded Spill
	;; [unrolled: 1-line block ×7, first 2 shown]
	v_mov_b32_e32 v70, v50
	v_mov_b32_e32 v71, v51
	v_mov_b64_e32 v[114:115], v[72:73]
	v_mov_b32_e32 v32, v114
	v_mov_b32_e32 v33, v115
	v_mov_b64_e32 v[112:113], v[70:71]
	v_mov_b64_e32 v[110:111], v[68:69]
	v_pk_fma_f32 v[72:73], v[0:1], v[8:9], v[6:7] op_sel_hi:[0,1,1] neg_lo:[1,0,0] neg_hi:[1,0,0]
	v_mov_b32_e32 v50, v188
	v_mov_b32_e32 v51, v189
	;; [unrolled: 1-line block ×41, first 2 shown]
	v_mov_b64_e32 v[88:89], v[26:27]
	v_mov_b64_e32 v[92:93], v[30:31]
	;; [unrolled: 1-line block ×10, first 2 shown]
	scratch_store_dwordx4 off, v[12:15], off offset:2568 ; 16-byte Folded Spill
	s_nop 0
	scratch_store_dwordx4 off, v[16:19], off offset:2584 ; 16-byte Folded Spill
	scratch_store_dwordx4 off, v[20:23], off offset:2600 ; 16-byte Folded Spill
	;; [unrolled: 1-line block ×7, first 2 shown]
	v_mov_b32_e32 v32, v114
	v_mov_b32_e32 v34, v72
	;; [unrolled: 1-line block ×7, first 2 shown]
	scratch_store_dwordx4 off, v[12:15], off offset:2440 ; 16-byte Folded Spill
	s_nop 0
	scratch_store_dwordx4 off, v[16:19], off offset:2456 ; 16-byte Folded Spill
	scratch_store_dwordx4 off, v[20:23], off offset:2472 ; 16-byte Folded Spill
	;; [unrolled: 1-line block ×7, first 2 shown]
	ds_read2_b64 v[6:9], v1 offset0:12 offset1:13
	v_mov_b32_e32 v12, v190
	v_mov_b32_e32 v13, v191
	;; [unrolled: 1-line block ×4, first 2 shown]
	s_waitcnt lgkmcnt(0)
	v_pk_fma_f32 v[142:143], v[0:1], v[6:7], v[10:11] op_sel_hi:[0,1,1] neg_lo:[1,0,0] neg_hi:[1,0,0]
	v_mov_b32_e32 v10, v188
	v_mov_b32_e32 v11, v189
	;; [unrolled: 1-line block ×22, first 2 shown]
	v_pk_fma_f32 v[250:251], v[0:1], v[8:9], v[4:5] op_sel_hi:[0,1,1] neg_lo:[1,0,0] neg_hi:[1,0,0]
	v_mov_b64_e32 v[42:43], v[110:111]
	scratch_store_dwordx4 off, v[10:13], off offset:2184 ; 16-byte Folded Spill
	s_nop 0
	scratch_store_dwordx4 off, v[14:17], off offset:2200 ; 16-byte Folded Spill
	scratch_store_dwordx4 off, v[18:21], off offset:2216 ; 16-byte Folded Spill
	;; [unrolled: 1-line block ×7, first 2 shown]
	scratch_load_dword v1, off, off offset:388 ; 4-byte Folded Reload
	v_mov_b64_e32 v[6:7], v[74:75]
	v_mov_b64_e32 v[8:9], v[76:77]
	;; [unrolled: 1-line block ×15, first 2 shown]
	v_mov_b32_e32 v242, v24
	v_mov_b32_e32 v243, v25
	;; [unrolled: 1-line block ×4, first 2 shown]
	v_mov_b64_e32 v[36:37], v[104:105]
	v_mov_b64_e32 v[38:39], v[106:107]
	;; [unrolled: 1-line block ×5, first 2 shown]
	v_mov_b32_e32 v89, v0
	v_mov_b32_e32 v74, v188
	;; [unrolled: 1-line block ×32, first 2 shown]
	s_waitcnt vmcnt(0)
	ds_read_b64 v[4:5], v1 offset:112
	s_waitcnt lgkmcnt(0)
	v_pk_fma_f32 v[182:183], v[0:1], v[4:5], v[2:3] op_sel_hi:[0,1,1] neg_lo:[1,0,0] neg_hi:[1,0,0]
	v_mov_b64_e32 v[4:5], v[6:7]
	v_mov_b64_e32 v[6:7], v[8:9]
	;; [unrolled: 1-line block ×10, first 2 shown]
	v_mov_b32_e32 v172, v22
	v_mov_b32_e32 v173, v23
	scratch_store_dwordx4 off, v[4:7], off offset:1672 ; 16-byte Folded Spill
	s_nop 0
	scratch_store_dwordx4 off, v[8:11], off offset:1688 ; 16-byte Folded Spill
	scratch_store_dwordx4 off, v[12:15], off offset:1704 ; 16-byte Folded Spill
	;; [unrolled: 1-line block ×7, first 2 shown]
	v_mov_b64_e32 v[24:25], v[26:27]
	v_mov_b64_e32 v[26:27], v[28:29]
	;; [unrolled: 1-line block ×11, first 2 shown]
	v_mov_b32_e32 v174, v44
	v_mov_b32_e32 v175, v45
	scratch_store_dwordx4 off, v[24:27], off offset:2696 ; 16-byte Folded Spill
	s_nop 0
	scratch_store_dwordx4 off, v[28:31], off offset:2712 ; 16-byte Folded Spill
	scratch_store_dwordx4 off, v[32:35], off offset:2728 ; 16-byte Folded Spill
	scratch_store_dwordx4 off, v[36:39], off offset:2744 ; 16-byte Folded Spill
	scratch_store_dwordx4 off, v[40:43], off offset:2760 ; 16-byte Folded Spill
	scratch_store_dwordx4 off, v[44:47], off offset:2776 ; 16-byte Folded Spill
	scratch_store_dwordx4 off, v[48:51], off offset:2792 ; 16-byte Folded Spill
	scratch_store_dwordx4 off, v[52:55], off offset:2808 ; 16-byte Folded Spill
	scratch_store_dwordx4 off, v[74:77], off offset:1800 ; 16-byte Folded Spill
	s_nop 0
	scratch_store_dwordx4 off, v[78:81], off offset:1816 ; 16-byte Folded Spill
	scratch_store_dwordx4 off, v[82:85], off offset:1832 ; 16-byte Folded Spill
	scratch_store_dwordx4 off, v[86:89], off offset:1848 ; 16-byte Folded Spill
	scratch_store_dwordx4 off, v[90:93], off offset:1864 ; 16-byte Folded Spill
	scratch_store_dwordx4 off, v[94:97], off offset:1880 ; 16-byte Folded Spill
	scratch_store_dwordx4 off, v[98:101], off offset:1896 ; 16-byte Folded Spill
	scratch_store_dwordx4 off, v[102:105], off offset:1912 ; 16-byte Folded Spill
	;; [unrolled: 9-line block ×3, first 2 shown]
	v_mov_b64_e32 v[0:1], v[154:155]
	v_mov_b64_e32 v[30:31], v[184:185]
	v_mov_b64_e32 v[14:15], v[168:169]
	v_mov_b64_e32 v[16:17], v[170:171]
	v_mov_b64_e32 v[18:19], v[172:173]
	v_mov_b64_e32 v[20:21], v[174:175]
	v_mov_b64_e32 v[22:23], v[176:177]
	v_mov_b64_e32 v[24:25], v[178:179]
	v_mov_b64_e32 v[26:27], v[180:181]
	v_mov_b64_e32 v[28:29], v[182:183]
	v_mov_b32_e32 v30, v220
	v_mov_b64_e32 v[2:3], v[156:157]
	v_mov_b64_e32 v[4:5], v[158:159]
	;; [unrolled: 1-line block ×6, first 2 shown]
	scratch_store_dwordx4 off, v[154:157], off offset:260 ; 16-byte Folded Spill
	s_nop 0
	scratch_store_dwordx4 off, v[158:161], off offset:276 ; 16-byte Folded Spill
	scratch_store_dwordx4 off, v[162:165], off offset:292 ; 16-byte Folded Spill
	scratch_store_dwordx4 off, v[166:169], off offset:308 ; 16-byte Folded Spill
	scratch_store_dwordx4 off, v[170:173], off offset:324 ; 16-byte Folded Spill
	scratch_store_dwordx4 off, v[174:177], off offset:340 ; 16-byte Folded Spill
	scratch_store_dwordx4 off, v[178:181], off offset:356 ; 16-byte Folded Spill
	scratch_store_dwordx4 off, v[182:185], off offset:372 ; 16-byte Folded Spill
	scratch_store_dwordx4 off, v[14:17], off offset:776 ; 16-byte Folded Spill
	s_nop 0
	scratch_store_dwordx4 off, v[18:21], off offset:792 ; 16-byte Folded Spill
	scratch_store_dwordx4 off, v[22:25], off offset:808 ; 16-byte Folded Spill
	scratch_store_dwordx4 off, v[26:29], off offset:824 ; 16-byte Folded Spill
	scratch_store_dwordx4 off, v[30:33], off offset:840 ; 16-byte Folded Spill
	scratch_store_dwordx4 off, v[34:37], off offset:856 ; 16-byte Folded Spill
	scratch_store_dwordx4 off, v[38:41], off offset:872 ; 16-byte Folded Spill
	scratch_store_dwordx4 off, v[42:45], off offset:888 ; 16-byte Folded Spill
	;; [unrolled: 9-line block ×3, first 2 shown]
	v_mov_b64_e32 v[74:75], v[118:119]
	v_mov_b64_e32 v[76:77], v[120:121]
	v_mov_b64_e32 v[78:79], v[122:123]
	v_mov_b64_e32 v[80:81], v[124:125]
	v_mov_b64_e32 v[90:91], v[134:135]
	v_mov_b64_e32 v[82:83], v[126:127]
	v_mov_b64_e32 v[84:85], v[128:129]
	v_mov_b64_e32 v[86:87], v[130:131]
	v_mov_b64_e32 v[88:89], v[132:133]
	v_mov_b64_e32 v[92:93], v[136:137]
	v_mov_b64_e32 v[94:95], v[138:139]
	v_mov_b64_e32 v[96:97], v[140:141]
	v_mov_b64_e32 v[98:99], v[142:143]
	v_mov_b32_e32 v138, v98
	v_mov_b64_e32 v[208:209], v[26:27]
	v_mov_b64_e32 v[206:207], v[24:25]
	;; [unrolled: 1-line block ×5, first 2 shown]
	scratch_store_dwordx4 off, v[204:207], off offset:1544 ; 16-byte Folded Spill
	s_nop 0
	scratch_store_dwordx4 off, v[208:211], off offset:1560 ; 16-byte Folded Spill
	scratch_store_dwordx4 off, v[212:215], off offset:1576 ; 16-byte Folded Spill
	scratch_store_dwordx4 off, v[216:219], off offset:1592 ; 16-byte Folded Spill
	scratch_store_dwordx4 off, v[220:223], off offset:1608 ; 16-byte Folded Spill
	scratch_store_dwordx4 off, v[224:227], off offset:1624 ; 16-byte Folded Spill
	scratch_store_dwordx4 off, v[228:231], off offset:1640 ; 16-byte Folded Spill
	scratch_store_dwordx4 off, v[232:235], off offset:1656 ; 16-byte Folded Spill
	v_mov_b64_e32 v[194:195], v[12:13]
	v_mov_b64_e32 v[192:193], v[10:11]
	;; [unrolled: 1-line block ×10, first 2 shown]
	scratch_load_dwordx4 v[0:3], off, off offset:1672 ; 16-byte Folded Reload
	scratch_load_dwordx4 v[4:7], off, off offset:1688 ; 16-byte Folded Reload
	;; [unrolled: 1-line block ×8, first 2 shown]
	s_waitcnt vmcnt(0)
	v_mov_b64_e32 v[44:45], v[14:15]
	v_mov_b64_e32 v[30:31], v[0:1]
	;; [unrolled: 1-line block ×8, first 2 shown]
	scratch_store_dwordx4 off, v[0:3], off offset:648 ; 16-byte Folded Spill
	s_nop 0
	scratch_store_dwordx4 off, v[4:7], off offset:664 ; 16-byte Folded Spill
	scratch_store_dwordx4 off, v[8:11], off offset:680 ; 16-byte Folded Spill
	;; [unrolled: 1-line block ×8, first 2 shown]
	s_nop 0
	scratch_store_dwordx4 off, v[4:7], off offset:408 ; 16-byte Folded Spill
	scratch_store_dwordx4 off, v[8:11], off offset:424 ; 16-byte Folded Spill
	scratch_store_dwordx4 off, v[12:15], off offset:440 ; 16-byte Folded Spill
	scratch_store_dwordx4 off, v[16:19], off offset:456 ; 16-byte Folded Spill
	scratch_store_dwordx4 off, v[20:23], off offset:472 ; 16-byte Folded Spill
	scratch_store_dwordx4 off, v[24:27], off offset:488 ; 16-byte Folded Spill
	scratch_store_dwordx4 off, v[28:31], off offset:504 ; 16-byte Folded Spill
	scratch_load_dwordx4 v[0:3], off, off offset:2696 ; 16-byte Folded Reload
	s_nop 0
	scratch_load_dwordx4 v[4:7], off, off offset:2712 ; 16-byte Folded Reload
	scratch_load_dwordx4 v[8:11], off, off offset:2728 ; 16-byte Folded Reload
	;; [unrolled: 1-line block ×7, first 2 shown]
	s_waitcnt vmcnt(4)
	v_mov_b64_e32 v[168:169], v[14:15]
	v_mov_b64_e32 v[166:167], v[12:13]
	s_waitcnt vmcnt(2)
	v_mov_b64_e32 v[174:175], v[20:21]
	v_mov_b64_e32 v[164:165], v[10:11]
	;; [unrolled: 1-line block ×9, first 2 shown]
	scratch_store_dwordx4 off, v[0:3], off offset:1288 ; 16-byte Folded Spill
	s_nop 0
	scratch_store_dwordx4 off, v[4:7], off offset:1304 ; 16-byte Folded Spill
	scratch_store_dwordx4 off, v[8:11], off offset:1320 ; 16-byte Folded Spill
	;; [unrolled: 1-line block ×5, first 2 shown]
	s_waitcnt vmcnt(7)
	scratch_store_dwordx4 off, v[24:27], off offset:1384 ; 16-byte Folded Spill
	s_waitcnt vmcnt(7)
	scratch_store_dwordx4 off, v[28:31], off offset:1400 ; 16-byte Folded Spill
	scratch_store_dwordx4 off, v[154:157], off offset:1032 ; 16-byte Folded Spill
	s_nop 0
	scratch_store_dwordx4 off, v[158:161], off offset:1048 ; 16-byte Folded Spill
	scratch_store_dwordx4 off, v[162:165], off offset:1064 ; 16-byte Folded Spill
	;; [unrolled: 1-line block ×7, first 2 shown]
	v_mov_b32_e32 v22, v72
	scratch_store_dwordx4 off, v[0:3], off offset:904 ; 16-byte Folded Spill
	s_nop 0
	scratch_store_dwordx4 off, v[4:7], off offset:920 ; 16-byte Folded Spill
	scratch_store_dwordx4 off, v[8:11], off offset:936 ; 16-byte Folded Spill
	scratch_store_dwordx4 off, v[12:15], off offset:952 ; 16-byte Folded Spill
	scratch_store_dwordx4 off, v[16:19], off offset:968 ; 16-byte Folded Spill
	scratch_store_dwordx4 off, v[20:23], off offset:984 ; 16-byte Folded Spill
	scratch_store_dwordx4 off, v[24:27], off offset:1000 ; 16-byte Folded Spill
	scratch_store_dwordx4 off, v[28:31], off offset:1016 ; 16-byte Folded Spill
	scratch_store_dwordx4 off, v[50:53], off offset:1416 ; 16-byte Folded Spill
	s_nop 0
	scratch_store_dwordx4 off, v[54:57], off offset:1432 ; 16-byte Folded Spill
	scratch_store_dwordx4 off, v[58:61], off offset:1448 ; 16-byte Folded Spill
	scratch_store_dwordx4 off, v[62:65], off offset:1464 ; 16-byte Folded Spill
	scratch_store_dwordx4 off, v[66:69], off offset:1480 ; 16-byte Folded Spill
	scratch_store_dwordx4 off, v[70:73], off offset:1496 ; 16-byte Folded Spill
	scratch_store_dwordx4 off, v[74:77], off offset:1512 ; 16-byte Folded Spill
	scratch_store_dwordx4 off, v[78:81], off offset:1528 ; 16-byte Folded Spill
	;; [unrolled: 9-line block ×5, first 2 shown]
	v_mov_b32_e32 v139, v99
	v_mov_b32_e32 v87, v251
.LBB59_83:
	s_or_b64 exec, exec, s[2:3]
	v_mov_b64_e32 v[74:75], v[14:15]
	v_mov_b32_e32 v80, v20
	v_mov_b64_e32 v[72:73], v[12:13]
	v_mov_b64_e32 v[70:71], v[10:11]
	;; [unrolled: 1-line block ×7, first 2 shown]
	v_mov_b32_e32 v79, v19
	v_mov_b32_e32 v78, v18
	;; [unrolled: 1-line block ×4, first 2 shown]
	v_cmp_eq_u32_e32 vcc, 16, v255
	s_waitcnt vmcnt(63) expcnt(7) lgkmcnt(15)
	s_barrier
	s_and_saveexec_b64 s[2:3], vcc
	s_cbranch_execz .LBB59_86
; %bb.84:
	scratch_load_dwordx4 v[0:3], off, off offset:776 ; 16-byte Folded Reload
	scratch_load_dwordx4 v[4:7], off, off offset:792 ; 16-byte Folded Reload
	;; [unrolled: 1-line block ×8, first 2 shown]
	scratch_load_dword v0, off, off offset:388 ; 4-byte Folded Reload
	s_waitcnt vmcnt(2)
	v_mov_b32_e32 v27, v87
	ds_write_b32 v254, v16
	s_waitcnt vmcnt(0)
	ds_write2_b32 v0, v199, v200 offset0:17 offset1:18
	ds_write2_b32 v0, v201, v202 offset0:19 offset1:20
	;; [unrolled: 1-line block ×6, first 2 shown]
	scratch_load_dwordx4 v[82:85], off, off offset:260 ; 16-byte Folded Reload
	scratch_load_dwordx4 v[86:89], off, off offset:276 ; 16-byte Folded Reload
	;; [unrolled: 1-line block ×8, first 2 shown]
	s_waitcnt vmcnt(6)
	v_mov_b32_e32 v87, v27
	s_waitcnt vmcnt(0)
	ds_write_b32 v0, v111 offset:116
	ds_read_b32 v30, v254
	s_waitcnt lgkmcnt(0)
	v_cmp_neq_f32_e32 vcc, 0, v30
	s_and_b64 exec, exec, vcc
	s_cbranch_execz .LBB59_86
; %bb.85:
	v_div_scale_f32 v31, s[4:5], v30, v30, 1.0
	v_rcp_f32_e32 v32, v31
	v_div_scale_f32 v33, vcc, 1.0, v30, 1.0
	v_fma_f32 v34, -v31, v32, 1.0
	v_fmac_f32_e32 v32, v34, v32
	v_mul_f32_e32 v34, v33, v32
	v_fma_f32 v35, -v31, v34, v33
	v_fmac_f32_e32 v34, v35, v32
	v_fma_f32 v31, -v31, v34, v33
	v_div_fmas_f32 v31, v31, v32, v34
	v_div_fixup_f32 v30, v31, v30, 1.0
	ds_write_b32 v254, v30
.LBB59_86:
	s_or_b64 exec, exec, s[2:3]
	s_waitcnt lgkmcnt(0)
	s_barrier
	ds_read_b32 v143, v254
	v_cmp_lt_u32_e32 vcc, 16, v255
	s_and_saveexec_b64 s[2:3], vcc
	s_cbranch_execz .LBB59_88
; %bb.87:
	scratch_load_dwordx4 v[36:39], off, off offset:3336 ; 16-byte Folded Reload
	scratch_load_dwordx4 v[40:43], off, off offset:3352 ; 16-byte Folded Reload
	;; [unrolled: 1-line block ×16, first 2 shown]
	scratch_load_dword v10, off, off offset:388 ; 4-byte Folded Reload
	s_waitcnt vmcnt(8)
	v_mov_b32_e32 v3, v200
	v_mov_b32_e32 v2, v199
	;; [unrolled: 1-line block ×4, first 2 shown]
	s_waitcnt vmcnt(6)
	v_mov_b32_e32 v11, v47
	s_waitcnt vmcnt(5)
	v_mov_b32_e32 v12, v48
	v_mov_b32_e32 v13, v49
	;; [unrolled: 1-line block ×9, first 2 shown]
	s_waitcnt vmcnt(4) lgkmcnt(0)
	v_mul_f32_e32 v52, v16, v143
	v_mov_b32_e32 v16, v52
	v_mov_b32_e32 v67, v43
	;; [unrolled: 1-line block ×3, first 2 shown]
	s_waitcnt vmcnt(0)
	ds_read2_b32 v[0:1], v10 offset0:17 offset1:18
	ds_read2_b32 v[4:5], v10 offset0:19 offset1:20
	ds_read2_b32 v[6:7], v10 offset0:21 offset1:22
	ds_read2_b32 v[8:9], v10 offset0:23 offset1:24
	v_mov_b32_e32 v69, v45
	v_mov_b32_e32 v70, v46
	;; [unrolled: 1-line block ×3, first 2 shown]
	s_waitcnt lgkmcnt(3)
	v_pk_fma_f32 v[32:33], v[52:53], v[0:1], v[2:3] op_sel_hi:[0,1,1] neg_lo:[1,0,0] neg_hi:[1,0,0]
	v_mov_b32_e32 v1, v202
	v_mov_b32_e32 v0, v201
	s_waitcnt lgkmcnt(2)
	v_pk_fma_f32 v[34:35], v[52:53], v[4:5], v[0:1] op_sel_hi:[0,1,1] neg_lo:[1,0,0] neg_hi:[1,0,0]
	v_mov_b32_e32 v1, v204
	v_mov_b32_e32 v0, v203
	;; [unrolled: 4-line block ×3, first 2 shown]
	s_waitcnt lgkmcnt(0)
	v_pk_fma_f32 v[122:123], v[52:53], v[8:9], v[0:1] op_sel_hi:[0,1,1] neg_lo:[1,0,0] neg_hi:[1,0,0]
	ds_read2_b32 v[0:1], v10 offset0:25 offset1:26
	ds_read2_b32 v[4:5], v10 offset0:27 offset1:28
	ds_read_b32 v6, v10 offset:116
	scratch_load_dwordx4 v[220:223], off, off offset:260 ; 16-byte Folded Reload
	scratch_load_dwordx4 v[224:227], off, off offset:276 ; 16-byte Folded Reload
	;; [unrolled: 1-line block ×8, first 2 shown]
	v_mov_b32_e32 v3, v208
	v_mov_b32_e32 v2, v207
	s_waitcnt lgkmcnt(2)
	v_pk_fma_f32 v[118:119], v[52:53], v[0:1], v[2:3] op_sel_hi:[0,1,1] neg_lo:[1,0,0] neg_hi:[1,0,0]
	v_mov_b32_e32 v1, v210
	v_mov_b32_e32 v0, v209
	s_waitcnt lgkmcnt(1)
	v_pk_fma_f32 v[120:121], v[52:53], v[4:5], v[0:1] op_sel_hi:[0,1,1] neg_lo:[1,0,0] neg_hi:[1,0,0]
	v_mov_b32_e32 v0, v36
	v_mov_b32_e32 v1, v37
	;; [unrolled: 1-line block ×12, first 2 shown]
	s_waitcnt vmcnt(7)
	v_mov_b32_e32 v220, v36
	v_mov_b32_e32 v221, v37
	v_mov_b32_e32 v222, v38
	v_mov_b32_e32 v223, v39
	s_waitcnt vmcnt(6)
	v_mov_b32_e32 v224, v40
	v_mov_b32_e32 v225, v41
	v_mov_b32_e32 v226, v42
	v_mov_b32_e32 v227, v43
	;; [unrolled: 5-line block ×8, first 2 shown]
	v_mov_b32_e32 v74, v50
	v_mov_b32_e32 v75, v51
	;; [unrolled: 1-line block ×10, first 2 shown]
	s_waitcnt lgkmcnt(0)
	v_fma_f32 v249, -v52, v6, v249
	v_mov_b32_e32 v6, v42
	scratch_store_dwordx4 off, v[0:3], off offset:1672 ; 16-byte Folded Spill
	s_nop 0
	scratch_store_dwordx4 off, v[4:7], off offset:1688 ; 16-byte Folded Spill
	scratch_store_dwordx4 off, v[8:11], off offset:1704 ; 16-byte Folded Spill
	;; [unrolled: 1-line block ×7, first 2 shown]
	v_mov_b32_e32 v19, v34
	v_mov_b64_e32 v[182:183], v[220:221]
	v_mov_b64_e32 v[184:185], v[222:223]
	;; [unrolled: 1-line block ×16, first 2 shown]
	scratch_store_dwordx4 off, v[0:3], off offset:2824 ; 16-byte Folded Spill
	s_nop 0
	scratch_store_dwordx4 off, v[4:7], off offset:2840 ; 16-byte Folded Spill
	scratch_store_dwordx4 off, v[8:11], off offset:2856 ; 16-byte Folded Spill
	;; [unrolled: 1-line block ×7, first 2 shown]
	v_mov_b32_e32 v20, v35
	v_mov_b32_e32 v21, v114
	scratch_store_dwordx4 off, v[0:3], off offset:2568 ; 16-byte Folded Spill
	s_nop 0
	scratch_store_dwordx4 off, v[4:7], off offset:2584 ; 16-byte Folded Spill
	scratch_store_dwordx4 off, v[8:11], off offset:2600 ; 16-byte Folded Spill
	scratch_store_dwordx4 off, v[12:15], off offset:2616 ; 16-byte Folded Spill
	scratch_store_dwordx4 off, v[16:19], off offset:2632 ; 16-byte Folded Spill
	scratch_store_dwordx4 off, v[20:23], off offset:2648 ; 16-byte Folded Spill
	scratch_store_dwordx4 off, v[24:27], off offset:2664 ; 16-byte Folded Spill
	scratch_store_dwordx4 off, v[28:31], off offset:2680 ; 16-byte Folded Spill
	v_mov_b32_e32 v22, v115
	scratch_store_dwordx4 off, v[0:3], off offset:1416 ; 16-byte Folded Spill
	s_nop 0
	scratch_store_dwordx4 off, v[4:7], off offset:1432 ; 16-byte Folded Spill
	scratch_store_dwordx4 off, v[8:11], off offset:1448 ; 16-byte Folded Spill
	scratch_store_dwordx4 off, v[12:15], off offset:1464 ; 16-byte Folded Spill
	scratch_store_dwordx4 off, v[16:19], off offset:1480 ; 16-byte Folded Spill
	scratch_store_dwordx4 off, v[20:23], off offset:1496 ; 16-byte Folded Spill
	scratch_store_dwordx4 off, v[24:27], off offset:1512 ; 16-byte Folded Spill
	scratch_store_dwordx4 off, v[28:31], off offset:1528 ; 16-byte Folded Spill
	;; [unrolled: 10-line block ×3, first 2 shown]
	s_nop 0
	v_mov_b32_e32 v24, v123
	scratch_store_dwordx4 off, v[0:3], off offset:2312 ; 16-byte Folded Spill
	s_nop 0
	scratch_store_dwordx4 off, v[4:7], off offset:2328 ; 16-byte Folded Spill
	scratch_store_dwordx4 off, v[8:11], off offset:2344 ; 16-byte Folded Spill
	scratch_store_dwordx4 off, v[12:15], off offset:2360 ; 16-byte Folded Spill
	scratch_store_dwordx4 off, v[16:19], off offset:2376 ; 16-byte Folded Spill
	scratch_store_dwordx4 off, v[20:23], off offset:2392 ; 16-byte Folded Spill
	scratch_store_dwordx4 off, v[24:27], off offset:2408 ; 16-byte Folded Spill
	scratch_store_dwordx4 off, v[28:31], off offset:2424 ; 16-byte Folded Spill
	s_nop 0
	v_mov_b32_e32 v25, v118
	scratch_store_dwordx4 off, v[0:3], off offset:2184 ; 16-byte Folded Spill
	s_nop 0
	scratch_store_dwordx4 off, v[4:7], off offset:2200 ; 16-byte Folded Spill
	scratch_store_dwordx4 off, v[8:11], off offset:2216 ; 16-byte Folded Spill
	scratch_store_dwordx4 off, v[12:15], off offset:2232 ; 16-byte Folded Spill
	scratch_store_dwordx4 off, v[16:19], off offset:2248 ; 16-byte Folded Spill
	scratch_store_dwordx4 off, v[20:23], off offset:2264 ; 16-byte Folded Spill
	scratch_store_dwordx4 off, v[24:27], off offset:2280 ; 16-byte Folded Spill
	scratch_store_dwordx4 off, v[28:31], off offset:2296 ; 16-byte Folded Spill
	;; [unrolled: 11-line block ×4, first 2 shown]
	scratch_store_dwordx4 off, v[36:39], off offset:2952 ; 16-byte Folded Spill
	s_nop 0
	scratch_store_dwordx4 off, v[40:43], off offset:2968 ; 16-byte Folded Spill
	scratch_store_dwordx4 off, v[44:47], off offset:2984 ; 16-byte Folded Spill
	scratch_store_dwordx4 off, v[48:51], off offset:3000 ; 16-byte Folded Spill
	scratch_store_dwordx4 off, v[52:55], off offset:3016 ; 16-byte Folded Spill
	scratch_store_dwordx4 off, v[56:59], off offset:3032 ; 16-byte Folded Spill
	scratch_store_dwordx4 off, v[60:63], off offset:3048 ; 16-byte Folded Spill
	scratch_store_dwordx4 off, v[64:67], off offset:3064 ; 16-byte Folded Spill
	scratch_store_dwordx4 off, v[36:39], off offset:2056 ; 16-byte Folded Spill
	s_nop 0
	scratch_store_dwordx4 off, v[40:43], off offset:2072 ; 16-byte Folded Spill
	scratch_store_dwordx4 off, v[44:47], off offset:2088 ; 16-byte Folded Spill
	scratch_store_dwordx4 off, v[48:51], off offset:2104 ; 16-byte Folded Spill
	scratch_store_dwordx4 off, v[52:55], off offset:2120 ; 16-byte Folded Spill
	scratch_store_dwordx4 off, v[56:59], off offset:2136 ; 16-byte Folded Spill
	scratch_store_dwordx4 off, v[60:63], off offset:2152 ; 16-byte Folded Spill
	scratch_store_dwordx4 off, v[64:67], off offset:2168 ; 16-byte Folded Spill
	;; [unrolled: 9-line block ×10, first 2 shown]
.LBB59_88:
	s_or_b64 exec, exec, s[2:3]
	v_cmp_eq_u32_e32 vcc, 17, v255
	s_waitcnt lgkmcnt(0)
	s_barrier
	s_and_saveexec_b64 s[2:3], vcc
	s_cbranch_execz .LBB59_91
; %bb.89:
	scratch_load_dwordx4 v[0:3], off, off offset:1544 ; 16-byte Folded Reload
	scratch_load_dwordx4 v[4:7], off, off offset:1560 ; 16-byte Folded Reload
	;; [unrolled: 1-line block ×8, first 2 shown]
	scratch_load_dword v0, off, off offset:388 ; 4-byte Folded Reload
	s_waitcnt vmcnt(4)
	ds_write_b32 v254, v17
	s_waitcnt vmcnt(0)
	ds_write2_b64 v0, v[200:201], v[202:203] offset0:9 offset1:10
	ds_write2_b64 v0, v[204:205], v[206:207] offset0:11 offset1:12
	;; [unrolled: 1-line block ×3, first 2 shown]
	ds_read_b32 v30, v254
	s_waitcnt lgkmcnt(0)
	v_cmp_neq_f32_e32 vcc, 0, v30
	s_and_b64 exec, exec, vcc
	s_cbranch_execz .LBB59_91
; %bb.90:
	v_div_scale_f32 v31, s[4:5], v30, v30, 1.0
	v_rcp_f32_e32 v32, v31
	v_div_scale_f32 v33, vcc, 1.0, v30, 1.0
	v_fma_f32 v34, -v31, v32, 1.0
	v_fmac_f32_e32 v32, v34, v32
	v_mul_f32_e32 v34, v33, v32
	v_fma_f32 v35, -v31, v34, v33
	v_fmac_f32_e32 v34, v35, v32
	v_fma_f32 v31, -v31, v34, v33
	v_div_fmas_f32 v31, v31, v32, v34
	v_div_fixup_f32 v30, v31, v30, 1.0
	ds_write_b32 v254, v30
.LBB59_91:
	s_or_b64 exec, exec, s[2:3]
	s_waitcnt lgkmcnt(0)
	s_barrier
	ds_read_b32 v250, v254
	v_cmp_lt_u32_e32 vcc, 17, v255
	s_and_saveexec_b64 s[2:3], vcc
	s_cbranch_execz .LBB59_93
; %bb.92:
	scratch_load_dword v1, off, off offset:388 ; 4-byte Folded Reload
	s_waitcnt vmcnt(0)
	ds_read2_b64 v[2:5], v1 offset0:9 offset1:10
	scratch_load_dwordx4 v[6:9], off, off offset:1544 ; 16-byte Folded Reload
	scratch_load_dwordx4 v[10:13], off, off offset:1560 ; 16-byte Folded Reload
	;; [unrolled: 1-line block ×8, first 2 shown]
	s_waitcnt vmcnt(7)
	ds_read2_b64 v[6:9], v1 offset0:11 offset1:12
	scratch_load_dwordx4 v[30:33], off, off offset:2056 ; 16-byte Folded Reload
	scratch_load_dwordx4 v[34:37], off, off offset:2072 ; 16-byte Folded Reload
	;; [unrolled: 1-line block ×8, first 2 shown]
	s_waitcnt vmcnt(14)
	v_mov_b32_e32 v10, v200
	v_mov_b32_e32 v11, v201
	s_waitcnt vmcnt(11) lgkmcnt(2)
	v_mul_f32_e32 v0, v23, v250
	s_waitcnt vmcnt(4)
	v_mov_b64_e32 v[138:139], v[44:45]
	s_waitcnt lgkmcnt(1)
	v_pk_fma_f32 v[78:79], v[0:1], v[2:3], v[10:11] op_sel_hi:[0,1,1] neg_lo:[1,0,0] neg_hi:[1,0,0]
	v_mov_b64_e32 v[136:137], v[42:43]
	v_mov_b64_e32 v[134:135], v[40:41]
	;; [unrolled: 1-line block ×7, first 2 shown]
	v_mov_b32_e32 v12, v124
	v_mov_b32_e32 v13, v125
	;; [unrolled: 1-line block ×16, first 2 shown]
	s_waitcnt vmcnt(3)
	v_mov_b32_e32 v28, v46
	v_mov_b32_e32 v29, v0
	;; [unrolled: 1-line block ×4, first 2 shown]
	scratch_store_dwordx4 off, v[12:15], off offset:2824 ; 16-byte Folded Spill
	s_nop 0
	scratch_store_dwordx4 off, v[16:19], off offset:2840 ; 16-byte Folded Spill
	scratch_store_dwordx4 off, v[20:23], off offset:2856 ; 16-byte Folded Spill
	;; [unrolled: 1-line block ×7, first 2 shown]
	v_mov_b32_e32 v2, v202
	v_mov_b32_e32 v3, v203
	;; [unrolled: 1-line block ×3, first 2 shown]
	s_waitcnt vmcnt(8)
	v_pk_fma_f32 v[58:59], v[0:1], v[4:5], v[2:3] op_sel_hi:[0,1,1] neg_lo:[1,0,0] neg_hi:[1,0,0]
	v_mov_b32_e32 v38, v124
	v_mov_b32_e32 v39, v125
	v_mov_b32_e32 v40, v126
	v_mov_b32_e32 v41, v127
	v_mov_b32_e32 v42, v128
	v_mov_b32_e32 v43, v129
	v_mov_b32_e32 v28, v140
	v_mov_b32_e32 v32, v58
	v_mov_b32_e32 v33, v59
	v_mov_b32_e32 v2, v204
	v_mov_b32_e32 v3, v205
	s_waitcnt lgkmcnt(0)
	v_pk_fma_f32 v[242:243], v[0:1], v[6:7], v[2:3] op_sel_hi:[0,1,1] neg_lo:[1,0,0] neg_hi:[1,0,0]
	v_mov_b32_e32 v2, v206
	v_mov_b32_e32 v3, v207
	v_pk_fma_f32 v[106:107], v[0:1], v[8:9], v[2:3] op_sel_hi:[0,1,1] neg_lo:[1,0,0] neg_hi:[1,0,0]
	v_mov_b32_e32 v6, v208
	v_mov_b32_e32 v7, v209
	;; [unrolled: 1-line block ×25, first 2 shown]
	scratch_store_dwordx4 off, v[12:15], off offset:2568 ; 16-byte Folded Spill
	s_nop 0
	scratch_store_dwordx4 off, v[16:19], off offset:2584 ; 16-byte Folded Spill
	scratch_store_dwordx4 off, v[20:23], off offset:2600 ; 16-byte Folded Spill
	;; [unrolled: 1-line block ×7, first 2 shown]
	v_mov_b32_e32 v34, v242
	v_mov_b32_e32 v35, v243
	;; [unrolled: 1-line block ×44, first 2 shown]
	scratch_store_dwordx4 off, v[12:15], off offset:2440 ; 16-byte Folded Spill
	s_nop 0
	scratch_store_dwordx4 off, v[16:19], off offset:2456 ; 16-byte Folded Spill
	scratch_store_dwordx4 off, v[20:23], off offset:2472 ; 16-byte Folded Spill
	;; [unrolled: 1-line block ×7, first 2 shown]
	s_nop 0
	v_mov_b32_e32 v36, v106
	v_mov_b32_e32 v37, v107
	;; [unrolled: 1-line block ×44, first 2 shown]
	scratch_store_dwordx4 off, v[12:15], off offset:2184 ; 16-byte Folded Spill
	s_nop 0
	scratch_store_dwordx4 off, v[16:19], off offset:2200 ; 16-byte Folded Spill
	scratch_store_dwordx4 off, v[20:23], off offset:2216 ; 16-byte Folded Spill
	;; [unrolled: 1-line block ×7, first 2 shown]
	ds_read2_b64 v[2:5], v1 offset0:13 offset1:14
	v_mov_b32_e32 v21, v0
	v_mov_b32_e32 v12, v132
	;; [unrolled: 1-line block ×4, first 2 shown]
	s_waitcnt lgkmcnt(0)
	v_pk_fma_f32 v[180:181], v[0:1], v[2:3], v[6:7] op_sel_hi:[0,1,1] neg_lo:[1,0,0] neg_hi:[1,0,0]
	v_mov_b32_e32 v208, v180
	v_mov_b32_e32 v209, v181
	scratch_store_dwordx4 off, v[182:185], off offset:1800 ; 16-byte Folded Spill
	s_nop 0
	scratch_store_dwordx4 off, v[186:189], off offset:1816 ; 16-byte Folded Spill
	scratch_store_dwordx4 off, v[190:193], off offset:1832 ; 16-byte Folded Spill
	;; [unrolled: 1-line block ×7, first 2 shown]
	v_pk_fma_f32 v[32:33], v[0:1], v[4:5], v[10:11] op_sel_hi:[0,1,1] neg_lo:[1,0,0] neg_hi:[1,0,0]
	v_mov_b32_e32 v4, v124
	v_mov_b32_e32 v5, v125
	;; [unrolled: 1-line block ×25, first 2 shown]
	scratch_store_dwordx4 off, v[124:127], off offset:2952 ; 16-byte Folded Spill
	s_nop 0
	scratch_store_dwordx4 off, v[128:131], off offset:2968 ; 16-byte Folded Spill
	scratch_store_dwordx4 off, v[132:135], off offset:2984 ; 16-byte Folded Spill
	;; [unrolled: 1-line block ×7, first 2 shown]
	v_mov_b32_e32 v77, v0
	v_mov_b32_e32 v55, v0
	;; [unrolled: 1-line block ×26, first 2 shown]
	v_mov_b64_e32 v[212:213], v[34:35]
	v_mov_b64_e32 v[210:211], v[32:33]
	;; [unrolled: 1-line block ×16, first 2 shown]
	scratch_store_dwordx4 off, v[4:7], off offset:260 ; 16-byte Folded Spill
	s_nop 0
	scratch_store_dwordx4 off, v[8:11], off offset:276 ; 16-byte Folded Spill
	scratch_store_dwordx4 off, v[12:15], off offset:292 ; 16-byte Folded Spill
	;; [unrolled: 1-line block ×7, first 2 shown]
	v_mov_b32_e32 v18, v78
	scratch_store_dwordx4 off, v[0:3], off offset:648 ; 16-byte Folded Spill
	s_nop 0
	scratch_store_dwordx4 off, v[4:7], off offset:664 ; 16-byte Folded Spill
	scratch_store_dwordx4 off, v[8:11], off offset:680 ; 16-byte Folded Spill
	scratch_store_dwordx4 off, v[12:15], off offset:696 ; 16-byte Folded Spill
	scratch_store_dwordx4 off, v[16:19], off offset:712 ; 16-byte Folded Spill
	scratch_store_dwordx4 off, v[20:23], off offset:728 ; 16-byte Folded Spill
	scratch_store_dwordx4 off, v[24:27], off offset:744 ; 16-byte Folded Spill
	scratch_store_dwordx4 off, v[28:31], off offset:760 ; 16-byte Folded Spill
	scratch_store_dwordx4 off, v[60:63], off offset:1672 ; 16-byte Folded Spill
	s_nop 0
	scratch_store_dwordx4 off, v[64:67], off offset:1688 ; 16-byte Folded Spill
	scratch_store_dwordx4 off, v[68:71], off offset:1704 ; 16-byte Folded Spill
	scratch_store_dwordx4 off, v[72:75], off offset:1720 ; 16-byte Folded Spill
	scratch_store_dwordx4 off, v[76:79], off offset:1736 ; 16-byte Folded Spill
	scratch_store_dwordx4 off, v[80:83], off offset:1752 ; 16-byte Folded Spill
	scratch_store_dwordx4 off, v[84:87], off offset:1768 ; 16-byte Folded Spill
	scratch_store_dwordx4 off, v[88:91], off offset:1784 ; 16-byte Folded Spill
	;; [unrolled: 9-line block ×3, first 2 shown]
	v_mov_b64_e32 v[74:75], v[52:53]
	v_mov_b64_e32 v[80:81], v[58:59]
	;; [unrolled: 1-line block ×11, first 2 shown]
	v_mov_b32_e32 v20, v80
	scratch_store_dwordx4 off, v[0:3], off offset:1288 ; 16-byte Folded Spill
	s_nop 0
	scratch_store_dwordx4 off, v[4:7], off offset:1304 ; 16-byte Folded Spill
	scratch_store_dwordx4 off, v[8:11], off offset:1320 ; 16-byte Folded Spill
	;; [unrolled: 1-line block ×8, first 2 shown]
	s_nop 0
	scratch_store_dwordx4 off, v[64:67], off offset:1048 ; 16-byte Folded Spill
	scratch_store_dwordx4 off, v[68:71], off offset:1064 ; 16-byte Folded Spill
	;; [unrolled: 1-line block ×7, first 2 shown]
	v_mov_b32_e32 v22, v242
	scratch_store_dwordx4 off, v[0:3], off offset:904 ; 16-byte Folded Spill
	s_nop 0
	scratch_store_dwordx4 off, v[4:7], off offset:920 ; 16-byte Folded Spill
	scratch_store_dwordx4 off, v[8:11], off offset:936 ; 16-byte Folded Spill
	scratch_store_dwordx4 off, v[12:15], off offset:952 ; 16-byte Folded Spill
	scratch_store_dwordx4 off, v[16:19], off offset:968 ; 16-byte Folded Spill
	scratch_store_dwordx4 off, v[20:23], off offset:984 ; 16-byte Folded Spill
	scratch_store_dwordx4 off, v[24:27], off offset:1000 ; 16-byte Folded Spill
	scratch_store_dwordx4 off, v[28:31], off offset:1016 ; 16-byte Folded Spill
	scratch_store_dwordx4 off, v[220:223], off offset:1416 ; 16-byte Folded Spill
	s_nop 0
	scratch_store_dwordx4 off, v[224:227], off offset:1432 ; 16-byte Folded Spill
	scratch_store_dwordx4 off, v[228:231], off offset:1448 ; 16-byte Folded Spill
	scratch_store_dwordx4 off, v[232:235], off offset:1464 ; 16-byte Folded Spill
	scratch_store_dwordx4 off, v[236:239], off offset:1480 ; 16-byte Folded Spill
	scratch_store_dwordx4 off, v[240:243], off offset:1496 ; 16-byte Folded Spill
	scratch_store_dwordx4 off, v[244:247], off offset:1512 ; 16-byte Folded Spill
	scratch_store_dwordx4 off, v[248:251], off offset:1528 ; 16-byte Folded Spill
	;; [unrolled: 9-line block ×5, first 2 shown]
	v_mov_b32_e32 v139, v107
	v_mov_b32_e32 v87, v181
.LBB59_93:
	s_or_b64 exec, exec, s[2:3]
	v_cmp_eq_u32_e32 vcc, 18, v255
	s_waitcnt lgkmcnt(0)
	s_barrier
	s_and_saveexec_b64 s[2:3], vcc
	s_cbranch_execz .LBB59_96
; %bb.94:
	scratch_load_dwordx4 v[0:3], off, off offset:648 ; 16-byte Folded Reload
	scratch_load_dwordx4 v[4:7], off, off offset:664 ; 16-byte Folded Reload
	;; [unrolled: 1-line block ×8, first 2 shown]
	scratch_load_dword v0, off, off offset:388 ; 4-byte Folded Reload
	s_waitcnt vmcnt(2)
	v_mov_b32_e32 v27, v87
	ds_write_b32 v254, v18
	s_waitcnt vmcnt(0)
	ds_write2_b32 v0, v201, v202 offset0:19 offset1:20
	ds_write2_b32 v0, v203, v204 offset0:21 offset1:22
	;; [unrolled: 1-line block ×5, first 2 shown]
	scratch_load_dwordx4 v[82:85], off, off offset:260 ; 16-byte Folded Reload
	scratch_load_dwordx4 v[86:89], off, off offset:276 ; 16-byte Folded Reload
	;; [unrolled: 1-line block ×8, first 2 shown]
	s_waitcnt vmcnt(6)
	v_mov_b32_e32 v87, v27
	s_waitcnt vmcnt(0)
	ds_write_b32 v0, v111 offset:116
	ds_read_b32 v30, v254
	s_waitcnt lgkmcnt(0)
	v_cmp_neq_f32_e32 vcc, 0, v30
	s_and_b64 exec, exec, vcc
	s_cbranch_execz .LBB59_96
; %bb.95:
	v_div_scale_f32 v31, s[4:5], v30, v30, 1.0
	v_rcp_f32_e32 v32, v31
	v_div_scale_f32 v33, vcc, 1.0, v30, 1.0
	v_fma_f32 v34, -v31, v32, 1.0
	v_fmac_f32_e32 v32, v34, v32
	v_mul_f32_e32 v34, v33, v32
	v_fma_f32 v35, -v31, v34, v33
	v_fmac_f32_e32 v34, v35, v32
	v_fma_f32 v31, -v31, v34, v33
	v_div_fmas_f32 v31, v31, v32, v34
	v_div_fixup_f32 v30, v31, v30, 1.0
	ds_write_b32 v254, v30
.LBB59_96:
	s_or_b64 exec, exec, s[2:3]
	s_waitcnt lgkmcnt(0)
	s_barrier
	ds_read_b32 v251, v254
	v_cmp_lt_u32_e32 vcc, 18, v255
	s_and_saveexec_b64 s[2:3], vcc
	s_cbranch_execz .LBB59_98
; %bb.97:
	scratch_load_dwordx4 v[84:87], off, off offset:2952 ; 16-byte Folded Reload
	scratch_load_dwordx4 v[88:91], off, off offset:2968 ; 16-byte Folded Reload
	;; [unrolled: 1-line block ×16, first 2 shown]
	scratch_load_dword v10, off, off offset:388 ; 4-byte Folded Reload
	s_waitcnt vmcnt(8)
	v_mov_b32_e32 v3, v202
	v_mov_b32_e32 v2, v201
	v_mov_b64_e32 v[134:135], v[98:99]
	v_mov_b64_e32 v[132:133], v[96:97]
	s_waitcnt vmcnt(4) lgkmcnt(0)
	v_mul_f32_e32 v138, v18, v251
	v_mov_b64_e32 v[130:131], v[94:95]
	v_mov_b64_e32 v[128:129], v[92:93]
	v_mov_b64_e32 v[126:127], v[90:91]
	s_waitcnt vmcnt(0)
	ds_read2_b32 v[0:1], v10 offset0:19 offset1:20
	ds_read2_b32 v[4:5], v10 offset0:21 offset1:22
	;; [unrolled: 1-line block ×4, first 2 shown]
	v_mov_b64_e32 v[124:125], v[88:89]
	v_mov_b64_e32 v[122:123], v[86:87]
	;; [unrolled: 1-line block ×3, first 2 shown]
	s_waitcnt lgkmcnt(3)
	v_pk_fma_f32 v[34:35], v[138:139], v[0:1], v[2:3] op_sel_hi:[0,1,1] neg_lo:[1,0,0] neg_hi:[1,0,0]
	v_mov_b32_e32 v1, v204
	v_mov_b32_e32 v0, v203
	s_waitcnt lgkmcnt(2)
	v_pk_fma_f32 v[36:37], v[138:139], v[4:5], v[0:1] op_sel_hi:[0,1,1] neg_lo:[1,0,0] neg_hi:[1,0,0]
	ds_read2_b32 v[2:3], v10 offset0:27 offset1:28
	ds_read_b32 v4, v10 offset:116
	scratch_load_dwordx4 v[38:41], off, off offset:260 ; 16-byte Folded Reload
	scratch_load_dwordx4 v[42:45], off, off offset:276 ; 16-byte Folded Reload
	;; [unrolled: 1-line block ×8, first 2 shown]
	v_mov_b32_e32 v1, v206
	v_mov_b32_e32 v0, v205
	s_waitcnt lgkmcnt(3)
	v_pk_fma_f32 v[114:115], v[138:139], v[6:7], v[0:1] op_sel_hi:[0,1,1] neg_lo:[1,0,0] neg_hi:[1,0,0]
	v_mov_b32_e32 v1, v208
	v_mov_b32_e32 v0, v207
	v_mov_b64_e32 v[136:137], v[100:101]
	s_waitcnt lgkmcnt(2)
	v_pk_fma_f32 v[140:141], v[138:139], v[8:9], v[0:1] op_sel_hi:[0,1,1] neg_lo:[1,0,0] neg_hi:[1,0,0]
	v_mov_b32_e32 v1, v210
	v_mov_b32_e32 v0, v209
	s_waitcnt lgkmcnt(1)
	v_pk_fma_f32 v[118:119], v[138:139], v[2:3], v[0:1] op_sel_hi:[0,1,1] neg_lo:[1,0,0] neg_hi:[1,0,0]
	v_mov_b32_e32 v0, v120
	v_mov_b32_e32 v1, v121
	;; [unrolled: 1-line block ×23, first 2 shown]
	s_waitcnt vmcnt(2)
	v_mov_b32_e32 v60, v120
	v_mov_b32_e32 v61, v121
	s_waitcnt vmcnt(1)
	v_mov_b32_e32 v62, v122
	v_mov_b32_e32 v63, v123
	v_mov_b32_e32 v64, v124
	v_mov_b32_e32 v65, v125
	s_waitcnt vmcnt(0)
	v_mov_b32_e32 v66, v126
	v_mov_b32_e32 v68, v128
	;; [unrolled: 1-line block ×16, first 2 shown]
	s_waitcnt lgkmcnt(0)
	v_fma_f32 v33, -v138, v4, v33
	v_mov_b32_e32 v4, v124
	scratch_store_dwordx4 off, v[0:3], off offset:2568 ; 16-byte Folded Spill
	s_nop 0
	scratch_store_dwordx4 off, v[4:7], off offset:2584 ; 16-byte Folded Spill
	scratch_store_dwordx4 off, v[8:11], off offset:2600 ; 16-byte Folded Spill
	;; [unrolled: 1-line block ×7, first 2 shown]
	v_mov_b32_e32 v22, v37
	v_mov_b32_e32 v67, v127
	scratch_store_dwordx4 off, v[0:3], off offset:1416 ; 16-byte Folded Spill
	s_nop 0
	scratch_store_dwordx4 off, v[4:7], off offset:1432 ; 16-byte Folded Spill
	scratch_store_dwordx4 off, v[8:11], off offset:1448 ; 16-byte Folded Spill
	;; [unrolled: 1-line block ×7, first 2 shown]
	v_mov_b32_e32 v23, v114
	scratch_store_dwordx4 off, v[0:3], off offset:2440 ; 16-byte Folded Spill
	s_nop 0
	scratch_store_dwordx4 off, v[4:7], off offset:2456 ; 16-byte Folded Spill
	scratch_store_dwordx4 off, v[8:11], off offset:2472 ; 16-byte Folded Spill
	scratch_store_dwordx4 off, v[12:15], off offset:2488 ; 16-byte Folded Spill
	scratch_store_dwordx4 off, v[16:19], off offset:2504 ; 16-byte Folded Spill
	scratch_store_dwordx4 off, v[20:23], off offset:2520 ; 16-byte Folded Spill
	scratch_store_dwordx4 off, v[24:27], off offset:2536 ; 16-byte Folded Spill
	scratch_store_dwordx4 off, v[28:31], off offset:2552 ; 16-byte Folded Spill
	s_nop 0
	v_mov_b32_e32 v24, v115
	scratch_store_dwordx4 off, v[0:3], off offset:2312 ; 16-byte Folded Spill
	s_nop 0
	scratch_store_dwordx4 off, v[4:7], off offset:2328 ; 16-byte Folded Spill
	scratch_store_dwordx4 off, v[8:11], off offset:2344 ; 16-byte Folded Spill
	scratch_store_dwordx4 off, v[12:15], off offset:2360 ; 16-byte Folded Spill
	scratch_store_dwordx4 off, v[16:19], off offset:2376 ; 16-byte Folded Spill
	scratch_store_dwordx4 off, v[20:23], off offset:2392 ; 16-byte Folded Spill
	scratch_store_dwordx4 off, v[24:27], off offset:2408 ; 16-byte Folded Spill
	scratch_store_dwordx4 off, v[28:31], off offset:2424 ; 16-byte Folded Spill
	s_nop 0
	;; [unrolled: 11-line block ×4, first 2 shown]
	v_mov_b32_e32 v27, v118
	scratch_store_dwordx4 off, v[0:3], off offset:1800 ; 16-byte Folded Spill
	s_nop 0
	scratch_store_dwordx4 off, v[4:7], off offset:1816 ; 16-byte Folded Spill
	scratch_store_dwordx4 off, v[8:11], off offset:1832 ; 16-byte Folded Spill
	;; [unrolled: 1-line block ×7, first 2 shown]
	v_mov_b32_e32 v4, v120
	v_mov_b32_e32 v5, v121
	;; [unrolled: 1-line block ×28, first 2 shown]
	v_mov_b64_e32 v[212:213], v[34:35]
	scratch_store_dwordx4 off, v[120:123], off offset:2824 ; 16-byte Folded Spill
	s_nop 0
	scratch_store_dwordx4 off, v[124:127], off offset:2840 ; 16-byte Folded Spill
	scratch_store_dwordx4 off, v[128:131], off offset:2856 ; 16-byte Folded Spill
	;; [unrolled: 1-line block ×8, first 2 shown]
	s_nop 0
	scratch_store_dwordx4 off, v[124:127], off offset:1688 ; 16-byte Folded Spill
	scratch_store_dwordx4 off, v[128:131], off offset:1704 ; 16-byte Folded Spill
	;; [unrolled: 1-line block ×7, first 2 shown]
	v_mov_b64_e32 v[210:211], v[32:33]
	v_mov_b64_e32 v[208:209], v[30:31]
	;; [unrolled: 1-line block ×15, first 2 shown]
	scratch_store_dwordx4 off, v[4:7], off offset:260 ; 16-byte Folded Spill
	s_nop 0
	scratch_store_dwordx4 off, v[8:11], off offset:276 ; 16-byte Folded Spill
	scratch_store_dwordx4 off, v[12:15], off offset:292 ; 16-byte Folded Spill
	;; [unrolled: 1-line block ×7, first 2 shown]
	v_mov_b32_e32 v138, v115
	v_mov_b32_e32 v139, v140
	;; [unrolled: 1-line block ×3, first 2 shown]
	scratch_store_dwordx4 off, v[0:3], off offset:392 ; 16-byte Folded Spill
	s_nop 0
	scratch_store_dwordx4 off, v[4:7], off offset:408 ; 16-byte Folded Spill
	scratch_store_dwordx4 off, v[8:11], off offset:424 ; 16-byte Folded Spill
	scratch_store_dwordx4 off, v[12:15], off offset:440 ; 16-byte Folded Spill
	scratch_store_dwordx4 off, v[16:19], off offset:456 ; 16-byte Folded Spill
	scratch_store_dwordx4 off, v[20:23], off offset:472 ; 16-byte Folded Spill
	scratch_store_dwordx4 off, v[24:27], off offset:488 ; 16-byte Folded Spill
	scratch_store_dwordx4 off, v[28:31], off offset:504 ; 16-byte Folded Spill
	v_mov_b32_e32 v20, v35
	scratch_store_dwordx4 off, v[0:3], off offset:1288 ; 16-byte Folded Spill
	s_nop 0
	scratch_store_dwordx4 off, v[4:7], off offset:1304 ; 16-byte Folded Spill
	scratch_store_dwordx4 off, v[8:11], off offset:1320 ; 16-byte Folded Spill
	scratch_store_dwordx4 off, v[12:15], off offset:1336 ; 16-byte Folded Spill
	scratch_store_dwordx4 off, v[16:19], off offset:1352 ; 16-byte Folded Spill
	scratch_store_dwordx4 off, v[20:23], off offset:1368 ; 16-byte Folded Spill
	scratch_store_dwordx4 off, v[24:27], off offset:1384 ; 16-byte Folded Spill
	scratch_store_dwordx4 off, v[28:31], off offset:1400 ; 16-byte Folded Spill
	v_mov_b32_e32 v21, v36
	;; [unrolled: 10-line block ×4, first 2 shown]
	scratch_store_dwordx4 off, v[0:3], off offset:520 ; 16-byte Folded Spill
	s_nop 0
	scratch_store_dwordx4 off, v[4:7], off offset:536 ; 16-byte Folded Spill
	scratch_store_dwordx4 off, v[8:11], off offset:552 ; 16-byte Folded Spill
	scratch_store_dwordx4 off, v[12:15], off offset:568 ; 16-byte Folded Spill
	scratch_store_dwordx4 off, v[16:19], off offset:584 ; 16-byte Folded Spill
	scratch_store_dwordx4 off, v[20:23], off offset:600 ; 16-byte Folded Spill
	scratch_store_dwordx4 off, v[24:27], off offset:616 ; 16-byte Folded Spill
	scratch_store_dwordx4 off, v[28:31], off offset:632 ; 16-byte Folded Spill
.LBB59_98:
	s_or_b64 exec, exec, s[2:3]
	v_cmp_eq_u32_e32 vcc, 19, v255
	s_waitcnt lgkmcnt(0)
	s_barrier
	s_and_saveexec_b64 s[2:3], vcc
	s_cbranch_execz .LBB59_101
; %bb.99:
	scratch_load_dwordx4 v[0:3], off, off offset:392 ; 16-byte Folded Reload
	scratch_load_dwordx4 v[4:7], off, off offset:408 ; 16-byte Folded Reload
	;; [unrolled: 1-line block ×8, first 2 shown]
	scratch_load_dword v0, off, off offset:388 ; 4-byte Folded Reload
	s_waitcnt vmcnt(4)
	ds_write_b32 v254, v19
	s_waitcnt vmcnt(0)
	ds_write2_b64 v0, v[202:203], v[204:205] offset0:10 offset1:11
	ds_write2_b64 v0, v[206:207], v[208:209] offset0:12 offset1:13
	ds_write_b64 v0, v[210:211] offset:112
	ds_read_b32 v30, v254
	s_waitcnt lgkmcnt(0)
	v_cmp_neq_f32_e32 vcc, 0, v30
	s_and_b64 exec, exec, vcc
	s_cbranch_execz .LBB59_101
; %bb.100:
	v_div_scale_f32 v31, s[4:5], v30, v30, 1.0
	v_rcp_f32_e32 v32, v31
	v_div_scale_f32 v33, vcc, 1.0, v30, 1.0
	v_fma_f32 v34, -v31, v32, 1.0
	v_fmac_f32_e32 v32, v34, v32
	v_mul_f32_e32 v34, v33, v32
	v_fma_f32 v35, -v31, v34, v33
	v_fmac_f32_e32 v34, v35, v32
	v_fma_f32 v31, -v31, v34, v33
	v_div_fmas_f32 v31, v31, v32, v34
	v_div_fixup_f32 v30, v31, v30, 1.0
	ds_write_b32 v254, v30
.LBB59_101:
	s_or_b64 exec, exec, s[2:3]
	s_waitcnt lgkmcnt(0)
	s_barrier
	ds_read_b32 v110, v254
	v_cmp_lt_u32_e32 vcc, 19, v255
	s_and_saveexec_b64 s[2:3], vcc
	s_cbranch_execz .LBB59_103
; %bb.102:
	scratch_load_dword v1, off, off offset:388 ; 4-byte Folded Reload
	s_waitcnt vmcnt(0)
	ds_read2_b64 v[2:5], v1 offset0:10 offset1:11
	scratch_load_dwordx4 v[6:9], off, off offset:392 ; 16-byte Folded Reload
	scratch_load_dwordx4 v[10:13], off, off offset:408 ; 16-byte Folded Reload
	;; [unrolled: 1-line block ×8, first 2 shown]
	s_waitcnt vmcnt(6)
	v_mov_b32_e32 v10, v202
	v_mov_b32_e32 v11, v203
	ds_read2_b64 v[6:9], v1 offset0:12 offset1:13
	s_waitcnt vmcnt(3) lgkmcnt(2)
	v_mul_f32_e32 v0, v25, v110
	s_waitcnt lgkmcnt(1)
	v_pk_fma_f32 v[80:81], v[0:1], v[2:3], v[10:11] op_sel_hi:[0,1,1] neg_lo:[1,0,0] neg_hi:[1,0,0]
	scratch_load_dwordx4 v[10:13], off, off offset:1672 ; 16-byte Folded Reload
	scratch_load_dwordx4 v[14:17], off, off offset:1688 ; 16-byte Folded Reload
	;; [unrolled: 1-line block ×8, first 2 shown]
	v_mov_b32_e32 v49, v0
	v_mov_b32_e32 v50, v80
	v_mov_b32_e32 v51, v81
	v_mov_b32_e32 v2, v204
	v_mov_b32_e32 v3, v205
	v_pk_fma_f32 v[140:141], v[0:1], v[4:5], v[2:3] op_sel_hi:[0,1,1] neg_lo:[1,0,0] neg_hi:[1,0,0]
	v_mov_b32_e32 v2, v206
	v_mov_b32_e32 v3, v207
	s_waitcnt lgkmcnt(0)
	v_pk_fma_f32 v[178:179], v[0:1], v[6:7], v[2:3] op_sel_hi:[0,1,1] neg_lo:[1,0,0] neg_hi:[1,0,0]
	v_mov_b32_e32 v2, v208
	v_mov_b32_e32 v3, v209
	v_pk_fma_f32 v[108:109], v[0:1], v[8:9], v[2:3] op_sel_hi:[0,1,1] neg_lo:[1,0,0] neg_hi:[1,0,0]
	s_waitcnt vmcnt(3)
	v_mov_b32_e32 v29, v0
	v_mov_b32_e32 v199, v0
	v_mov_b32_e32 v200, v80
	v_mov_b32_e32 v201, v81
	v_mov_b32_e32 v202, v140
	v_mov_b32_e32 v203, v141
	v_mov_b32_e32 v204, v178
	v_mov_b32_e32 v205, v179
	v_mov_b32_e32 v206, v108
	v_mov_b32_e32 v207, v109
	v_mov_b32_e32 v4, v210
	v_mov_b32_e32 v5, v211
	v_mov_b32_e32 v79, v0
	v_mov_b32_e32 v137, v0
	v_mov_b32_e32 v138, v80
	v_mov_b32_e32 v139, v81
	v_mov_b32_e32 v173, v0
	v_mov_b32_e32 v174, v80
	v_mov_b32_e32 v175, v81
	v_mov_b32_e32 v101, v0
	v_mov_b32_e32 v102, v80
	v_mov_b32_e32 v103, v81
	v_mov_b32_e32 v176, v140
	v_mov_b32_e32 v177, v141
	v_mov_b32_e32 v104, v140
	v_mov_b32_e32 v105, v141
	v_mov_b32_e32 v106, v178
	v_mov_b32_e32 v107, v179
	v_mov_b32_e32 v60, v10
	v_mov_b32_e32 v61, v11
	s_waitcnt vmcnt(2)
	v_mov_b32_e32 v30, v10
	v_mov_b32_e32 v31, v11
	v_mov_b32_e32 v32, v12
	v_mov_b32_e32 v33, v13
	s_waitcnt vmcnt(1)
	v_mov_b32_e32 v34, v14
	v_mov_b32_e32 v35, v15
	v_mov_b32_e32 v36, v16
	v_mov_b32_e32 v37, v17
	s_waitcnt vmcnt(0)
	v_mov_b32_e32 v38, v18
	v_mov_b32_e32 v39, v19
	v_mov_b32_e32 v40, v20
	v_mov_b32_e32 v41, v21
	v_mov_b32_e32 v42, v22
	v_mov_b32_e32 v43, v23
	;; [unrolled: 1-line block ×7, first 2 shown]
	scratch_store_dwordx4 off, v[30:33], off offset:2568 ; 16-byte Folded Spill
	s_nop 0
	scratch_store_dwordx4 off, v[34:37], off offset:2584 ; 16-byte Folded Spill
	scratch_store_dwordx4 off, v[38:41], off offset:2600 ; 16-byte Folded Spill
	;; [unrolled: 1-line block ×7, first 2 shown]
	v_mov_b32_e32 v52, v140
	v_mov_b32_e32 v53, v141
	;; [unrolled: 1-line block ×54, first 2 shown]
	scratch_store_dwordx4 off, v[30:33], off offset:2440 ; 16-byte Folded Spill
	s_nop 0
	scratch_store_dwordx4 off, v[34:37], off offset:2456 ; 16-byte Folded Spill
	scratch_store_dwordx4 off, v[38:41], off offset:2472 ; 16-byte Folded Spill
	;; [unrolled: 1-line block ×7, first 2 shown]
	s_nop 0
	v_mov_b32_e32 v54, v178
	v_mov_b32_e32 v55, v179
	;; [unrolled: 1-line block ×43, first 2 shown]
	scratch_store_dwordx4 off, v[30:33], off offset:2184 ; 16-byte Folded Spill
	s_nop 0
	scratch_store_dwordx4 off, v[34:37], off offset:2200 ; 16-byte Folded Spill
	scratch_store_dwordx4 off, v[38:41], off offset:2216 ; 16-byte Folded Spill
	;; [unrolled: 1-line block ×7, first 2 shown]
	ds_read_b64 v[2:3], v1 offset:112
	scratch_store_dwordx4 off, v[180:183], off offset:1800 ; 16-byte Folded Spill
	s_nop 0
	scratch_store_dwordx4 off, v[184:187], off offset:1816 ; 16-byte Folded Spill
	scratch_store_dwordx4 off, v[188:191], off offset:1832 ; 16-byte Folded Spill
	;; [unrolled: 1-line block ×7, first 2 shown]
	v_mov_b32_e32 v56, v108
	v_mov_b32_e32 v57, v109
	scratch_store_dwordx4 off, v[10:13], off offset:2824 ; 16-byte Folded Spill
	s_nop 0
	scratch_store_dwordx4 off, v[14:17], off offset:2840 ; 16-byte Folded Spill
	scratch_store_dwordx4 off, v[18:21], off offset:2856 ; 16-byte Folded Spill
	;; [unrolled: 1-line block ×7, first 2 shown]
	s_waitcnt lgkmcnt(0)
	v_pk_fma_f32 v[58:59], v[0:1], v[2:3], v[4:5] op_sel_hi:[0,1,1] neg_lo:[1,0,0] neg_hi:[1,0,0]
	v_mov_b32_e32 v20, v80
	v_mov_b64_e32 v[212:213], v[60:61]
	v_mov_b64_e32 v[210:211], v[58:59]
	;; [unrolled: 1-line block ×16, first 2 shown]
	scratch_store_dwordx4 off, v[30:33], off offset:260 ; 16-byte Folded Spill
	s_nop 0
	scratch_store_dwordx4 off, v[34:37], off offset:276 ; 16-byte Folded Spill
	scratch_store_dwordx4 off, v[38:41], off offset:292 ; 16-byte Folded Spill
	scratch_store_dwordx4 off, v[42:45], off offset:308 ; 16-byte Folded Spill
	scratch_store_dwordx4 off, v[46:49], off offset:324 ; 16-byte Folded Spill
	scratch_store_dwordx4 off, v[50:53], off offset:340 ; 16-byte Folded Spill
	scratch_store_dwordx4 off, v[54:57], off offset:356 ; 16-byte Folded Spill
	scratch_store_dwordx4 off, v[58:61], off offset:372 ; 16-byte Folded Spill
	scratch_store_dwordx4 off, v[0:3], off offset:1288 ; 16-byte Folded Spill
	s_nop 0
	scratch_store_dwordx4 off, v[4:7], off offset:1304 ; 16-byte Folded Spill
	scratch_store_dwordx4 off, v[8:11], off offset:1320 ; 16-byte Folded Spill
	scratch_store_dwordx4 off, v[12:15], off offset:1336 ; 16-byte Folded Spill
	scratch_store_dwordx4 off, v[16:19], off offset:1352 ; 16-byte Folded Spill
	scratch_store_dwordx4 off, v[20:23], off offset:1368 ; 16-byte Folded Spill
	scratch_store_dwordx4 off, v[24:27], off offset:1384 ; 16-byte Folded Spill
	scratch_store_dwordx4 off, v[28:31], off offset:1400 ; 16-byte Folded Spill
	scratch_store_dwordx4 off, v[60:63], off offset:1032 ; 16-byte Folded Spill
	s_nop 0
	scratch_store_dwordx4 off, v[64:67], off offset:1048 ; 16-byte Folded Spill
	scratch_store_dwordx4 off, v[68:71], off offset:1064 ; 16-byte Folded Spill
	scratch_store_dwordx4 off, v[72:75], off offset:1080 ; 16-byte Folded Spill
	scratch_store_dwordx4 off, v[76:79], off offset:1096 ; 16-byte Folded Spill
	scratch_store_dwordx4 off, v[80:83], off offset:1112 ; 16-byte Folded Spill
	scratch_store_dwordx4 off, v[84:87], off offset:1128 ; 16-byte Folded Spill
	scratch_store_dwordx4 off, v[88:91], off offset:1144 ; 16-byte Folded Spill
	v_mov_b32_e32 v22, v140
	scratch_store_dwordx4 off, v[0:3], off offset:904 ; 16-byte Folded Spill
	s_nop 0
	scratch_store_dwordx4 off, v[4:7], off offset:920 ; 16-byte Folded Spill
	scratch_store_dwordx4 off, v[8:11], off offset:936 ; 16-byte Folded Spill
	scratch_store_dwordx4 off, v[12:15], off offset:952 ; 16-byte Folded Spill
	scratch_store_dwordx4 off, v[16:19], off offset:968 ; 16-byte Folded Spill
	scratch_store_dwordx4 off, v[20:23], off offset:984 ; 16-byte Folded Spill
	scratch_store_dwordx4 off, v[24:27], off offset:1000 ; 16-byte Folded Spill
	scratch_store_dwordx4 off, v[28:31], off offset:1016 ; 16-byte Folded Spill
	scratch_store_dwordx4 off, v[118:121], off offset:1416 ; 16-byte Folded Spill
	s_nop 0
	scratch_store_dwordx4 off, v[122:125], off offset:1432 ; 16-byte Folded Spill
	scratch_store_dwordx4 off, v[126:129], off offset:1448 ; 16-byte Folded Spill
	scratch_store_dwordx4 off, v[130:133], off offset:1464 ; 16-byte Folded Spill
	scratch_store_dwordx4 off, v[134:137], off offset:1480 ; 16-byte Folded Spill
	scratch_store_dwordx4 off, v[138:141], off offset:1496 ; 16-byte Folded Spill
	scratch_store_dwordx4 off, v[142:145], off offset:1512 ; 16-byte Folded Spill
	scratch_store_dwordx4 off, v[146:149], off offset:1528 ; 16-byte Folded Spill
	;; [unrolled: 9-line block ×3, first 2 shown]
	v_mov_b32_e32 v138, v178
	scratch_store_dwordx4 off, v[154:157], off offset:2312 ; 16-byte Folded Spill
	s_nop 0
	scratch_store_dwordx4 off, v[158:161], off offset:2328 ; 16-byte Folded Spill
	scratch_store_dwordx4 off, v[162:165], off offset:2344 ; 16-byte Folded Spill
	;; [unrolled: 1-line block ×8, first 2 shown]
	s_nop 0
	scratch_store_dwordx4 off, v[86:89], off offset:1944 ; 16-byte Folded Spill
	scratch_store_dwordx4 off, v[90:93], off offset:1960 ; 16-byte Folded Spill
	;; [unrolled: 1-line block ×7, first 2 shown]
	v_mov_b32_e32 v139, v179
	v_mov_b32_e32 v87, v109
.LBB59_103:
	s_or_b64 exec, exec, s[2:3]
	v_mov_b64_e32 v[230:231], v[74:75]
	v_mov_b32_e32 v236, v80
	v_mov_b64_e32 v[228:229], v[72:73]
	v_mov_b64_e32 v[226:227], v[70:71]
	;; [unrolled: 1-line block ×7, first 2 shown]
	v_mov_b32_e32 v235, v79
	v_mov_b32_e32 v234, v78
	;; [unrolled: 1-line block ×4, first 2 shown]
	v_cmp_eq_u32_e32 vcc, 20, v255
	s_waitcnt lgkmcnt(0)
	s_barrier
	s_and_saveexec_b64 s[2:3], vcc
	s_cbranch_execz .LBB59_106
; %bb.104:
	scratch_load_dwordx4 v[0:3], off, off offset:1288 ; 16-byte Folded Reload
	scratch_load_dwordx4 v[4:7], off, off offset:1304 ; 16-byte Folded Reload
	;; [unrolled: 1-line block ×8, first 2 shown]
	scratch_load_dword v0, off, off offset:388 ; 4-byte Folded Reload
	s_waitcnt vmcnt(3)
	ds_write_b32 v254, v20
	s_waitcnt vmcnt(0)
	ds_write2_b32 v0, v203, v204 offset0:21 offset1:22
	ds_write2_b32 v0, v205, v206 offset0:23 offset1:24
	;; [unrolled: 1-line block ×4, first 2 shown]
	scratch_load_dwordx4 v[30:33], off, off offset:260 ; 16-byte Folded Reload
	scratch_load_dwordx4 v[34:37], off, off offset:276 ; 16-byte Folded Reload
	;; [unrolled: 1-line block ×8, first 2 shown]
	s_waitcnt vmcnt(0)
	ds_write_b32 v0, v59 offset:116
	ds_read_b32 v30, v254
	s_waitcnt lgkmcnt(0)
	v_cmp_neq_f32_e32 vcc, 0, v30
	s_and_b64 exec, exec, vcc
	s_cbranch_execz .LBB59_106
; %bb.105:
	v_div_scale_f32 v31, s[4:5], v30, v30, 1.0
	v_rcp_f32_e32 v32, v31
	v_div_scale_f32 v33, vcc, 1.0, v30, 1.0
	v_fma_f32 v34, -v31, v32, 1.0
	v_fmac_f32_e32 v32, v34, v32
	v_mul_f32_e32 v34, v33, v32
	v_fma_f32 v35, -v31, v34, v33
	v_fmac_f32_e32 v34, v35, v32
	v_fma_f32 v31, -v31, v34, v33
	v_div_fmas_f32 v31, v31, v32, v34
	v_div_fixup_f32 v30, v31, v30, 1.0
	ds_write_b32 v254, v30
.LBB59_106:
	s_or_b64 exec, exec, s[2:3]
	s_waitcnt lgkmcnt(0)
	s_barrier
	ds_read_b32 v111, v254
	v_cmp_lt_u32_e32 vcc, 20, v255
	s_and_saveexec_b64 s[2:3], vcc
	s_cbranch_execz .LBB59_108
; %bb.107:
	scratch_load_dwordx4 v[216:219], off, off offset:2824 ; 16-byte Folded Reload
	scratch_load_dwordx4 v[220:223], off, off offset:2840 ; 16-byte Folded Reload
	;; [unrolled: 1-line block ×16, first 2 shown]
	scratch_load_dword v10, off, off offset:388 ; 4-byte Folded Reload
	s_waitcnt vmcnt(8)
	v_mov_b32_e32 v3, v204
	v_mov_b32_e32 v2, v203
	s_waitcnt vmcnt(3) lgkmcnt(0)
	v_mul_f32_e32 v236, v20, v111
	s_waitcnt vmcnt(0)
	ds_read2_b32 v[0:1], v10 offset0:21 offset1:22
	ds_read2_b32 v[4:5], v10 offset0:23 offset1:24
	;; [unrolled: 1-line block ×4, first 2 shown]
	s_waitcnt lgkmcnt(3)
	v_pk_fma_f32 v[60:61], v[236:237], v[0:1], v[2:3] op_sel_hi:[0,1,1] neg_lo:[1,0,0] neg_hi:[1,0,0]
	v_mov_b32_e32 v1, v206
	v_mov_b32_e32 v0, v205
	s_waitcnt lgkmcnt(2)
	v_pk_fma_f32 v[62:63], v[236:237], v[4:5], v[0:1] op_sel_hi:[0,1,1] neg_lo:[1,0,0] neg_hi:[1,0,0]
	v_mov_b32_e32 v1, v208
	v_mov_b32_e32 v0, v207
	;; [unrolled: 4-line block ×3, first 2 shown]
	ds_read_b32 v2, v10 offset:116
	s_waitcnt lgkmcnt(1)
	v_pk_fma_f32 v[66:67], v[236:237], v[8:9], v[0:1] op_sel_hi:[0,1,1] neg_lo:[1,0,0] neg_hi:[1,0,0]
	scratch_load_dwordx4 v[4:7], off, off offset:260 ; 16-byte Folded Reload
	scratch_load_dwordx4 v[8:11], off, off offset:276 ; 16-byte Folded Reload
	;; [unrolled: 1-line block ×8, first 2 shown]
	v_mov_b32_e32 v0, v216
	v_mov_b32_e32 v1, v217
	v_mov_b32_e32 v3, v219
	s_waitcnt vmcnt(7)
	v_mov_b32_e32 v4, v220
	v_mov_b32_e32 v5, v221
	v_mov_b32_e32 v6, v222
	v_mov_b32_e32 v7, v223
	s_waitcnt vmcnt(6)
	v_mov_b32_e32 v8, v224
	v_mov_b32_e32 v9, v225
	v_mov_b32_e32 v10, v226
	v_mov_b32_e32 v11, v227
	s_waitcnt vmcnt(5)
	v_mov_b32_e32 v12, v228
	v_mov_b32_e32 v13, v229
	v_mov_b32_e32 v14, v230
	v_mov_b32_e32 v15, v231
	s_waitcnt vmcnt(4)
	v_mov_b32_e32 v16, v232
	v_mov_b32_e32 v17, v233
	v_mov_b32_e32 v18, v234
	v_mov_b32_e32 v19, v235
	s_waitcnt vmcnt(3)
	v_mov_b32_e32 v20, v236
	v_mov_b32_e32 v21, v60
	v_mov_b32_e32 v22, v61
	v_mov_b32_e32 v237, v60
	s_waitcnt vmcnt(0)
	v_mov_b32_e32 v32, v67
	v_mov_b32_e32 v138, v63
	v_mov_b32_e32 v139, v64
	;; [unrolled: 1-line block ×3, first 2 shown]
	s_waitcnt lgkmcnt(0)
	v_fma_f32 v33, -v236, v2, v33
	v_mov_b32_e32 v2, v218
	scratch_store_dwordx4 off, v[0:3], off offset:1416 ; 16-byte Folded Spill
	s_nop 0
	scratch_store_dwordx4 off, v[4:7], off offset:1432 ; 16-byte Folded Spill
	scratch_store_dwordx4 off, v[8:11], off offset:1448 ; 16-byte Folded Spill
	;; [unrolled: 1-line block ×7, first 2 shown]
	v_mov_b32_e32 v23, v62
	scratch_store_dwordx4 off, v[0:3], off offset:2440 ; 16-byte Folded Spill
	s_nop 0
	scratch_store_dwordx4 off, v[4:7], off offset:2456 ; 16-byte Folded Spill
	scratch_store_dwordx4 off, v[8:11], off offset:2472 ; 16-byte Folded Spill
	scratch_store_dwordx4 off, v[12:15], off offset:2488 ; 16-byte Folded Spill
	scratch_store_dwordx4 off, v[16:19], off offset:2504 ; 16-byte Folded Spill
	scratch_store_dwordx4 off, v[20:23], off offset:2520 ; 16-byte Folded Spill
	scratch_store_dwordx4 off, v[24:27], off offset:2536 ; 16-byte Folded Spill
	scratch_store_dwordx4 off, v[28:31], off offset:2552 ; 16-byte Folded Spill
	s_nop 0
	v_mov_b32_e32 v24, v63
	scratch_store_dwordx4 off, v[0:3], off offset:2312 ; 16-byte Folded Spill
	s_nop 0
	scratch_store_dwordx4 off, v[4:7], off offset:2328 ; 16-byte Folded Spill
	scratch_store_dwordx4 off, v[8:11], off offset:2344 ; 16-byte Folded Spill
	scratch_store_dwordx4 off, v[12:15], off offset:2360 ; 16-byte Folded Spill
	scratch_store_dwordx4 off, v[16:19], off offset:2376 ; 16-byte Folded Spill
	scratch_store_dwordx4 off, v[20:23], off offset:2392 ; 16-byte Folded Spill
	scratch_store_dwordx4 off, v[24:27], off offset:2408 ; 16-byte Folded Spill
	scratch_store_dwordx4 off, v[28:31], off offset:2424 ; 16-byte Folded Spill
	s_nop 0
	;; [unrolled: 11-line block ×4, first 2 shown]
	v_mov_b32_e32 v27, v66
	scratch_store_dwordx4 off, v[0:3], off offset:1800 ; 16-byte Folded Spill
	s_nop 0
	scratch_store_dwordx4 off, v[4:7], off offset:1816 ; 16-byte Folded Spill
	scratch_store_dwordx4 off, v[8:11], off offset:1832 ; 16-byte Folded Spill
	;; [unrolled: 1-line block ×7, first 2 shown]
	v_mov_b32_e32 v4, v216
	v_mov_b32_e32 v5, v217
	;; [unrolled: 1-line block ×28, first 2 shown]
	v_mov_b64_e32 v[212:213], v[34:35]
	scratch_store_dwordx4 off, v[216:219], off offset:2568 ; 16-byte Folded Spill
	s_nop 0
	scratch_store_dwordx4 off, v[220:223], off offset:2584 ; 16-byte Folded Spill
	scratch_store_dwordx4 off, v[224:227], off offset:2600 ; 16-byte Folded Spill
	;; [unrolled: 1-line block ×7, first 2 shown]
	v_mov_b64_e32 v[210:211], v[32:33]
	v_mov_b64_e32 v[208:209], v[30:31]
	;; [unrolled: 1-line block ×15, first 2 shown]
	scratch_store_dwordx4 off, v[4:7], off offset:260 ; 16-byte Folded Spill
	s_nop 0
	scratch_store_dwordx4 off, v[8:11], off offset:276 ; 16-byte Folded Spill
	scratch_store_dwordx4 off, v[12:15], off offset:292 ; 16-byte Folded Spill
	scratch_store_dwordx4 off, v[16:19], off offset:308 ; 16-byte Folded Spill
	scratch_store_dwordx4 off, v[20:23], off offset:324 ; 16-byte Folded Spill
	scratch_store_dwordx4 off, v[24:27], off offset:340 ; 16-byte Folded Spill
	scratch_store_dwordx4 off, v[28:31], off offset:356 ; 16-byte Folded Spill
	scratch_store_dwordx4 off, v[32:35], off offset:372 ; 16-byte Folded Spill
	v_mov_b32_e32 v21, v60
	scratch_store_dwordx4 off, v[0:3], off offset:1032 ; 16-byte Folded Spill
	s_nop 0
	scratch_store_dwordx4 off, v[4:7], off offset:1048 ; 16-byte Folded Spill
	scratch_store_dwordx4 off, v[8:11], off offset:1064 ; 16-byte Folded Spill
	scratch_store_dwordx4 off, v[12:15], off offset:1080 ; 16-byte Folded Spill
	scratch_store_dwordx4 off, v[16:19], off offset:1096 ; 16-byte Folded Spill
	scratch_store_dwordx4 off, v[20:23], off offset:1112 ; 16-byte Folded Spill
	scratch_store_dwordx4 off, v[24:27], off offset:1128 ; 16-byte Folded Spill
	scratch_store_dwordx4 off, v[28:31], off offset:1144 ; 16-byte Folded Spill
	v_mov_b32_e32 v22, v61
	;; [unrolled: 10-line block ×3, first 2 shown]
	scratch_store_dwordx4 off, v[0:3], off offset:520 ; 16-byte Folded Spill
	s_nop 0
	scratch_store_dwordx4 off, v[4:7], off offset:536 ; 16-byte Folded Spill
	scratch_store_dwordx4 off, v[8:11], off offset:552 ; 16-byte Folded Spill
	;; [unrolled: 1-line block ×7, first 2 shown]
.LBB59_108:
	s_or_b64 exec, exec, s[2:3]
	v_cmp_eq_u32_e32 vcc, 21, v255
	s_waitcnt lgkmcnt(0)
	s_barrier
	s_and_saveexec_b64 s[2:3], vcc
	s_cbranch_execz .LBB59_111
; %bb.109:
	scratch_load_dwordx4 v[0:3], off, off offset:1032 ; 16-byte Folded Reload
	scratch_load_dwordx4 v[4:7], off, off offset:1048 ; 16-byte Folded Reload
	;; [unrolled: 1-line block ×8, first 2 shown]
	scratch_load_dword v0, off, off offset:388 ; 4-byte Folded Reload
	s_waitcnt vmcnt(3)
	ds_write_b32 v254, v21
	s_waitcnt vmcnt(0)
	ds_write2_b64 v0, v[204:205], v[206:207] offset0:11 offset1:12
	ds_write2_b64 v0, v[208:209], v[210:211] offset0:13 offset1:14
	ds_read_b32 v30, v254
	s_waitcnt lgkmcnt(0)
	v_cmp_neq_f32_e32 vcc, 0, v30
	s_and_b64 exec, exec, vcc
	s_cbranch_execz .LBB59_111
; %bb.110:
	v_div_scale_f32 v31, s[4:5], v30, v30, 1.0
	v_rcp_f32_e32 v32, v31
	v_div_scale_f32 v33, vcc, 1.0, v30, 1.0
	v_fma_f32 v34, -v31, v32, 1.0
	v_fmac_f32_e32 v32, v34, v32
	v_mul_f32_e32 v34, v33, v32
	v_fma_f32 v35, -v31, v34, v33
	v_fmac_f32_e32 v34, v35, v32
	v_fma_f32 v31, -v31, v34, v33
	v_div_fmas_f32 v31, v31, v32, v34
	v_div_fixup_f32 v30, v31, v30, 1.0
	ds_write_b32 v254, v30
.LBB59_111:
	s_or_b64 exec, exec, s[2:3]
	s_waitcnt lgkmcnt(0)
	s_barrier
	ds_read_b32 v112, v254
	v_cmp_lt_u32_e32 vcc, 21, v255
	s_mov_b64 s[2:3], exec
	v_mov_b64_e32 v[60:61], v[216:217]
	v_mov_b32_e32 v76, v232
	s_and_b64 s[4:5], s[2:3], vcc
	v_mov_b64_e32 v[62:63], v[218:219]
	v_mov_b64_e32 v[64:65], v[220:221]
	;; [unrolled: 1-line block ×7, first 2 shown]
	v_mov_b32_e32 v77, v233
	v_mov_b32_e32 v78, v234
	;; [unrolled: 1-line block ×4, first 2 shown]
	s_mov_b64 exec, s[4:5]
	s_cbranch_execz .LBB59_113
; %bb.112:
	scratch_load_dword v36, off, off offset:388 ; 4-byte Folded Reload
	v_mov_b32_e32 v37, v63
	v_mov_b32_e32 v38, v64
	;; [unrolled: 1-line block ×76, first 2 shown]
	s_waitcnt vmcnt(0)
	ds_read2_b64 v[0:3], v36 offset0:11 offset1:12
	scratch_load_dwordx4 v[4:7], off, off offset:1032 ; 16-byte Folded Reload
	scratch_load_dwordx4 v[8:11], off, off offset:1048 ; 16-byte Folded Reload
	;; [unrolled: 1-line block ×8, first 2 shown]
	s_waitcnt vmcnt(6)
	v_mov_b32_e32 v10, v204
	v_mov_b32_e32 v11, v205
	ds_read2_b64 v[4:7], v36 offset0:13 offset1:14
	s_waitcnt vmcnt(0)
	v_mov_b32_e32 v34, v60
	v_mov_b32_e32 v35, v61
	;; [unrolled: 1-line block ×18, first 2 shown]
	s_waitcnt lgkmcnt(2)
	v_mul_f32_e32 v8, v25, v112
	s_waitcnt lgkmcnt(1)
	v_pk_fma_f32 v[140:141], v[8:9], v[0:1], v[10:11] op_sel_hi:[0,1,1] neg_lo:[1,0,0] neg_hi:[1,0,0]
	v_mov_b32_e32 v55, v8
	v_mov_b32_e32 v56, v140
	;; [unrolled: 1-line block ×3, first 2 shown]
	scratch_store_dwordx4 off, v[34:37], off offset:2440 ; 16-byte Folded Spill
	s_nop 0
	scratch_store_dwordx4 off, v[38:41], off offset:2456 ; 16-byte Folded Spill
	scratch_store_dwordx4 off, v[42:45], off offset:2472 ; 16-byte Folded Spill
	;; [unrolled: 1-line block ×7, first 2 shown]
	v_mov_b32_e32 v0, v206
	v_mov_b32_e32 v1, v207
	v_pk_fma_f32 v[178:179], v[8:9], v[2:3], v[0:1] op_sel_hi:[0,1,1] neg_lo:[1,0,0] neg_hi:[1,0,0]
	v_mov_b32_e32 v58, v178
	v_mov_b32_e32 v59, v179
	;; [unrolled: 1-line block ×4, first 2 shown]
	s_waitcnt lgkmcnt(0)
	v_pk_fma_f32 v[222:223], v[8:9], v[4:5], v[0:1] op_sel_hi:[0,1,1] neg_lo:[1,0,0] neg_hi:[1,0,0]
	v_mov_b32_e32 v103, v8
	v_mov_b32_e32 v104, v140
	;; [unrolled: 1-line block ×9, first 2 shown]
	v_pk_fma_f32 v[32:33], v[8:9], v[6:7], v[0:1] op_sel_hi:[0,1,1] neg_lo:[1,0,0] neg_hi:[1,0,0]
	v_mov_b32_e32 v81, v8
	v_mov_b32_e32 v139, v8
	;; [unrolled: 1-line block ×31, first 2 shown]
	scratch_store_dwordx4 off, v[34:37], off offset:2184 ; 16-byte Folded Spill
	s_nop 0
	scratch_store_dwordx4 off, v[38:41], off offset:2200 ; 16-byte Folded Spill
	scratch_store_dwordx4 off, v[42:45], off offset:2216 ; 16-byte Folded Spill
	;; [unrolled: 1-line block ×7, first 2 shown]
	v_mov_b32_e32 v82, v60
	v_mov_b32_e32 v83, v61
	;; [unrolled: 1-line block ×6, first 2 shown]
	scratch_store_dwordx4 off, v[82:85], off offset:1800 ; 16-byte Folded Spill
	s_nop 0
	scratch_store_dwordx4 off, v[86:89], off offset:1816 ; 16-byte Folded Spill
	scratch_store_dwordx4 off, v[90:93], off offset:1832 ; 16-byte Folded Spill
	;; [unrolled: 1-line block ×7, first 2 shown]
	v_mov_b32_e32 v4, v60
	v_mov_b32_e32 v5, v61
	;; [unrolled: 1-line block ×6, first 2 shown]
	v_mov_b64_e32 v[0:1], v[4:5]
	v_mov_b64_e32 v[2:3], v[6:7]
	;; [unrolled: 1-line block ×16, first 2 shown]
	v_mov_b32_e32 v30, v222
	v_mov_b32_e32 v196, v60
	;; [unrolled: 1-line block ×7, first 2 shown]
	scratch_store_dwordx4 off, v[60:63], off offset:2568 ; 16-byte Folded Spill
	s_nop 0
	scratch_store_dwordx4 off, v[64:67], off offset:2584 ; 16-byte Folded Spill
	scratch_store_dwordx4 off, v[68:71], off offset:2600 ; 16-byte Folded Spill
	;; [unrolled: 1-line block ×8, first 2 shown]
	s_nop 0
	scratch_store_dwordx4 off, v[8:11], off offset:276 ; 16-byte Folded Spill
	scratch_store_dwordx4 off, v[12:15], off offset:292 ; 16-byte Folded Spill
	;; [unrolled: 1-line block ×7, first 2 shown]
	s_nop 0
	v_mov_b32_e32 v30, v140
	scratch_store_dwordx4 off, v[8:11], off offset:904 ; 16-byte Folded Spill
	s_nop 0
	scratch_store_dwordx4 off, v[12:15], off offset:920 ; 16-byte Folded Spill
	scratch_store_dwordx4 off, v[16:19], off offset:936 ; 16-byte Folded Spill
	scratch_store_dwordx4 off, v[20:23], off offset:952 ; 16-byte Folded Spill
	scratch_store_dwordx4 off, v[24:27], off offset:968 ; 16-byte Folded Spill
	scratch_store_dwordx4 off, v[28:31], off offset:984 ; 16-byte Folded Spill
	scratch_store_dwordx4 off, v[32:35], off offset:1000 ; 16-byte Folded Spill
	scratch_store_dwordx4 off, v[36:39], off offset:1016 ; 16-byte Folded Spill
	scratch_store_dwordx4 off, v[118:121], off offset:1416 ; 16-byte Folded Spill
	s_nop 0
	scratch_store_dwordx4 off, v[122:125], off offset:1432 ; 16-byte Folded Spill
	scratch_store_dwordx4 off, v[126:129], off offset:1448 ; 16-byte Folded Spill
	scratch_store_dwordx4 off, v[130:133], off offset:1464 ; 16-byte Folded Spill
	scratch_store_dwordx4 off, v[134:137], off offset:1480 ; 16-byte Folded Spill
	scratch_store_dwordx4 off, v[138:141], off offset:1496 ; 16-byte Folded Spill
	scratch_store_dwordx4 off, v[142:145], off offset:1512 ; 16-byte Folded Spill
	scratch_store_dwordx4 off, v[146:149], off offset:1528 ; 16-byte Folded Spill
	;; [unrolled: 9-line block ×3, first 2 shown]
	v_mov_b32_e32 v138, v178
	scratch_store_dwordx4 off, v[154:157], off offset:2312 ; 16-byte Folded Spill
	s_nop 0
	scratch_store_dwordx4 off, v[158:161], off offset:2328 ; 16-byte Folded Spill
	scratch_store_dwordx4 off, v[162:165], off offset:2344 ; 16-byte Folded Spill
	;; [unrolled: 1-line block ×8, first 2 shown]
	s_nop 0
	scratch_store_dwordx4 off, v[200:203], off offset:1944 ; 16-byte Folded Spill
	scratch_store_dwordx4 off, v[204:207], off offset:1960 ; 16-byte Folded Spill
	;; [unrolled: 1-line block ×7, first 2 shown]
	v_mov_b64_e32 v[196:197], v[14:15]
	v_mov_b64_e32 v[208:209], v[26:27]
	;; [unrolled: 1-line block ×15, first 2 shown]
	v_mov_b32_e32 v139, v179
	v_mov_b32_e32 v87, v223
.LBB59_113:
	s_or_b64 exec, exec, s[2:3]
	v_cmp_eq_u32_e32 vcc, 22, v255
	s_waitcnt lgkmcnt(0)
	s_barrier
	s_and_saveexec_b64 s[2:3], vcc
	s_cbranch_execz .LBB59_116
; %bb.114:
	scratch_load_dwordx4 v[0:3], off, off offset:904 ; 16-byte Folded Reload
	scratch_load_dwordx4 v[4:7], off, off offset:920 ; 16-byte Folded Reload
	;; [unrolled: 1-line block ×8, first 2 shown]
	scratch_load_dword v0, off, off offset:388 ; 4-byte Folded Reload
	s_waitcnt vmcnt(3)
	ds_write_b32 v254, v22
	s_waitcnt vmcnt(0)
	ds_write2_b32 v0, v205, v206 offset0:23 offset1:24
	ds_write2_b32 v0, v207, v208 offset0:25 offset1:26
	;; [unrolled: 1-line block ×3, first 2 shown]
	scratch_load_dwordx4 v[30:33], off, off offset:260 ; 16-byte Folded Reload
	scratch_load_dwordx4 v[34:37], off, off offset:276 ; 16-byte Folded Reload
	;; [unrolled: 1-line block ×8, first 2 shown]
	s_waitcnt vmcnt(0)
	ds_write_b32 v0, v59 offset:116
	ds_read_b32 v30, v254
	s_waitcnt lgkmcnt(0)
	v_cmp_neq_f32_e32 vcc, 0, v30
	s_and_b64 exec, exec, vcc
	s_cbranch_execz .LBB59_116
; %bb.115:
	v_div_scale_f32 v31, s[4:5], v30, v30, 1.0
	v_rcp_f32_e32 v32, v31
	v_div_scale_f32 v33, vcc, 1.0, v30, 1.0
	v_fma_f32 v34, -v31, v32, 1.0
	v_fmac_f32_e32 v32, v34, v32
	v_mul_f32_e32 v34, v33, v32
	v_fma_f32 v35, -v31, v34, v33
	v_fmac_f32_e32 v34, v35, v32
	v_fma_f32 v31, -v31, v34, v33
	v_div_fmas_f32 v31, v31, v32, v34
	v_div_fixup_f32 v30, v31, v30, 1.0
	ds_write_b32 v254, v30
.LBB59_116:
	s_or_b64 exec, exec, s[2:3]
	s_waitcnt lgkmcnt(0)
	s_barrier
	ds_read_b32 v98, v254
	v_cmp_lt_u32_e32 vcc, 22, v255
	s_and_saveexec_b64 s[2:3], vcc
	s_cbranch_execz .LBB59_118
; %bb.117:
	scratch_load_dwordx4 v[216:219], off, off offset:2568 ; 16-byte Folded Reload
	scratch_load_dwordx4 v[220:223], off, off offset:2584 ; 16-byte Folded Reload
	;; [unrolled: 1-line block ×16, first 2 shown]
	scratch_load_dword v8, off, off offset:388 ; 4-byte Folded Reload
	s_waitcnt vmcnt(8)
	v_mov_b32_e32 v3, v206
	v_mov_b32_e32 v2, v205
	s_waitcnt vmcnt(6)
	v_mov_b32_e32 v9, v225
	s_waitcnt vmcnt(3) lgkmcnt(0)
	v_mul_f32_e32 v238, v22, v98
	s_waitcnt vmcnt(0)
	ds_read2_b32 v[0:1], v8 offset0:23 offset1:24
	ds_read2_b32 v[4:5], v8 offset0:25 offset1:26
	;; [unrolled: 1-line block ×3, first 2 shown]
	ds_read_b32 v8, v8 offset:116
	scratch_load_dwordx4 v[10:13], off, off offset:260 ; 16-byte Folded Reload
	scratch_load_dwordx4 v[14:17], off, off offset:276 ; 16-byte Folded Reload
	;; [unrolled: 1-line block ×8, first 2 shown]
	s_waitcnt vmcnt(7)
	v_mov_b32_e32 v10, v226
	v_mov_b32_e32 v11, v227
	s_waitcnt lgkmcnt(3)
	v_pk_fma_f32 v[118:119], v[238:239], v[0:1], v[2:3] op_sel_hi:[0,1,1] neg_lo:[1,0,0] neg_hi:[1,0,0]
	v_mov_b32_e32 v1, v208
	v_mov_b32_e32 v0, v207
	s_waitcnt lgkmcnt(2)
	v_pk_fma_f32 v[120:121], v[238:239], v[4:5], v[0:1] op_sel_hi:[0,1,1] neg_lo:[1,0,0] neg_hi:[1,0,0]
	;; [unrolled: 4-line block ×3, first 2 shown]
	v_mov_b32_e32 v0, v216
	v_mov_b32_e32 v1, v217
	;; [unrolled: 1-line block ×10, first 2 shown]
	s_waitcnt vmcnt(6)
	v_mov_b32_e32 v14, v230
	v_mov_b32_e32 v15, v231
	v_mov_b32_e32 v16, v232
	v_mov_b32_e32 v17, v233
	s_waitcnt vmcnt(5)
	v_mov_b32_e32 v18, v234
	v_mov_b32_e32 v19, v235
	v_mov_b32_e32 v20, v236
	v_mov_b32_e32 v21, v237
	;; [unrolled: 5-line block ×4, first 2 shown]
	s_waitcnt vmcnt(0)
	v_mov_b32_e32 v33, v39
	s_waitcnt lgkmcnt(0)
	v_fma_f32 v33, -v238, v8, v33
	v_mov_b32_e32 v8, v224
	scratch_store_dwordx4 off, v[0:3], off offset:2312 ; 16-byte Folded Spill
	s_nop 0
	scratch_store_dwordx4 off, v[4:7], off offset:2328 ; 16-byte Folded Spill
	scratch_store_dwordx4 off, v[8:11], off offset:2344 ; 16-byte Folded Spill
	scratch_store_dwordx4 off, v[12:15], off offset:2360 ; 16-byte Folded Spill
	scratch_store_dwordx4 off, v[16:19], off offset:2376 ; 16-byte Folded Spill
	scratch_store_dwordx4 off, v[20:23], off offset:2392 ; 16-byte Folded Spill
	scratch_store_dwordx4 off, v[24:27], off offset:2408 ; 16-byte Folded Spill
	scratch_store_dwordx4 off, v[28:31], off offset:2424 ; 16-byte Folded Spill
	s_nop 0
	v_mov_b32_e32 v25, v120
	scratch_store_dwordx4 off, v[0:3], off offset:2184 ; 16-byte Folded Spill
	s_nop 0
	scratch_store_dwordx4 off, v[4:7], off offset:2200 ; 16-byte Folded Spill
	scratch_store_dwordx4 off, v[8:11], off offset:2216 ; 16-byte Folded Spill
	scratch_store_dwordx4 off, v[12:15], off offset:2232 ; 16-byte Folded Spill
	scratch_store_dwordx4 off, v[16:19], off offset:2248 ; 16-byte Folded Spill
	scratch_store_dwordx4 off, v[20:23], off offset:2264 ; 16-byte Folded Spill
	scratch_store_dwordx4 off, v[24:27], off offset:2280 ; 16-byte Folded Spill
	scratch_store_dwordx4 off, v[28:31], off offset:2296 ; 16-byte Folded Spill
	s_nop 0
	;; [unrolled: 11-line block ×3, first 2 shown]
	v_mov_b32_e32 v27, v122
	scratch_store_dwordx4 off, v[0:3], off offset:1800 ; 16-byte Folded Spill
	s_nop 0
	scratch_store_dwordx4 off, v[4:7], off offset:1816 ; 16-byte Folded Spill
	scratch_store_dwordx4 off, v[8:11], off offset:1832 ; 16-byte Folded Spill
	scratch_store_dwordx4 off, v[12:15], off offset:1848 ; 16-byte Folded Spill
	scratch_store_dwordx4 off, v[16:19], off offset:1864 ; 16-byte Folded Spill
	scratch_store_dwordx4 off, v[20:23], off offset:1880 ; 16-byte Folded Spill
	scratch_store_dwordx4 off, v[24:27], off offset:1896 ; 16-byte Folded Spill
	scratch_store_dwordx4 off, v[28:31], off offset:1912 ; 16-byte Folded Spill
	v_mov_b32_e32 v4, v216
	v_mov_b32_e32 v5, v217
	;; [unrolled: 1-line block ×28, first 2 shown]
	v_mov_b64_e32 v[212:213], v[34:35]
	scratch_store_dwordx4 off, v[216:219], off offset:2440 ; 16-byte Folded Spill
	s_nop 0
	scratch_store_dwordx4 off, v[220:223], off offset:2456 ; 16-byte Folded Spill
	scratch_store_dwordx4 off, v[224:227], off offset:2472 ; 16-byte Folded Spill
	;; [unrolled: 1-line block ×8, first 2 shown]
	s_nop 0
	scratch_store_dwordx4 off, v[220:223], off offset:1432 ; 16-byte Folded Spill
	scratch_store_dwordx4 off, v[224:227], off offset:1448 ; 16-byte Folded Spill
	;; [unrolled: 1-line block ×7, first 2 shown]
	v_mov_b64_e32 v[210:211], v[32:33]
	v_mov_b64_e32 v[208:209], v[30:31]
	;; [unrolled: 1-line block ×15, first 2 shown]
	scratch_store_dwordx4 off, v[4:7], off offset:260 ; 16-byte Folded Spill
	s_nop 0
	scratch_store_dwordx4 off, v[8:11], off offset:276 ; 16-byte Folded Spill
	scratch_store_dwordx4 off, v[12:15], off offset:292 ; 16-byte Folded Spill
	;; [unrolled: 1-line block ×7, first 2 shown]
	v_mov_b32_e32 v23, v118
	scratch_store_dwordx4 off, v[0:3], off offset:520 ; 16-byte Folded Spill
	s_nop 0
	scratch_store_dwordx4 off, v[4:7], off offset:536 ; 16-byte Folded Spill
	scratch_store_dwordx4 off, v[8:11], off offset:552 ; 16-byte Folded Spill
	;; [unrolled: 1-line block ×7, first 2 shown]
.LBB59_118:
	s_or_b64 exec, exec, s[2:3]
	v_cmp_eq_u32_e32 vcc, 23, v255
	s_waitcnt lgkmcnt(0)
	s_barrier
	s_and_saveexec_b64 s[2:3], vcc
	s_cbranch_execz .LBB59_121
; %bb.119:
	scratch_load_dwordx4 v[0:3], off, off offset:520 ; 16-byte Folded Reload
	scratch_load_dwordx4 v[4:7], off, off offset:536 ; 16-byte Folded Reload
	;; [unrolled: 1-line block ×8, first 2 shown]
	scratch_load_dword v0, off, off offset:388 ; 4-byte Folded Reload
	s_waitcnt vmcnt(3)
	ds_write_b32 v254, v23
	s_waitcnt vmcnt(0)
	ds_write2_b64 v0, v[206:207], v[208:209] offset0:12 offset1:13
	ds_write_b64 v0, v[210:211] offset:112
	ds_read_b32 v30, v254
	s_waitcnt lgkmcnt(0)
	v_cmp_neq_f32_e32 vcc, 0, v30
	s_and_b64 exec, exec, vcc
	s_cbranch_execz .LBB59_121
; %bb.120:
	v_div_scale_f32 v31, s[4:5], v30, v30, 1.0
	v_rcp_f32_e32 v32, v31
	v_div_scale_f32 v33, vcc, 1.0, v30, 1.0
	v_fma_f32 v34, -v31, v32, 1.0
	v_fmac_f32_e32 v32, v34, v32
	v_mul_f32_e32 v34, v33, v32
	v_fma_f32 v35, -v31, v34, v33
	v_fmac_f32_e32 v34, v35, v32
	v_fma_f32 v31, -v31, v34, v33
	v_div_fmas_f32 v31, v31, v32, v34
	v_div_fixup_f32 v30, v31, v30, 1.0
	ds_write_b32 v254, v30
.LBB59_121:
	s_or_b64 exec, exec, s[2:3]
	s_waitcnt lgkmcnt(0)
	s_barrier
	ds_read_b32 v244, v254
	v_cmp_lt_u32_e32 vcc, 23, v255
	s_and_saveexec_b64 s[2:3], vcc
	s_cbranch_execz .LBB59_123
; %bb.122:
	scratch_load_dword v36, off, off offset:388 ; 4-byte Folded Reload
	s_waitcnt vmcnt(0)
	ds_read2_b64 v[0:3], v36 offset0:12 offset1:13
	scratch_load_dwordx4 v[4:7], off, off offset:520 ; 16-byte Folded Reload
	scratch_load_dwordx4 v[8:11], off, off offset:536 ; 16-byte Folded Reload
	scratch_load_dwordx4 v[12:15], off, off offset:552 ; 16-byte Folded Reload
	scratch_load_dwordx4 v[16:19], off, off offset:568 ; 16-byte Folded Reload
	scratch_load_dwordx4 v[20:23], off, off offset:584 ; 16-byte Folded Reload
	scratch_load_dwordx4 v[24:27], off, off offset:600 ; 16-byte Folded Reload
	scratch_load_dwordx4 v[28:31], off, off offset:616 ; 16-byte Folded Reload
	scratch_load_dwordx4 v[32:35], off, off offset:632 ; 16-byte Folded Reload
	s_waitcnt vmcnt(6)
	ds_read_b64 v[8:9], v36 offset:112
	v_mov_b32_e32 v6, v206
	v_mov_b32_e32 v7, v207
	s_waitcnt vmcnt(2) lgkmcnt(2)
	v_mul_f32_e32 v4, v27, v244
	s_waitcnt lgkmcnt(1)
	v_pk_fma_f32 v[92:93], v[4:5], v[0:1], v[6:7] op_sel_hi:[0,1,1] neg_lo:[1,0,0] neg_hi:[1,0,0]
	v_mov_b32_e32 v0, v208
	v_mov_b32_e32 v1, v209
	v_pk_fma_f32 v[66:67], v[4:5], v[2:3], v[0:1] op_sel_hi:[0,1,1] neg_lo:[1,0,0] neg_hi:[1,0,0]
	v_mov_b32_e32 v0, v210
	v_mov_b32_e32 v1, v211
	s_waitcnt lgkmcnt(0)
	v_pk_fma_f32 v[38:39], v[4:5], v[8:9], v[0:1] op_sel_hi:[0,1,1] neg_lo:[1,0,0] neg_hi:[1,0,0]
	scratch_load_dwordx4 v[6:9], off, off offset:1416 ; 16-byte Folded Reload
	scratch_load_dwordx4 v[10:13], off, off offset:1432 ; 16-byte Folded Reload
	;; [unrolled: 1-line block ×8, first 2 shown]
	s_waitcnt vmcnt(2)
	v_mov_b32_e32 v29, v4
	s_waitcnt vmcnt(1)
	v_mov_b32_e32 v30, v92
	v_mov_b32_e32 v31, v93
	;; [unrolled: 1-line block ×7, first 2 shown]
	v_mov_b64_e32 v[132:133], v[20:21]
	v_mov_b64_e32 v[130:131], v[18:19]
	v_mov_b32_e32 v140, v28
	v_mov_b64_e32 v[128:129], v[16:17]
	v_mov_b64_e32 v[126:127], v[14:15]
	;; [unrolled: 1-line block ×6, first 2 shown]
	v_mov_b32_e32 v139, v27
	v_mov_b32_e32 v138, v26
	;; [unrolled: 1-line block ×6, first 2 shown]
	scratch_store_dwordx4 off, v[6:9], off offset:2184 ; 16-byte Folded Spill
	s_nop 0
	scratch_store_dwordx4 off, v[10:13], off offset:2200 ; 16-byte Folded Spill
	scratch_store_dwordx4 off, v[14:17], off offset:2216 ; 16-byte Folded Spill
	;; [unrolled: 1-line block ×6, first 2 shown]
	s_waitcnt vmcnt(7)
	scratch_store_dwordx4 off, v[34:37], off offset:2296 ; 16-byte Folded Spill
	v_mov_b32_e32 v40, v118
	v_mov_b32_e32 v32, v66
	;; [unrolled: 1-line block ×48, first 2 shown]
	scratch_store_dwordx4 off, v[6:9], off offset:1800 ; 16-byte Folded Spill
	s_nop 0
	scratch_store_dwordx4 off, v[10:13], off offset:1816 ; 16-byte Folded Spill
	scratch_store_dwordx4 off, v[14:17], off offset:1832 ; 16-byte Folded Spill
	;; [unrolled: 1-line block ×7, first 2 shown]
	v_mov_b32_e32 v10, v118
	v_mov_b32_e32 v11, v119
	;; [unrolled: 1-line block ×28, first 2 shown]
	v_mov_b64_e32 v[212:213], v[40:41]
	v_mov_b64_e32 v[210:211], v[38:39]
	;; [unrolled: 1-line block ×16, first 2 shown]
	scratch_store_dwordx4 off, v[118:121], off offset:2440 ; 16-byte Folded Spill
	s_nop 0
	scratch_store_dwordx4 off, v[122:125], off offset:2456 ; 16-byte Folded Spill
	scratch_store_dwordx4 off, v[126:129], off offset:2472 ; 16-byte Folded Spill
	;; [unrolled: 1-line block ×8, first 2 shown]
	s_nop 0
	scratch_store_dwordx4 off, v[14:17], off offset:276 ; 16-byte Folded Spill
	scratch_store_dwordx4 off, v[18:21], off offset:292 ; 16-byte Folded Spill
	;; [unrolled: 1-line block ×7, first 2 shown]
	v_mov_b32_e32 v138, v92
	scratch_store_dwordx4 off, v[68:71], off offset:2312 ; 16-byte Folded Spill
	s_nop 0
	scratch_store_dwordx4 off, v[72:75], off offset:2328 ; 16-byte Folded Spill
	scratch_store_dwordx4 off, v[76:79], off offset:2344 ; 16-byte Folded Spill
	;; [unrolled: 1-line block ×8, first 2 shown]
	s_nop 0
	scratch_store_dwordx4 off, v[44:47], off offset:1944 ; 16-byte Folded Spill
	scratch_store_dwordx4 off, v[48:51], off offset:1960 ; 16-byte Folded Spill
	;; [unrolled: 1-line block ×7, first 2 shown]
	v_mov_b32_e32 v139, v93
	v_mov_b32_e32 v87, v67
.LBB59_123:
	s_or_b64 exec, exec, s[2:3]
	v_cmp_eq_u32_e32 vcc, 24, v255
	s_waitcnt lgkmcnt(0)
	s_barrier
	s_and_saveexec_b64 s[2:3], vcc
	s_cbranch_execz .LBB59_126
; %bb.124:
	scratch_load_dword v0, off, off offset:388 ; 4-byte Folded Reload
	ds_write_b32 v254, v138
	s_waitcnt vmcnt(0)
	ds_write2_b32 v0, v207, v208 offset0:25 offset1:26
	ds_write2_b32 v0, v209, v210 offset0:27 offset1:28
	scratch_load_dwordx4 v[30:33], off, off offset:260 ; 16-byte Folded Reload
	scratch_load_dwordx4 v[34:37], off, off offset:276 ; 16-byte Folded Reload
	;; [unrolled: 1-line block ×8, first 2 shown]
	s_waitcnt vmcnt(0)
	ds_write_b32 v0, v59 offset:116
	ds_read_b32 v30, v254
	s_waitcnt lgkmcnt(0)
	v_cmp_neq_f32_e32 vcc, 0, v30
	s_and_b64 exec, exec, vcc
	s_cbranch_execz .LBB59_126
; %bb.125:
	v_div_scale_f32 v31, s[4:5], v30, v30, 1.0
	v_rcp_f32_e32 v32, v31
	v_div_scale_f32 v33, vcc, 1.0, v30, 1.0
	v_fma_f32 v34, -v31, v32, 1.0
	v_fmac_f32_e32 v32, v34, v32
	v_mul_f32_e32 v34, v33, v32
	v_fma_f32 v35, -v31, v34, v33
	v_fmac_f32_e32 v34, v35, v32
	v_fma_f32 v31, -v31, v34, v33
	v_div_fmas_f32 v31, v31, v32, v34
	v_div_fixup_f32 v30, v31, v30, 1.0
	ds_write_b32 v254, v30
.LBB59_126:
	s_or_b64 exec, exec, s[2:3]
	s_waitcnt lgkmcnt(0)
	s_barrier
	ds_read_b32 v64, v254
	v_cmp_lt_u32_e32 vcc, 24, v255
	s_and_saveexec_b64 s[2:3], vcc
	s_cbranch_execz .LBB59_128
; %bb.127:
	s_waitcnt vmcnt(1)
	v_mov_b32_e32 v25, v207
	v_mov_b32_e32 v26, v208
	;; [unrolled: 1-line block ×4, first 2 shown]
	scratch_load_dwordx4 v[184:187], off, off offset:2440 ; 16-byte Folded Reload
	scratch_load_dwordx4 v[188:191], off, off offset:2456 ; 16-byte Folded Reload
	scratch_load_dwordx4 v[192:195], off, off offset:2472 ; 16-byte Folded Reload
	scratch_load_dwordx4 v[196:199], off, off offset:2488 ; 16-byte Folded Reload
	scratch_load_dwordx4 v[200:203], off, off offset:2504 ; 16-byte Folded Reload
	scratch_load_dwordx4 v[204:207], off, off offset:2520 ; 16-byte Folded Reload
	scratch_load_dwordx4 v[208:211], off, off offset:2536 ; 16-byte Folded Reload
	scratch_load_dwordx4 v[212:215], off, off offset:2552 ; 16-byte Folded Reload
	scratch_load_dword v6, off, off offset:388 ; 4-byte Folded Reload
	s_waitcnt vmcnt(2) lgkmcnt(0)
	v_mul_f32_e32 v208, v138, v64
	v_mov_b32_e32 v3, v26
	v_mov_b32_e32 v2, v25
	;; [unrolled: 1-line block ×3, first 2 shown]
	s_waitcnt vmcnt(0)
	ds_read2_b32 v[0:1], v6 offset0:25 offset1:26
	ds_read2_b32 v[4:5], v6 offset0:27 offset1:28
	ds_read_b32 v6, v6 offset:116
	s_waitcnt lgkmcnt(2)
	v_pk_fma_f32 v[60:61], v[208:209], v[0:1], v[2:3] op_sel_hi:[0,1,1] neg_lo:[1,0,0] neg_hi:[1,0,0]
	v_mov_b32_e32 v1, v28
	v_mov_b32_e32 v0, v27
	scratch_load_dwordx4 v[8:11], off, off offset:260 ; 16-byte Folded Reload
	scratch_load_dwordx4 v[12:15], off, off offset:276 ; 16-byte Folded Reload
	;; [unrolled: 1-line block ×8, first 2 shown]
	s_waitcnt lgkmcnt(1)
	v_pk_fma_f32 v[62:63], v[208:209], v[4:5], v[0:1] op_sel_hi:[0,1,1] neg_lo:[1,0,0] neg_hi:[1,0,0]
	v_mov_b32_e32 v0, v184
	v_mov_b32_e32 v1, v185
	;; [unrolled: 1-line block ×6, first 2 shown]
	s_waitcnt vmcnt(7)
	v_mov_b32_e32 v8, v192
	v_mov_b32_e32 v9, v193
	v_mov_b32_e32 v10, v194
	v_mov_b32_e32 v11, v195
	s_waitcnt vmcnt(6)
	v_mov_b32_e32 v12, v196
	v_mov_b32_e32 v13, v197
	v_mov_b32_e32 v14, v198
	v_mov_b32_e32 v15, v199
	;; [unrolled: 5-line block ×5, first 2 shown]
	s_waitcnt vmcnt(1)
	v_mov_b32_e32 v32, v63
	v_mov_b32_e32 v139, v60
	;; [unrolled: 1-line block ×3, first 2 shown]
	s_waitcnt vmcnt(0)
	v_mov_b32_e32 v33, v37
	s_waitcnt lgkmcnt(0)
	v_fma_f32 v33, -v208, v6, v33
	v_mov_b32_e32 v6, v190
	scratch_store_dwordx4 off, v[0:3], off offset:1928 ; 16-byte Folded Spill
	s_nop 0
	scratch_store_dwordx4 off, v[4:7], off offset:1944 ; 16-byte Folded Spill
	scratch_store_dwordx4 off, v[8:11], off offset:1960 ; 16-byte Folded Spill
	;; [unrolled: 1-line block ×7, first 2 shown]
	s_nop 0
	v_mov_b32_e32 v27, v62
	scratch_store_dwordx4 off, v[0:3], off offset:1800 ; 16-byte Folded Spill
	s_nop 0
	scratch_store_dwordx4 off, v[4:7], off offset:1816 ; 16-byte Folded Spill
	scratch_store_dwordx4 off, v[8:11], off offset:1832 ; 16-byte Folded Spill
	;; [unrolled: 1-line block ×7, first 2 shown]
	v_mov_b32_e32 v4, v184
	v_mov_b32_e32 v5, v185
	;; [unrolled: 1-line block ×28, first 2 shown]
	v_mov_b64_e32 v[0:1], v[4:5]
	v_mov_b64_e32 v[2:3], v[6:7]
	;; [unrolled: 1-line block ×14, first 2 shown]
	scratch_store_dwordx4 off, v[184:187], off offset:2184 ; 16-byte Folded Spill
	s_nop 0
	scratch_store_dwordx4 off, v[188:191], off offset:2200 ; 16-byte Folded Spill
	scratch_store_dwordx4 off, v[192:195], off offset:2216 ; 16-byte Folded Spill
	;; [unrolled: 1-line block ×8, first 2 shown]
	s_nop 0
	scratch_store_dwordx4 off, v[188:191], off offset:2328 ; 16-byte Folded Spill
	scratch_store_dwordx4 off, v[192:195], off offset:2344 ; 16-byte Folded Spill
	;; [unrolled: 1-line block ×7, first 2 shown]
	v_mov_b64_e32 v[28:29], v[32:33]
	v_mov_b64_e32 v[30:31], v[34:35]
	;; [unrolled: 1-line block ×17, first 2 shown]
	v_mov_b32_e32 v30, v61
	scratch_store_dwordx4 off, v[4:7], off offset:260 ; 16-byte Folded Spill
	s_nop 0
	scratch_store_dwordx4 off, v[8:11], off offset:276 ; 16-byte Folded Spill
	scratch_store_dwordx4 off, v[12:15], off offset:292 ; 16-byte Folded Spill
	;; [unrolled: 1-line block ×7, first 2 shown]
.LBB59_128:
	s_or_b64 exec, exec, s[2:3]
	v_cmp_eq_u32_e32 vcc, 25, v255
	s_waitcnt lgkmcnt(0)
	s_barrier
	s_and_saveexec_b64 s[2:3], vcc
	s_cbranch_execz .LBB59_131
; %bb.129:
	scratch_load_dword v0, off, off offset:388 ; 4-byte Folded Reload
	ds_write_b32 v254, v139
	s_waitcnt vmcnt(0)
	ds_write2_b64 v0, v[208:209], v[210:211] offset0:13 offset1:14
	ds_read_b32 v30, v254
	s_waitcnt lgkmcnt(0)
	v_cmp_neq_f32_e32 vcc, 0, v30
	s_and_b64 exec, exec, vcc
	s_cbranch_execz .LBB59_131
; %bb.130:
	v_div_scale_f32 v31, s[4:5], v30, v30, 1.0
	v_rcp_f32_e32 v32, v31
	v_div_scale_f32 v33, vcc, 1.0, v30, 1.0
	v_fma_f32 v34, -v31, v32, 1.0
	v_fmac_f32_e32 v32, v34, v32
	v_mul_f32_e32 v34, v33, v32
	v_fma_f32 v35, -v31, v34, v33
	v_fmac_f32_e32 v34, v35, v32
	v_fma_f32 v31, -v31, v34, v33
	v_div_fmas_f32 v31, v31, v32, v34
	v_div_fixup_f32 v30, v31, v30, 1.0
	ds_write_b32 v254, v30
.LBB59_131:
	s_or_b64 exec, exec, s[2:3]
	s_waitcnt lgkmcnt(0)
	s_barrier
	ds_read_b32 v60, v254
	v_cmp_lt_u32_e32 vcc, 25, v255
	s_and_saveexec_b64 s[2:3], vcc
	s_cbranch_execz .LBB59_133
; %bb.132:
	scratch_load_dword v0, off, off offset:388 ; 4-byte Folded Reload
	s_waitcnt lgkmcnt(0)
	v_mul_f32_e32 v4, v139, v60
	v_mov_b32_e32 v6, v208
	v_mov_b32_e32 v7, v209
	;; [unrolled: 1-line block ×4, first 2 shown]
	s_waitcnt vmcnt(2)
	v_mov_b32_e32 v31, v4
	v_mov_b32_e32 v91, v4
	s_waitcnt vmcnt(0)
	ds_read2_b64 v[0:3], v0 offset0:13 offset1:14
	scratch_load_dwordx4 v[154:157], off, off offset:2312 ; 16-byte Folded Reload
	scratch_load_dwordx4 v[158:161], off, off offset:2328 ; 16-byte Folded Reload
	;; [unrolled: 1-line block ×8, first 2 shown]
	s_waitcnt lgkmcnt(0)
	v_pk_fma_f32 v[92:93], v[4:5], v[0:1], v[6:7] op_sel_hi:[0,1,1] neg_lo:[1,0,0] neg_hi:[1,0,0]
	v_pk_fma_f32 v[34:35], v[4:5], v[2:3], v[8:9] op_sel_hi:[0,1,1] neg_lo:[1,0,0] neg_hi:[1,0,0]
	v_mov_b32_e32 v32, v92
	v_mov_b32_e32 v33, v93
	;; [unrolled: 1-line block ×4, first 2 shown]
	s_waitcnt vmcnt(4)
	v_mov_b64_e32 v[118:119], v[154:155]
	v_mov_b64_e32 v[120:121], v[156:157]
	;; [unrolled: 1-line block ×3, first 2 shown]
	s_waitcnt vmcnt(1)
	v_mov_b32_e32 v134, v170
	v_mov_b64_e32 v[124:125], v[160:161]
	v_mov_b64_e32 v[126:127], v[162:163]
	;; [unrolled: 1-line block ×5, first 2 shown]
	v_mov_b32_e32 v135, v171
	v_mov_b32_e32 v136, v172
	;; [unrolled: 1-line block ×33, first 2 shown]
	scratch_store_dwordx4 off, v[6:9], off offset:1800 ; 16-byte Folded Spill
	s_nop 0
	scratch_store_dwordx4 off, v[10:13], off offset:1816 ; 16-byte Folded Spill
	scratch_store_dwordx4 off, v[14:17], off offset:1832 ; 16-byte Folded Spill
	;; [unrolled: 1-line block ×7, first 2 shown]
	v_mov_b32_e32 v66, v118
	v_mov_b32_e32 v67, v119
	;; [unrolled: 1-line block ×25, first 2 shown]
	scratch_store_dwordx4 off, v[118:121], off offset:2184 ; 16-byte Folded Spill
	s_nop 0
	scratch_store_dwordx4 off, v[122:125], off offset:2200 ; 16-byte Folded Spill
	scratch_store_dwordx4 off, v[126:129], off offset:2216 ; 16-byte Folded Spill
	;; [unrolled: 1-line block ×7, first 2 shown]
	s_waitcnt vmcnt(16)
	v_mov_b64_e32 v[212:213], v[36:37]
	v_mov_b64_e32 v[210:211], v[34:35]
	;; [unrolled: 1-line block ×16, first 2 shown]
	scratch_store_dwordx4 off, v[6:9], off offset:260 ; 16-byte Folded Spill
	s_nop 0
	scratch_store_dwordx4 off, v[10:13], off offset:276 ; 16-byte Folded Spill
	scratch_store_dwordx4 off, v[14:17], off offset:292 ; 16-byte Folded Spill
	;; [unrolled: 1-line block ×8, first 2 shown]
	s_nop 0
	scratch_store_dwordx4 off, v[70:73], off offset:1944 ; 16-byte Folded Spill
	scratch_store_dwordx4 off, v[74:77], off offset:1960 ; 16-byte Folded Spill
	;; [unrolled: 1-line block ×7, first 2 shown]
	v_mov_b32_e32 v143, v0
	v_mov_b32_e32 v87, v93
.LBB59_133:
	s_or_b64 exec, exec, s[2:3]
	v_cmp_eq_u32_e32 vcc, 26, v255
	s_waitcnt lgkmcnt(0)
	s_barrier
	s_and_saveexec_b64 s[2:3], vcc
	s_cbranch_execz .LBB59_136
; %bb.134:
	v_mov_b32_e32 v107, v87
	scratch_load_dwordx4 v[66:69], off, off offset:260 ; 16-byte Folded Reload
	scratch_load_dwordx4 v[70:73], off, off offset:276 ; 16-byte Folded Reload
	;; [unrolled: 1-line block ×8, first 2 shown]
	scratch_load_dword v0, off, off offset:388 ; 4-byte Folded Reload
	s_waitcnt vmcnt(3)
	v_mov_b32_e32 v87, v107
	s_waitcnt vmcnt(2)
	ds_write_b32 v254, v92
	s_waitcnt vmcnt(1)
	v_mov_b64_e32 v[32:33], v[94:95]
	s_waitcnt vmcnt(0)
	ds_write2_b32 v0, v209, v210 offset0:27 offset1:28
	ds_write_b32 v0, v33 offset:116
	ds_read_b32 v30, v254
	s_waitcnt lgkmcnt(0)
	v_cmp_neq_f32_e32 vcc, 0, v30
	s_and_b64 exec, exec, vcc
	s_cbranch_execz .LBB59_136
; %bb.135:
	v_div_scale_f32 v31, s[4:5], v30, v30, 1.0
	v_rcp_f32_e32 v32, v31
	v_div_scale_f32 v33, vcc, 1.0, v30, 1.0
	v_fma_f32 v34, -v31, v32, 1.0
	v_fmac_f32_e32 v32, v34, v32
	v_mul_f32_e32 v34, v33, v32
	v_fma_f32 v35, -v31, v34, v33
	v_fmac_f32_e32 v34, v35, v32
	v_fma_f32 v31, -v31, v34, v33
	v_div_fmas_f32 v31, v31, v32, v34
	v_div_fixup_f32 v30, v31, v30, 1.0
	ds_write_b32 v254, v30
.LBB59_136:
	s_or_b64 exec, exec, s[2:3]
	s_waitcnt lgkmcnt(0)
	s_barrier
	ds_read_b32 v61, v254
	v_cmp_lt_u32_e32 vcc, 26, v255
	s_and_saveexec_b64 s[2:3], vcc
	s_cbranch_execz .LBB59_138
; %bb.137:
	scratch_load_dword v2, off, off offset:388 ; 4-byte Folded Reload
	v_mov_b32_e32 v3, v210
	s_waitcnt vmcnt(0)
	ds_read2_b32 v[0:1], v2 offset0:27 offset1:28
	ds_read_b32 v4, v2 offset:116
	scratch_load_dwordx4 v[66:69], off, off offset:260 ; 16-byte Folded Reload
	scratch_load_dwordx4 v[70:73], off, off offset:276 ; 16-byte Folded Reload
	;; [unrolled: 1-line block ×16, first 2 shown]
	v_mov_b32_e32 v2, v209
	s_waitcnt vmcnt(7)
	v_mov_b32_e32 v6, v154
	v_mov_b32_e32 v7, v155
	v_mov_b32_e32 v8, v156
	v_mov_b32_e32 v9, v157
	s_waitcnt vmcnt(6)
	v_mov_b32_e32 v10, v158
	v_mov_b32_e32 v32, v92
	s_waitcnt vmcnt(1) lgkmcnt(2)
	v_mul_f32_e32 v180, v32, v61
	v_mov_b32_e32 v35, v95
	s_waitcnt lgkmcnt(1)
	v_pk_fma_f32 v[62:63], v[180:181], v[0:1], v[2:3] op_sel_hi:[0,1,1] neg_lo:[1,0,0] neg_hi:[1,0,0]
	s_waitcnt lgkmcnt(0)
	v_fma_f32 v35, -v180, v4, v35
	v_mov_b32_e32 v11, v159
	v_mov_b32_e32 v12, v160
	;; [unrolled: 1-line block ×24, first 2 shown]
	s_waitcnt vmcnt(0)
	v_mov_b64_e32 v[212:213], v[36:37]
	v_mov_b32_e32 v181, v62
	v_mov_b64_e32 v[210:211], v[34:35]
	v_mov_b64_e32 v[208:209], v[32:33]
	;; [unrolled: 1-line block ×15, first 2 shown]
	v_mov_b32_e32 v87, v62
	scratch_store_dwordx4 off, v[154:157], off offset:1800 ; 16-byte Folded Spill
	s_nop 0
	scratch_store_dwordx4 off, v[158:161], off offset:1816 ; 16-byte Folded Spill
	scratch_store_dwordx4 off, v[162:165], off offset:1832 ; 16-byte Folded Spill
	scratch_store_dwordx4 off, v[166:169], off offset:1848 ; 16-byte Folded Spill
	scratch_store_dwordx4 off, v[170:173], off offset:1864 ; 16-byte Folded Spill
	scratch_store_dwordx4 off, v[174:177], off offset:1880 ; 16-byte Folded Spill
	scratch_store_dwordx4 off, v[178:181], off offset:1896 ; 16-byte Folded Spill
	scratch_store_dwordx4 off, v[182:185], off offset:1912 ; 16-byte Folded Spill
	scratch_store_dwordx4 off, v[154:157], off offset:1928 ; 16-byte Folded Spill
	s_nop 0
	scratch_store_dwordx4 off, v[158:161], off offset:1944 ; 16-byte Folded Spill
	scratch_store_dwordx4 off, v[162:165], off offset:1960 ; 16-byte Folded Spill
	scratch_store_dwordx4 off, v[166:169], off offset:1976 ; 16-byte Folded Spill
	scratch_store_dwordx4 off, v[170:173], off offset:1992 ; 16-byte Folded Spill
	scratch_store_dwordx4 off, v[174:177], off offset:2008 ; 16-byte Folded Spill
	scratch_store_dwordx4 off, v[178:181], off offset:2024 ; 16-byte Folded Spill
	scratch_store_dwordx4 off, v[182:185], off offset:2040 ; 16-byte Folded Spill
	;; [unrolled: 9-line block ×3, first 2 shown]
.LBB59_138:
	s_or_b64 exec, exec, s[2:3]
	v_cmp_eq_u32_e32 vcc, 27, v255
	s_waitcnt lgkmcnt(0)
	s_barrier
	s_and_saveexec_b64 s[2:3], vcc
	s_cbranch_execz .LBB59_141
; %bb.139:
	scratch_load_dword v0, off, off offset:388 ; 4-byte Folded Reload
	ds_write_b32 v254, v87
	s_waitcnt vmcnt(0)
	ds_write_b64 v0, v[210:211] offset:112
	ds_read_b32 v30, v254
	s_waitcnt lgkmcnt(0)
	v_cmp_neq_f32_e32 vcc, 0, v30
	s_and_b64 exec, exec, vcc
	s_cbranch_execz .LBB59_141
; %bb.140:
	v_div_scale_f32 v31, s[4:5], v30, v30, 1.0
	v_rcp_f32_e32 v32, v31
	v_div_scale_f32 v33, vcc, 1.0, v30, 1.0
	v_fma_f32 v34, -v31, v32, 1.0
	v_fmac_f32_e32 v32, v34, v32
	v_mul_f32_e32 v34, v33, v32
	v_fma_f32 v35, -v31, v34, v33
	v_fmac_f32_e32 v34, v35, v32
	v_fma_f32 v31, -v31, v34, v33
	v_div_fmas_f32 v31, v31, v32, v34
	v_div_fixup_f32 v30, v31, v30, 1.0
	ds_write_b32 v254, v30
.LBB59_141:
	s_or_b64 exec, exec, s[2:3]
	s_waitcnt lgkmcnt(0)
	s_barrier
	ds_read_b32 v62, v254
	v_cmp_lt_u32_e32 vcc, 27, v255
	s_and_saveexec_b64 s[2:3], vcc
	s_cbranch_execz .LBB59_143
; %bb.142:
	scratch_load_dword v0, off, off offset:388 ; 4-byte Folded Reload
	s_waitcnt lgkmcnt(0)
	v_mul_f32_e32 v2, v87, v62
	v_mov_b32_e32 v4, v210
	v_mov_b32_e32 v5, v211
	s_waitcnt vmcnt(2)
	v_mov_b32_e32 v31, v2
	s_waitcnt vmcnt(0)
	ds_read_b64 v[0:1], v0 offset:112
	scratch_load_dwordx4 v[66:69], off, off offset:1928 ; 16-byte Folded Reload
	scratch_load_dwordx4 v[70:73], off, off offset:1944 ; 16-byte Folded Reload
	;; [unrolled: 1-line block ×8, first 2 shown]
	s_waitcnt vmcnt(1)
	v_mov_b32_e32 v93, v2
	s_waitcnt lgkmcnt(0)
	v_pk_fma_f32 v[32:33], v[2:3], v[0:1], v[4:5] op_sel_hi:[0,1,1] neg_lo:[1,0,0] neg_hi:[1,0,0]
	v_mov_b64_e32 v[34:35], v[32:33]
	v_mov_b32_e32 v6, v68
	v_mov_b32_e32 v7, v69
	v_mov_b32_e32 v8, v70
	v_mov_b32_e32 v9, v71
	v_mov_b32_e32 v10, v72
	v_mov_b32_e32 v11, v73
	v_mov_b32_e32 v12, v74
	v_mov_b32_e32 v13, v75
	v_mov_b32_e32 v14, v76
	v_mov_b32_e32 v15, v77
	v_mov_b32_e32 v16, v78
	v_mov_b32_e32 v17, v79
	v_mov_b32_e32 v18, v80
	v_mov_b32_e32 v19, v81
	v_mov_b32_e32 v20, v82
	v_mov_b32_e32 v21, v83
	v_mov_b32_e32 v22, v84
	v_mov_b32_e32 v23, v85
	v_mov_b32_e32 v24, v86
	v_mov_b32_e32 v25, v87
	v_mov_b32_e32 v26, v88
	v_mov_b32_e32 v27, v89
	v_mov_b32_e32 v28, v90
	v_mov_b32_e32 v29, v91
	v_mov_b32_e32 v30, v92
	scratch_store_dwordx4 off, v[6:9], off offset:260 ; 16-byte Folded Spill
	s_nop 0
	scratch_store_dwordx4 off, v[10:13], off offset:276 ; 16-byte Folded Spill
	scratch_store_dwordx4 off, v[14:17], off offset:292 ; 16-byte Folded Spill
	;; [unrolled: 1-line block ×7, first 2 shown]
	v_mov_b32_e32 v4, v66
	v_mov_b32_e32 v5, v67
	scratch_store_dwordx4 off, v[66:69], off offset:1800 ; 16-byte Folded Spill
	s_nop 0
	scratch_store_dwordx4 off, v[70:73], off offset:1816 ; 16-byte Folded Spill
	scratch_store_dwordx4 off, v[74:77], off offset:1832 ; 16-byte Folded Spill
	scratch_store_dwordx4 off, v[78:81], off offset:1848 ; 16-byte Folded Spill
	scratch_store_dwordx4 off, v[82:85], off offset:1864 ; 16-byte Folded Spill
	scratch_store_dwordx4 off, v[86:89], off offset:1880 ; 16-byte Folded Spill
	scratch_store_dwordx4 off, v[90:93], off offset:1896 ; 16-byte Folded Spill
	s_waitcnt vmcnt(15)
	scratch_store_dwordx4 off, v[94:97], off offset:1912 ; 16-byte Folded Spill
	v_mov_b64_e32 v[212:213], v[34:35]
	v_mov_b64_e32 v[210:211], v[32:33]
	;; [unrolled: 1-line block ×16, first 2 shown]
.LBB59_143:
	s_or_b64 exec, exec, s[2:3]
	v_cmp_eq_u32_e32 vcc, 28, v255
	s_waitcnt lgkmcnt(0)
	s_barrier
	s_and_saveexec_b64 s[2:3], vcc
	s_cbranch_execz .LBB59_146
; %bb.144:
	scratch_load_dwordx4 v[66:69], off, off offset:260 ; 16-byte Folded Reload
	scratch_load_dwordx4 v[70:73], off, off offset:276 ; 16-byte Folded Reload
	;; [unrolled: 1-line block ×8, first 2 shown]
	scratch_load_dword v0, off, off offset:388 ; 4-byte Folded Reload
	s_waitcnt vmcnt(1)
	v_mov_b64_e32 v[30:31], v[94:95]
	ds_write_b32 v254, v30
	s_waitcnt vmcnt(0)
	ds_write_b32 v0, v31 offset:116
	ds_read_b32 v30, v254
	s_waitcnt lgkmcnt(0)
	v_cmp_neq_f32_e32 vcc, 0, v30
	s_and_b64 exec, exec, vcc
	s_cbranch_execz .LBB59_146
; %bb.145:
	v_div_scale_f32 v31, s[4:5], v30, v30, 1.0
	v_rcp_f32_e32 v32, v31
	v_div_scale_f32 v33, vcc, 1.0, v30, 1.0
	v_fma_f32 v34, -v31, v32, 1.0
	v_fmac_f32_e32 v32, v34, v32
	v_mul_f32_e32 v34, v33, v32
	v_fma_f32 v35, -v31, v34, v33
	v_fmac_f32_e32 v34, v35, v32
	v_fma_f32 v31, -v31, v34, v33
	v_div_fmas_f32 v31, v31, v32, v34
	v_div_fixup_f32 v30, v31, v30, 1.0
	ds_write_b32 v254, v30
.LBB59_146:
	s_or_b64 exec, exec, s[2:3]
	s_waitcnt lgkmcnt(0)
	s_barrier
	ds_read_b32 v32, v254
	v_cmp_lt_u32_e32 vcc, 28, v255
	s_and_saveexec_b64 s[2:3], vcc
	s_cbranch_execz .LBB59_148
; %bb.147:
	scratch_load_dword v0, off, off offset:388 ; 4-byte Folded Reload
	s_waitcnt vmcnt(0)
	ds_read_b32 v0, v0 offset:116
	scratch_load_dwordx4 v[66:69], off, off offset:260 ; 16-byte Folded Reload
	scratch_load_dwordx4 v[70:73], off, off offset:276 ; 16-byte Folded Reload
	;; [unrolled: 1-line block ×8, first 2 shown]
	s_waitcnt vmcnt(0)
	v_mov_b64_e32 v[248:249], v[94:95]
	scratch_load_dwordx4 v[66:69], off, off offset:1800 ; 16-byte Folded Reload
	scratch_load_dwordx4 v[70:73], off, off offset:1816 ; 16-byte Folded Reload
	;; [unrolled: 1-line block ×8, first 2 shown]
	s_waitcnt vmcnt(0) lgkmcnt(1)
	v_mul_f32_e32 v94, v248, v32
	s_waitcnt lgkmcnt(0)
	v_fma_f32 v95, -v94, v0, v249
	v_mov_b32_e32 v31, v95
	scratch_store_dwordx4 off, v[2:5], off offset:260 ; 16-byte Folded Spill
	s_nop 0
	scratch_store_dwordx4 off, v[6:9], off offset:276 ; 16-byte Folded Spill
	scratch_store_dwordx4 off, v[10:13], off offset:292 ; 16-byte Folded Spill
	;; [unrolled: 1-line block ×7, first 2 shown]
	v_mov_b64_e32 v[212:213], v[96:97]
	v_mov_b64_e32 v[210:211], v[94:95]
	;; [unrolled: 1-line block ×16, first 2 shown]
.LBB59_148:
	s_or_b64 exec, exec, s[2:3]
	s_waitcnt lgkmcnt(0)
	s_barrier
	v_cmp_eq_u32_e32 vcc, 29, v255
	s_mov_b64 s[2:3], exec
	scratch_load_dwordx4 v[66:69], off, off offset:260 ; 16-byte Folded Reload
	scratch_load_dwordx4 v[70:73], off, off offset:276 ; 16-byte Folded Reload
	scratch_load_dwordx4 v[74:77], off, off offset:292 ; 16-byte Folded Reload
	scratch_load_dwordx4 v[78:81], off, off offset:308 ; 16-byte Folded Reload
	scratch_load_dwordx4 v[82:85], off, off offset:324 ; 16-byte Folded Reload
	scratch_load_dwordx4 v[86:89], off, off offset:340 ; 16-byte Folded Reload
	scratch_load_dwordx4 v[90:93], off, off offset:356 ; 16-byte Folded Reload
	scratch_load_dwordx4 v[94:97], off, off offset:372 ; 16-byte Folded Reload
	s_and_b64 s[4:5], s[2:3], vcc
	s_waitcnt vmcnt(0)
	v_mov_b32_e32 v249, v95
	s_mov_b64 exec, s[4:5]
	s_cbranch_execz .LBB59_151
; %bb.149:
	v_cmp_neq_f32_e32 vcc, 0, v249
	ds_write_b32 v254, v249
	s_and_b64 exec, exec, vcc
	s_cbranch_execz .LBB59_151
; %bb.150:
	v_div_scale_f32 v30, s[4:5], v249, v249, 1.0
	v_rcp_f32_e32 v31, v30
	v_div_scale_f32 v33, vcc, 1.0, v249, 1.0
	v_fma_f32 v34, -v30, v31, 1.0
	v_fmac_f32_e32 v31, v34, v31
	v_mul_f32_e32 v34, v33, v31
	v_fma_f32 v35, -v30, v34, v33
	v_fmac_f32_e32 v34, v35, v31
	v_fma_f32 v30, -v30, v34, v33
	v_div_fmas_f32 v30, v30, v31, v34
	v_div_fixup_f32 v30, v30, v249, 1.0
	ds_write_b32 v254, v30
.LBB59_151:
	s_or_b64 exec, exec, s[2:3]
	s_waitcnt lgkmcnt(0)
	s_barrier
	ds_read_b32 v33, v254
	s_waitcnt lgkmcnt(0)
	s_barrier
	s_and_saveexec_b64 s[2:3], s[0:1]
	s_cbranch_execz .LBB59_154
; %bb.152:
	s_movk_i32 s0, 0x19f8
	scratch_load_dword v30, off, s0         ; 4-byte Folded Reload
	s_movk_i32 s0, 0x19fc
	scratch_load_dword v31, off, s0         ; 4-byte Folded Reload
	scratch_load_dword v0, off, off offset:132 ; 4-byte Folded Reload
	s_waitcnt vmcnt(2)
	v_cmp_eq_f32_e32 vcc, 0, v30
	s_nop 1
	v_cndmask_b32_e64 v30, 0, 1, vcc
	s_waitcnt vmcnt(1)
	v_cmp_neq_f32_e64 s[0:1], 0, v31
	s_or_b64 vcc, s[0:1], vcc
	v_cndmask_b32_e32 v30, 2, v30, vcc
	s_waitcnt vmcnt(0)
	v_cmp_eq_f32_e32 vcc, 0, v0
	scratch_load_dword v0, off, off offset:3080 ; 4-byte Folded Reload
	v_cmp_eq_u32_e64 s[0:1], 0, v30
	s_and_b64 s[0:1], vcc, s[0:1]
	v_mov_b32_e32 v31, s7
	v_cndmask_b32_e64 v30, v30, 3, s[0:1]
	v_cmp_eq_u32_e64 s[0:1], 0, v30
	s_waitcnt vmcnt(0)
	v_cmp_eq_f32_e32 vcc, 0, v0
	scratch_load_dword v0, off, off offset:3464 ; 4-byte Folded Reload
	s_and_b64 s[0:1], vcc, s[0:1]
	v_cndmask_b32_e64 v30, v30, 4, s[0:1]
	v_cmp_eq_u32_e64 s[0:1], 0, v30
	s_waitcnt vmcnt(0)
	v_cmp_eq_f32_e32 vcc, 0, v0
	scratch_load_dword v0, off, off offset:3592 ; 4-byte Folded Reload
	s_and_b64 s[0:1], vcc, s[0:1]
	;; [unrolled: 6-line block ×4, first 2 shown]
	v_cndmask_b32_e64 v30, v30, 7, s[0:1]
	v_cmp_eq_u32_e64 s[0:1], 0, v30
	s_waitcnt vmcnt(0)
	v_cmp_eq_f32_e32 vcc, 0, v0
	s_and_b64 s[0:1], vcc, s[0:1]
	v_cndmask_b32_e64 v30, v30, 8, s[0:1]
	v_cmp_eq_f32_e32 vcc, 0, v148
	v_cmp_eq_u32_e64 s[0:1], 0, v30
	s_and_b64 s[0:1], vcc, s[0:1]
	v_cmp_eq_f32_e32 vcc, 0, v153
	v_cndmask_b32_e64 v30, v30, 9, s[0:1]
	v_cmp_eq_u32_e64 s[0:1], 0, v30
	s_and_b64 s[0:1], vcc, s[0:1]
	scratch_load_dword v0, off, off offset:4 ; 4-byte Folded Reload
	v_cndmask_b32_e64 v34, v30, 10, s[0:1]
	s_movk_i32 s0, 0x1a88
	v_mov_b32_e32 v30, s6
	scratch_load_dwordx2 v[36:37], off, s0  ; 8-byte Folded Reload
	v_cmp_eq_f32_e32 vcc, 0, v150
	v_cmp_eq_u32_e64 s[0:1], 0, v34
	s_and_b64 s[0:1], vcc, s[0:1]
	v_cmp_eq_f32_e32 vcc, 0, v252
	v_cndmask_b32_e64 v34, v34, 11, s[0:1]
	v_cmp_eq_u32_e64 s[0:1], 0, v34
	s_and_b64 s[0:1], vcc, s[0:1]
	v_cmp_eq_f32_e32 vcc, 0, v145
	v_cndmask_b32_e64 v34, v34, 12, s[0:1]
	;; [unrolled: 4-line block ×4, first 2 shown]
	v_cmp_eq_u32_e64 s[0:1], 0, v34
	s_and_b64 s[0:1], vcc, s[0:1]
	s_waitcnt vmcnt(1)
	v_cmp_eq_f32_e32 vcc, 0, v0
	v_cndmask_b32_e64 v34, v34, 15, s[0:1]
	v_cmp_eq_u32_e64 s[0:1], 0, v34
	s_and_b64 s[0:1], vcc, s[0:1]
	s_waitcnt vmcnt(0)
	v_lshl_add_u64 v[30:31], v[36:37], 2, v[30:31]
	global_load_dword v35, v[30:31], off
	v_cndmask_b32_e64 v34, v34, 16, s[0:1]
	v_cmp_eq_f32_e32 vcc, 0, v143
	v_cmp_eq_u32_e64 s[0:1], 0, v34
	s_and_b64 s[0:1], vcc, s[0:1]
	v_cmp_eq_f32_e32 vcc, 0, v250
	v_cndmask_b32_e64 v34, v34, 17, s[0:1]
	v_cmp_eq_u32_e64 s[0:1], 0, v34
	s_and_b64 s[0:1], vcc, s[0:1]
	v_cmp_eq_f32_e32 vcc, 0, v251
	v_cndmask_b32_e64 v34, v34, 18, s[0:1]
	;; [unrolled: 4-line block ×13, first 2 shown]
	v_cmp_eq_u32_e64 s[0:1], 0, v32
	s_and_b64 s[0:1], vcc, s[0:1]
	s_waitcnt vmcnt(0)
	v_cmp_eq_u32_e32 vcc, 0, v35
	v_cndmask_b32_e64 v32, v32, 30, s[0:1]
	v_cmp_ne_u32_e64 s[0:1], 0, v32
	s_and_b64 s[0:1], vcc, s[0:1]
	s_and_b64 exec, exec, s[0:1]
	s_cbranch_execz .LBB59_154
; %bb.153:
	v_add_u32_e32 v32, s9, v32
	global_store_dword v[30:31], v32, off
.LBB59_154:
	s_or_b64 exec, exec, s[2:3]
	v_mul_f32_e32 v30, v249, v33
	v_cmp_lt_u32_e32 vcc, 29, v255
	s_movk_i32 s0, 0x1908
	s_nop 0
	v_cndmask_b32_e32 v29, v211, v30, vcc
	scratch_load_dwordx2 v[30:31], off, s0  ; 8-byte Folded Reload
	s_movk_i32 s0, 0x19f0
	s_waitcnt vmcnt(0)
	global_store_dword v[30:31], v182, off
	scratch_load_dwordx2 v[30:31], off, s0  ; 8-byte Folded Reload
	s_movk_i32 s0, 0x1910
	scratch_load_dwordx2 v[0:1], off, s0    ; 8-byte Folded Reload
	s_movk_i32 s0, 0x1918
	s_waitcnt vmcnt(1)
	global_store_dword v[30:31], v183, off
	s_waitcnt vmcnt(1)
	global_store_dword v[0:1], v184, off
	scratch_load_dwordx2 v[0:1], off, s0    ; 8-byte Folded Reload
	s_movk_i32 s0, 0x1920
	s_waitcnt vmcnt(0)
	global_store_dword v[0:1], v185, off
	scratch_load_dwordx2 v[0:1], off, s0    ; 8-byte Folded Reload
	s_movk_i32 s0, 0x1928
	;; [unrolled: 4-line block ×26, first 2 shown]
	s_waitcnt vmcnt(0)
	global_store_dword v[0:1], v210, off
	scratch_load_dwordx2 v[0:1], off, s0    ; 8-byte Folded Reload
	s_waitcnt vmcnt(0)
	global_store_dword v[0:1], v29, off
.LBB59_155:
	s_endpgm
	.section	.rodata,"a",@progbits
	.p2align	6, 0x0
	.amdhsa_kernel _ZN9rocsolver6v33100L23getf2_npvt_small_kernelILi30EfiiPfEEvT1_T3_lS3_lPT2_S3_S3_
		.amdhsa_group_segment_fixed_size 0
		.amdhsa_private_segment_fixed_size 6800
		.amdhsa_kernarg_size 312
		.amdhsa_user_sgpr_count 2
		.amdhsa_user_sgpr_dispatch_ptr 0
		.amdhsa_user_sgpr_queue_ptr 0
		.amdhsa_user_sgpr_kernarg_segment_ptr 1
		.amdhsa_user_sgpr_dispatch_id 0
		.amdhsa_user_sgpr_kernarg_preload_length 0
		.amdhsa_user_sgpr_kernarg_preload_offset 0
		.amdhsa_user_sgpr_private_segment_size 0
		.amdhsa_uses_dynamic_stack 0
		.amdhsa_enable_private_segment 1
		.amdhsa_system_sgpr_workgroup_id_x 1
		.amdhsa_system_sgpr_workgroup_id_y 1
		.amdhsa_system_sgpr_workgroup_id_z 0
		.amdhsa_system_sgpr_workgroup_info 0
		.amdhsa_system_vgpr_workitem_id 1
		.amdhsa_next_free_vgpr 256
		.amdhsa_next_free_sgpr 16
		.amdhsa_accum_offset 256
		.amdhsa_reserve_vcc 1
		.amdhsa_float_round_mode_32 0
		.amdhsa_float_round_mode_16_64 0
		.amdhsa_float_denorm_mode_32 3
		.amdhsa_float_denorm_mode_16_64 3
		.amdhsa_dx10_clamp 1
		.amdhsa_ieee_mode 1
		.amdhsa_fp16_overflow 0
		.amdhsa_tg_split 0
		.amdhsa_exception_fp_ieee_invalid_op 0
		.amdhsa_exception_fp_denorm_src 0
		.amdhsa_exception_fp_ieee_div_zero 0
		.amdhsa_exception_fp_ieee_overflow 0
		.amdhsa_exception_fp_ieee_underflow 0
		.amdhsa_exception_fp_ieee_inexact 0
		.amdhsa_exception_int_div_zero 0
	.end_amdhsa_kernel
	.section	.text._ZN9rocsolver6v33100L23getf2_npvt_small_kernelILi30EfiiPfEEvT1_T3_lS3_lPT2_S3_S3_,"axG",@progbits,_ZN9rocsolver6v33100L23getf2_npvt_small_kernelILi30EfiiPfEEvT1_T3_lS3_lPT2_S3_S3_,comdat
.Lfunc_end59:
	.size	_ZN9rocsolver6v33100L23getf2_npvt_small_kernelILi30EfiiPfEEvT1_T3_lS3_lPT2_S3_S3_, .Lfunc_end59-_ZN9rocsolver6v33100L23getf2_npvt_small_kernelILi30EfiiPfEEvT1_T3_lS3_lPT2_S3_S3_
                                        ; -- End function
	.set _ZN9rocsolver6v33100L23getf2_npvt_small_kernelILi30EfiiPfEEvT1_T3_lS3_lPT2_S3_S3_.num_vgpr, 256
	.set _ZN9rocsolver6v33100L23getf2_npvt_small_kernelILi30EfiiPfEEvT1_T3_lS3_lPT2_S3_S3_.num_agpr, 0
	.set _ZN9rocsolver6v33100L23getf2_npvt_small_kernelILi30EfiiPfEEvT1_T3_lS3_lPT2_S3_S3_.numbered_sgpr, 16
	.set _ZN9rocsolver6v33100L23getf2_npvt_small_kernelILi30EfiiPfEEvT1_T3_lS3_lPT2_S3_S3_.num_named_barrier, 0
	.set _ZN9rocsolver6v33100L23getf2_npvt_small_kernelILi30EfiiPfEEvT1_T3_lS3_lPT2_S3_S3_.private_seg_size, 6800
	.set _ZN9rocsolver6v33100L23getf2_npvt_small_kernelILi30EfiiPfEEvT1_T3_lS3_lPT2_S3_S3_.uses_vcc, 1
	.set _ZN9rocsolver6v33100L23getf2_npvt_small_kernelILi30EfiiPfEEvT1_T3_lS3_lPT2_S3_S3_.uses_flat_scratch, 0
	.set _ZN9rocsolver6v33100L23getf2_npvt_small_kernelILi30EfiiPfEEvT1_T3_lS3_lPT2_S3_S3_.has_dyn_sized_stack, 0
	.set _ZN9rocsolver6v33100L23getf2_npvt_small_kernelILi30EfiiPfEEvT1_T3_lS3_lPT2_S3_S3_.has_recursion, 0
	.set _ZN9rocsolver6v33100L23getf2_npvt_small_kernelILi30EfiiPfEEvT1_T3_lS3_lPT2_S3_S3_.has_indirect_call, 0
	.section	.AMDGPU.csdata,"",@progbits
; Kernel info:
; codeLenInByte = 134148
; TotalNumSgprs: 22
; NumVgprs: 256
; NumAgprs: 0
; TotalNumVgprs: 256
; ScratchSize: 6800
; MemoryBound: 0
; FloatMode: 240
; IeeeMode: 1
; LDSByteSize: 0 bytes/workgroup (compile time only)
; SGPRBlocks: 2
; VGPRBlocks: 31
; NumSGPRsForWavesPerEU: 22
; NumVGPRsForWavesPerEU: 256
; AccumOffset: 256
; Occupancy: 2
; WaveLimiterHint : 0
; COMPUTE_PGM_RSRC2:SCRATCH_EN: 1
; COMPUTE_PGM_RSRC2:USER_SGPR: 2
; COMPUTE_PGM_RSRC2:TRAP_HANDLER: 0
; COMPUTE_PGM_RSRC2:TGID_X_EN: 1
; COMPUTE_PGM_RSRC2:TGID_Y_EN: 1
; COMPUTE_PGM_RSRC2:TGID_Z_EN: 0
; COMPUTE_PGM_RSRC2:TIDIG_COMP_CNT: 1
; COMPUTE_PGM_RSRC3_GFX90A:ACCUM_OFFSET: 63
; COMPUTE_PGM_RSRC3_GFX90A:TG_SPLIT: 0
	.section	.text._ZN9rocsolver6v33100L18getf2_small_kernelILi31EfiiPfEEvT1_T3_lS3_lPS3_llPT2_S3_S3_S5_l,"axG",@progbits,_ZN9rocsolver6v33100L18getf2_small_kernelILi31EfiiPfEEvT1_T3_lS3_lPS3_llPT2_S3_S3_S5_l,comdat
	.globl	_ZN9rocsolver6v33100L18getf2_small_kernelILi31EfiiPfEEvT1_T3_lS3_lPS3_llPT2_S3_S3_S5_l ; -- Begin function _ZN9rocsolver6v33100L18getf2_small_kernelILi31EfiiPfEEvT1_T3_lS3_lPS3_llPT2_S3_S3_S5_l
	.p2align	8
	.type	_ZN9rocsolver6v33100L18getf2_small_kernelILi31EfiiPfEEvT1_T3_lS3_lPS3_llPT2_S3_S3_S5_l,@function
_ZN9rocsolver6v33100L18getf2_small_kernelILi31EfiiPfEEvT1_T3_lS3_lPS3_llPT2_S3_S3_S5_l: ; @_ZN9rocsolver6v33100L18getf2_small_kernelILi31EfiiPfEEvT1_T3_lS3_lPS3_llPT2_S3_S3_S5_l
; %bb.0:
	s_load_dword s2, s[0:1], 0x6c
	s_load_dwordx2 s[18:19], s[0:1], 0x48
	v_bfe_u32 v2, v0, 10, 10
	s_waitcnt lgkmcnt(0)
	s_lshr_b32 s2, s2, 16
	s_mul_i32 s3, s3, s2
	v_add_u32_e32 v6, s3, v2
	v_cmp_gt_i32_e32 vcc, s18, v6
	s_and_saveexec_b64 s[2:3], vcc
	s_cbranch_execz .LBB60_526
; %bb.1:
	s_load_dwordx4 s[4:7], s[0:1], 0x50
	v_ashrrev_i32_e32 v7, 31, v6
	v_mov_b64_e32 v[4:5], 0
	s_movk_i32 s2, 0x159c
	scratch_store_dwordx2 off, v[4:5], s2   ; 8-byte Folded Spill
	s_waitcnt lgkmcnt(0)
	s_cmp_eq_u64 s[4:5], 0
	s_cselect_b64 s[20:21], -1, 0
	s_and_b64 vcc, exec, s[20:21]
	s_cbranch_vccnz .LBB60_3
; %bb.2:
	v_mul_lo_u32 v1, s7, v6
	v_mul_lo_u32 v3, s6, v7
	v_mad_u64_u32 v[4:5], s[2:3], s6, v6, 0
	v_add3_u32 v5, v5, v3, v1
	v_lshl_add_u64 v[4:5], v[4:5], 2, s[4:5]
	s_movk_i32 s2, 0x159c
	s_nop 1
	scratch_store_dwordx2 off, v[4:5], s2   ; 8-byte Folded Spill
.LBB60_3:
	s_load_dwordx4 s[12:15], s[0:1], 0x8
	s_load_dwordx8 s[4:11], s[0:1], 0x20
	s_load_dword s16, s[0:1], 0x18
	s_load_dword s22, s[0:1], 0x0
	s_movk_i32 s2, 0x1924
	scratch_store_dwordx2 off, v[6:7], s2   ; 8-byte Folded Spill
	s_waitcnt lgkmcnt(0)
	v_mul_lo_u32 v1, s5, v6
	v_mul_lo_u32 v3, s4, v7
	v_mad_u64_u32 v[6:7], s[2:3], s4, v6, 0
	v_mov_b32_e32 v4, s12
	v_mov_b32_e32 v5, s13
	v_add3_u32 v7, v7, v3, v1
	v_and_b32_e32 v3, 0x3ff, v0
	s_add_i32 s18, s16, s16
	v_lshl_add_u64 v[4:5], v[6:7], 2, v[4:5]
	v_add_u32_e32 v6, s18, v3
	v_add_u32_e32 v8, s16, v6
	;; [unrolled: 1-line block ×28, first 2 shown]
	v_lshl_add_u64 v[64:65], s[14:15], 2, v[4:5]
	v_lshlrev_b32_e32 v0, 2, v3
	v_mov_b32_e32 v1, 0
	v_ashrrev_i32_e32 v61, 31, v60
	v_add_u32_e32 v62, s16, v60
	v_lshl_add_u64 v[4:5], v[64:65], 0, v[0:1]
	v_lshl_add_u64 v[60:61], v[60:61], 2, v[64:65]
	v_ashrrev_i32_e32 v63, 31, v62
	global_load_dword v74, v[4:5], off
	v_lshl_add_u64 v[62:63], v[62:63], 2, v[64:65]
	global_load_dword v68, v[60:61], off
	global_load_dword v69, v[62:63], off
	s_max_i32 s2, s22, 31
	v_mul_lo_u32 v2, s2, v2
	s_ashr_i32 s17, s16, 31
	v_lshl_add_u32 v66, v2, 2, 0
	v_ashrrev_i32_e32 v9, 31, v8
	v_ashrrev_i32_e32 v11, 31, v10
	;; [unrolled: 1-line block ×5, first 2 shown]
	v_add_u32_e32 v0, v66, v0
	v_lshl_add_u64 v[8:9], v[8:9], 2, v[64:65]
	v_lshl_add_u64 v[10:11], v[10:11], 2, v[64:65]
	;; [unrolled: 1-line block ×5, first 2 shown]
	v_ashrrev_i32_e32 v17, 31, v16
	s_load_dwordx2 s[4:5], s[0:1], 0x40
	v_ashrrev_i32_e32 v23, 31, v22
	v_ashrrev_i32_e32 v25, 31, v24
	;; [unrolled: 1-line block ×12, first 2 shown]
	s_movk_i32 s0, 0x192c
	v_lshl_add_u64 v[6:7], v[6:7], 2, v[64:65]
	v_lshl_add_u64 v[16:17], v[16:17], 2, v[64:65]
                                        ; kill: killed $vgpr8_vgpr9
                                        ; kill: killed $vgpr10_vgpr11
                                        ; kill: killed $vgpr12_vgpr13
                                        ; kill: killed $vgpr14_vgpr15
	v_ashrrev_i32_e32 v19, 31, v18
	v_ashrrev_i32_e32 v21, 31, v20
	;; [unrolled: 1-line block ×9, first 2 shown]
                                        ; kill: killed $vgpr6_vgpr7
                                        ; kill: killed $vgpr4_vgpr5
                                        ; kill: killed $vgpr60_vgpr61
	s_cmp_lt_i32 s22, 2
                                        ; kill: killed $vgpr62_vgpr63
	s_waitcnt vmcnt(2)
	v_mov_b32_e32 v60, v74
	s_waitcnt vmcnt(0)
	scratch_store_dwordx2 off, v[68:69], off offset:136 ; 8-byte Folded Spill
	global_load_dword v115, v[4:5], off
	global_load_dword v72, v[6:7], off
	;; [unrolled: 1-line block ×4, first 2 shown]
	s_nop 0
	global_load_dword v69, v[12:13], off
	global_load_dword v68, v[14:15], off
	;; [unrolled: 1-line block ×3, first 2 shown]
	ds_write_b32 v0, v74
	v_lshl_add_u64 v[8:9], v[22:23], 2, v[64:65]
	v_lshl_add_u64 v[10:11], v[24:25], 2, v[64:65]
	;; [unrolled: 1-line block ×12, first 2 shown]
	scratch_store_dwordx2 off, v[64:65], s0 ; 8-byte Folded Spill
	v_lshl_add_u64 v[4:5], v[18:19], 2, v[64:65]
	v_lshl_add_u64 v[6:7], v[20:21], 2, v[64:65]
	;; [unrolled: 1-line block ×9, first 2 shown]
	global_load_dword v58, v[36:37], off
	global_load_dword v47, v[38:39], off
	;; [unrolled: 1-line block ×15, first 2 shown]
                                        ; kill: killed $vgpr38_vgpr39
                                        ; kill: killed $vgpr20_vgpr21
                                        ; kill: killed $vgpr40_vgpr41
                                        ; kill: killed $vgpr22_vgpr23
                                        ; kill: killed $vgpr4_vgpr5
                                        ; kill: killed $vgpr42_vgpr43
                                        ; kill: killed $vgpr6_vgpr7
                                        ; kill: killed $vgpr44_vgpr45
                                        ; kill: killed $vgpr8_vgpr9
                                        ; kill: killed $vgpr10_vgpr11
                                        ; kill: killed $vgpr12_vgpr13
                                        ; kill: killed $vgpr14_vgpr15
                                        ; kill: killed $vgpr16_vgpr17
                                        ; kill: killed $vgpr36_vgpr37
                                        ; kill: killed $vgpr18_vgpr19
	global_load_dword v42, v[24:25], off
	global_load_dword v41, v[26:27], off
	;; [unrolled: 1-line block ×6, first 2 shown]
	v_lshlrev_b32_e32 v0, 2, v2
	s_movk_i32 s0, 0x1018
	s_waitcnt lgkmcnt(0)
	s_barrier
	scratch_store_dword off, v0, s0         ; 4-byte Folded Spill
	ds_read_b32 v0, v66
                                        ; kill: killed $vgpr24_vgpr25
                                        ; kill: killed $vgpr26_vgpr27
                                        ; kill: killed $vgpr28_vgpr29
                                        ; kill: killed $vgpr30_vgpr31
                                        ; kill: killed $vgpr32_vgpr33
                                        ; kill: killed $vgpr34_vgpr35
	s_cbranch_scc1 .LBB60_6
; %bb.4:
	scratch_load_dword v1, off, s0          ; 4-byte Folded Reload
	s_mov_b32 s0, 1
	s_waitcnt vmcnt(0)
	v_add3_u32 v2, v1, 0, 4
	v_mov_b32_e32 v1, 0
.LBB60_5:                               ; =>This Inner Loop Header: Depth=1
	ds_read_b32 v4, v2
	v_mov_b32_e32 v5, s0
	s_add_i32 s0, s0, 1
	v_add_u32_e32 v2, 4, v2
	s_cmp_eq_u32 s22, s0
	s_waitcnt lgkmcnt(0)
	v_cmp_lt_f32_e64 vcc, |v0|, |v4|
	s_nop 1
	v_cndmask_b32_e32 v0, v0, v4, vcc
	v_cndmask_b32_e32 v1, v1, v5, vcc
	s_cbranch_scc0 .LBB60_5
.LBB60_6:
	v_cmp_ne_u32_e32 vcc, v3, v1
                                        ; implicit-def: $vgpr44
	s_and_saveexec_b64 s[0:1], vcc
	s_xor_b64 s[0:1], exec, s[0:1]
	s_cbranch_execz .LBB60_12
; %bb.7:
	v_cmp_eq_u32_e32 vcc, 0, v3
	s_and_saveexec_b64 s[2:3], vcc
	s_cbranch_execz .LBB60_11
; %bb.8:
	v_cmp_ne_u32_e32 vcc, 0, v1
	s_xor_b64 s[12:13], s[20:21], -1
	s_and_b64 s[14:15], s[12:13], vcc
	s_and_saveexec_b64 s[12:13], s[14:15]
	s_cbranch_execz .LBB60_10
; %bb.9:
	s_movk_i32 s14, 0x159c
	scratch_load_dwordx2 v[6:7], off, s14   ; 8-byte Folded Reload
	v_ashrrev_i32_e32 v3, 31, v1
	v_mov_b32_e32 v2, v1
	s_waitcnt vmcnt(0)
	v_lshl_add_u64 v[2:3], v[2:3], 2, v[6:7]
	global_load_dword v4, v[2:3], off
	global_load_dword v5, v[6:7], off
	s_waitcnt vmcnt(1)
	global_store_dword v[6:7], v4, off
	s_waitcnt vmcnt(1)
	global_store_dword v[2:3], v5, off
.LBB60_10:
	s_or_b64 exec, exec, s[12:13]
	v_mov_b32_e32 v3, v1
.LBB60_11:
	s_or_b64 exec, exec, s[2:3]
	v_mov_b32_e32 v44, v3
                                        ; implicit-def: $vgpr3
.LBB60_12:
	s_or_saveexec_b64 s[0:1], s[0:1]
	scratch_store_dword off, v44, off offset:3860 ; 4-byte Folded Spill
	s_xor_b64 exec, exec, s[0:1]
	s_cbranch_execz .LBB60_14
; %bb.13:
	s_waitcnt vmcnt(29)
	ds_write2_b32 v66, v115, v72 offset0:1 offset1:2
	s_waitcnt vmcnt(27)
	ds_write2_b32 v66, v71, v70 offset0:3 offset1:4
	;; [unrolled: 2-line block ×12, first 2 shown]
	ds_write2_b32 v66, v47, v56 offset0:25 offset1:26
	ds_write2_b32 v66, v49, v252 offset0:27 offset1:28
	scratch_load_dwordx2 v[4:5], off, off offset:136 ; 8-byte Folded Reload
	v_mov_b32_e32 v44, 0
	scratch_store_dword off, v3, off offset:3860 ; 4-byte Folded Spill
	s_waitcnt vmcnt(1)
	ds_write2_b32 v66, v4, v5 offset0:29 offset1:30
.LBB60_14:
	s_or_b64 exec, exec, s[0:1]
	s_waitcnt lgkmcnt(0)
	v_cmp_eq_f32_e64 s[0:1], 0, v0
	v_cmp_gt_i32_e32 vcc, 1, v44
	s_barrier
	s_and_saveexec_b64 s[2:3], vcc
	s_xor_b64 s[2:3], exec, s[2:3]
; %bb.15:
                                        ; implicit-def: $vgpr0
; %bb.16:
	s_andn2_saveexec_b64 s[2:3], s[2:3]
	s_cbranch_execz .LBB60_18
; %bb.17:
	v_div_scale_f32 v1, s[12:13], v0, v0, 1.0
	v_rcp_f32_e32 v30, v1
	v_mov_b32_e32 v38, v60
	s_waitcnt vmcnt(30)
	v_mov_b32_e32 v2, v115
	s_waitcnt vmcnt(29)
	v_mov_b32_e32 v3, v72
	v_fma_f32 v31, -v1, v30, 1.0
	v_fmac_f32_e32 v30, v31, v30
	v_div_scale_f32 v31, vcc, 1.0, v0, 1.0
	v_mul_f32_e32 v32, v31, v30
	v_fma_f32 v33, -v1, v32, v31
	v_fmac_f32_e32 v32, v33, v30
	v_fma_f32 v1, -v1, v32, v31
	v_div_fmas_f32 v1, v1, v30, v32
	v_div_fixup_f32 v1, v1, v0, 1.0
	v_cndmask_b32_e64 v34, v1, v0, s[0:1]
	ds_read2_b32 v[0:1], v66 offset0:1 offset1:2
	ds_read2_b32 v[30:31], v66 offset0:3 offset1:4
	ds_read2_b32 v[32:33], v66 offset0:5 offset1:6
	s_waitcnt vmcnt(28)
	v_mov_b32_e32 v4, v71
	s_waitcnt vmcnt(27)
	v_mov_b32_e32 v5, v70
	;; [unrolled: 2-line block ×4, first 2 shown]
	v_mul_f32_e32 v38, v38, v34
	ds_read2_b32 v[34:35], v66 offset0:7 offset1:8
	s_waitcnt vmcnt(4) lgkmcnt(3)
	v_pk_fma_f32 v[0:1], v[38:39], v[0:1], v[2:3] op_sel_hi:[0,1,1] neg_lo:[1,0,0] neg_hi:[1,0,0]
	s_waitcnt lgkmcnt(2)
	v_pk_fma_f32 v[2:3], v[38:39], v[30:31], v[4:5] op_sel_hi:[0,1,1] neg_lo:[1,0,0] neg_hi:[1,0,0]
	s_waitcnt lgkmcnt(1)
	v_pk_fma_f32 v[4:5], v[38:39], v[32:33], v[6:7] op_sel_hi:[0,1,1] neg_lo:[1,0,0] neg_hi:[1,0,0]
	ds_read2_b32 v[6:7], v66 offset0:9 offset1:10
	ds_read2_b32 v[30:31], v66 offset0:11 offset1:12
	;; [unrolled: 1-line block ×3, first 2 shown]
	v_mov_b32_e32 v8, v67
	v_mov_b32_e32 v9, v54
	;; [unrolled: 1-line block ×8, first 2 shown]
	s_waitcnt lgkmcnt(3)
	v_pk_fma_f32 v[8:9], v[38:39], v[34:35], v[8:9] op_sel_hi:[0,1,1] neg_lo:[1,0,0] neg_hi:[1,0,0]
	ds_read2_b32 v[34:35], v66 offset0:15 offset1:16
	s_waitcnt lgkmcnt(3)
	v_pk_fma_f32 v[6:7], v[38:39], v[6:7], v[10:11] op_sel_hi:[0,1,1] neg_lo:[1,0,0] neg_hi:[1,0,0]
	s_waitcnt lgkmcnt(2)
	v_pk_fma_f32 v[10:11], v[38:39], v[30:31], v[12:13] op_sel_hi:[0,1,1] neg_lo:[1,0,0] neg_hi:[1,0,0]
	;; [unrolled: 2-line block ×3, first 2 shown]
	ds_read2_b32 v[14:15], v66 offset0:17 offset1:18
	ds_read2_b32 v[30:31], v66 offset0:19 offset1:20
	v_mov_b32_e32 v16, v53
	v_mov_b32_e32 v17, v46
	;; [unrolled: 1-line block ×6, first 2 shown]
	s_waitcnt vmcnt(3)
	v_mov_b32_e32 v23, v36
	s_waitcnt vmcnt(2)
	v_mov_b32_e32 v24, v37
	s_waitcnt lgkmcnt(2)
	v_pk_fma_f32 v[16:17], v[38:39], v[34:35], v[16:17] op_sel_hi:[0,1,1] neg_lo:[1,0,0] neg_hi:[1,0,0]
	ds_read2_b32 v[32:33], v66 offset0:21 offset1:22
	ds_read2_b32 v[34:35], v66 offset0:23 offset1:24
	s_waitcnt lgkmcnt(3)
	v_pk_fma_f32 v[14:15], v[38:39], v[14:15], v[18:19] op_sel_hi:[0,1,1] neg_lo:[1,0,0] neg_hi:[1,0,0]
	s_waitcnt lgkmcnt(2)
	v_pk_fma_f32 v[18:19], v[38:39], v[30:31], v[20:21] op_sel_hi:[0,1,1] neg_lo:[1,0,0] neg_hi:[1,0,0]
	ds_read2_b32 v[20:21], v66 offset0:25 offset1:26
	ds_read2_b32 v[30:31], v66 offset0:27 offset1:28
	;; [unrolled: 1-line block ×3, first 2 shown]
	v_mov_b32_e32 v26, v47
	v_mov_b32_e32 v27, v56
	;; [unrolled: 1-line block ×4, first 2 shown]
	s_waitcnt lgkmcnt(2)
	v_pk_fma_f32 v[20:21], v[38:39], v[20:21], v[26:27] op_sel_hi:[0,1,1] neg_lo:[1,0,0] neg_hi:[1,0,0]
	s_waitcnt lgkmcnt(1)
	v_pk_fma_f32 v[26:27], v[38:39], v[30:31], v[28:29] op_sel_hi:[0,1,1] neg_lo:[1,0,0] neg_hi:[1,0,0]
	scratch_load_dwordx2 v[28:29], off, off offset:136 ; 8-byte Folded Reload
	v_mov_b32_e32 v22, v39
	v_mov_b32_e32 v25, v58
	v_pk_fma_f32 v[22:23], v[38:39], v[32:33], v[22:23] op_sel_hi:[0,1,1] neg_lo:[1,0,0] neg_hi:[1,0,0]
	v_pk_fma_f32 v[24:25], v[38:39], v[34:35], v[24:25] op_sel_hi:[0,1,1] neg_lo:[1,0,0] neg_hi:[1,0,0]
	v_mov_b32_e32 v60, v38
	v_mov_b32_e32 v115, v0
	;; [unrolled: 1-line block ×26, first 2 shown]
	s_waitcnt vmcnt(0) lgkmcnt(0)
	v_pk_fma_f32 v[28:29], v[38:39], v[36:37], v[28:29] op_sel_hi:[0,1,1] neg_lo:[1,0,0] neg_hi:[1,0,0]
	v_mov_b32_e32 v39, v22
	v_mov_b32_e32 v36, v23
	;; [unrolled: 1-line block ×3, first 2 shown]
	scratch_store_dwordx2 off, v[28:29], off offset:136 ; 8-byte Folded Spill
.LBB60_18:
	s_or_b64 exec, exec, s[2:3]
	v_lshl_add_u32 v0, v44, 2, v66
	s_barrier
	s_waitcnt vmcnt(30)
	ds_write_b32 v0, v115
	s_waitcnt lgkmcnt(0)
	s_barrier
	ds_read_b32 v255, v66 offset:4
	s_mov_b32 s2, 2
	s_cmp_lt_i32 s22, 3
	v_mov_b32_e32 v0, 1
	scratch_store_dword off, v66, off offset:2960 ; 4-byte Folded Spill
	s_cbranch_scc1 .LBB60_21
; %bb.19:
	s_movk_i32 s3, 0x1018
	scratch_load_dword v0, off, s3          ; 4-byte Folded Reload
	s_waitcnt vmcnt(0)
	v_add3_u32 v1, v0, 0, 8
	v_mov_b32_e32 v0, 1
.LBB60_20:                              ; =>This Inner Loop Header: Depth=1
	ds_read_b32 v2, v1
	v_mov_b32_e32 v3, s2
	s_add_i32 s2, s2, 1
	v_add_u32_e32 v1, 4, v1
	s_cmp_lg_u32 s22, s2
	s_waitcnt lgkmcnt(0)
	v_cmp_lt_f32_e64 vcc, |v255|, |v2|
	s_nop 1
	v_cndmask_b32_e32 v255, v255, v2, vcc
	v_cndmask_b32_e32 v0, v0, v3, vcc
	s_cbranch_scc1 .LBB60_20
.LBB60_21:
	v_cmp_ne_u32_e32 vcc, v44, v0
	s_and_saveexec_b64 s[2:3], vcc
	s_xor_b64 s[2:3], exec, s[2:3]
	s_cbranch_execz .LBB60_27
; %bb.22:
	v_cmp_eq_u32_e32 vcc, 1, v44
	s_and_saveexec_b64 s[12:13], vcc
	s_cbranch_execz .LBB60_26
; %bb.23:
	v_cmp_ne_u32_e32 vcc, 1, v0
	s_xor_b64 s[14:15], s[20:21], -1
	s_and_b64 s[24:25], s[14:15], vcc
	s_and_saveexec_b64 s[14:15], s[24:25]
	s_cbranch_execz .LBB60_25
; %bb.24:
	s_movk_i32 s23, 0x159c
	scratch_load_dwordx2 v[6:7], off, s23   ; 8-byte Folded Reload
	v_ashrrev_i32_e32 v1, 31, v0
	s_waitcnt vmcnt(0)
	v_lshl_add_u64 v[2:3], v[0:1], 2, v[6:7]
	global_load_dword v1, v[2:3], off
	global_load_dword v4, v[6:7], off offset:4
	s_waitcnt vmcnt(1)
	global_store_dword v[6:7], v1, off offset:4
	s_waitcnt vmcnt(1)
	global_store_dword v[2:3], v4, off
.LBB60_25:
	s_or_b64 exec, exec, s[14:15]
	v_mov_b32_e32 v1, v0
	v_mov_b32_e32 v44, v0
	scratch_store_dword off, v1, off offset:3860 ; 4-byte Folded Spill
.LBB60_26:
	s_or_b64 exec, exec, s[12:13]
.LBB60_27:
	s_or_saveexec_b64 s[2:3], s[2:3]
	s_waitcnt vmcnt(7)
	v_mov_b32_e32 v133, v41
	v_mov_b32_e32 v95, v41
	;; [unrolled: 1-line block ×15, first 2 shown]
	s_waitcnt vmcnt(6)
	v_mov_b32_e32 v134, v40
	s_waitcnt vmcnt(5)
	v_mov_b32_e32 v135, v39
	v_mov_b32_e32 v208, v40
	;; [unrolled: 1-line block ×3, first 2 shown]
	s_waitcnt vmcnt(4)
	v_mov_b32_e32 v214, v36
	v_mov_b32_e32 v136, v36
	s_waitcnt vmcnt(3)
	v_mov_b32_e32 v215, v37
	v_mov_b32_e32 v137, v37
	v_mov_b32_e32 v138, v58
	v_mov_b32_e32 v139, v47
	v_mov_b32_e32 v140, v56
	scratch_store_dwordx4 off, v[30:33], off offset:528 ; 16-byte Folded Spill
	s_nop 0
	scratch_store_dwordx4 off, v[34:37], off offset:544 ; 16-byte Folded Spill
	scratch_store_dwordx4 off, v[38:41], off offset:560 ; 16-byte Folded Spill
	;; [unrolled: 1-line block ×7, first 2 shown]
	v_mov_b32_e32 v28, v252
	v_mov_b32_e32 v213, v115
	v_mov_b32_e32 v116, v72
	v_mov_b32_e32 v222, v72
	v_mov_b32_e32 v77, v71
	v_mov_b32_e32 v117, v71
	v_mov_b32_e32 v118, v70
	v_mov_b32_e32 v119, v69
	v_mov_b32_e32 v120, v68
	v_mov_b32_e32 v121, v67
	v_mov_b32_e32 v92, v70
	v_mov_b32_e32 v142, v252
	scratch_store_dwordx4 off, v[0:3], off offset:400 ; 16-byte Folded Spill
	s_nop 0
	scratch_store_dwordx4 off, v[4:7], off offset:416 ; 16-byte Folded Spill
	scratch_store_dwordx4 off, v[8:11], off offset:432 ; 16-byte Folded Spill
	;; [unrolled: 1-line block ×7, first 2 shown]
	scratch_load_dwordx2 v[0:1], off, off offset:136 ; 8-byte Folded Reload
	v_mov_b32_e32 v43, v49
	v_mov_b32_e32 v141, v49
	s_waitcnt vmcnt(0)
	v_mov_b32_e32 v143, v0
	v_mov_b32_e32 v144, v1
	scratch_store_dwordx4 off, v[114:117], off offset:8 ; 16-byte Folded Spill
	s_nop 0
	scratch_store_dwordx4 off, v[118:121], off offset:24 ; 16-byte Folded Spill
	scratch_store_dwordx4 off, v[122:125], off offset:40 ; 16-byte Folded Spill
	;; [unrolled: 1-line block ×7, first 2 shown]
	s_xor_b64 exec, exec, s[2:3]
	s_cbranch_execz .LBB60_29
; %bb.28:
	scratch_load_dword v0, off, off offset:2960 ; 4-byte Folded Reload
	v_mov_b32_e32 v44, 1
	s_waitcnt vmcnt(0)
	ds_write2_b32 v0, v222, v77 offset0:2 offset1:3
	ds_write2_b32 v0, v92, v69 offset0:4 offset1:5
	;; [unrolled: 1-line block ×12, first 2 shown]
	scratch_load_dwordx4 v[2:5], off, off offset:528 ; 16-byte Folded Reload
	scratch_load_dwordx4 v[6:9], off, off offset:544 ; 16-byte Folded Reload
	;; [unrolled: 1-line block ×8, first 2 shown]
	s_waitcnt vmcnt(1)
	ds_write2_b32 v0, v28, v43 offset0:26 offset1:27
	scratch_load_dwordx2 v[2:3], off, off offset:136 ; 8-byte Folded Reload
	scratch_load_dwordx4 v[110:113], off, off offset:400 ; 16-byte Folded Reload
	scratch_load_dwordx4 v[114:117], off, off offset:416 ; 16-byte Folded Reload
	;; [unrolled: 1-line block ×8, first 2 shown]
	s_waitcnt vmcnt(0)
	ds_write2_b32 v0, v138, v2 offset0:28 offset1:29
	ds_write_b32 v0, v3 offset:120
.LBB60_29:
	s_or_b64 exec, exec, s[2:3]
	s_movk_i32 s2, 0x1624
	scratch_store_dword off, v44, off offset:4 ; 4-byte Folded Spill
	scratch_store_dwordx4 off, v[22:25], s2 ; 16-byte Folded Spill
	s_nop 0
	scratch_store_dwordx4 off, v[26:29], s2 offset:16 ; 16-byte Folded Spill
	scratch_store_dwordx4 off, v[30:33], s2 offset:32 ; 16-byte Folded Spill
	;; [unrolled: 1-line block ×7, first 2 shown]
	scratch_load_dwordx4 v[142:145], off, off offset:8 ; 16-byte Folded Reload
	scratch_load_dwordx4 v[146:149], off, off offset:24 ; 16-byte Folded Reload
	;; [unrolled: 1-line block ×8, first 2 shown]
	v_mov_b32_e32 v13, v69
	v_mov_b32_e32 v12, v92
	v_mov_b32_e32 v75, v213
	v_mov_b32_e32 v9, v213
	v_mov_b32_e32 v10, v222
	v_mov_b32_e32 v11, v77
	v_mov_b32_e32 v6, v68
	v_mov_b32_e32 v5, v69
	v_mov_b32_e32 v76, v222
	v_mov_b32_e32 v29, v213
	v_mov_b32_e32 v30, v222
	v_mov_b32_e32 v31, v77
	v_mov_b32_e32 v32, v92
	v_mov_b32_e32 v221, v213
	v_mov_b32_e32 v14, v6
	v_mov_b32_e32 v15, v67
	v_mov_b32_e32 v89, v213
	v_mov_b32_e32 v90, v222
	v_mov_b32_e32 v91, v77
	v_mov_b32_e32 v1, v213
	v_mov_b32_e32 v2, v222
	v_mov_b32_e32 v3, v77
	v_mov_b32_e32 v4, v92
	v_mov_b32_e32 v66, v6
	v_mov_b32_e32 v7, v67
	v_mov_b32_e32 v183, v67
	v_mov_b32_e32 v217, v213
	s_movk_i32 s2, 0x141c
	s_movk_i32 s12, 0x149c
	scratch_store_dwordx4 off, v[34:37], off offset:656 ; 16-byte Folded Spill
	s_nop 0
	scratch_store_dwordx4 off, v[38:41], off offset:672 ; 16-byte Folded Spill
	scratch_store_dwordx4 off, v[42:45], off offset:688 ; 16-byte Folded Spill
	;; [unrolled: 1-line block ×7, first 2 shown]
	s_nop 1
	v_mov_b32_e32 v65, v69
	v_mov_b32_e32 v34, v6
	v_mov_b32_e32 v35, v67
	s_waitcnt vmcnt(12)
	v_mov_b64_e32 v[238:239], v[156:157]
	v_mov_b64_e32 v[224:225], v[142:143]
	v_mov_b32_e32 v74, v224
	v_mov_b32_e32 v8, v224
	v_mov_b64_e32 v[72:73], v[12:13]
	v_mov_b32_e32 v212, v224
	v_mov_b32_e32 v220, v224
	v_mov_b64_e32 v[70:71], v[10:11]
	v_mov_b64_e32 v[68:69], v[8:9]
	v_mov_b32_e32 v28, v224
	v_mov_b32_e32 v33, v73
	v_mov_b64_e32 v[22:23], v[74:75]
	v_mov_b64_e32 v[20:21], v[212:213]
	;; [unrolled: 1-line block ×9, first 2 shown]
	s_waitcnt vmcnt(9)
	v_mov_b64_e32 v[250:251], v[168:169]
	s_waitcnt vmcnt(8)
	v_mov_b32_e32 v254, v172
	v_mov_b32_e32 v88, v224
	;; [unrolled: 1-line block ×4, first 2 shown]
	v_mov_b64_e32 v[248:249], v[166:167]
	v_mov_b64_e32 v[246:247], v[164:165]
	;; [unrolled: 1-line block ×5, first 2 shown]
	v_mov_b32_e32 v253, v171
	v_mov_b32_e32 v252, v170
	;; [unrolled: 1-line block ×24, first 2 shown]
	v_mov_b64_e32 v[86:87], v[36:37]
	v_mov_b32_e32 v124, v38
	v_mov_b64_e32 v[136:137], v[38:39]
	v_mov_b64_e32 v[84:85], v[34:35]
	;; [unrolled: 1-line block ×5, first 2 shown]
	v_mov_b32_e32 v123, v37
	v_mov_b32_e32 v122, v36
	;; [unrolled: 1-line block ×10, first 2 shown]
	v_mov_b64_e32 v[134:135], v[36:37]
	v_mov_b64_e32 v[132:133], v[34:35]
	;; [unrolled: 1-line block ×5, first 2 shown]
	v_mov_b32_e32 v26, v220
	v_mov_b64_e32 v[34:35], v[12:13]
	v_mov_b32_e32 v76, v16
	v_mov_b32_e32 v27, v221
	;; [unrolled: 1-line block ×3, first 2 shown]
	v_mov_b64_e32 v[30:31], v[8:9]
	v_mov_b32_e32 v75, v15
	v_mov_b32_e32 v74, v14
	v_mov_b32_e32 v73, v13
	v_mov_b32_e32 v72, v12
	v_mov_b32_e32 v71, v11
	v_mov_b32_e32 v70, v10
	v_mov_b32_e32 v69, v9
	v_mov_b32_e32 v68, v8
	v_mov_b64_e32 v[16:17], v[22:23]
	v_mov_b32_e32 v146, v28
	v_mov_b64_e32 v[32:33], v[10:11]
	v_mov_b32_e32 v149, v35
	v_mov_b32_e32 v152, v54
	;; [unrolled: 1-line block ×5, first 2 shown]
	v_mov_b64_e32 v[96:97], v[144:145]
	v_mov_b32_e32 v171, v55
	v_mov_b64_e32 v[18:19], v[24:25]
	v_mov_b64_e32 v[22:23], v[30:31]
	v_mov_b32_e32 v54, v88
	v_mov_b64_e32 v[98:99], v[146:147]
	v_mov_b64_e32 v[100:101], v[148:149]
	;; [unrolled: 1-line block ×5, first 2 shown]
	v_mov_b32_e32 v160, v28
	v_mov_b64_e32 v[24:25], v[32:33]
	v_mov_b64_e32 v[26:27], v[34:35]
	v_mov_b32_e32 v34, v6
	v_mov_b32_e32 v146, v76
	;; [unrolled: 1-line block ×22, first 2 shown]
	v_mov_b64_e32 v[72:73], v[26:27]
	v_mov_b32_e32 v154, v34
	v_mov_b32_e32 v94, v58
	;; [unrolled: 1-line block ×10, first 2 shown]
	v_mov_b64_e32 v[70:71], v[24:25]
	v_mov_b64_e32 v[68:69], v[22:23]
	v_mov_b32_e32 v153, v33
	v_mov_b32_e32 v152, v32
	;; [unrolled: 1-line block ×6, first 2 shown]
	v_mov_b64_e32 v[22:23], v[78:79]
	v_mov_b32_e32 v178, v38
	v_mov_b32_e32 v179, v19
	;; [unrolled: 1-line block ×5, first 2 shown]
	v_mov_b64_e32 v[24:25], v[80:81]
	v_mov_b64_e32 v[26:27], v[82:83]
	v_mov_b64_e32 v[28:29], v[84:85]
	v_mov_b64_e32 v[30:31], v[86:87]
	v_mov_b32_e32 v13, v171
	v_mov_b32_e32 v181, v73
	scratch_store_dwordx4 off, v[148:151], off offset:144 ; 16-byte Folded Spill
	s_nop 0
	scratch_store_dwordx4 off, v[152:155], off offset:160 ; 16-byte Folded Spill
	scratch_store_dwordx4 off, v[156:159], off offset:176 ; 16-byte Folded Spill
	;; [unrolled: 1-line block ×8, first 2 shown]
	s_nop 0
	scratch_store_dwordx4 off, v[64:67], off offset:2848 ; 16-byte Folded Spill
	scratch_store_dwordx4 off, v[68:71], off offset:2864 ; 16-byte Folded Spill
	;; [unrolled: 1-line block ×7, first 2 shown]
	v_mov_b32_e32 v4, v58
	v_mov_b32_e32 v180, v58
	;; [unrolled: 1-line block ×13, first 2 shown]
	scratch_store_dwordx4 off, v[58:61], off offset:3604 ; 16-byte Folded Spill
	s_nop 0
	scratch_store_dwordx4 off, v[62:65], off offset:3620 ; 16-byte Folded Spill
	scratch_store_dwordx4 off, v[66:69], off offset:3636 ; 16-byte Folded Spill
	;; [unrolled: 1-line block ×7, first 2 shown]
	v_mov_b32_e32 v8, v220
	v_mov_b32_e32 v9, v221
	;; [unrolled: 1-line block ×19, first 2 shown]
	v_mov_b64_e32 v[202:203], v[136:137]
	v_mov_b32_e32 v10, v222
	v_mov_b64_e32 v[200:201], v[134:135]
	v_mov_b64_e32 v[198:199], v[132:133]
	;; [unrolled: 1-line block ×6, first 2 shown]
	v_mov_b32_e32 v2, v10
	v_mov_b32_e32 v10, v124
	;; [unrolled: 1-line block ×9, first 2 shown]
	v_mov_b64_e32 v[112:113], v[18:19]
	v_mov_b64_e32 v[148:149], v[10:11]
	v_mov_b32_e32 v152, v14
	v_mov_b64_e32 v[110:111], v[16:17]
	v_mov_b64_e32 v[146:147], v[8:9]
	v_mov_b64_e32 v[144:145], v[6:7]
	v_mov_b64_e32 v[142:143], v[4:5]
	v_mov_b64_e32 v[140:141], v[2:3]
	v_mov_b64_e32 v[138:139], v[0:1]
	v_mov_b32_e32 v151, v13
	v_mov_b32_e32 v150, v12
	v_mov_b32_e32 v187, v203
	v_mov_b32_e32 v206, v152
	v_mov_b32_e32 v182, v154
	v_mov_b32_e32 v186, v124
	v_mov_b32_e32 v189, v171
	v_mov_b32_e32 v205, v151
	v_mov_b32_e32 v204, v150
	v_mov_b32_e32 v219, v113
	v_mov_b32_e32 v220, v94
	v_mov_b64_e32 v[28:29], v[78:79]
	v_mov_b64_e32 v[30:31], v[80:81]
	;; [unrolled: 1-line block ×5, first 2 shown]
	scratch_store_dwordx4 off, v[28:31], off offset:3732 ; 16-byte Folded Spill
	s_nop 0
	scratch_store_dwordx4 off, v[32:35], off offset:3748 ; 16-byte Folded Spill
	scratch_store_dwordx4 off, v[36:39], off offset:3764 ; 16-byte Folded Spill
	;; [unrolled: 1-line block ×7, first 2 shown]
	v_mov_b64_e32 v[130:131], v[72:73]
	v_mov_b64_e32 v[76:77], v[158:159]
	v_mov_b32_e32 v63, v73
	v_mov_b64_e32 v[128:129], v[70:71]
	v_mov_b64_e32 v[126:127], v[68:69]
	v_mov_b32_e32 v65, v67
	v_mov_b32_e32 v68, v124
	v_mov_b32_e32 v69, v203
	v_mov_b64_e32 v[78:79], v[160:161]
	v_mov_b64_e32 v[80:81], v[162:163]
	v_mov_b64_e32 v[82:83], v[164:165]
	v_mov_b64_e32 v[84:85], v[166:167]
	v_mov_b64_e32 v[86:87], v[168:169]
	v_mov_b32_e32 v71, v89
	v_mov_b32_e32 v184, v66
	;; [unrolled: 1-line block ×3, first 2 shown]
	v_mov_b64_e32 v[160:161], v[130:131]
	v_mov_b64_e32 v[158:159], v[128:129]
	;; [unrolled: 1-line block ×3, first 2 shown]
	v_mov_b32_e32 v67, v37
	v_mov_b32_e32 v70, v50
	;; [unrolled: 1-line block ×4, first 2 shown]
	scratch_store_dwordx4 off, v[58:61], off offset:784 ; 16-byte Folded Spill
	s_nop 0
	scratch_store_dwordx4 off, v[62:65], off offset:800 ; 16-byte Folded Spill
	scratch_store_dwordx4 off, v[66:69], off offset:816 ; 16-byte Folded Spill
	;; [unrolled: 1-line block ×7, first 2 shown]
	scratch_load_dwordx4 v[0:3], off, off offset:144 ; 16-byte Folded Reload
	scratch_load_dwordx4 v[4:7], off, off offset:160 ; 16-byte Folded Reload
	;; [unrolled: 1-line block ×8, first 2 shown]
	v_mov_b64_e32 v[44:45], v[224:225]
	v_mov_b64_e32 v[46:47], v[226:227]
	;; [unrolled: 1-line block ×8, first 2 shown]
	v_mov_b32_e32 v227, v203
	v_mov_b32_e32 v216, v44
	v_mov_b64_e32 v[60:61], v[240:241]
	v_mov_b32_e32 v233, v41
	v_mov_b32_e32 v218, v40
	;; [unrolled: 1-line block ×5, first 2 shown]
	v_mov_b64_e32 v[62:63], v[242:243]
	v_mov_b64_e32 v[64:65], v[244:245]
	;; [unrolled: 1-line block ×5, first 2 shown]
	v_mov_b32_e32 v72, v252
	v_mov_b32_e32 v73, v253
	;; [unrolled: 1-line block ×4, first 2 shown]
	v_mov_b64_e32 v[172:173], v[86:87]
	s_waitcnt vmcnt(6)
	v_mov_b32_e32 v222, v6
	scratch_load_dwordx4 v[0:3], off, off offset:2832 ; 16-byte Folded Reload
	scratch_load_dwordx4 v[4:7], off, off offset:2848 ; 16-byte Folded Reload
	;; [unrolled: 1-line block ×8, first 2 shown]
	v_mov_b64_e32 v[170:171], v[84:85]
	v_mov_b64_e32 v[168:169], v[82:83]
	;; [unrolled: 1-line block ×6, first 2 shown]
	s_waitcnt vmcnt(6)
	v_mov_b32_e32 v223, v7
	scratch_load_dwordx4 v[0:3], off, off offset:3604 ; 16-byte Folded Reload
	scratch_load_dwordx4 v[4:7], off, off offset:3620 ; 16-byte Folded Reload
	;; [unrolled: 1-line block ×8, first 2 shown]
	s_waitcnt vmcnt(0)
	v_mov_b64_e32 v[24:25], v[192:193]
	v_mov_b64_e32 v[26:27], v[194:195]
	v_mov_b64_e32 v[28:29], v[196:197]
	v_mov_b64_e32 v[30:31], v[198:199]
	v_mov_b64_e32 v[32:33], v[200:201]
	v_mov_b64_e32 v[34:35], v[202:203]
	v_mov_b64_e32 v[202:203], v[148:149]
	v_mov_b64_e32 v[200:201], v[146:147]
	v_mov_b64_e32 v[198:199], v[144:145]
	v_mov_b64_e32 v[196:197], v[142:143]
	v_mov_b64_e32 v[194:195], v[140:141]
	v_mov_b64_e32 v[192:193], v[138:139]
	scratch_store_dwordx4 off, v[24:27], off offset:1808 ; 16-byte Folded Spill
	s_nop 0
	scratch_store_dwordx4 off, v[28:31], off offset:1824 ; 16-byte Folded Spill
	scratch_store_dwordx4 off, v[32:35], off offset:1840 ; 16-byte Folded Spill
	;; [unrolled: 1-line block ×8, first 2 shown]
	s_nop 0
	scratch_store_dwordx4 off, v[180:183], off offset:1440 ; 16-byte Folded Spill
	scratch_store_dwordx4 off, v[184:187], off offset:1456 ; 16-byte Folded Spill
	;; [unrolled: 1-line block ×7, first 2 shown]
	v_mov_b64_e32 v[12:13], v[228:229]
	v_mov_b32_e32 v17, v233
	v_mov_b32_e32 v14, v152
	;; [unrolled: 1-line block ×7, first 2 shown]
	v_mov_b64_e32 v[0:1], v[216:217]
	v_mov_b64_e32 v[2:3], v[218:219]
	;; [unrolled: 1-line block ×6, first 2 shown]
	scratch_load_dwordx4 v[216:219], off, off offset:784 ; 16-byte Folded Reload
	scratch_load_dwordx4 v[220:223], off, off offset:800 ; 16-byte Folded Reload
	;; [unrolled: 1-line block ×8, first 2 shown]
	s_waitcnt vmcnt(0)
	v_mov_b64_e32 v[250:251], v[70:71]
	v_mov_b64_e32 v[248:249], v[68:69]
	;; [unrolled: 1-line block ×3, first 2 shown]
	v_mov_b32_e32 v24, v44
	v_mov_b32_e32 v128, v40
	;; [unrolled: 1-line block ×4, first 2 shown]
	v_mov_b64_e32 v[244:245], v[64:65]
	v_mov_b64_e32 v[242:243], v[62:63]
	;; [unrolled: 1-line block ×3, first 2 shown]
	v_mov_b32_e32 v15, v191
	v_mov_b32_e32 v38, v206
	;; [unrolled: 1-line block ×5, first 2 shown]
	v_mov_b64_e32 v[138:139], v[216:217]
	v_mov_b64_e32 v[140:141], v[218:219]
	;; [unrolled: 1-line block ×8, first 2 shown]
	v_mov_b32_e32 v154, v232
	v_mov_b32_e32 v16, v232
	v_mov_b64_e32 v[238:239], v[58:59]
	v_mov_b64_e32 v[236:237], v[56:57]
	;; [unrolled: 1-line block ×10, first 2 shown]
	scratch_store_dwordx4 off, v[126:129], s2 ; 16-byte Folded Spill
	s_nop 0
	scratch_store_dwordx4 off, v[130:133], s2 offset:16 ; 16-byte Folded Spill
	scratch_store_dwordx4 off, v[134:137], s2 offset:32 ; 16-byte Folded Spill
	;; [unrolled: 1-line block ×7, first 2 shown]
	scratch_store_dwordx4 off, v[44:47], off offset:3220 ; 16-byte Folded Spill
	s_nop 0
	scratch_store_dwordx4 off, v[48:51], off offset:3236 ; 16-byte Folded Spill
	scratch_store_dwordx4 off, v[52:55], off offset:3252 ; 16-byte Folded Spill
	;; [unrolled: 1-line block ×8, first 2 shown]
	s_nop 0
	scratch_store_dwordx4 off, v[94:97], off offset:3108 ; 16-byte Folded Spill
	scratch_store_dwordx4 off, v[98:101], off offset:3124 ; 16-byte Folded Spill
	;; [unrolled: 1-line block ×7, first 2 shown]
	scratch_load_dwordx4 v[48:51], off, off offset:144 ; 16-byte Folded Reload
	scratch_load_dwordx4 v[52:55], off, off offset:160 ; 16-byte Folded Reload
	;; [unrolled: 1-line block ×8, first 2 shown]
	v_mov_b64_e32 v[18:19], v[156:157]
	v_mov_b32_e32 v27, v47
	v_mov_b32_e32 v36, v108
	;; [unrolled: 1-line block ×3, first 2 shown]
	s_waitcnt vmcnt(6)
	v_mov_b32_e32 v30, v54
	scratch_load_dwordx4 v[48:51], off, off offset:2832 ; 16-byte Folded Reload
	scratch_load_dwordx4 v[52:55], off, off offset:2848 ; 16-byte Folded Reload
	;; [unrolled: 1-line block ×16, first 2 shown]
	v_mov_b64_e32 v[20:21], v[158:159]
	v_mov_b64_e32 v[22:23], v[160:161]
	v_mov_b32_e32 v130, v94
	v_mov_b32_e32 v131, v23
	;; [unrolled: 1-line block ×6, first 2 shown]
	s_waitcnt vmcnt(14)
	v_mov_b32_e32 v31, v55
	s_waitcnt vmcnt(5)
	v_mov_b32_e32 v32, v66
	scratch_load_dwordx4 v[58:61], off, off offset:3732 ; 16-byte Folded Reload
	scratch_load_dwordx4 v[62:65], off, off offset:3748 ; 16-byte Folded Reload
	;; [unrolled: 1-line block ×8, first 2 shown]
	s_nop 0
	scratch_store_dwordx4 off, v[96:99], off offset:1680 ; 16-byte Folded Spill
	s_nop 0
	scratch_store_dwordx4 off, v[100:103], off offset:1696 ; 16-byte Folded Spill
	scratch_store_dwordx4 off, v[104:107], off offset:1712 ; 16-byte Folded Spill
	scratch_store_dwordx4 off, v[108:111], off offset:1728 ; 16-byte Folded Spill
	scratch_store_dwordx4 off, v[112:115], off offset:1744 ; 16-byte Folded Spill
	scratch_store_dwordx4 off, v[116:119], off offset:1760 ; 16-byte Folded Spill
	scratch_store_dwordx4 off, v[120:123], off offset:1776 ; 16-byte Folded Spill
	scratch_store_dwordx4 off, v[124:127], off offset:1792 ; 16-byte Folded Spill
	scratch_store_dwordx4 off, v[162:165], off offset:1552 ; 16-byte Folded Spill
	s_nop 0
	scratch_store_dwordx4 off, v[166:169], off offset:1568 ; 16-byte Folded Spill
	scratch_store_dwordx4 off, v[170:173], off offset:1584 ; 16-byte Folded Spill
	scratch_store_dwordx4 off, v[174:177], off offset:1600 ; 16-byte Folded Spill
	scratch_store_dwordx4 off, v[178:181], off offset:1616 ; 16-byte Folded Spill
	scratch_store_dwordx4 off, v[182:185], off offset:1632 ; 16-byte Folded Spill
	scratch_store_dwordx4 off, v[186:189], off offset:1648 ; 16-byte Folded Spill
	scratch_store_dwordx4 off, v[190:193], off offset:1664 ; 16-byte Folded Spill
	;; [unrolled: 9-line block ×3, first 2 shown]
	s_waitcnt vmcnt(29)
	v_mov_b32_e32 v33, v67
	scratch_load_dwordx4 v[44:47], off, off offset:144 ; 16-byte Folded Reload
	scratch_load_dwordx4 v[48:51], off, off offset:160 ; 16-byte Folded Reload
	;; [unrolled: 1-line block ×8, first 2 shown]
	v_mov_b32_e32 v39, v191
	v_mov_b64_e32 v[170:171], v[152:153]
	v_mov_b64_e32 v[176:177], v[224:225]
	;; [unrolled: 1-line block ×9, first 2 shown]
	v_mov_b32_e32 v145, v95
	v_mov_b32_e32 v126, v176
	;; [unrolled: 1-line block ×3, first 2 shown]
	v_mov_b64_e32 v[178:179], v[226:227]
	v_mov_b64_e32 v[180:181], v[228:229]
	;; [unrolled: 1-line block ×10, first 2 shown]
	v_mov_b32_e32 v229, v155
	v_mov_b32_e32 v127, v213
	;; [unrolled: 1-line block ×4, first 2 shown]
	s_waitcnt vmcnt(6)
	v_mov_b32_e32 v132, v50
	scratch_load_dwordx4 v[44:47], off, off offset:2832 ; 16-byte Folded Reload
	scratch_load_dwordx4 v[48:51], off, off offset:2848 ; 16-byte Folded Reload
	;; [unrolled: 1-line block ×8, first 2 shown]
	s_waitcnt vmcnt(6)
	v_mov_b32_e32 v133, v51
	scratch_load_dwordx4 v[44:47], off, off offset:3604 ; 16-byte Folded Reload
	scratch_load_dwordx4 v[48:51], off, off offset:3620 ; 16-byte Folded Reload
	;; [unrolled: 1-line block ×16, first 2 shown]
	s_waitcnt vmcnt(13)
	v_mov_b32_e32 v134, v52
	s_waitcnt vmcnt(5)
	v_mov_b32_e32 v135, v67
	scratch_store_dwordx4 off, v[114:117], off offset:2448 ; 16-byte Folded Spill
	s_nop 0
	scratch_store_dwordx4 off, v[118:121], off offset:2464 ; 16-byte Folded Spill
	scratch_store_dwordx4 off, v[122:125], off offset:2480 ; 16-byte Folded Spill
	;; [unrolled: 1-line block ×7, first 2 shown]
	scratch_load_dwordx4 v[78:81], off, off offset:1808 ; 16-byte Folded Reload
	scratch_load_dwordx4 v[82:85], off, off offset:1824 ; 16-byte Folded Reload
	;; [unrolled: 1-line block ×8, first 2 shown]
	v_mov_b32_e32 v142, v172
	v_mov_b32_e32 v144, v42
	;; [unrolled: 1-line block ×7, first 2 shown]
	s_waitcnt vmcnt(5)
	v_mov_b32_e32 v137, v89
	scratch_load_dwordx4 v[78:81], off, off offset:1680 ; 16-byte Folded Reload
	scratch_load_dwordx4 v[82:85], off, off offset:1696 ; 16-byte Folded Reload
	scratch_load_dwordx4 v[86:89], off, off offset:1712 ; 16-byte Folded Reload
	scratch_load_dwordx4 v[90:93], off, off offset:1728 ; 16-byte Folded Reload
	scratch_load_dwordx4 v[94:97], off, off offset:1744 ; 16-byte Folded Reload
	scratch_load_dwordx4 v[98:101], off, off offset:1760 ; 16-byte Folded Reload
	scratch_load_dwordx4 v[102:105], off, off offset:1776 ; 16-byte Folded Reload
	scratch_load_dwordx4 v[106:109], off, off offset:1792 ; 16-byte Folded Reload
	s_waitcnt vmcnt(4)
	v_mov_b32_e32 v138, v90
	scratch_load_dwordx4 v[78:81], off, off offset:1552 ; 16-byte Folded Reload
	scratch_load_dwordx4 v[82:85], off, off offset:1568 ; 16-byte Folded Reload
	scratch_load_dwordx4 v[86:89], off, off offset:1584 ; 16-byte Folded Reload
	scratch_load_dwordx4 v[90:93], off, off offset:1600 ; 16-byte Folded Reload
	scratch_load_dwordx4 v[94:97], off, off offset:1616 ; 16-byte Folded Reload
	scratch_load_dwordx4 v[98:101], off, off offset:1632 ; 16-byte Folded Reload
	scratch_load_dwordx4 v[102:105], off, off offset:1648 ; 16-byte Folded Reload
	scratch_load_dwordx4 v[106:109], off, off offset:1664 ; 16-byte Folded Reload
	;; [unrolled: 10-line block ×4, first 2 shown]
	s_waitcnt vmcnt(4)
	v_mov_b32_e32 v141, v93
	scratch_load_dwordx4 v[78:81], off, s2  ; 16-byte Folded Reload
	scratch_load_dwordx4 v[82:85], off, s2 offset:16 ; 16-byte Folded Reload
	scratch_load_dwordx4 v[86:89], off, s2 offset:32 ; 16-byte Folded Reload
	;; [unrolled: 1-line block ×7, first 2 shown]
	scratch_load_dwordx4 v[162:165], off, off offset:3220 ; 16-byte Folded Reload
	scratch_load_dwordx4 v[166:169], off, off offset:3236 ; 16-byte Folded Reload
	;; [unrolled: 1-line block ×16, first 2 shown]
	s_waitcnt vmcnt(12)
	v_mov_b32_e32 v174, v52
	s_movk_i32 s2, 0x101c
	v_mov_b32_e32 v173, v51
	v_mov_b32_e32 v172, v50
	;; [unrolled: 1-line block ×11, first 2 shown]
	scratch_load_dwordx4 v[68:71], off, off offset:144 ; 16-byte Folded Reload
	scratch_load_dwordx4 v[72:75], off, off offset:160 ; 16-byte Folded Reload
	;; [unrolled: 1-line block ×8, first 2 shown]
	v_mov_b32_e32 v227, v165
	s_waitcnt vmcnt(14)
	v_mov_b32_e32 v228, v180
	v_mov_b32_e32 v165, v209
	s_waitcnt vmcnt(6)
	v_mov_b32_e32 v230, v74
	scratch_load_dwordx4 v[68:71], off, off offset:2832 ; 16-byte Folded Reload
	scratch_load_dwordx4 v[72:75], off, off offset:2848 ; 16-byte Folded Reload
	scratch_load_dwordx4 v[76:79], off, off offset:2864 ; 16-byte Folded Reload
	scratch_load_dwordx4 v[80:83], off, off offset:2880 ; 16-byte Folded Reload
	scratch_load_dwordx4 v[84:87], off, off offset:2896 ; 16-byte Folded Reload
	scratch_load_dwordx4 v[88:91], off, off offset:2912 ; 16-byte Folded Reload
	scratch_load_dwordx4 v[92:95], off, off offset:2928 ; 16-byte Folded Reload
	scratch_load_dwordx4 v[96:99], off, off offset:2944 ; 16-byte Folded Reload
	scratch_load_dwordx4 v[78:81], off, off offset:1808 ; 16-byte Folded Reload
	scratch_load_dwordx4 v[82:85], off, off offset:1824 ; 16-byte Folded Reload
	scratch_load_dwordx4 v[86:89], off, off offset:1840 ; 16-byte Folded Reload
	scratch_load_dwordx4 v[90:93], off, off offset:1856 ; 16-byte Folded Reload
	scratch_load_dwordx4 v[94:97], off, off offset:1872 ; 16-byte Folded Reload
	scratch_load_dwordx4 v[98:101], off, off offset:1888 ; 16-byte Folded Reload
	scratch_load_dwordx4 v[102:105], off, off offset:1904 ; 16-byte Folded Reload
	scratch_load_dwordx4 v[106:109], off, off offset:1920 ; 16-byte Folded Reload
	s_waitcnt vmcnt(14)
	v_mov_b32_e32 v231, v75
	s_waitcnt vmcnt(5)
	v_mov_b32_e32 v235, v89
	scratch_load_dwordx4 v[78:81], off, off offset:1680 ; 16-byte Folded Reload
	scratch_load_dwordx4 v[82:85], off, off offset:1696 ; 16-byte Folded Reload
	scratch_load_dwordx4 v[86:89], off, off offset:1712 ; 16-byte Folded Reload
	scratch_load_dwordx4 v[90:93], off, off offset:1728 ; 16-byte Folded Reload
	scratch_load_dwordx4 v[94:97], off, off offset:1744 ; 16-byte Folded Reload
	scratch_load_dwordx4 v[98:101], off, off offset:1760 ; 16-byte Folded Reload
	scratch_load_dwordx4 v[102:105], off, off offset:1776 ; 16-byte Folded Reload
	scratch_load_dwordx4 v[106:109], off, off offset:1792 ; 16-byte Folded Reload
	s_waitcnt vmcnt(4)
	v_mov_b32_e32 v236, v90
	scratch_load_dwordx4 v[78:81], off, off offset:1552 ; 16-byte Folded Reload
	scratch_load_dwordx4 v[82:85], off, off offset:1568 ; 16-byte Folded Reload
	scratch_load_dwordx4 v[86:89], off, off offset:1584 ; 16-byte Folded Reload
	scratch_load_dwordx4 v[90:93], off, off offset:1600 ; 16-byte Folded Reload
	scratch_load_dwordx4 v[94:97], off, off offset:1616 ; 16-byte Folded Reload
	scratch_load_dwordx4 v[98:101], off, off offset:1632 ; 16-byte Folded Reload
	scratch_load_dwordx4 v[102:105], off, off offset:1648 ; 16-byte Folded Reload
	scratch_load_dwordx4 v[106:109], off, off offset:1664 ; 16-byte Folded Reload
	;; [unrolled: 10-line block ×4, first 2 shown]
	s_waitcnt vmcnt(4)
	v_mov_b64_e32 v[190:191], v[92:93]
	v_mov_b64_e32 v[188:189], v[90:91]
	;; [unrolled: 1-line block ×8, first 2 shown]
	scratch_load_dwordx4 v[78:81], off, off offset:784 ; 16-byte Folded Reload
	scratch_load_dwordx4 v[82:85], off, off offset:800 ; 16-byte Folded Reload
	;; [unrolled: 1-line block ×8, first 2 shown]
	s_nop 0
	scratch_store_dwordx4 off, v[24:27], s2 ; 16-byte Folded Spill
	s_nop 0
	scratch_store_dwordx4 off, v[28:31], s2 offset:16 ; 16-byte Folded Spill
	scratch_store_dwordx4 off, v[32:35], s2 offset:32 ; 16-byte Folded Spill
	scratch_store_dwordx4 off, v[36:39], s2 offset:48 ; 16-byte Folded Spill
	scratch_store_dwordx4 off, v[40:43], s2 offset:64 ; 16-byte Folded Spill
	scratch_store_dwordx4 off, v[44:47], s2 offset:80 ; 16-byte Folded Spill
	scratch_store_dwordx4 off, v[48:51], s2 offset:96 ; 16-byte Folded Spill
	scratch_store_dwordx4 off, v[52:55], s2 offset:112 ; 16-byte Folded Spill
	s_movk_i32 s2, 0x119c
	scratch_store_dwordx4 off, v[0:3], s2   ; 16-byte Folded Spill
	s_nop 0
	scratch_store_dwordx4 off, v[4:7], s2 offset:16 ; 16-byte Folded Spill
	scratch_store_dwordx4 off, v[8:11], s2 offset:32 ; 16-byte Folded Spill
	;; [unrolled: 1-line block ×7, first 2 shown]
	s_movk_i32 s2, 0x109c
	scratch_store_dwordx4 off, v[126:129], s2 ; 16-byte Folded Spill
	s_nop 0
	scratch_store_dwordx4 off, v[130:133], s2 offset:16 ; 16-byte Folded Spill
	scratch_store_dwordx4 off, v[134:137], s2 offset:32 ; 16-byte Folded Spill
	;; [unrolled: 1-line block ×7, first 2 shown]
	s_movk_i32 s2, 0x141c
	scratch_load_dwordx4 v[0:3], off, off offset:8 ; 16-byte Folded Reload
	scratch_load_dwordx4 v[4:7], off, off offset:24 ; 16-byte Folded Reload
	;; [unrolled: 1-line block ×8, first 2 shown]
	scratch_load_dwordx4 v[58:61], off, s2  ; 16-byte Folded Reload
	scratch_load_dwordx4 v[62:65], off, s2 offset:16 ; 16-byte Folded Reload
	scratch_load_dwordx4 v[66:69], off, s2 offset:32 ; 16-byte Folded Reload
	;; [unrolled: 1-line block ×7, first 2 shown]
	s_movk_i32 s2, 0x139c
	s_waitcnt vmcnt(43)
	v_mov_b32_e32 v240, v94
	v_mov_b32_e32 v239, v191
	;; [unrolled: 1-line block ×4, first 2 shown]
	v_mov_b64_e32 v[36:37], v[150:151]
	v_mov_b64_e32 v[38:39], v[152:153]
	;; [unrolled: 1-line block ×3, first 2 shown]
	s_waitcnt vmcnt(7)
	v_mov_b32_e32 v146, v60
	scratch_load_dwordx4 v[58:61], off, off offset:3220 ; 16-byte Folded Reload
	scratch_load_dwordx4 v[62:65], off, off offset:3236 ; 16-byte Folded Reload
	;; [unrolled: 1-line block ×8, first 2 shown]
	v_mov_b32_e32 v144, v0
	s_waitcnt vmcnt(7)
	v_mov_b32_e32 v147, v61
	scratch_load_dwordx4 v[58:61], off, off offset:3092 ; 16-byte Folded Reload
	scratch_load_dwordx4 v[62:65], off, off offset:3108 ; 16-byte Folded Reload
	;; [unrolled: 1-line block ×8, first 2 shown]
	s_waitcnt vmcnt(6)
	v_mov_b32_e32 v148, v62
	scratch_store_dwordx4 off, v[36:39], s2 ; 16-byte Folded Spill
	s_nop 0
	scratch_store_dwordx4 off, v[40:43], s2 offset:16 ; 16-byte Folded Spill
	scratch_store_dwordx4 off, v[44:47], s2 offset:32 ; 16-byte Folded Spill
	;; [unrolled: 1-line block ×6, first 2 shown]
	s_waitcnt vmcnt(12)
	scratch_store_dwordx4 off, v[64:67], s2 offset:112 ; 16-byte Folded Spill
	scratch_load_dwordx4 v[60:63], off, off offset:144 ; 16-byte Folded Reload
	s_nop 0
	scratch_load_dwordx4 v[64:67], off, off offset:160 ; 16-byte Folded Reload
	scratch_load_dwordx4 v[68:71], off, off offset:176 ; 16-byte Folded Reload
	;; [unrolled: 1-line block ×15, first 2 shown]
	v_mov_b32_e32 v32, v166
	v_mov_b32_e32 v33, v167
	;; [unrolled: 1-line block ×9, first 2 shown]
	s_movk_i32 s2, 0x119c
	v_mov_b32_e32 v152, v40
	v_mov_b32_e32 v56, v40
	;; [unrolled: 1-line block ×3, first 2 shown]
	s_waitcnt vmcnt(14)
	v_mov_b32_e32 v150, v66
	s_waitcnt vmcnt(6)
	v_mov_b64_e32 v[48:49], v[68:69]
	v_mov_b64_e32 v[50:51], v[70:71]
	;; [unrolled: 1-line block ×4, first 2 shown]
	scratch_load_dwordx4 v[68:71], off, off offset:3732 ; 16-byte Folded Reload
	scratch_load_dwordx4 v[72:75], off, off offset:3748 ; 16-byte Folded Reload
	;; [unrolled: 1-line block ×8, first 2 shown]
	v_mov_b32_e32 v48, v0
	v_mov_b32_e32 v151, v55
	;; [unrolled: 1-line block ×5, first 2 shown]
	s_waitcnt vmcnt(5)
	v_mov_b32_e32 v153, v77
	scratch_load_dwordx4 v[68:71], off, off offset:2448 ; 16-byte Folded Reload
	scratch_load_dwordx4 v[72:75], off, off offset:2464 ; 16-byte Folded Reload
	;; [unrolled: 1-line block ×32, first 2 shown]
	s_waitcnt vmcnt(31)
	v_mov_b32_e32 v70, v214
	v_mov_b32_e32 v68, v244
	s_waitcnt vmcnt(29)
	v_mov_b32_e32 v154, v78
	s_waitcnt vmcnt(21)
	v_mov_b32_e32 v155, v91
	v_mov_b32_e32 v59, v91
	s_waitcnt vmcnt(5)
	v_mov_b64_e32 v[176:177], v[122:123]
	v_mov_b64_e32 v[174:175], v[120:121]
	;; [unrolled: 1-line block ×6, first 2 shown]
	s_waitcnt vmcnt(4)
	v_mov_b64_e32 v[178:179], v[124:125]
	scratch_load_dwordx4 v[112:115], off, off offset:1296 ; 16-byte Folded Reload
	scratch_load_dwordx4 v[116:119], off, off offset:1312 ; 16-byte Folded Reload
	;; [unrolled: 1-line block ×8, first 2 shown]
	v_mov_b32_e32 v110, v104
	v_mov_b64_e32 v[108:109], v[102:103]
	v_mov_b64_e32 v[106:107], v[100:101]
	;; [unrolled: 1-line block ×6, first 2 shown]
	v_mov_b32_e32 v156, v110
	v_mov_b32_e32 v157, v179
	s_waitcnt vmcnt(4)
	v_mov_b32_e32 v88, v124
	v_mov_b32_e32 v89, v125
	;; [unrolled: 1-line block ×3, first 2 shown]
	scratch_load_dwordx4 v[112:115], off, off offset:784 ; 16-byte Folded Reload
	scratch_load_dwordx4 v[116:119], off, off offset:800 ; 16-byte Folded Reload
	scratch_load_dwordx4 v[120:123], off, off offset:816 ; 16-byte Folded Reload
	scratch_load_dwordx4 v[124:127], off, off offset:832 ; 16-byte Folded Reload
	scratch_load_dwordx4 v[128:131], off, off offset:848 ; 16-byte Folded Reload
	scratch_load_dwordx4 v[132:135], off, off offset:864 ; 16-byte Folded Reload
	scratch_load_dwordx4 v[136:139], off, off offset:880 ; 16-byte Folded Reload
	scratch_load_dwordx4 v[140:143], off, off offset:896 ; 16-byte Folded Reload
	v_mov_b32_e32 v158, v90
	s_waitcnt vmcnt(3)
	v_mov_b32_e32 v160, v128
	scratch_load_dwordx4 v[112:115], off, s2 ; 16-byte Folded Reload
	scratch_load_dwordx4 v[116:119], off, s2 offset:16 ; 16-byte Folded Reload
	scratch_load_dwordx4 v[120:123], off, s2 offset:32 ; 16-byte Folded Reload
	;; [unrolled: 1-line block ×7, first 2 shown]
	s_movk_i32 s2, 0x101c
	scratch_load_dwordx4 v[180:183], off, s2 ; 16-byte Folded Reload
	scratch_load_dwordx4 v[184:187], off, s2 offset:16 ; 16-byte Folded Reload
	scratch_load_dwordx4 v[188:191], off, s2 offset:32 ; 16-byte Folded Reload
	;; [unrolled: 1-line block ×7, first 2 shown]
	s_movk_i32 s2, 0x109c
	s_waitcnt vmcnt(12)
	v_mov_b32_e32 v124, v66
	v_mov_b32_e32 v123, v65
	v_mov_b32_e32 v122, v64
	v_mov_b32_e32 v121, v63
	v_mov_b32_e32 v120, v62
	v_mov_b32_e32 v119, v61
	v_mov_b32_e32 v118, v60
	v_mov_b32_e32 v62, v90
	v_mov_b32_e32 v60, v110
	v_mov_b32_e32 v61, v179
	s_waitcnt vmcnt(10)
	v_mov_b32_e32 v134, v244
	v_mov_b32_e32 v161, v129
	s_waitcnt vmcnt(3)
	v_mov_b32_e32 v162, v198
	scratch_load_dwordx4 v[180:183], off, s2 ; 16-byte Folded Reload
	scratch_load_dwordx4 v[184:187], off, s2 offset:16 ; 16-byte Folded Reload
	scratch_load_dwordx4 v[188:191], off, s2 offset:32 ; 16-byte Folded Reload
	;; [unrolled: 1-line block ×7, first 2 shown]
	s_movk_i32 s2, 0x141c
	scratch_load_dwordx4 v[0:3], off, s2    ; 16-byte Folded Reload
	scratch_load_dwordx4 v[4:7], off, s2 offset:16 ; 16-byte Folded Reload
	scratch_load_dwordx4 v[8:11], off, s2 offset:32 ; 16-byte Folded Reload
	;; [unrolled: 1-line block ×7, first 2 shown]
	s_waitcnt vmcnt(12)
	v_mov_b64_e32 v[194:195], v[158:159]
	v_mov_b64_e32 v[192:193], v[156:157]
	;; [unrolled: 1-line block ×8, first 2 shown]
	s_movk_i32 s2, 0x119c
	s_waitcnt vmcnt(7)
	v_mov_b32_e32 v140, v2
	v_mov_b32_e32 v139, v1
	;; [unrolled: 1-line block ×3, first 2 shown]
	scratch_load_dwordx4 v[0:3], off, off offset:3220 ; 16-byte Folded Reload
	scratch_load_dwordx4 v[4:7], off, off offset:3236 ; 16-byte Folded Reload
	;; [unrolled: 1-line block ×8, first 2 shown]
	v_mov_b32_e32 v163, v199
	v_mov_b64_e32 v[200:201], v[164:165]
	v_mov_b64_e32 v[198:199], v[162:163]
	;; [unrolled: 1-line block ×5, first 2 shown]
	v_mov_b32_e32 v50, v140
	v_mov_b32_e32 v69, v201
	v_mov_b64_e32 v[162:163], v[170:171]
	v_mov_b64_e32 v[164:165], v[172:173]
	;; [unrolled: 1-line block ×4, first 2 shown]
	v_mov_b32_e32 v135, v201
	s_waitcnt vmcnt(7)
	v_mov_b32_e32 v51, v3
	scratch_load_dwordx4 v[0:3], off, off offset:3092 ; 16-byte Folded Reload
	scratch_load_dwordx4 v[4:7], off, off offset:3108 ; 16-byte Folded Reload
	;; [unrolled: 1-line block ×8, first 2 shown]
	s_waitcnt vmcnt(6)
	v_mov_b32_e32 v52, v4
	scratch_load_dwordx4 v[0:3], off, off offset:3732 ; 16-byte Folded Reload
	scratch_load_dwordx4 v[4:7], off, off offset:3748 ; 16-byte Folded Reload
	;; [unrolled: 1-line block ×8, first 2 shown]
	s_waitcnt vmcnt(5)
	v_mov_b64_e32 v[122:123], v[8:9]
	v_mov_b64_e32 v[120:121], v[6:7]
	;; [unrolled: 1-line block ×5, first 2 shown]
	scratch_load_dwordx4 v[8:11], off, off offset:2448 ; 16-byte Folded Reload
	scratch_load_dwordx4 v[12:15], off, off offset:2464 ; 16-byte Folded Reload
	;; [unrolled: 1-line block ×16, first 2 shown]
	v_mov_b32_e32 v57, v123
	v_mov_b32_e32 v2, v140
	s_waitcnt vmcnt(13)
	v_mov_b32_e32 v58, v18
	s_waitcnt vmcnt(4)
	v_mov_b64_e32 v[20:21], v[72:73]
	v_mov_b64_e32 v[22:23], v[74:75]
	;; [unrolled: 1-line block ×8, first 2 shown]
	scratch_load_dwordx4 v[72:75], off, off offset:784 ; 16-byte Folded Reload
	scratch_load_dwordx4 v[76:79], off, off offset:800 ; 16-byte Folded Reload
	scratch_load_dwordx4 v[80:83], off, off offset:816 ; 16-byte Folded Reload
	scratch_load_dwordx4 v[84:87], off, off offset:832 ; 16-byte Folded Reload
	scratch_load_dwordx4 v[88:91], off, off offset:848 ; 16-byte Folded Reload
	scratch_load_dwordx4 v[92:95], off, off offset:864 ; 16-byte Folded Reload
	scratch_load_dwordx4 v[96:99], off, off offset:880 ; 16-byte Folded Reload
	scratch_load_dwordx4 v[100:103], off, off offset:896 ; 16-byte Folded Reload
	v_mov_b32_e32 v63, v35
	v_mov_b64_e32 v[20:21], v[212:213]
	v_mov_b32_e32 v32, v124
	v_mov_b32_e32 v27, v21
	;; [unrolled: 1-line block ×6, first 2 shown]
	s_waitcnt vmcnt(3)
	v_mov_b32_e32 v160, v88
	v_mov_b32_e32 v64, v88
	scratch_load_dwordx4 v[72:75], off, s2  ; 16-byte Folded Reload
	scratch_load_dwordx4 v[76:79], off, s2 offset:16 ; 16-byte Folded Reload
	scratch_load_dwordx4 v[80:83], off, s2 offset:32 ; 16-byte Folded Reload
	;; [unrolled: 1-line block ×7, first 2 shown]
	s_movk_i32 s2, 0x101c
	v_mov_b32_e32 v130, v160
	s_waitcnt vmcnt(3)
	v_mov_b64_e32 v[16:17], v[88:89]
	scratch_load_dwordx4 v[72:75], off, s2  ; 16-byte Folded Reload
	scratch_load_dwordx4 v[76:79], off, s2 offset:16 ; 16-byte Folded Reload
	scratch_load_dwordx4 v[80:83], off, s2 offset:32 ; 16-byte Folded Reload
	;; [unrolled: 1-line block ×7, first 2 shown]
	s_movk_i32 s2, 0x109c
	v_mov_b32_e32 v65, v17
	v_mov_b32_e32 v131, v17
	s_waitcnt vmcnt(3)
	v_mov_b32_e32 v66, v90
	scratch_load_dwordx4 v[72:75], off, s2  ; 16-byte Folded Reload
	scratch_load_dwordx4 v[76:79], off, s2 offset:16 ; 16-byte Folded Reload
	scratch_load_dwordx4 v[80:83], off, s2 offset:32 ; 16-byte Folded Reload
	;; [unrolled: 1-line block ×7, first 2 shown]
	s_movk_i32 s2, 0x16a4
	s_waitcnt vmcnt(3)
	v_mov_b32_e32 v67, v91
	scratch_store_dwordx4 off, v[48:51], s2 ; 16-byte Folded Spill
	s_nop 0
	scratch_store_dwordx4 off, v[52:55], s2 offset:16 ; 16-byte Folded Spill
	scratch_store_dwordx4 off, v[56:59], s2 offset:32 ; 16-byte Folded Spill
	;; [unrolled: 1-line block ×7, first 2 shown]
	scratch_load_dwordx4 v[50:53], off, off offset:8 ; 16-byte Folded Reload
	s_nop 0
	scratch_load_dwordx4 v[54:57], off, off offset:24 ; 16-byte Folded Reload
	scratch_load_dwordx4 v[58:61], off, off offset:40 ; 16-byte Folded Reload
	;; [unrolled: 1-line block ×7, first 2 shown]
	s_movk_i32 s2, 0x139c
	s_waitcnt vmcnt(7)
	v_mov_b32_e32 v26, v50
	scratch_load_dwordx4 v[50:53], off, off offset:3220 ; 16-byte Folded Reload
	scratch_load_dwordx4 v[54:57], off, off offset:3236 ; 16-byte Folded Reload
	;; [unrolled: 1-line block ×8, first 2 shown]
	s_waitcnt vmcnt(7)
	v_mov_b32_e32 v29, v53
	scratch_load_dwordx4 v[50:53], off, off offset:3092 ; 16-byte Folded Reload
	scratch_load_dwordx4 v[54:57], off, off offset:3108 ; 16-byte Folded Reload
	;; [unrolled: 1-line block ×8, first 2 shown]
	s_waitcnt vmcnt(6)
	v_mov_b32_e32 v30, v54
	scratch_load_dwordx4 v[52:55], off, s2  ; 16-byte Folded Reload
	scratch_load_dwordx4 v[56:59], off, s2 offset:16 ; 16-byte Folded Reload
	scratch_load_dwordx4 v[60:63], off, s2 offset:32 ; 16-byte Folded Reload
	;; [unrolled: 1-line block ×7, first 2 shown]
	s_movk_i32 s2, 0x101c
	s_waitcnt vmcnt(6)
	v_mov_b32_e32 v31, v57
	scratch_load_dwordx4 v[42:45], off, off offset:2832 ; 16-byte Folded Reload
	scratch_load_dwordx4 v[46:49], off, off offset:2848 ; 16-byte Folded Reload
	;; [unrolled: 1-line block ×8, first 2 shown]
	v_mov_b32_e32 v120, v32
	v_mov_b32_e32 v119, v31
	;; [unrolled: 1-line block ×7, first 2 shown]
	s_waitcnt vmcnt(6)
	v_mov_b32_e32 v121, v49
	scratch_load_dwordx4 v[42:45], off, off offset:3604 ; 16-byte Folded Reload
	scratch_load_dwordx4 v[46:49], off, off offset:3620 ; 16-byte Folded Reload
	scratch_load_dwordx4 v[50:53], off, off offset:3636 ; 16-byte Folded Reload
	scratch_load_dwordx4 v[54:57], off, off offset:3652 ; 16-byte Folded Reload
	scratch_load_dwordx4 v[58:61], off, off offset:3668 ; 16-byte Folded Reload
	scratch_load_dwordx4 v[62:65], off, off offset:3684 ; 16-byte Folded Reload
	scratch_load_dwordx4 v[66:69], off, off offset:3700 ; 16-byte Folded Reload
	scratch_load_dwordx4 v[70:73], off, off offset:3716 ; 16-byte Folded Reload
	s_waitcnt vmcnt(5)
	v_mov_b32_e32 v122, v50
	scratch_load_dwordx4 v[42:45], off, off offset:1808 ; 16-byte Folded Reload
	scratch_load_dwordx4 v[46:49], off, off offset:1824 ; 16-byte Folded Reload
	scratch_load_dwordx4 v[50:53], off, off offset:1840 ; 16-byte Folded Reload
	scratch_load_dwordx4 v[54:57], off, off offset:1856 ; 16-byte Folded Reload
	scratch_load_dwordx4 v[58:61], off, off offset:1872 ; 16-byte Folded Reload
	scratch_load_dwordx4 v[62:65], off, off offset:1888 ; 16-byte Folded Reload
	scratch_load_dwordx4 v[66:69], off, off offset:1904 ; 16-byte Folded Reload
	scratch_load_dwordx4 v[70:73], off, off offset:1920 ; 16-byte Folded Reload
	;; [unrolled: 10-line block ×5, first 2 shown]
	scratch_load_dwordx4 v[22:25], off, s2  ; 16-byte Folded Reload
	scratch_load_dwordx4 v[26:29], off, s2 offset:16 ; 16-byte Folded Reload
	scratch_load_dwordx4 v[30:33], off, s2 offset:32 ; 16-byte Folded Reload
	;; [unrolled: 1-line block ×7, first 2 shown]
	s_movk_i32 s2, 0x109c
	s_waitcnt vmcnt(12)
	v_mov_b32_e32 v128, v56
	scratch_load_dwordx4 v[48:51], off, s2  ; 16-byte Folded Reload
	scratch_load_dwordx4 v[52:55], off, s2 offset:16 ; 16-byte Folded Reload
	scratch_load_dwordx4 v[56:59], off, s2 offset:32 ; 16-byte Folded Reload
	;; [unrolled: 1-line block ×7, first 2 shown]
	s_nop 0
	scratch_store_dwordx4 off, v[224:227], off offset:912 ; 16-byte Folded Spill
	s_nop 0
	scratch_store_dwordx4 off, v[228:231], off offset:928 ; 16-byte Folded Spill
	scratch_store_dwordx4 off, v[232:235], off offset:944 ; 16-byte Folded Spill
	;; [unrolled: 1-line block ×6, first 2 shown]
	s_waitcnt lgkmcnt(0)
	scratch_store_dwordx4 off, v[252:255], off offset:1024 ; 16-byte Folded Spill
	s_movk_i32 s2, 0x16a4
	scratch_load_dwordx4 v[142:145], off, s2 ; 16-byte Folded Reload
	scratch_load_dwordx4 v[146:149], off, s2 offset:16 ; 16-byte Folded Reload
	scratch_load_dwordx4 v[150:153], off, s2 offset:32 ; 16-byte Folded Reload
	;; [unrolled: 1-line block ×7, first 2 shown]
	s_waitcnt vmcnt(25)
	v_mov_b32_e32 v46, v40
	v_mov_b32_e32 v132, v46
	s_waitcnt vmcnt(18)
	v_mov_b32_e32 v71, v215
	s_movk_i32 s2, 0x149c
	v_mov_b32_e32 v45, v39
	v_mov_b32_e32 v44, v38
	v_mov_b64_e32 v[42:43], v[36:37]
	v_mov_b64_e32 v[40:41], v[34:35]
	;; [unrolled: 1-line block ×8, first 2 shown]
	v_mov_b32_e32 v18, v46
	s_waitcnt vmcnt(16)
	v_mov_b64_e32 v[90:91], v[62:63]
	v_mov_b64_e32 v[94:95], v[66:67]
	;; [unrolled: 1-line block ×10, first 2 shown]
	v_mov_b32_e32 v133, v95
	v_mov_b64_e32 v[48:49], v[114:115]
	v_mov_b64_e32 v[64:65], v[130:131]
	;; [unrolled: 1-line block ×11, first 2 shown]
	s_waitcnt vmcnt(2)
	v_mov_b32_e32 v70, v164
	scratch_store_dwordx4 off, v[48:51], s2 ; 16-byte Folded Spill
	s_nop 0
	scratch_store_dwordx4 off, v[52:55], s2 offset:16 ; 16-byte Folded Spill
	scratch_store_dwordx4 off, v[56:59], s2 offset:32 ; 16-byte Folded Spill
	;; [unrolled: 1-line block ×7, first 2 shown]
	scratch_load_dwordx4 v[96:99], off, off offset:656 ; 16-byte Folded Reload
	scratch_load_dwordx4 v[100:103], off, off offset:672 ; 16-byte Folded Reload
	;; [unrolled: 1-line block ×8, first 2 shown]
	s_movk_i32 s2, 0x139c
	v_mov_b64_e32 v[66:67], v[20:21]
	v_mov_b32_e32 v19, v95
	v_mov_b32_e32 v21, v201
	s_waitcnt vmcnt(1)
	v_mov_b32_e32 v24, v120
	scratch_load_dwordx4 v[96:99], off, off offset:8 ; 16-byte Folded Reload
	scratch_load_dwordx4 v[100:103], off, off offset:24 ; 16-byte Folded Reload
	;; [unrolled: 1-line block ×8, first 2 shown]
	s_waitcnt vmcnt(4)
	v_mov_b64_e32 v[226:227], v[110:111]
	v_mov_b64_e32 v[224:225], v[108:109]
	;; [unrolled: 1-line block ×8, first 2 shown]
	scratch_load_dwordx4 v[100:103], off, off offset:3220 ; 16-byte Folded Reload
	scratch_load_dwordx4 v[104:107], off, off offset:3236 ; 16-byte Folded Reload
	scratch_load_dwordx4 v[108:111], off, off offset:3252 ; 16-byte Folded Reload
	scratch_load_dwordx4 v[112:115], off, off offset:3268 ; 16-byte Folded Reload
	scratch_load_dwordx4 v[116:119], off, off offset:3284 ; 16-byte Folded Reload
	scratch_load_dwordx4 v[120:123], off, off offset:3300 ; 16-byte Folded Reload
	scratch_load_dwordx4 v[124:127], off, off offset:3316 ; 16-byte Folded Reload
	scratch_load_dwordx4 v[128:131], off, off offset:3332 ; 16-byte Folded Reload
	v_mov_b32_e32 v96, v138
	v_mov_b32_e32 v97, v139
	;; [unrolled: 1-line block ×7, first 2 shown]
	s_waitcnt vmcnt(7)
	v_mov_b32_e32 v3, v103
	scratch_load_dwordx4 v[100:103], off, off offset:3092 ; 16-byte Folded Reload
	scratch_load_dwordx4 v[104:107], off, off offset:3108 ; 16-byte Folded Reload
	;; [unrolled: 1-line block ×8, first 2 shown]
	scratch_load_dwordx4 v[110:113], off, s2 ; 16-byte Folded Reload
	scratch_load_dwordx4 v[114:117], off, s2 offset:16 ; 16-byte Folded Reload
	scratch_load_dwordx4 v[118:121], off, s2 offset:32 ; 16-byte Folded Reload
	;; [unrolled: 1-line block ×7, first 2 shown]
	scratch_load_dwordx4 v[144:147], off, off offset:144 ; 16-byte Folded Reload
	scratch_load_dwordx4 v[148:151], off, off offset:160 ; 16-byte Folded Reload
	;; [unrolled: 1-line block ×8, first 2 shown]
	s_movk_i32 s2, 0x119c
	s_waitcnt vmcnt(22)
	v_mov_b32_e32 v4, v104
	s_waitcnt vmcnt(14)
	v_mov_b32_e32 v5, v115
	scratch_load_dwordx4 v[110:113], off, off offset:2832 ; 16-byte Folded Reload
	scratch_load_dwordx4 v[114:117], off, off offset:2848 ; 16-byte Folded Reload
	;; [unrolled: 1-line block ×8, first 2 shown]
	s_waitcnt vmcnt(14)
	v_mov_b32_e32 v6, v150
	scratch_load_dwordx4 v[134:137], off, off offset:3604 ; 16-byte Folded Reload
	scratch_load_dwordx4 v[138:141], off, off offset:3620 ; 16-byte Folded Reload
	;; [unrolled: 1-line block ×8, first 2 shown]
	s_waitcnt vmcnt(14)
	v_mov_b64_e32 v[58:59], v[110:111]
	v_mov_b64_e32 v[60:61], v[112:113]
	;; [unrolled: 1-line block ×4, first 2 shown]
	scratch_load_dwordx4 v[110:113], off, off offset:3732 ; 16-byte Folded Reload
	scratch_load_dwordx4 v[114:117], off, off offset:3748 ; 16-byte Folded Reload
	;; [unrolled: 1-line block ×8, first 2 shown]
	v_mov_b32_e32 v7, v65
	s_waitcnt vmcnt(13)
	v_mov_b32_e32 v8, v142
	s_waitcnt vmcnt(5)
	v_mov_b32_e32 v9, v119
	scratch_load_dwordx4 v[110:113], off, off offset:2448 ; 16-byte Folded Reload
	scratch_load_dwordx4 v[114:117], off, off offset:2464 ; 16-byte Folded Reload
	;; [unrolled: 1-line block ×16, first 2 shown]
	s_waitcnt vmcnt(5)
	v_mov_b32_e32 v153, v201
	v_mov_b32_e32 v10, v120
	scratch_load_dwordx4 v[110:113], off, off offset:1680 ; 16-byte Folded Reload
	scratch_load_dwordx4 v[114:117], off, off offset:1696 ; 16-byte Folded Reload
	scratch_load_dwordx4 v[118:121], off, off offset:1712 ; 16-byte Folded Reload
	scratch_load_dwordx4 v[122:125], off, off offset:1728 ; 16-byte Folded Reload
	scratch_load_dwordx4 v[126:129], off, off offset:1744 ; 16-byte Folded Reload
	scratch_load_dwordx4 v[130:133], off, off offset:1760 ; 16-byte Folded Reload
	scratch_load_dwordx4 v[134:137], off, off offset:1776 ; 16-byte Folded Reload
	scratch_load_dwordx4 v[138:141], off, off offset:1792 ; 16-byte Folded Reload
	v_mov_b32_e32 v11, v155
	v_mov_b32_e32 v143, v155
	s_waitcnt vmcnt(4)
	v_mov_b32_e32 v12, v122
	scratch_load_dwordx4 v[110:113], off, off offset:1552 ; 16-byte Folded Reload
	scratch_load_dwordx4 v[114:117], off, off offset:1568 ; 16-byte Folded Reload
	scratch_load_dwordx4 v[118:121], off, off offset:1584 ; 16-byte Folded Reload
	scratch_load_dwordx4 v[122:125], off, off offset:1600 ; 16-byte Folded Reload
	scratch_load_dwordx4 v[126:129], off, off offset:1616 ; 16-byte Folded Reload
	scratch_load_dwordx4 v[130:133], off, off offset:1632 ; 16-byte Folded Reload
	scratch_load_dwordx4 v[134:137], off, off offset:1648 ; 16-byte Folded Reload
	scratch_load_dwordx4 v[138:141], off, off offset:1664 ; 16-byte Folded Reload
	s_waitcnt vmcnt(4)
	v_mov_b32_e32 v13, v123
	scratch_load_dwordx4 v[110:113], off, off offset:1296 ; 16-byte Folded Reload
	scratch_load_dwordx4 v[114:117], off, off offset:1312 ; 16-byte Folded Reload
	scratch_load_dwordx4 v[118:121], off, off offset:1328 ; 16-byte Folded Reload
	scratch_load_dwordx4 v[122:125], off, off offset:1344 ; 16-byte Folded Reload
	scratch_load_dwordx4 v[126:129], off, off offset:1360 ; 16-byte Folded Reload
	scratch_load_dwordx4 v[130:133], off, off offset:1376 ; 16-byte Folded Reload
	scratch_load_dwordx4 v[134:137], off, off offset:1392 ; 16-byte Folded Reload
	scratch_load_dwordx4 v[138:141], off, off offset:1408 ; 16-byte Folded Reload
	;; [unrolled: 10-line block ×4, first 2 shown]
	s_waitcnt vmcnt(3)
	v_mov_b32_e32 v16, v126
	scratch_load_dwordx4 v[110:113], off, s2 ; 16-byte Folded Reload
	scratch_load_dwordx4 v[114:117], off, s2 offset:16 ; 16-byte Folded Reload
	scratch_load_dwordx4 v[118:121], off, s2 offset:32 ; 16-byte Folded Reload
	;; [unrolled: 1-line block ×7, first 2 shown]
	s_movk_i32 s2, 0x16a4
	s_waitcnt vmcnt(3)
	v_mov_b32_e32 v17, v127
	scratch_load_dwordx4 v[110:113], off, off offset:912 ; 16-byte Folded Reload
	scratch_load_dwordx4 v[114:117], off, off offset:928 ; 16-byte Folded Reload
	;; [unrolled: 1-line block ×8, first 2 shown]
	scratch_load_dwordx4 v[26:29], off, s2  ; 16-byte Folded Reload
	scratch_load_dwordx4 v[30:33], off, s2 offset:16 ; 16-byte Folded Reload
	scratch_load_dwordx4 v[34:37], off, s2 offset:32 ; 16-byte Folded Reload
	;; [unrolled: 1-line block ×7, first 2 shown]
	s_movk_i32 s2, 0x149c
	s_waitcnt vmcnt(10)
	v_mov_b32_e32 v20, v130
	scratch_load_dwordx4 v[110:113], off, s2 ; 16-byte Folded Reload
	scratch_load_dwordx4 v[114:117], off, s2 offset:16 ; 16-byte Folded Reload
	scratch_load_dwordx4 v[118:121], off, s2 offset:32 ; 16-byte Folded Reload
	;; [unrolled: 1-line block ×7, first 2 shown]
	s_waitcnt vmcnt(10)
	v_mov_b32_e32 v64, v48
	v_mov_b32_e32 v22, v64
	s_movk_i32 s2, 0x1624
	s_waitcnt vmcnt(0)
	v_mov_b32_e32 v140, v142
	v_mov_b32_e32 v139, v65
	;; [unrolled: 1-line block ×10, first 2 shown]
	scratch_store_dwordx4 off, v[0:3], off offset:656 ; 16-byte Folded Spill
	s_nop 0
	scratch_store_dwordx4 off, v[4:7], off offset:672 ; 16-byte Folded Spill
	scratch_store_dwordx4 off, v[8:11], off offset:688 ; 16-byte Folded Spill
	;; [unrolled: 1-line block ×7, first 2 shown]
	scratch_load_dwordx4 v[0:3], off, s2    ; 16-byte Folded Reload
	s_nop 0
	scratch_load_dwordx4 v[4:7], off, s2 offset:16 ; 16-byte Folded Reload
	scratch_load_dwordx4 v[8:11], off, s2 offset:32 ; 16-byte Folded Reload
	;; [unrolled: 1-line block ×7, first 2 shown]
	scratch_load_dwordx4 v[100:103], off, off offset:3220 ; 16-byte Folded Reload
	scratch_load_dwordx4 v[104:107], off, off offset:3236 ; 16-byte Folded Reload
	;; [unrolled: 1-line block ×8, first 2 shown]
	s_waitcnt vmcnt(15)
	v_mov_b32_e32 v0, v212
	v_mov_b32_e32 v1, v67
	;; [unrolled: 1-line block ×3, first 2 shown]
	s_movk_i32 s2, 0x139c
	s_waitcnt vmcnt(7)
	v_mov_b32_e32 v3, v103
	scratch_load_dwordx4 v[100:103], off, off offset:3092 ; 16-byte Folded Reload
	scratch_load_dwordx4 v[104:107], off, off offset:3108 ; 16-byte Folded Reload
	scratch_load_dwordx4 v[108:111], off, off offset:3124 ; 16-byte Folded Reload
	scratch_load_dwordx4 v[112:115], off, off offset:3140 ; 16-byte Folded Reload
	scratch_load_dwordx4 v[116:119], off, off offset:3156 ; 16-byte Folded Reload
	scratch_load_dwordx4 v[120:123], off, off offset:3172 ; 16-byte Folded Reload
	scratch_load_dwordx4 v[124:127], off, off offset:3188 ; 16-byte Folded Reload
	scratch_load_dwordx4 v[128:131], off, off offset:3204 ; 16-byte Folded Reload
	v_mov_b32_e32 v157, v25
	s_waitcnt vmcnt(6)
	v_mov_b32_e32 v4, v104
	v_mov_b32_e32 v136, v4
	;; [unrolled: 1-line block ×6, first 2 shown]
	scratch_load_dwordx4 v[0:3], off, s2    ; 16-byte Folded Reload
	scratch_load_dwordx4 v[4:7], off, s2 offset:16 ; 16-byte Folded Reload
	scratch_load_dwordx4 v[8:11], off, s2 offset:32 ; 16-byte Folded Reload
	scratch_load_dwordx4 v[12:15], off, s2 offset:48 ; 16-byte Folded Reload
	scratch_load_dwordx4 v[16:19], off, s2 offset:64 ; 16-byte Folded Reload
	scratch_load_dwordx4 v[20:23], off, s2 offset:80 ; 16-byte Folded Reload
	scratch_load_dwordx4 v[24:27], off, s2 offset:96 ; 16-byte Folded Reload
	scratch_load_dwordx4 v[28:31], off, s2 offset:112 ; 16-byte Folded Reload
	s_movk_i32 s2, 0x119c
	s_waitcnt vmcnt(6)
	v_mov_b32_e32 v137, v5
	scratch_load_dwordx4 v[0:3], off, off offset:144 ; 16-byte Folded Reload
	scratch_load_dwordx4 v[4:7], off, off offset:160 ; 16-byte Folded Reload
	scratch_load_dwordx4 v[8:11], off, off offset:176 ; 16-byte Folded Reload
	scratch_load_dwordx4 v[12:15], off, off offset:192 ; 16-byte Folded Reload
	scratch_load_dwordx4 v[16:19], off, off offset:208 ; 16-byte Folded Reload
	scratch_load_dwordx4 v[20:23], off, off offset:224 ; 16-byte Folded Reload
	scratch_load_dwordx4 v[24:27], off, off offset:240 ; 16-byte Folded Reload
	scratch_load_dwordx4 v[28:31], off, off offset:256 ; 16-byte Folded Reload
	s_waitcnt vmcnt(6)
	v_mov_b32_e32 v138, v6
	scratch_load_dwordx4 v[0:3], off, off offset:3732 ; 16-byte Folded Reload
	scratch_load_dwordx4 v[4:7], off, off offset:3748 ; 16-byte Folded Reload
	scratch_load_dwordx4 v[8:11], off, off offset:3764 ; 16-byte Folded Reload
	scratch_load_dwordx4 v[12:15], off, off offset:3780 ; 16-byte Folded Reload
	scratch_load_dwordx4 v[16:19], off, off offset:3796 ; 16-byte Folded Reload
	scratch_load_dwordx4 v[20:23], off, off offset:3812 ; 16-byte Folded Reload
	scratch_load_dwordx4 v[24:27], off, off offset:3828 ; 16-byte Folded Reload
	scratch_load_dwordx4 v[28:31], off, off offset:3844 ; 16-byte Folded Reload
	;; [unrolled: 10-line block ×4, first 2 shown]
	scratch_load_dwordx4 v[212:215], off, off offset:1552 ; 16-byte Folded Reload
	scratch_load_dwordx4 v[216:219], off, off offset:1568 ; 16-byte Folded Reload
	;; [unrolled: 1-line block ×8, first 2 shown]
	s_waitcnt vmcnt(12)
	v_mov_b32_e32 v40, v12
	v_mov_b32_e32 v144, v12
	s_waitcnt vmcnt(4)
	v_mov_b64_e32 v[12:13], v[224:225]
	scratch_load_dwordx4 v[212:215], off, off offset:1296 ; 16-byte Folded Reload
	scratch_load_dwordx4 v[216:219], off, off offset:1312 ; 16-byte Folded Reload
	scratch_load_dwordx4 v[220:223], off, off offset:1328 ; 16-byte Folded Reload
	scratch_load_dwordx4 v[224:227], off, off offset:1344 ; 16-byte Folded Reload
	scratch_load_dwordx4 v[228:231], off, off offset:1360 ; 16-byte Folded Reload
	scratch_load_dwordx4 v[232:235], off, off offset:1376 ; 16-byte Folded Reload
	scratch_load_dwordx4 v[236:239], off, off offset:1392 ; 16-byte Folded Reload
	scratch_load_dwordx4 v[240:243], off, off offset:1408 ; 16-byte Folded Reload
	v_mov_b32_e32 v145, v13
	s_waitcnt vmcnt(4)
	v_mov_b32_e32 v88, v224
	v_mov_b32_e32 v89, v225
	v_mov_b32_e32 v90, v226
	scratch_load_dwordx4 v[212:215], off, off offset:1424 ; 16-byte Folded Reload
	scratch_load_dwordx4 v[216:219], off, off offset:1440 ; 16-byte Folded Reload
	;; [unrolled: 1-line block ×8, first 2 shown]
	v_mov_b32_e32 v146, v90
	s_waitcnt vmcnt(4)
	v_mov_b32_e32 v147, v227
	scratch_load_dwordx4 v[212:215], off, off offset:784 ; 16-byte Folded Reload
	scratch_load_dwordx4 v[216:219], off, off offset:800 ; 16-byte Folded Reload
	scratch_load_dwordx4 v[220:223], off, off offset:816 ; 16-byte Folded Reload
	scratch_load_dwordx4 v[224:227], off, off offset:832 ; 16-byte Folded Reload
	scratch_load_dwordx4 v[228:231], off, off offset:848 ; 16-byte Folded Reload
	scratch_load_dwordx4 v[232:235], off, off offset:864 ; 16-byte Folded Reload
	scratch_load_dwordx4 v[236:239], off, off offset:880 ; 16-byte Folded Reload
	scratch_load_dwordx4 v[240:243], off, off offset:896 ; 16-byte Folded Reload
	v_mov_b64_e32 v[110:111], v[132:133]
	v_mov_b64_e32 v[112:113], v[134:135]
	;; [unrolled: 1-line block ×8, first 2 shown]
	v_mov_b32_e32 v135, v157
	s_waitcnt vmcnt(3)
	v_mov_b32_e32 v148, v228
	scratch_load_dwordx4 v[212:215], off, s2 ; 16-byte Folded Reload
	scratch_load_dwordx4 v[216:219], off, s2 offset:16 ; 16-byte Folded Reload
	scratch_load_dwordx4 v[220:223], off, s2 offset:32 ; 16-byte Folded Reload
	scratch_load_dwordx4 v[224:227], off, s2 offset:48 ; 16-byte Folded Reload
	scratch_load_dwordx4 v[228:231], off, s2 offset:64 ; 16-byte Folded Reload
	scratch_load_dwordx4 v[232:235], off, s2 offset:80 ; 16-byte Folded Reload
	scratch_load_dwordx4 v[236:239], off, s2 offset:96 ; 16-byte Folded Reload
	scratch_load_dwordx4 v[240:243], off, s2 offset:112 ; 16-byte Folded Reload
	s_movk_i32 s2, 0x101c
	s_waitcnt vmcnt(3)
	v_mov_b32_e32 v149, v229
	scratch_load_dwordx4 v[212:215], off, s2 ; 16-byte Folded Reload
	scratch_load_dwordx4 v[216:219], off, s2 offset:16 ; 16-byte Folded Reload
	scratch_load_dwordx4 v[220:223], off, s2 offset:32 ; 16-byte Folded Reload
	scratch_load_dwordx4 v[224:227], off, s2 offset:48 ; 16-byte Folded Reload
	scratch_load_dwordx4 v[228:231], off, s2 offset:64 ; 16-byte Folded Reload
	scratch_load_dwordx4 v[232:235], off, s2 offset:80 ; 16-byte Folded Reload
	scratch_load_dwordx4 v[236:239], off, s2 offset:96 ; 16-byte Folded Reload
	scratch_load_dwordx4 v[240:243], off, s2 offset:112 ; 16-byte Folded Reload
	s_movk_i32 s2, 0x109c
	;; [unrolled: 11-line block ×3, first 2 shown]
	s_waitcnt vmcnt(3)
	v_mov_b32_e32 v151, v231
	scratch_load_dwordx4 v[212:215], off, off offset:912 ; 16-byte Folded Reload
	scratch_load_dwordx4 v[216:219], off, off offset:928 ; 16-byte Folded Reload
	;; [unrolled: 1-line block ×8, first 2 shown]
	s_nop 0
	scratch_store_dwordx4 off, v[180:183], off offset:272 ; 16-byte Folded Spill
	s_nop 0
	scratch_store_dwordx4 off, v[184:187], off offset:288 ; 16-byte Folded Spill
	scratch_store_dwordx4 off, v[188:191], off offset:304 ; 16-byte Folded Spill
	;; [unrolled: 1-line block ×7, first 2 shown]
	scratch_load_dwordx4 v[158:161], off, s2 ; 16-byte Folded Reload
	s_nop 0
	scratch_load_dwordx4 v[162:165], off, s2 offset:16 ; 16-byte Folded Reload
	scratch_load_dwordx4 v[166:169], off, s2 offset:32 ; 16-byte Folded Reload
	;; [unrolled: 1-line block ×7, first 2 shown]
	s_movk_i32 s2, 0x1624
	s_waitcnt vmcnt(18)
	v_mov_b32_e32 v152, v232
	s_waitcnt vmcnt(2)
	v_mov_b32_e32 v155, v181
	v_mov_b64_e32 v[126:127], v[148:149]
	v_mov_b64_e32 v[128:129], v[150:151]
	;; [unrolled: 1-line block ×4, first 2 shown]
	scratch_load_dwordx4 v[136:139], off, off offset:656 ; 16-byte Folded Reload
	scratch_load_dwordx4 v[140:143], off, off offset:672 ; 16-byte Folded Reload
	scratch_load_dwordx4 v[144:147], off, off offset:688 ; 16-byte Folded Reload
	scratch_load_dwordx4 v[148:151], off, off offset:704 ; 16-byte Folded Reload
	scratch_load_dwordx4 v[152:155], off, off offset:720 ; 16-byte Folded Reload
	scratch_load_dwordx4 v[156:159], off, off offset:736 ; 16-byte Folded Reload
	scratch_load_dwordx4 v[160:163], off, off offset:752 ; 16-byte Folded Reload
	scratch_load_dwordx4 v[164:167], off, off offset:768 ; 16-byte Folded Reload
	s_waitcnt vmcnt(1)
	v_mov_b32_e32 v176, v160
	v_mov_b32_e32 v134, v176
	scratch_store_dwordx4 off, v[110:113], s2 ; 16-byte Folded Spill
	s_nop 0
	scratch_store_dwordx4 off, v[114:117], s2 offset:16 ; 16-byte Folded Spill
	scratch_store_dwordx4 off, v[118:121], s2 offset:32 ; 16-byte Folded Spill
	;; [unrolled: 1-line block ×7, first 2 shown]
	scratch_load_dwordx4 v[180:183], off, off offset:528 ; 16-byte Folded Reload
	scratch_load_dwordx4 v[184:187], off, off offset:544 ; 16-byte Folded Reload
	;; [unrolled: 1-line block ×16, first 2 shown]
	s_movk_i32 s2, 0x139c
	s_waitcnt vmcnt(12)
	v_mov_b32_e32 v193, v13
	v_mov_b32_e32 v175, v159
	;; [unrolled: 1-line block ×9, first 2 shown]
	s_waitcnt vmcnt(9)
	v_mov_b32_e32 v204, v176
	v_mov_b32_e32 v192, v40
	;; [unrolled: 1-line block ×5, first 2 shown]
	s_waitcnt vmcnt(7)
	v_mov_b32_e32 v180, v110
	scratch_load_dwordx4 v[92:95], off, off offset:3220 ; 16-byte Folded Reload
	scratch_load_dwordx4 v[96:99], off, off offset:3236 ; 16-byte Folded Reload
	;; [unrolled: 1-line block ×8, first 2 shown]
	s_waitcnt vmcnt(7)
	v_mov_b32_e32 v183, v95
	scratch_load_dwordx4 v[92:95], off, off offset:3092 ; 16-byte Folded Reload
	scratch_load_dwordx4 v[96:99], off, off offset:3108 ; 16-byte Folded Reload
	;; [unrolled: 1-line block ×8, first 2 shown]
	scratch_load_dwordx4 v[110:113], off, s2 ; 16-byte Folded Reload
	scratch_load_dwordx4 v[114:117], off, s2 offset:16 ; 16-byte Folded Reload
	scratch_load_dwordx4 v[118:121], off, s2 offset:32 ; 16-byte Folded Reload
	;; [unrolled: 1-line block ×7, first 2 shown]
	s_movk_i32 s2, 0x119c
	s_waitcnt vmcnt(13)
	v_mov_b32_e32 v103, v245
	v_mov_b32_e32 v102, v206
	;; [unrolled: 1-line block ×3, first 2 shown]
	s_waitcnt vmcnt(6)
	v_mov_b32_e32 v185, v115
	scratch_load_dwordx4 v[114:117], off, off offset:144 ; 16-byte Folded Reload
	scratch_load_dwordx4 v[118:121], off, off offset:160 ; 16-byte Folded Reload
	scratch_load_dwordx4 v[122:125], off, off offset:176 ; 16-byte Folded Reload
	scratch_load_dwordx4 v[126:129], off, off offset:192 ; 16-byte Folded Reload
	scratch_load_dwordx4 v[130:133], off, off offset:208 ; 16-byte Folded Reload
	scratch_load_dwordx4 v[134:137], off, off offset:224 ; 16-byte Folded Reload
	scratch_load_dwordx4 v[138:141], off, off offset:240 ; 16-byte Folded Reload
	scratch_load_dwordx4 v[142:145], off, off offset:256 ; 16-byte Folded Reload
	s_waitcnt vmcnt(6)
	v_mov_b32_e32 v186, v120
	scratch_load_dwordx4 v[110:113], off, off offset:2832 ; 16-byte Folded Reload
	scratch_load_dwordx4 v[114:117], off, off offset:2848 ; 16-byte Folded Reload
	scratch_load_dwordx4 v[118:121], off, off offset:2864 ; 16-byte Folded Reload
	scratch_load_dwordx4 v[122:125], off, off offset:2880 ; 16-byte Folded Reload
	scratch_load_dwordx4 v[126:129], off, off offset:2896 ; 16-byte Folded Reload
	scratch_load_dwordx4 v[130:133], off, off offset:2912 ; 16-byte Folded Reload
	scratch_load_dwordx4 v[134:137], off, off offset:2928 ; 16-byte Folded Reload
	scratch_load_dwordx4 v[138:141], off, off offset:2944 ; 16-byte Folded Reload
	;; [unrolled: 10-line block ×4, first 2 shown]
	s_waitcnt vmcnt(5)
	v_mov_b64_e32 v[92:93], v[110:111]
	v_mov_b64_e32 v[94:95], v[112:113]
	;; [unrolled: 1-line block ×5, first 2 shown]
	scratch_load_dwordx4 v[110:113], off, off offset:2448 ; 16-byte Folded Reload
	scratch_load_dwordx4 v[114:117], off, off offset:2464 ; 16-byte Folded Reload
	;; [unrolled: 1-line block ×24, first 2 shown]
	v_mov_b32_e32 v189, v101
	v_mov_b32_e32 v85, v101
	s_waitcnt vmcnt(16)
	v_mov_b32_e32 v140, v120
	v_mov_b32_e32 v136, v116
	;; [unrolled: 1-line block ×3, first 2 shown]
	s_waitcnt vmcnt(4)
	v_mov_b32_e32 v195, v15
	scratch_load_dwordx4 v[0:3], off, off offset:784 ; 16-byte Folded Reload
	scratch_load_dwordx4 v[4:7], off, off offset:800 ; 16-byte Folded Reload
	scratch_load_dwordx4 v[8:11], off, off offset:816 ; 16-byte Folded Reload
	scratch_load_dwordx4 v[12:15], off, off offset:832 ; 16-byte Folded Reload
	scratch_load_dwordx4 v[16:19], off, off offset:848 ; 16-byte Folded Reload
	scratch_load_dwordx4 v[20:23], off, off offset:864 ; 16-byte Folded Reload
	scratch_load_dwordx4 v[24:27], off, off offset:880 ; 16-byte Folded Reload
	scratch_load_dwordx4 v[28:31], off, off offset:896 ; 16-byte Folded Reload
	v_mov_b32_e32 v134, v114
	v_mov_b32_e32 v133, v113
	v_mov_b32_e32 v132, v112
	v_mov_b32_e32 v131, v111
	v_mov_b32_e32 v130, v110
	v_mov_b32_e32 v136, v64
	v_mov_b32_e32 v135, v63
	v_mov_b32_e32 v134, v62
	v_mov_b32_e32 v133, v61
	v_mov_b32_e32 v132, v60
	v_mov_b32_e32 v131, v59
	v_mov_b32_e32 v130, v58
	v_mov_b32_e32 v86, v140
	v_mov_b32_e32 v98, v136
	v_mov_b32_e32 v139, v119
	v_mov_b32_e32 v138, v118
	v_mov_b32_e32 v137, v117
	v_mov_b64_e32 v[138:139], v[66:67]
	v_mov_b32_e32 v151, v139
	v_mov_b32_e32 v190, v140
	v_mov_b32_e32 v191, v223
	v_mov_b32_e32 v202, v136
	s_waitcnt vmcnt(3)
	v_mov_b32_e32 v196, v16
	scratch_load_dwordx4 v[0:3], off, s2    ; 16-byte Folded Reload
	scratch_load_dwordx4 v[4:7], off, s2 offset:16 ; 16-byte Folded Reload
	scratch_load_dwordx4 v[8:11], off, s2 offset:32 ; 16-byte Folded Reload
	scratch_load_dwordx4 v[12:15], off, s2 offset:48 ; 16-byte Folded Reload
	scratch_load_dwordx4 v[16:19], off, s2 offset:64 ; 16-byte Folded Reload
	scratch_load_dwordx4 v[20:23], off, s2 offset:80 ; 16-byte Folded Reload
	scratch_load_dwordx4 v[24:27], off, s2 offset:96 ; 16-byte Folded Reload
	scratch_load_dwordx4 v[28:31], off, s2 offset:112 ; 16-byte Folded Reload
	s_movk_i32 s2, 0x101c
	s_waitcnt vmcnt(3)
	v_mov_b32_e32 v197, v17
	scratch_load_dwordx4 v[0:3], off, s2    ; 16-byte Folded Reload
	scratch_load_dwordx4 v[4:7], off, s2 offset:16 ; 16-byte Folded Reload
	scratch_load_dwordx4 v[8:11], off, s2 offset:32 ; 16-byte Folded Reload
	scratch_load_dwordx4 v[12:15], off, s2 offset:48 ; 16-byte Folded Reload
	scratch_load_dwordx4 v[16:19], off, s2 offset:64 ; 16-byte Folded Reload
	scratch_load_dwordx4 v[20:23], off, s2 offset:80 ; 16-byte Folded Reload
	scratch_load_dwordx4 v[24:27], off, s2 offset:96 ; 16-byte Folded Reload
	scratch_load_dwordx4 v[28:31], off, s2 offset:112 ; 16-byte Folded Reload
	s_movk_i32 s2, 0x109c
	;; [unrolled: 11-line block ×3, first 2 shown]
	s_waitcnt vmcnt(3)
	v_mov_b32_e32 v199, v19
	scratch_load_dwordx4 v[0:3], off, off offset:912 ; 16-byte Folded Reload
	scratch_load_dwordx4 v[4:7], off, off offset:928 ; 16-byte Folded Reload
	;; [unrolled: 1-line block ×8, first 2 shown]
	s_waitcnt vmcnt(2)
	v_mov_b32_e32 v200, v20
	scratch_load_dwordx4 v[0:3], off, off offset:272 ; 16-byte Folded Reload
	scratch_load_dwordx4 v[4:7], off, off offset:288 ; 16-byte Folded Reload
	;; [unrolled: 1-line block ×8, first 2 shown]
	s_waitcnt vmcnt(2)
	v_mov_b32_e32 v201, v21
	scratch_load_dwordx4 v[0:3], off, s2    ; 16-byte Folded Reload
	scratch_load_dwordx4 v[4:7], off, s2 offset:16 ; 16-byte Folded Reload
	scratch_load_dwordx4 v[8:11], off, s2 offset:32 ; 16-byte Folded Reload
	scratch_load_dwordx4 v[12:15], off, s2 offset:48 ; 16-byte Folded Reload
	scratch_load_dwordx4 v[16:19], off, s2 offset:64 ; 16-byte Folded Reload
	scratch_load_dwordx4 v[20:23], off, s2 offset:80 ; 16-byte Folded Reload
	scratch_load_dwordx4 v[24:27], off, s2 offset:96 ; 16-byte Folded Reload
	scratch_load_dwordx4 v[28:31], off, s2 offset:112 ; 16-byte Folded Reload
	s_movk_i32 s2, 0x1624
	s_waitcnt vmcnt(2)
	v_mov_b64_e32 v[234:235], v[22:23]
	v_mov_b64_e32 v[232:233], v[20:21]
	;; [unrolled: 1-line block ×4, first 2 shown]
	scratch_load_dwordx4 v[0:3], off, s2    ; 16-byte Folded Reload
	scratch_load_dwordx4 v[4:7], off, s2 offset:16 ; 16-byte Folded Reload
	scratch_load_dwordx4 v[8:11], off, s2 offset:32 ; 16-byte Folded Reload
	;; [unrolled: 1-line block ×7, first 2 shown]
	s_movk_i32 s2, 0x139c
	v_mov_b32_e32 v99, v235
	v_mov_b32_e32 v203, v235
	s_waitcnt vmcnt(1)
	v_mov_b64_e32 v[176:177], v[24:25]
	v_mov_b64_e32 v[174:175], v[22:23]
	;; [unrolled: 1-line block ×5, first 2 shown]
	scratch_load_dwordx4 v[0:3], off, off offset:8 ; 16-byte Folded Reload
	scratch_load_dwordx4 v[4:7], off, off offset:24 ; 16-byte Folded Reload
	;; [unrolled: 1-line block ×8, first 2 shown]
	s_waitcnt vmcnt(7)
	v_mov_b32_e32 v2, v70
	v_mov_b32_e32 v1, v67
	;; [unrolled: 1-line block ×8, first 2 shown]
	scratch_load_dwordx4 v[0:3], off, off offset:3220 ; 16-byte Folded Reload
	scratch_load_dwordx4 v[4:7], off, off offset:3236 ; 16-byte Folded Reload
	;; [unrolled: 1-line block ×8, first 2 shown]
	s_waitcnt vmcnt(7)
	v_mov_b32_e32 v79, v3
	scratch_load_dwordx4 v[0:3], off, off offset:3092 ; 16-byte Folded Reload
	scratch_load_dwordx4 v[4:7], off, off offset:3108 ; 16-byte Folded Reload
	;; [unrolled: 1-line block ×8, first 2 shown]
	scratch_load_dwordx4 v[32:35], off, s2  ; 16-byte Folded Reload
	scratch_load_dwordx4 v[36:39], off, s2 offset:16 ; 16-byte Folded Reload
	scratch_load_dwordx4 v[40:43], off, s2 offset:32 ; 16-byte Folded Reload
	;; [unrolled: 1-line block ×7, first 2 shown]
	s_movk_i32 s2, 0x119c
	s_waitcnt vmcnt(14)
	v_mov_b32_e32 v80, v4
	scratch_load_dwordx4 v[0:3], off, off offset:144 ; 16-byte Folded Reload
	scratch_load_dwordx4 v[4:7], off, off offset:160 ; 16-byte Folded Reload
	;; [unrolled: 1-line block ×8, first 2 shown]
	s_waitcnt vmcnt(8)
	v_mov_b64_e32 v[62:63], v[36:37]
	v_mov_b32_e32 v81, v63
	v_mov_b64_e32 v[60:61], v[34:35]
	v_mov_b64_e32 v[58:59], v[32:33]
	v_mov_b32_e32 v155, v63
	v_mov_b64_e32 v[132:133], v[36:37]
	v_mov_b64_e32 v[130:131], v[34:35]
	;; [unrolled: 1-line block ×3, first 2 shown]
	s_waitcnt vmcnt(6)
	v_mov_b32_e32 v82, v6
	scratch_load_dwordx4 v[0:3], off, off offset:2832 ; 16-byte Folded Reload
	scratch_load_dwordx4 v[4:7], off, off offset:2848 ; 16-byte Folded Reload
	scratch_load_dwordx4 v[8:11], off, off offset:2864 ; 16-byte Folded Reload
	scratch_load_dwordx4 v[12:15], off, off offset:2880 ; 16-byte Folded Reload
	scratch_load_dwordx4 v[16:19], off, off offset:2896 ; 16-byte Folded Reload
	scratch_load_dwordx4 v[20:23], off, off offset:2912 ; 16-byte Folded Reload
	scratch_load_dwordx4 v[24:27], off, off offset:2928 ; 16-byte Folded Reload
	scratch_load_dwordx4 v[28:31], off, off offset:2944 ; 16-byte Folded Reload
	s_waitcnt vmcnt(6)
	v_mov_b32_e32 v83, v7
	scratch_load_dwordx4 v[0:3], off, off offset:3604 ; 16-byte Folded Reload
	scratch_load_dwordx4 v[4:7], off, off offset:3620 ; 16-byte Folded Reload
	scratch_load_dwordx4 v[8:11], off, off offset:3636 ; 16-byte Folded Reload
	scratch_load_dwordx4 v[12:15], off, off offset:3652 ; 16-byte Folded Reload
	scratch_load_dwordx4 v[16:19], off, off offset:3668 ; 16-byte Folded Reload
	scratch_load_dwordx4 v[20:23], off, off offset:3684 ; 16-byte Folded Reload
	scratch_load_dwordx4 v[24:27], off, off offset:3700 ; 16-byte Folded Reload
	scratch_load_dwordx4 v[28:31], off, off offset:3716 ; 16-byte Folded Reload
	;; [unrolled: 10-line block ×8, first 2 shown]
	s_waitcnt vmcnt(3)
	v_mov_b32_e32 v92, v16
	scratch_load_dwordx4 v[0:3], off, s2    ; 16-byte Folded Reload
	scratch_load_dwordx4 v[4:7], off, s2 offset:16 ; 16-byte Folded Reload
	scratch_load_dwordx4 v[8:11], off, s2 offset:32 ; 16-byte Folded Reload
	scratch_load_dwordx4 v[12:15], off, s2 offset:48 ; 16-byte Folded Reload
	scratch_load_dwordx4 v[16:19], off, s2 offset:64 ; 16-byte Folded Reload
	scratch_load_dwordx4 v[20:23], off, s2 offset:80 ; 16-byte Folded Reload
	scratch_load_dwordx4 v[24:27], off, s2 offset:96 ; 16-byte Folded Reload
	scratch_load_dwordx4 v[28:31], off, s2 offset:112 ; 16-byte Folded Reload
	s_movk_i32 s2, 0x101c
	s_waitcnt vmcnt(3)
	v_mov_b32_e32 v93, v17
	scratch_load_dwordx4 v[0:3], off, s2    ; 16-byte Folded Reload
	scratch_load_dwordx4 v[4:7], off, s2 offset:16 ; 16-byte Folded Reload
	scratch_load_dwordx4 v[8:11], off, s2 offset:32 ; 16-byte Folded Reload
	scratch_load_dwordx4 v[12:15], off, s2 offset:48 ; 16-byte Folded Reload
	scratch_load_dwordx4 v[16:19], off, s2 offset:64 ; 16-byte Folded Reload
	scratch_load_dwordx4 v[20:23], off, s2 offset:80 ; 16-byte Folded Reload
	scratch_load_dwordx4 v[24:27], off, s2 offset:96 ; 16-byte Folded Reload
	scratch_load_dwordx4 v[28:31], off, s2 offset:112 ; 16-byte Folded Reload
	s_movk_i32 s2, 0x109c
	;; [unrolled: 11-line block ×3, first 2 shown]
	s_waitcnt vmcnt(3)
	v_mov_b32_e32 v95, v19
	scratch_load_dwordx4 v[0:3], off, off offset:912 ; 16-byte Folded Reload
	scratch_load_dwordx4 v[4:7], off, off offset:928 ; 16-byte Folded Reload
	scratch_load_dwordx4 v[8:11], off, off offset:944 ; 16-byte Folded Reload
	scratch_load_dwordx4 v[12:15], off, off offset:960 ; 16-byte Folded Reload
	scratch_load_dwordx4 v[16:19], off, off offset:976 ; 16-byte Folded Reload
	scratch_load_dwordx4 v[20:23], off, off offset:992 ; 16-byte Folded Reload
	scratch_load_dwordx4 v[24:27], off, off offset:1008 ; 16-byte Folded Reload
	scratch_load_dwordx4 v[28:31], off, off offset:1024 ; 16-byte Folded Reload
	s_waitcnt vmcnt(2)
	v_mov_b32_e32 v96, v20
	scratch_load_dwordx4 v[0:3], off, off offset:272 ; 16-byte Folded Reload
	scratch_load_dwordx4 v[4:7], off, off offset:288 ; 16-byte Folded Reload
	scratch_load_dwordx4 v[8:11], off, off offset:304 ; 16-byte Folded Reload
	scratch_load_dwordx4 v[12:15], off, off offset:320 ; 16-byte Folded Reload
	scratch_load_dwordx4 v[16:19], off, off offset:336 ; 16-byte Folded Reload
	scratch_load_dwordx4 v[20:23], off, off offset:352 ; 16-byte Folded Reload
	scratch_load_dwordx4 v[24:27], off, off offset:368 ; 16-byte Folded Reload
	scratch_load_dwordx4 v[28:31], off, off offset:384 ; 16-byte Folded Reload
	;; [unrolled: 10-line block ×3, first 2 shown]
	s_waitcnt vmcnt(1)
	v_mov_b32_e32 v100, v24
	scratch_store_dwordx4 off, v[76:79], off offset:528 ; 16-byte Folded Spill
	s_nop 0
	scratch_store_dwordx4 off, v[80:83], off offset:544 ; 16-byte Folded Spill
	scratch_store_dwordx4 off, v[84:87], off offset:560 ; 16-byte Folded Spill
	;; [unrolled: 1-line block ×7, first 2 shown]
	scratch_load_dwordx4 v[0:3], off, off offset:400 ; 16-byte Folded Reload
	scratch_load_dwordx4 v[4:7], off, off offset:416 ; 16-byte Folded Reload
	;; [unrolled: 1-line block ×8, first 2 shown]
	s_waitcnt vmcnt(0)
	v_mov_b32_e32 v178, v28
	scratch_load_dwordx4 v[0:3], off, off offset:8 ; 16-byte Folded Reload
	scratch_load_dwordx4 v[4:7], off, off offset:24 ; 16-byte Folded Reload
	;; [unrolled: 1-line block ×8, first 2 shown]
	v_mov_b32_e32 v252, v178
	s_waitcnt vmcnt(7)
	v_mov_b32_e32 v150, v0
	scratch_load_dwordx4 v[0:3], off, s2    ; 16-byte Folded Reload
	scratch_load_dwordx4 v[4:7], off, s2 offset:16 ; 16-byte Folded Reload
	scratch_load_dwordx4 v[8:11], off, s2 offset:32 ; 16-byte Folded Reload
	;; [unrolled: 1-line block ×7, first 2 shown]
	s_movk_i32 s2, 0x119c
	s_waitcnt vmcnt(7)
	v_mov_b32_e32 v152, v2
	scratch_load_dwordx4 v[0:3], off, off offset:3220 ; 16-byte Folded Reload
	scratch_load_dwordx4 v[4:7], off, off offset:3236 ; 16-byte Folded Reload
	scratch_load_dwordx4 v[8:11], off, off offset:3252 ; 16-byte Folded Reload
	scratch_load_dwordx4 v[12:15], off, off offset:3268 ; 16-byte Folded Reload
	scratch_load_dwordx4 v[16:19], off, off offset:3284 ; 16-byte Folded Reload
	scratch_load_dwordx4 v[20:23], off, off offset:3300 ; 16-byte Folded Reload
	scratch_load_dwordx4 v[24:27], off, off offset:3316 ; 16-byte Folded Reload
	scratch_load_dwordx4 v[28:31], off, off offset:3332 ; 16-byte Folded Reload
	s_waitcnt vmcnt(7)
	v_mov_b32_e32 v153, v3
	scratch_load_dwordx4 v[0:3], off, off offset:3092 ; 16-byte Folded Reload
	scratch_load_dwordx4 v[4:7], off, off offset:3108 ; 16-byte Folded Reload
	scratch_load_dwordx4 v[8:11], off, off offset:3124 ; 16-byte Folded Reload
	scratch_load_dwordx4 v[12:15], off, off offset:3140 ; 16-byte Folded Reload
	scratch_load_dwordx4 v[16:19], off, off offset:3156 ; 16-byte Folded Reload
	scratch_load_dwordx4 v[20:23], off, off offset:3172 ; 16-byte Folded Reload
	scratch_load_dwordx4 v[24:27], off, off offset:3188 ; 16-byte Folded Reload
	scratch_load_dwordx4 v[28:31], off, off offset:3204 ; 16-byte Folded Reload
	;; [unrolled: 10-line block ×11, first 2 shown]
	scratch_load_dwordx4 v[84:87], off, off offset:1424 ; 16-byte Folded Reload
	scratch_load_dwordx4 v[88:91], off, off offset:1440 ; 16-byte Folded Reload
	;; [unrolled: 1-line block ×8, first 2 shown]
	s_waitcnt vmcnt(12)
	v_mov_b32_e32 v164, v14
	scratch_load_dwordx4 v[0:3], off, off offset:784 ; 16-byte Folded Reload
	scratch_load_dwordx4 v[4:7], off, off offset:800 ; 16-byte Folded Reload
	;; [unrolled: 1-line block ×8, first 2 shown]
	s_waitcnt vmcnt(12)
	v_mov_b32_e32 v165, v99
	s_waitcnt vmcnt(3)
	v_mov_b32_e32 v166, v16
	scratch_load_dwordx4 v[0:3], off, s2    ; 16-byte Folded Reload
	scratch_load_dwordx4 v[4:7], off, s2 offset:16 ; 16-byte Folded Reload
	scratch_load_dwordx4 v[8:11], off, s2 offset:32 ; 16-byte Folded Reload
	;; [unrolled: 1-line block ×7, first 2 shown]
	s_movk_i32 s2, 0x101c
	s_waitcnt vmcnt(4)
	v_mov_b64_e32 v[124:125], v[14:15]
	v_mov_b64_e32 v[122:123], v[12:13]
	;; [unrolled: 1-line block ×8, first 2 shown]
	s_waitcnt vmcnt(3)
	v_mov_b64_e32 v[126:127], v[16:17]
	scratch_load_dwordx4 v[0:3], off, s2    ; 16-byte Folded Reload
	scratch_load_dwordx4 v[4:7], off, s2 offset:16 ; 16-byte Folded Reload
	scratch_load_dwordx4 v[8:11], off, s2 offset:32 ; 16-byte Folded Reload
	;; [unrolled: 1-line block ×7, first 2 shown]
	s_movk_i32 s2, 0x109c
	v_mov_b32_e32 v167, v127
	s_waitcnt vmcnt(3)
	v_mov_b32_e32 v168, v18
	scratch_load_dwordx4 v[0:3], off, s2    ; 16-byte Folded Reload
	scratch_load_dwordx4 v[4:7], off, s2 offset:16 ; 16-byte Folded Reload
	scratch_load_dwordx4 v[8:11], off, s2 offset:32 ; 16-byte Folded Reload
	;; [unrolled: 1-line block ×7, first 2 shown]
	s_movk_i32 s2, 0x16a4
	s_waitcnt vmcnt(3)
	v_mov_b32_e32 v169, v19
	scratch_load_dwordx4 v[0:3], off, off offset:912 ; 16-byte Folded Reload
	scratch_load_dwordx4 v[4:7], off, off offset:928 ; 16-byte Folded Reload
	;; [unrolled: 1-line block ×8, first 2 shown]
	s_waitcnt vmcnt(2)
	v_mov_b32_e32 v170, v20
	scratch_load_dwordx4 v[0:3], off, off offset:272 ; 16-byte Folded Reload
	scratch_load_dwordx4 v[4:7], off, off offset:288 ; 16-byte Folded Reload
	;; [unrolled: 1-line block ×8, first 2 shown]
	s_waitcnt vmcnt(4)
	v_mov_b64_e32 v[238:239], v[14:15]
	v_mov_b64_e32 v[236:237], v[12:13]
	s_waitcnt vmcnt(2)
	v_mov_b64_e32 v[244:245], v[20:21]
	v_mov_b64_e32 v[234:235], v[10:11]
	;; [unrolled: 1-line block ×9, first 2 shown]
	scratch_load_dwordx4 v[0:3], off, s2    ; 16-byte Folded Reload
	scratch_load_dwordx4 v[4:7], off, s2 offset:16 ; 16-byte Folded Reload
	scratch_load_dwordx4 v[8:11], off, s2 offset:32 ; 16-byte Folded Reload
	;; [unrolled: 1-line block ×7, first 2 shown]
	s_movk_i32 s2, 0x149c
	v_mov_b32_e32 v171, v245
	s_waitcnt vmcnt(2)
	v_mov_b32_e32 v172, v22
	scratch_load_dwordx4 v[0:3], off, s2    ; 16-byte Folded Reload
	scratch_load_dwordx4 v[4:7], off, s2 offset:16 ; 16-byte Folded Reload
	scratch_load_dwordx4 v[8:11], off, s2 offset:32 ; 16-byte Folded Reload
	;; [unrolled: 1-line block ×7, first 2 shown]
	s_movk_i32 s2, 0x1624
	s_waitcnt vmcnt(2)
	v_mov_b32_e32 v173, v23
	scratch_load_dwordx4 v[0:3], off, off offset:656 ; 16-byte Folded Reload
	scratch_load_dwordx4 v[4:7], off, off offset:672 ; 16-byte Folded Reload
	;; [unrolled: 1-line block ×8, first 2 shown]
	scratch_load_dwordx4 v[52:55], off, s2  ; 16-byte Folded Reload
	scratch_load_dwordx4 v[56:59], off, s2 offset:16 ; 16-byte Folded Reload
	scratch_load_dwordx4 v[60:63], off, s2 offset:32 ; 16-byte Folded Reload
	scratch_load_dwordx4 v[64:67], off, s2 offset:48 ; 16-byte Folded Reload
	scratch_load_dwordx4 v[68:71], off, s2 offset:64 ; 16-byte Folded Reload
	scratch_load_dwordx4 v[72:75], off, s2 offset:80 ; 16-byte Folded Reload
	scratch_load_dwordx4 v[76:79], off, s2 offset:96 ; 16-byte Folded Reload
	scratch_load_dwordx4 v[80:83], off, s2 offset:112 ; 16-byte Folded Reload
	v_cmp_neq_f32_e64 s[2:3], 0, v255
	s_waitcnt vmcnt(8)
	v_mov_b64_e32 v[40:41], v[14:15]
	v_mov_b64_e32 v[38:39], v[12:13]
	;; [unrolled: 1-line block ×3, first 2 shown]
	v_mov_b32_e32 v50, v24
	v_mov_b64_e32 v[34:35], v[8:9]
	v_mov_b64_e32 v[32:33], v[6:7]
	;; [unrolled: 1-line block ×5, first 2 shown]
	v_mov_b32_e32 v49, v23
	v_mov_b32_e32 v48, v22
	;; [unrolled: 1-line block ×8, first 2 shown]
	s_waitcnt vmcnt(4)
	v_mov_b64_e32 v[0:1], v[52:53]
	s_waitcnt vmcnt(1)
	v_mov_b64_e32 v[16:17], v[68:69]
	v_mov_b64_e32 v[2:3], v[54:55]
	;; [unrolled: 1-line block ×12, first 2 shown]
	scratch_load_dwordx4 v[52:55], off, off offset:528 ; 16-byte Folded Reload
	scratch_load_dwordx4 v[56:59], off, off offset:544 ; 16-byte Folded Reload
	;; [unrolled: 1-line block ×8, first 2 shown]
	s_barrier
	scratch_load_dword v51, off, off offset:4 ; 4-byte Folded Reload
	v_mov_b32_e32 v174, v50
	v_mov_b32_e32 v175, v25
	;; [unrolled: 1-line block ×3, first 2 shown]
	s_waitcnt vmcnt(2)
	v_mov_b32_e32 v177, v79
	scratch_store_dwordx4 off, v[150:153], off offset:1168 ; 16-byte Folded Spill
	s_nop 0
	scratch_store_dwordx4 off, v[154:157], off offset:1184 ; 16-byte Folded Spill
	scratch_store_dwordx4 off, v[158:161], off offset:1200 ; 16-byte Folded Spill
	;; [unrolled: 1-line block ×8, first 2 shown]
	s_nop 0
	scratch_store_dwordx4 off, v[56:59], off offset:2080 ; 16-byte Folded Spill
	scratch_store_dwordx4 off, v[60:63], off offset:2096 ; 16-byte Folded Spill
	;; [unrolled: 1-line block ×6, first 2 shown]
	s_waitcnt vmcnt(16)
	scratch_store_dwordx4 off, v[80:83], off offset:2176 ; 16-byte Folded Spill
	s_waitcnt vmcnt(16)
	v_cmp_lt_i32_e32 vcc, 1, v51
	v_mov_b32_e32 v207, v79
	scratch_store_dwordx4 off, v[180:183], off offset:272 ; 16-byte Folded Spill
	s_nop 0
	scratch_store_dwordx4 off, v[184:187], off offset:288 ; 16-byte Folded Spill
	scratch_store_dwordx4 off, v[188:191], off offset:304 ; 16-byte Folded Spill
	scratch_store_dwordx4 off, v[192:195], off offset:320 ; 16-byte Folded Spill
	scratch_store_dwordx4 off, v[196:199], off offset:336 ; 16-byte Folded Spill
	scratch_store_dwordx4 off, v[200:203], off offset:352 ; 16-byte Folded Spill
	scratch_store_dwordx4 off, v[204:207], off offset:368 ; 16-byte Folded Spill
	scratch_store_dwordx4 off, v[208:211], off offset:384 ; 16-byte Folded Spill
	scratch_store_dwordx4 off, v[0:3], off offset:2320 ; 16-byte Folded Spill
	s_nop 0
	scratch_store_dwordx4 off, v[4:7], off offset:2336 ; 16-byte Folded Spill
	scratch_store_dwordx4 off, v[8:11], off offset:2352 ; 16-byte Folded Spill
	scratch_store_dwordx4 off, v[12:15], off offset:2368 ; 16-byte Folded Spill
	scratch_store_dwordx4 off, v[16:19], off offset:2384 ; 16-byte Folded Spill
	scratch_store_dwordx4 off, v[20:23], off offset:2400 ; 16-byte Folded Spill
	scratch_store_dwordx4 off, v[24:27], off offset:2416 ; 16-byte Folded Spill
	scratch_store_dwordx4 off, v[28:31], off offset:2432 ; 16-byte Folded Spill
	;; [unrolled: 9-line block ×3, first 2 shown]
	scratch_load_dwordx4 v[24:27], off, s12 ; 16-byte Folded Reload
	s_nop 0
	scratch_load_dwordx4 v[28:31], off, s12 offset:16 ; 16-byte Folded Reload
	scratch_load_dwordx4 v[32:35], off, s12 offset:32 ; 16-byte Folded Reload
	scratch_load_dwordx4 v[36:39], off, s12 offset:48 ; 16-byte Folded Reload
	scratch_load_dwordx4 v[40:43], off, s12 offset:64 ; 16-byte Folded Reload
	scratch_load_dwordx4 v[44:47], off, s12 offset:80 ; 16-byte Folded Reload
	scratch_load_dwordx4 v[48:51], off, s12 offset:96 ; 16-byte Folded Reload
	scratch_load_dwordx4 v[52:55], off, s12 offset:112 ; 16-byte Folded Reload
	s_movk_i32 s12, 0x16a4
	v_mov_b64_e32 v[0:1], v[224:225]
	v_mov_b64_e32 v[16:17], v[240:241]
	;; [unrolled: 1-line block ×11, first 2 shown]
	s_waitcnt vmcnt(2)
	v_mov_b32_e32 v23, v47
	scratch_store_dwordx4 off, v[24:27], off offset:2576 ; 16-byte Folded Spill
	s_nop 0
	scratch_store_dwordx4 off, v[28:31], off offset:2592 ; 16-byte Folded Spill
	scratch_store_dwordx4 off, v[32:35], off offset:2608 ; 16-byte Folded Spill
	;; [unrolled: 1-line block ×5, first 2 shown]
	s_waitcnt vmcnt(7)
	scratch_store_dwordx4 off, v[48:51], off offset:2672 ; 16-byte Folded Spill
	s_waitcnt vmcnt(7)
	scratch_store_dwordx4 off, v[52:55], off offset:2688 ; 16-byte Folded Spill
	scratch_load_dwordx4 v[24:27], off, s12 ; 16-byte Folded Reload
	s_nop 0
	scratch_load_dwordx4 v[28:31], off, s12 offset:16 ; 16-byte Folded Reload
	scratch_load_dwordx4 v[32:35], off, s12 offset:32 ; 16-byte Folded Reload
	;; [unrolled: 1-line block ×7, first 2 shown]
	s_movk_i32 s12, 0x109c
	s_waitcnt vmcnt(2)
	v_mov_b32_e32 v22, v46
	scratch_store_dwordx4 off, v[24:27], off offset:400 ; 16-byte Folded Spill
	s_nop 0
	scratch_store_dwordx4 off, v[28:31], off offset:416 ; 16-byte Folded Spill
	scratch_store_dwordx4 off, v[32:35], off offset:432 ; 16-byte Folded Spill
	;; [unrolled: 1-line block ×5, first 2 shown]
	s_waitcnt vmcnt(7)
	scratch_store_dwordx4 off, v[48:51], off offset:496 ; 16-byte Folded Spill
	s_waitcnt vmcnt(7)
	scratch_store_dwordx4 off, v[52:55], off offset:512 ; 16-byte Folded Spill
	scratch_store_dwordx4 off, v[0:3], off offset:2704 ; 16-byte Folded Spill
	s_nop 0
	scratch_store_dwordx4 off, v[4:7], off offset:2720 ; 16-byte Folded Spill
	scratch_store_dwordx4 off, v[8:11], off offset:2736 ; 16-byte Folded Spill
	;; [unrolled: 1-line block ×7, first 2 shown]
	scratch_load_dwordx4 v[24:27], off, off offset:912 ; 16-byte Folded Reload
	s_nop 0
	scratch_load_dwordx4 v[28:31], off, off offset:928 ; 16-byte Folded Reload
	scratch_load_dwordx4 v[32:35], off, off offset:944 ; 16-byte Folded Reload
	;; [unrolled: 1-line block ×7, first 2 shown]
	s_waitcnt vmcnt(4)
	v_mov_b64_e32 v[0:1], v[24:25]
	v_mov_b64_e32 v[2:3], v[26:27]
	s_waitcnt vmcnt(2)
	v_mov_b32_e32 v16, v40
	v_mov_b64_e32 v[4:5], v[28:29]
	v_mov_b64_e32 v[6:7], v[30:31]
	;; [unrolled: 1-line block ×6, first 2 shown]
	v_mov_b32_e32 v17, v41
	v_mov_b32_e32 v18, v42
	;; [unrolled: 1-line block ×4, first 2 shown]
	scratch_store_dwordx4 off, v[0:3], off offset:912 ; 16-byte Folded Spill
	s_nop 0
	scratch_store_dwordx4 off, v[4:7], off offset:928 ; 16-byte Folded Spill
	scratch_store_dwordx4 off, v[8:11], off offset:944 ; 16-byte Folded Spill
	;; [unrolled: 1-line block ×7, first 2 shown]
	scratch_load_dwordx4 v[24:27], off, s12 ; 16-byte Folded Reload
	s_nop 0
	scratch_load_dwordx4 v[28:31], off, s12 offset:16 ; 16-byte Folded Reload
	scratch_load_dwordx4 v[32:35], off, s12 offset:32 ; 16-byte Folded Reload
	;; [unrolled: 1-line block ×7, first 2 shown]
	s_movk_i32 s12, 0x101c
	v_mov_b32_e32 v17, v127
	s_waitcnt vmcnt(3)
	v_mov_b32_e32 v19, v43
	scratch_store_dwordx4 off, v[24:27], off offset:2964 ; 16-byte Folded Spill
	s_nop 0
	scratch_store_dwordx4 off, v[28:31], off offset:2980 ; 16-byte Folded Spill
	scratch_store_dwordx4 off, v[32:35], off offset:2996 ; 16-byte Folded Spill
	;; [unrolled: 1-line block ×4, first 2 shown]
	s_waitcnt vmcnt(7)
	scratch_store_dwordx4 off, v[44:47], off offset:3044 ; 16-byte Folded Spill
	s_waitcnt vmcnt(7)
	scratch_store_dwordx4 off, v[48:51], off offset:3060 ; 16-byte Folded Spill
	;; [unrolled: 2-line block ×3, first 2 shown]
	scratch_load_dwordx4 v[24:27], off, s12 ; 16-byte Folded Reload
	s_nop 0
	scratch_load_dwordx4 v[28:31], off, s12 offset:16 ; 16-byte Folded Reload
	scratch_load_dwordx4 v[32:35], off, s12 offset:32 ; 16-byte Folded Reload
	;; [unrolled: 1-line block ×7, first 2 shown]
	s_movk_i32 s12, 0x111c
	s_waitcnt vmcnt(3)
	v_mov_b32_e32 v18, v42
	scratch_store_dwordx4 off, v[24:27], off offset:1040 ; 16-byte Folded Spill
	s_nop 0
	scratch_store_dwordx4 off, v[28:31], off offset:1056 ; 16-byte Folded Spill
	scratch_store_dwordx4 off, v[32:35], off offset:1072 ; 16-byte Folded Spill
	;; [unrolled: 1-line block ×4, first 2 shown]
	s_waitcnt vmcnt(7)
	scratch_store_dwordx4 off, v[44:47], off offset:1120 ; 16-byte Folded Spill
	s_waitcnt vmcnt(7)
	scratch_store_dwordx4 off, v[48:51], off offset:1136 ; 16-byte Folded Spill
	s_waitcnt vmcnt(7)
	scratch_store_dwordx4 off, v[52:55], off offset:1152 ; 16-byte Folded Spill
	scratch_store_dwordx4 off, v[110:113], off offset:3476 ; 16-byte Folded Spill
	s_nop 0
	scratch_store_dwordx4 off, v[114:117], off offset:3492 ; 16-byte Folded Spill
	scratch_store_dwordx4 off, v[118:121], off offset:3508 ; 16-byte Folded Spill
	;; [unrolled: 1-line block ×7, first 2 shown]
	scratch_load_dwordx4 v[24:27], off, off offset:784 ; 16-byte Folded Reload
	scratch_load_dwordx4 v[28:31], off, off offset:800 ; 16-byte Folded Reload
	;; [unrolled: 1-line block ×8, first 2 shown]
	s_waitcnt vmcnt(7)
	scratch_store_dwordx4 off, v[24:27], off offset:2192 ; 16-byte Folded Spill
	s_waitcnt vmcnt(7)
	scratch_store_dwordx4 off, v[28:31], off offset:2208 ; 16-byte Folded Spill
	;; [unrolled: 2-line block ×8, first 2 shown]
	scratch_store_dwordx4 off, v[84:87], off offset:3864 ; 16-byte Folded Spill
	s_nop 0
	scratch_store_dwordx4 off, v[88:91], off offset:3880 ; 16-byte Folded Spill
	scratch_store_dwordx4 off, v[92:95], off offset:3896 ; 16-byte Folded Spill
	;; [unrolled: 1-line block ×7, first 2 shown]
	scratch_load_dwordx4 v[24:27], off, off offset:1296 ; 16-byte Folded Reload
	scratch_load_dwordx4 v[28:31], off, off offset:1312 ; 16-byte Folded Reload
	scratch_load_dwordx4 v[32:35], off, off offset:1328 ; 16-byte Folded Reload
	scratch_load_dwordx4 v[36:39], off, off offset:1344 ; 16-byte Folded Reload
	scratch_load_dwordx4 v[40:43], off, off offset:1360 ; 16-byte Folded Reload
	scratch_load_dwordx4 v[44:47], off, off offset:1376 ; 16-byte Folded Reload
	scratch_load_dwordx4 v[48:51], off, off offset:1392 ; 16-byte Folded Reload
	scratch_load_dwordx4 v[52:55], off, off offset:1408 ; 16-byte Folded Reload
	s_waitcnt vmcnt(7)
	scratch_store_dwordx4 off, v[24:27], off offset:1936 ; 16-byte Folded Spill
	s_waitcnt vmcnt(7)
	scratch_store_dwordx4 off, v[28:31], off offset:1952 ; 16-byte Folded Spill
	;; [unrolled: 2-line block ×8, first 2 shown]
	scratch_load_dwordx4 v[24:27], off, off offset:1552 ; 16-byte Folded Reload
	s_nop 0
	scratch_load_dwordx4 v[28:31], off, off offset:1568 ; 16-byte Folded Reload
	scratch_load_dwordx4 v[32:35], off, off offset:1584 ; 16-byte Folded Reload
	;; [unrolled: 1-line block ×7, first 2 shown]
	s_waitcnt vmcnt(7)
	scratch_store_dwordx4 off, v[24:27], s12 ; 16-byte Folded Spill
	s_waitcnt vmcnt(7)
	scratch_store_dwordx4 off, v[28:31], s12 offset:16 ; 16-byte Folded Spill
	s_waitcnt vmcnt(7)
	scratch_store_dwordx4 off, v[32:35], s12 offset:32 ; 16-byte Folded Spill
	;; [unrolled: 2-line block ×7, first 2 shown]
	scratch_load_dwordx4 v[24:27], off, off offset:1680 ; 16-byte Folded Reload
	s_nop 0
	scratch_load_dwordx4 v[28:31], off, off offset:1696 ; 16-byte Folded Reload
	scratch_load_dwordx4 v[32:35], off, off offset:1712 ; 16-byte Folded Reload
	;; [unrolled: 1-line block ×7, first 2 shown]
	s_waitcnt vmcnt(7)
	scratch_store_dwordx4 off, v[24:27], off offset:3348 ; 16-byte Folded Spill
	s_waitcnt vmcnt(7)
	scratch_store_dwordx4 off, v[28:31], off offset:3364 ; 16-byte Folded Spill
	;; [unrolled: 2-line block ×8, first 2 shown]
	scratch_load_dwordx4 v[24:27], off, off offset:1808 ; 16-byte Folded Reload
	s_nop 0
	scratch_load_dwordx4 v[28:31], off, off offset:1824 ; 16-byte Folded Reload
	scratch_load_dwordx4 v[32:35], off, off offset:1840 ; 16-byte Folded Reload
	;; [unrolled: 1-line block ×7, first 2 shown]
	s_movk_i32 s12, 0x129c
	s_waitcnt vmcnt(5)
	v_mov_b64_e32 v[0:1], v[24:25]
	v_mov_b64_e32 v[2:3], v[26:27]
	;; [unrolled: 1-line block ×6, first 2 shown]
	scratch_store_dwordx4 off, v[0:3], s12  ; 16-byte Folded Spill
	s_nop 0
	scratch_store_dwordx4 off, v[4:7], s12 offset:16 ; 16-byte Folded Spill
	scratch_store_dwordx4 off, v[8:11], s12 offset:32 ; 16-byte Folded Spill
	;; [unrolled: 1-line block ×7, first 2 shown]
	scratch_load_dwordx4 v[24:27], off, off offset:2448 ; 16-byte Folded Reload
	s_nop 0
	scratch_load_dwordx4 v[28:31], off, off offset:2464 ; 16-byte Folded Reload
	scratch_load_dwordx4 v[32:35], off, off offset:2480 ; 16-byte Folded Reload
	;; [unrolled: 1-line block ×7, first 2 shown]
	s_movk_i32 s12, 0xf98
	s_waitcnt vmcnt(7)
	scratch_store_dwordx4 off, v[24:27], s12 ; 16-byte Folded Spill
	s_waitcnt vmcnt(7)
	scratch_store_dwordx4 off, v[28:31], s12 offset:16 ; 16-byte Folded Spill
	s_waitcnt vmcnt(7)
	scratch_store_dwordx4 off, v[32:35], s12 offset:32 ; 16-byte Folded Spill
	;; [unrolled: 2-line block ×7, first 2 shown]
	scratch_load_dwordx4 v[24:27], off, off offset:3732 ; 16-byte Folded Reload
	s_nop 0
	scratch_load_dwordx4 v[28:31], off, off offset:3748 ; 16-byte Folded Reload
	scratch_load_dwordx4 v[32:35], off, off offset:3764 ; 16-byte Folded Reload
	scratch_load_dwordx4 v[36:39], off, off offset:3780 ; 16-byte Folded Reload
	scratch_load_dwordx4 v[40:43], off, off offset:3796 ; 16-byte Folded Reload
	scratch_load_dwordx4 v[44:47], off, off offset:3812 ; 16-byte Folded Reload
	scratch_load_dwordx4 v[48:51], off, off offset:3828 ; 16-byte Folded Reload
	scratch_load_dwordx4 v[52:55], off, off offset:3844 ; 16-byte Folded Reload
	s_movk_i32 s12, 0x131c
	s_waitcnt vmcnt(5)
	v_mov_b64_e32 v[0:1], v[24:25]
	v_mov_b64_e32 v[2:3], v[26:27]
	;; [unrolled: 1-line block ×5, first 2 shown]
	v_mov_b32_e32 v147, v9
	scratch_store_dwordx4 off, v[0:3], s12  ; 16-byte Folded Spill
	s_nop 0
	scratch_store_dwordx4 off, v[4:7], s12 offset:16 ; 16-byte Folded Spill
	scratch_store_dwordx4 off, v[8:11], s12 offset:32 ; 16-byte Folded Spill
	;; [unrolled: 1-line block ×7, first 2 shown]
	scratch_load_dwordx4 v[24:27], off, off offset:3604 ; 16-byte Folded Reload
	s_nop 0
	scratch_load_dwordx4 v[28:31], off, off offset:3620 ; 16-byte Folded Reload
	scratch_load_dwordx4 v[32:35], off, off offset:3636 ; 16-byte Folded Reload
	;; [unrolled: 1-line block ×7, first 2 shown]
	s_movk_i32 s12, 0x121c
	s_waitcnt vmcnt(5)
	v_mov_b32_e32 v0, v24
	v_mov_b32_e32 v1, v25
	;; [unrolled: 1-line block ×9, first 2 shown]
	scratch_store_dwordx4 off, v[0:3], s12  ; 16-byte Folded Spill
	s_nop 0
	scratch_store_dwordx4 off, v[4:7], s12 offset:16 ; 16-byte Folded Spill
	scratch_store_dwordx4 off, v[8:11], s12 offset:32 ; 16-byte Folded Spill
	;; [unrolled: 1-line block ×7, first 2 shown]
	scratch_load_dwordx4 v[66:69], off, off offset:2832 ; 16-byte Folded Reload
	scratch_load_dwordx4 v[70:73], off, off offset:2848 ; 16-byte Folded Reload
	scratch_load_dwordx4 v[74:77], off, off offset:2864 ; 16-byte Folded Reload
	scratch_load_dwordx4 v[78:81], off, off offset:2880 ; 16-byte Folded Reload
	scratch_load_dwordx4 v[82:85], off, off offset:2896 ; 16-byte Folded Reload
	scratch_load_dwordx4 v[86:89], off, off offset:2912 ; 16-byte Folded Reload
	scratch_load_dwordx4 v[90:93], off, off offset:2928 ; 16-byte Folded Reload
	scratch_load_dwordx4 v[94:97], off, off offset:2944 ; 16-byte Folded Reload
	s_movk_i32 s12, 0x15a4
	s_waitcnt vmcnt(7)
	scratch_store_dwordx4 off, v[66:69], s12 ; 16-byte Folded Spill
	s_waitcnt vmcnt(7)
	scratch_store_dwordx4 off, v[70:73], s12 offset:16 ; 16-byte Folded Spill
	s_waitcnt vmcnt(7)
	scratch_store_dwordx4 off, v[74:77], s12 offset:32 ; 16-byte Folded Spill
	;; [unrolled: 2-line block ×7, first 2 shown]
	scratch_load_dwordx4 v[24:27], off, off offset:144 ; 16-byte Folded Reload
	scratch_load_dwordx4 v[28:31], off, off offset:160 ; 16-byte Folded Reload
	;; [unrolled: 1-line block ×8, first 2 shown]
	v_mov_b64_e32 v[0:1], v[128:129]
	s_movk_i32 s12, 0x151c
	v_mov_b64_e32 v[4:5], v[132:133]
	v_mov_b64_e32 v[2:3], v[130:131]
	v_mov_b32_e32 v9, v5
	s_waitcnt vmcnt(6)
	v_mov_b32_e32 v72, v30
	v_mov_b32_e32 v71, v29
	;; [unrolled: 1-line block ×7, first 2 shown]
	scratch_store_dwordx4 off, v[66:69], s12 ; 16-byte Folded Spill
	s_nop 0
	scratch_store_dwordx4 off, v[70:73], s12 offset:16 ; 16-byte Folded Spill
	scratch_store_dwordx4 off, v[74:77], s12 offset:32 ; 16-byte Folded Spill
	;; [unrolled: 1-line block ×7, first 2 shown]
	s_movk_i32 s12, 0x1724
	scratch_store_dwordx4 off, v[0:3], s12  ; 16-byte Folded Spill
	s_nop 0
	scratch_store_dwordx4 off, v[4:7], s12 offset:16 ; 16-byte Folded Spill
	scratch_store_dwordx4 off, v[8:11], s12 offset:32 ; 16-byte Folded Spill
	;; [unrolled: 1-line block ×7, first 2 shown]
	scratch_load_dwordx4 v[24:27], off, off offset:3092 ; 16-byte Folded Reload
	s_nop 0
	scratch_load_dwordx4 v[28:31], off, off offset:3108 ; 16-byte Folded Reload
	scratch_load_dwordx4 v[32:35], off, off offset:3124 ; 16-byte Folded Reload
	;; [unrolled: 1-line block ×7, first 2 shown]
	s_movk_i32 s12, 0x17a4
	s_waitcnt vmcnt(6)
	v_mov_b32_e32 v2, v24
	v_mov_b32_e32 v3, v25
	;; [unrolled: 1-line block ×5, first 2 shown]
	scratch_store_dwordx4 off, v[2:5], s12  ; 16-byte Folded Spill
	s_nop 0
	scratch_store_dwordx4 off, v[6:9], s12 offset:16 ; 16-byte Folded Spill
	scratch_store_dwordx4 off, v[10:13], s12 offset:32 ; 16-byte Folded Spill
	;; [unrolled: 1-line block ×6, first 2 shown]
	s_waitcnt vmcnt(12)
	scratch_store_dwordx4 off, v[30:33], s12 offset:112 ; 16-byte Folded Spill
	scratch_load_dwordx4 v[24:27], off, off offset:3220 ; 16-byte Folded Reload
	s_nop 0
	scratch_load_dwordx4 v[28:31], off, off offset:3236 ; 16-byte Folded Reload
	scratch_load_dwordx4 v[32:35], off, off offset:3252 ; 16-byte Folded Reload
	;; [unrolled: 1-line block ×7, first 2 shown]
	s_movk_i32 s12, 0x1824
	s_waitcnt vmcnt(7)
	v_mov_b64_e32 v[0:1], v[24:25]
	v_mov_b64_e32 v[2:3], v[26:27]
	s_waitcnt vmcnt(4)
	v_mov_b32_e32 v37, v3
	scratch_store_dwordx4 off, v[0:3], s12  ; 16-byte Folded Spill
	s_nop 0
	scratch_store_dwordx4 off, v[4:7], s12 offset:16 ; 16-byte Folded Spill
	scratch_store_dwordx4 off, v[8:11], s12 offset:32 ; 16-byte Folded Spill
	;; [unrolled: 1-line block ×7, first 2 shown]
	s_movk_i32 s12, 0x141c
	scratch_load_dwordx4 v[38:41], off, s12 ; 16-byte Folded Reload
	scratch_load_dwordx4 v[42:45], off, s12 offset:16 ; 16-byte Folded Reload
	scratch_load_dwordx4 v[46:49], off, s12 offset:32 ; 16-byte Folded Reload
	scratch_load_dwordx4 v[50:53], off, s12 offset:48 ; 16-byte Folded Reload
	scratch_load_dwordx4 v[54:57], off, s12 offset:64 ; 16-byte Folded Reload
	scratch_load_dwordx4 v[58:61], off, s12 offset:80 ; 16-byte Folded Reload
	scratch_load_dwordx4 v[62:65], off, s12 offset:96 ; 16-byte Folded Reload
	scratch_load_dwordx4 v[66:69], off, s12 offset:112 ; 16-byte Folded Reload
	s_movk_i32 s12, 0x18a4
	s_waitcnt vmcnt(7)
	v_mov_b32_e32 v0, v38
	v_mov_b32_e32 v2, v40
	;; [unrolled: 1-line block ×4, first 2 shown]
	scratch_store_dwordx4 off, v[0:3], s12  ; 16-byte Folded Spill
	s_nop 0
	scratch_store_dwordx4 off, v[4:7], s12 offset:16 ; 16-byte Folded Spill
	scratch_store_dwordx4 off, v[8:11], s12 offset:32 ; 16-byte Folded Spill
	;; [unrolled: 1-line block ×7, first 2 shown]
	s_mov_b64 s[12:13], exec
	s_and_b64 s[14:15], s[12:13], vcc
	v_mov_b32_e32 v70, v8
	v_mov_b64_e32 v[160:161], v[138:139]
	v_mov_b32_e32 v74, v6
	s_mov_b64 exec, s[14:15]
	s_cbranch_execz .LBB60_31
; %bb.30:
	scratch_load_dwordx4 v[38:41], off, off offset:2448 ; 16-byte Folded Reload
	scratch_load_dwordx4 v[42:45], off, off offset:2464 ; 16-byte Folded Reload
	;; [unrolled: 1-line block ×8, first 2 shown]
	v_div_scale_f32 v0, s[14:15], v255, v255, 1.0
	v_rcp_f32_e32 v1, v0
	v_mov_b32_e32 v26, v4
	v_mov_b32_e32 v27, v37
	;; [unrolled: 1-line block ×3, first 2 shown]
	v_fma_f32 v2, -v0, v1, 1.0
	v_fmac_f32_e32 v1, v2, v1
	v_div_scale_f32 v2, vcc, 1.0, v255, 1.0
	v_mul_f32_e32 v3, v2, v1
	v_fma_f32 v4, -v0, v3, v2
	v_fmac_f32_e32 v3, v4, v1
	v_fma_f32 v0, -v0, v3, v2
	v_div_fmas_f32 v0, v0, v1, v3
	v_div_fixup_f32 v0, v0, v255, 1.0
	v_cndmask_b32_e64 v0, v255, v0, s[2:3]
	v_mul_f32_e32 v222, v161, v0
	v_mov_b32_e32 v71, v147
	s_movk_i32 s14, 0x18a4
	v_mov_b32_e32 v25, v223
	s_waitcnt vmcnt(5)
	v_mov_b32_e32 v10, v48
	scratch_load_dwordx4 v[38:41], off, off offset:1808 ; 16-byte Folded Reload
	scratch_load_dwordx4 v[42:45], off, off offset:1824 ; 16-byte Folded Reload
	scratch_load_dwordx4 v[46:49], off, off offset:1840 ; 16-byte Folded Reload
	scratch_load_dwordx4 v[50:53], off, off offset:1856 ; 16-byte Folded Reload
	scratch_load_dwordx4 v[54:57], off, off offset:1872 ; 16-byte Folded Reload
	scratch_load_dwordx4 v[58:61], off, off offset:1888 ; 16-byte Folded Reload
	scratch_load_dwordx4 v[62:65], off, off offset:1904 ; 16-byte Folded Reload
	scratch_load_dwordx4 v[66:69], off, off offset:1920 ; 16-byte Folded Reload
	s_waitcnt vmcnt(5)
	v_mov_b32_e32 v11, v49
	scratch_load_dwordx4 v[38:41], off, off offset:1680 ; 16-byte Folded Reload
	scratch_load_dwordx4 v[42:45], off, off offset:1696 ; 16-byte Folded Reload
	scratch_load_dwordx4 v[46:49], off, off offset:1712 ; 16-byte Folded Reload
	scratch_load_dwordx4 v[50:53], off, off offset:1728 ; 16-byte Folded Reload
	scratch_load_dwordx4 v[54:57], off, off offset:1744 ; 16-byte Folded Reload
	scratch_load_dwordx4 v[58:61], off, off offset:1760 ; 16-byte Folded Reload
	scratch_load_dwordx4 v[62:65], off, off offset:1776 ; 16-byte Folded Reload
	scratch_load_dwordx4 v[66:69], off, off offset:1792 ; 16-byte Folded Reload
	;; [unrolled: 10-line block ×7, first 2 shown]
	scratch_load_dword v8, off, off offset:2960 ; 4-byte Folded Reload
	s_waitcnt vmcnt(0)
	ds_read2_b32 v[0:1], v8 offset0:2 offset1:3
	ds_read2_b32 v[2:3], v8 offset0:4 offset1:5
	;; [unrolled: 1-line block ×4, first 2 shown]
	v_mov_b32_e32 v24, v62
	s_waitcnt lgkmcnt(3)
	v_pk_fma_f32 v[26:27], v[222:223], v[0:1], v[26:27] op_sel_hi:[0,1,1] neg_lo:[1,0,0] neg_hi:[1,0,0]
	s_waitcnt lgkmcnt(2)
	v_pk_fma_f32 v[74:75], v[222:223], v[2:3], v[74:75] op_sel_hi:[0,1,1] neg_lo:[1,0,0] neg_hi:[1,0,0]
	;; [unrolled: 2-line block ×4, first 2 shown]
	ds_read2_b32 v[0:1], v8 offset0:10 offset1:11
	ds_read2_b32 v[2:3], v8 offset0:12 offset1:13
	;; [unrolled: 1-line block ×4, first 2 shown]
	v_mov_b32_e32 v9, v75
	s_waitcnt lgkmcnt(3)
	v_pk_fma_f32 v[10:11], v[222:223], v[0:1], v[10:11] op_sel_hi:[0,1,1] neg_lo:[1,0,0] neg_hi:[1,0,0]
	s_waitcnt lgkmcnt(2)
	v_pk_fma_f32 v[12:13], v[222:223], v[2:3], v[12:13] op_sel_hi:[0,1,1] neg_lo:[1,0,0] neg_hi:[1,0,0]
	;; [unrolled: 2-line block ×4, first 2 shown]
	ds_read2_b32 v[0:1], v8 offset0:18 offset1:19
	ds_read2_b32 v[2:3], v8 offset0:20 offset1:21
	;; [unrolled: 1-line block ×4, first 2 shown]
	v_mov_b32_e32 v147, v71
	s_waitcnt lgkmcnt(3)
	v_pk_fma_f32 v[18:19], v[222:223], v[0:1], v[18:19] op_sel_hi:[0,1,1] neg_lo:[1,0,0] neg_hi:[1,0,0]
	s_waitcnt lgkmcnt(2)
	v_pk_fma_f32 v[20:21], v[222:223], v[2:3], v[20:21] op_sel_hi:[0,1,1] neg_lo:[1,0,0] neg_hi:[1,0,0]
	ds_read2_b32 v[0:1], v8 offset0:26 offset1:27
	ds_read2_b32 v[2:3], v8 offset0:28 offset1:29
	s_waitcnt lgkmcnt(3)
	v_pk_fma_f32 v[22:23], v[222:223], v[4:5], v[22:23] op_sel_hi:[0,1,1] neg_lo:[1,0,0] neg_hi:[1,0,0]
	s_waitcnt lgkmcnt(2)
	v_pk_fma_f32 v[24:25], v[222:223], v[6:7], v[24:25] op_sel_hi:[0,1,1] neg_lo:[1,0,0] neg_hi:[1,0,0]
	v_mov_b32_e32 v4, v26
	s_waitcnt lgkmcnt(1)
	v_pk_fma_f32 v[206:207], v[222:223], v[0:1], v[206:207] op_sel_hi:[0,1,1] neg_lo:[1,0,0] neg_hi:[1,0,0]
	scratch_load_dwordx2 v[0:1], off, off offset:136 ; 8-byte Folded Reload
	s_waitcnt vmcnt(0)
	v_mov_b32_e32 v253, v0
	ds_read_b32 v0, v8 offset:120
	scratch_load_dwordx4 v[30:33], off, off offset:8 ; 16-byte Folded Reload
	scratch_load_dwordx4 v[34:37], off, off offset:24 ; 16-byte Folded Reload
	;; [unrolled: 1-line block ×8, first 2 shown]
	s_waitcnt vmcnt(7)
	v_mov_b32_e32 v31, v222
	s_waitcnt lgkmcnt(1)
	v_pk_fma_f32 v[252:253], v[222:223], v[2:3], v[252:253] op_sel_hi:[0,1,1] neg_lo:[1,0,0] neg_hi:[1,0,0]
	s_waitcnt lgkmcnt(0)
	v_fma_f32 v1, -v222, v0, v1
	v_mov_b32_e32 v0, v253
	s_waitcnt vmcnt(0)
	v_mov_b64_e32 v[190:191], v[60:61]
	v_mov_b64_e32 v[188:189], v[58:59]
	;; [unrolled: 1-line block ×16, first 2 shown]
	v_mov_b32_e32 v32, v26
	scratch_store_dwordx4 off, v[30:33], s14 ; 16-byte Folded Spill
	s_nop 0
	scratch_store_dwordx4 off, v[34:37], s14 offset:16 ; 16-byte Folded Spill
	scratch_store_dwordx4 off, v[38:41], s14 offset:32 ; 16-byte Folded Spill
	scratch_store_dwordx4 off, v[42:45], s14 offset:48 ; 16-byte Folded Spill
	scratch_store_dwordx4 off, v[46:49], s14 offset:64 ; 16-byte Folded Spill
	scratch_store_dwordx4 off, v[50:53], s14 offset:80 ; 16-byte Folded Spill
	scratch_store_dwordx4 off, v[54:57], s14 offset:96 ; 16-byte Folded Spill
	scratch_store_dwordx4 off, v[58:61], s14 offset:112 ; 16-byte Folded Spill
	v_mov_b32_e32 v33, v27
	s_movk_i32 s14, 0x1824
	scratch_store_dwordx4 off, v[30:33], s14 ; 16-byte Folded Spill
	s_nop 0
	scratch_store_dwordx4 off, v[34:37], s14 offset:16 ; 16-byte Folded Spill
	scratch_store_dwordx4 off, v[38:41], s14 offset:32 ; 16-byte Folded Spill
	scratch_store_dwordx4 off, v[42:45], s14 offset:48 ; 16-byte Folded Spill
	scratch_store_dwordx4 off, v[46:49], s14 offset:64 ; 16-byte Folded Spill
	scratch_store_dwordx4 off, v[50:53], s14 offset:80 ; 16-byte Folded Spill
	scratch_store_dwordx4 off, v[54:57], s14 offset:96 ; 16-byte Folded Spill
	scratch_store_dwordx4 off, v[58:61], s14 offset:112 ; 16-byte Folded Spill
	v_mov_b32_e32 v34, v74
	s_movk_i32 s14, 0x17a4
	;; [unrolled: 11-line block ×10, first 2 shown]
	scratch_store_dwordx4 off, v[30:33], off offset:3348 ; 16-byte Folded Spill
	s_nop 0
	scratch_store_dwordx4 off, v[34:37], off offset:3364 ; 16-byte Folded Spill
	scratch_store_dwordx4 off, v[38:41], off offset:3380 ; 16-byte Folded Spill
	scratch_store_dwordx4 off, v[42:45], off offset:3396 ; 16-byte Folded Spill
	scratch_store_dwordx4 off, v[46:49], off offset:3412 ; 16-byte Folded Spill
	scratch_store_dwordx4 off, v[50:53], off offset:3428 ; 16-byte Folded Spill
	scratch_store_dwordx4 off, v[54:57], off offset:3444 ; 16-byte Folded Spill
	scratch_store_dwordx4 off, v[58:61], off offset:3460 ; 16-byte Folded Spill
	v_mov_b32_e32 v43, v13
	scratch_store_dwordx4 off, v[30:33], s14 ; 16-byte Folded Spill
	s_nop 0
	scratch_store_dwordx4 off, v[34:37], s14 offset:16 ; 16-byte Folded Spill
	scratch_store_dwordx4 off, v[38:41], s14 offset:32 ; 16-byte Folded Spill
	;; [unrolled: 1-line block ×7, first 2 shown]
	v_mov_b32_e32 v44, v14
	scratch_store_dwordx4 off, v[30:33], off offset:1936 ; 16-byte Folded Spill
	s_nop 0
	scratch_store_dwordx4 off, v[34:37], off offset:1952 ; 16-byte Folded Spill
	scratch_store_dwordx4 off, v[38:41], off offset:1968 ; 16-byte Folded Spill
	scratch_store_dwordx4 off, v[42:45], off offset:1984 ; 16-byte Folded Spill
	scratch_store_dwordx4 off, v[46:49], off offset:2000 ; 16-byte Folded Spill
	scratch_store_dwordx4 off, v[50:53], off offset:2016 ; 16-byte Folded Spill
	scratch_store_dwordx4 off, v[54:57], off offset:2032 ; 16-byte Folded Spill
	scratch_store_dwordx4 off, v[58:61], off offset:2048 ; 16-byte Folded Spill
	v_mov_b32_e32 v45, v15
	scratch_store_dwordx4 off, v[30:33], off offset:3864 ; 16-byte Folded Spill
	s_nop 0
	scratch_store_dwordx4 off, v[34:37], off offset:3880 ; 16-byte Folded Spill
	scratch_store_dwordx4 off, v[38:41], off offset:3896 ; 16-byte Folded Spill
	scratch_store_dwordx4 off, v[42:45], off offset:3912 ; 16-byte Folded Spill
	scratch_store_dwordx4 off, v[46:49], off offset:3928 ; 16-byte Folded Spill
	scratch_store_dwordx4 off, v[50:53], off offset:3944 ; 16-byte Folded Spill
	scratch_store_dwordx4 off, v[54:57], off offset:3960 ; 16-byte Folded Spill
	scratch_store_dwordx4 off, v[58:61], off offset:3976 ; 16-byte Folded Spill
	;; [unrolled: 10-line block ×10, first 2 shown]
	s_nop 0
	v_mov_b32_e32 v54, v24
	scratch_store_dwordx4 off, v[30:33], off offset:528 ; 16-byte Folded Spill
	s_nop 0
	scratch_store_dwordx4 off, v[34:37], off offset:544 ; 16-byte Folded Spill
	scratch_store_dwordx4 off, v[38:41], off offset:560 ; 16-byte Folded Spill
	scratch_store_dwordx4 off, v[42:45], off offset:576 ; 16-byte Folded Spill
	scratch_store_dwordx4 off, v[46:49], off offset:592 ; 16-byte Folded Spill
	scratch_store_dwordx4 off, v[50:53], off offset:608 ; 16-byte Folded Spill
	scratch_store_dwordx4 off, v[54:57], off offset:624 ; 16-byte Folded Spill
	scratch_store_dwordx4 off, v[58:61], off offset:640 ; 16-byte Folded Spill
	s_nop 0
	v_mov_b32_e32 v55, v25
	scratch_store_dwordx4 off, v[30:33], off offset:2320 ; 16-byte Folded Spill
	s_nop 0
	scratch_store_dwordx4 off, v[34:37], off offset:2336 ; 16-byte Folded Spill
	scratch_store_dwordx4 off, v[38:41], off offset:2352 ; 16-byte Folded Spill
	scratch_store_dwordx4 off, v[42:45], off offset:2368 ; 16-byte Folded Spill
	scratch_store_dwordx4 off, v[46:49], off offset:2384 ; 16-byte Folded Spill
	scratch_store_dwordx4 off, v[50:53], off offset:2400 ; 16-byte Folded Spill
	scratch_store_dwordx4 off, v[54:57], off offset:2416 ; 16-byte Folded Spill
	scratch_store_dwordx4 off, v[58:61], off offset:2432 ; 16-byte Folded Spill
	;; [unrolled: 11-line block ×5, first 2 shown]
	s_nop 1
	v_mov_b32_e32 v59, v253
	v_mov_b32_e32 v60, v1
	scratch_store_dwordx4 off, v[30:33], off offset:8 ; 16-byte Folded Spill
	s_nop 0
	scratch_store_dwordx4 off, v[34:37], off offset:24 ; 16-byte Folded Spill
	scratch_store_dwordx4 off, v[38:41], off offset:40 ; 16-byte Folded Spill
	;; [unrolled: 1-line block ×7, first 2 shown]
	scratch_store_dwordx2 off, v[0:1], off offset:136 ; 8-byte Folded Spill
	v_mov_b32_e32 v37, v27
	scratch_store_dwordx4 off, v[0:3], off offset:2448 ; 16-byte Folded Spill
	s_nop 0
	scratch_store_dwordx4 off, v[4:7], off offset:2464 ; 16-byte Folded Spill
	scratch_store_dwordx4 off, v[8:11], off offset:2480 ; 16-byte Folded Spill
	scratch_store_dwordx4 off, v[12:15], off offset:2496 ; 16-byte Folded Spill
	scratch_store_dwordx4 off, v[16:19], off offset:2512 ; 16-byte Folded Spill
	scratch_store_dwordx4 off, v[20:23], off offset:2528 ; 16-byte Folded Spill
	scratch_store_dwordx4 off, v[24:27], off offset:2544 ; 16-byte Folded Spill
	scratch_store_dwordx4 off, v[28:31], off offset:2560 ; 16-byte Folded Spill
	scratch_store_dwordx4 off, v[0:3], off offset:1808 ; 16-byte Folded Spill
	s_nop 0
	scratch_store_dwordx4 off, v[4:7], off offset:1824 ; 16-byte Folded Spill
	scratch_store_dwordx4 off, v[8:11], off offset:1840 ; 16-byte Folded Spill
	scratch_store_dwordx4 off, v[12:15], off offset:1856 ; 16-byte Folded Spill
	scratch_store_dwordx4 off, v[16:19], off offset:1872 ; 16-byte Folded Spill
	scratch_store_dwordx4 off, v[20:23], off offset:1888 ; 16-byte Folded Spill
	scratch_store_dwordx4 off, v[24:27], off offset:1904 ; 16-byte Folded Spill
	scratch_store_dwordx4 off, v[28:31], off offset:1920 ; 16-byte Folded Spill
	;; [unrolled: 9-line block ×8, first 2 shown]
	v_mov_b32_e32 v223, v25
.LBB60_31:
	s_or_b64 exec, exec, s[12:13]
	s_waitcnt vmcnt(63) expcnt(7) lgkmcnt(15)
	s_barrier
	scratch_load_dword v1, off, off offset:2960 ; 4-byte Folded Reload
	scratch_load_dword v0, off, off offset:4 ; 4-byte Folded Reload
	v_mov_b32_e32 v2, v4
	s_cmp_lt_i32 s22, 4
	s_waitcnt vmcnt(1)
	v_mov_b32_e32 v255, v1
	s_waitcnt vmcnt(0)
	v_lshl_add_u32 v26, v0, 2, v1
	ds_write_b32 v26, v4
	s_waitcnt lgkmcnt(0)
	s_barrier
	ds_read_b32 v28, v1 offset:8
	v_mov_b32_e32 v26, 2
	s_cbranch_scc1 .LBB60_34
; %bb.32:
	s_movk_i32 s12, 0x1018
	scratch_load_dword v0, off, s12         ; 4-byte Folded Reload
	v_mov_b32_e32 v26, 2
	s_mov_b32 s12, 3
	s_waitcnt vmcnt(0)
	v_add3_u32 v27, v0, 0, 12
.LBB60_33:                              ; =>This Inner Loop Header: Depth=1
	ds_read_b32 v29, v27
	v_add_u32_e32 v27, 4, v27
	s_waitcnt lgkmcnt(0)
	v_cmp_lt_f32_e64 vcc, |v28|, |v29|
	s_nop 1
	v_cndmask_b32_e32 v28, v28, v29, vcc
	v_mov_b32_e32 v29, s12
	s_add_i32 s12, s12, 1
	v_cndmask_b32_e32 v26, v26, v29, vcc
	s_cmp_lg_u32 s22, s12
	s_cbranch_scc1 .LBB60_33
.LBB60_34:
	v_cndmask_b32_e64 v27, 2, 1, s[0:1]
	v_cndmask_b32_e64 v29, 0, 1, s[0:1]
	v_cndmask_b32_e64 v0, v27, v29, s[2:3]
	s_waitcnt lgkmcnt(0)
	v_cmp_eq_f32_e32 vcc, 0, v28
	scratch_store_dword off, v0, off offset:144 ; 4-byte Folded Spill
	s_and_saveexec_b64 s[0:1], vcc
	s_xor_b64 s[0:1], exec, s[0:1]
	s_cbranch_execz .LBB60_36
; %bb.35:
	scratch_load_dword v0, off, off offset:144 ; 4-byte Folded Reload
	s_waitcnt vmcnt(0)
	v_cmp_ne_u32_e32 vcc, 0, v0
	s_nop 1
	v_cndmask_b32_e32 v0, 3, v0, vcc
	scratch_store_dword off, v0, off offset:144 ; 4-byte Folded Spill
.LBB60_36:
	s_andn2_saveexec_b64 s[0:1], s[0:1]
	s_cbranch_execz .LBB60_38
; %bb.37:
	v_div_scale_f32 v27, s[2:3], v28, v28, 1.0
	v_rcp_f32_e32 v29, v27
	v_div_scale_f32 v30, vcc, 1.0, v28, 1.0
	v_fma_f32 v31, -v27, v29, 1.0
	v_fmac_f32_e32 v29, v31, v29
	v_mul_f32_e32 v31, v30, v29
	v_fma_f32 v60, -v27, v31, v30
	v_fmac_f32_e32 v31, v60, v29
	v_fma_f32 v27, -v27, v31, v30
	v_div_fmas_f32 v27, v27, v29, v31
	v_div_fixup_f32 v28, v27, v28, 1.0
.LBB60_38:
	s_or_b64 exec, exec, s[0:1]
	scratch_load_dword v0, off, off offset:4 ; 4-byte Folded Reload
	s_waitcnt vmcnt(0)
	v_cmp_ne_u32_e32 vcc, v0, v26
	s_and_saveexec_b64 s[0:1], vcc
	s_xor_b64 s[0:1], exec, s[0:1]
	s_cbranch_execz .LBB60_44
; %bb.39:
	scratch_load_dword v0, off, off offset:4 ; 4-byte Folded Reload
	s_waitcnt vmcnt(0)
	v_cmp_eq_u32_e32 vcc, 2, v0
	s_and_saveexec_b64 s[2:3], vcc
	s_cbranch_execz .LBB60_43
; %bb.40:
	v_cmp_ne_u32_e32 vcc, 2, v26
	s_xor_b64 s[12:13], s[20:21], -1
	s_and_b64 s[14:15], s[12:13], vcc
	s_and_saveexec_b64 s[12:13], s[14:15]
	s_cbranch_execz .LBB60_42
; %bb.41:
	s_movk_i32 s14, 0x159c
	scratch_load_dwordx2 v[60:61], off, s14 ; 8-byte Folded Reload
	v_ashrrev_i32_e32 v27, 31, v26
	s_waitcnt vmcnt(0)
	v_lshl_add_u64 v[30:31], v[26:27], 2, v[60:61]
	global_load_dword v27, v[30:31], off
	global_load_dword v29, v[60:61], off offset:8
	s_waitcnt vmcnt(1)
	global_store_dword v[60:61], v27, off offset:8
	s_waitcnt vmcnt(1)
	global_store_dword v[30:31], v29, off
.LBB60_42:
	s_or_b64 exec, exec, s[12:13]
	v_mov_b32_e32 v27, v26
	v_mov_b32_e32 v0, v26
	scratch_store_dword off, v27, off offset:3860 ; 4-byte Folded Spill
	scratch_store_dword off, v0, off offset:4 ; 4-byte Folded Spill
.LBB60_43:
	s_or_b64 exec, exec, s[2:3]
.LBB60_44:
	s_andn2_saveexec_b64 s[0:1], s[0:1]
	s_cbranch_execz .LBB60_46
; %bb.45:
	scratch_load_dwordx4 v[38:41], off, off offset:8 ; 16-byte Folded Reload
	scratch_load_dwordx4 v[42:45], off, off offset:24 ; 16-byte Folded Reload
	;; [unrolled: 1-line block ×8, first 2 shown]
	v_mov_b32_e32 v0, 2
	s_waitcnt vmcnt(6)
	ds_write2_b32 v255, v41, v42 offset0:3 offset1:4
	ds_write2_b32 v255, v43, v44 offset0:5 offset1:6
	s_waitcnt vmcnt(5)
	ds_write2_b32 v255, v45, v46 offset0:7 offset1:8
	ds_write2_b32 v255, v47, v48 offset0:9 offset1:10
	;; [unrolled: 3-line block ×7, first 2 shown]
	scratch_store_dword off, v0, off offset:4 ; 4-byte Folded Spill
.LBB60_46:
	s_or_b64 exec, exec, s[0:1]
	s_waitcnt lgkmcnt(0)
	s_barrier
	scratch_load_dword v0, off, off offset:4 ; 4-byte Folded Reload
	s_waitcnt vmcnt(0)
	v_cmp_lt_i32_e32 vcc, 2, v0
	s_and_saveexec_b64 s[0:1], vcc
	s_cbranch_execz .LBB60_48
; %bb.47:
	ds_read2_b32 v[0:1], v255 offset0:3 offset1:4
	scratch_load_dwordx4 v[114:117], off, off offset:8 ; 16-byte Folded Reload
	scratch_load_dwordx4 v[118:121], off, off offset:24 ; 16-byte Folded Reload
	;; [unrolled: 1-line block ×8, first 2 shown]
	ds_read2_b32 v[4:5], v255 offset0:5 offset1:6
	ds_read2_b32 v[6:7], v255 offset0:7 offset1:8
	;; [unrolled: 1-line block ×3, first 2 shown]
	v_mul_f32_e32 v162, v2, v28
	v_mov_b32_e32 v10, v255
	s_movk_i32 s2, 0x17a4
	v_mov_b32_e32 v224, v160
	v_mov_b32_e32 v225, v161
	;; [unrolled: 1-line block ×6, first 2 shown]
	s_waitcnt vmcnt(7)
	v_mov_b32_e32 v2, v117
	s_waitcnt vmcnt(6)
	v_mov_b32_e32 v3, v118
	s_waitcnt lgkmcnt(3)
	v_pk_fma_f32 v[26:27], v[162:163], v[0:1], v[2:3] op_sel_hi:[0,1,1] neg_lo:[1,0,0] neg_hi:[1,0,0]
	v_mov_b32_e32 v0, v119
	v_mov_b32_e32 v1, v120
	s_waitcnt lgkmcnt(2)
	v_pk_fma_f32 v[28:29], v[162:163], v[4:5], v[0:1] op_sel_hi:[0,1,1] neg_lo:[1,0,0] neg_hi:[1,0,0]
	v_mov_b32_e32 v0, v121
	s_waitcnt vmcnt(5)
	v_mov_b32_e32 v1, v122
	s_waitcnt lgkmcnt(1)
	v_pk_fma_f32 v[30:31], v[162:163], v[6:7], v[0:1] op_sel_hi:[0,1,1] neg_lo:[1,0,0] neg_hi:[1,0,0]
	v_mov_b32_e32 v0, v123
	v_mov_b32_e32 v1, v124
	s_waitcnt lgkmcnt(0)
	v_pk_fma_f32 v[60:61], v[162:163], v[8:9], v[0:1] op_sel_hi:[0,1,1] neg_lo:[1,0,0] neg_hi:[1,0,0]
	ds_read2_b32 v[0:1], v255 offset0:11 offset1:12
	ds_read2_b32 v[4:5], v255 offset0:13 offset1:14
	;; [unrolled: 1-line block ×4, first 2 shown]
	v_mov_b32_e32 v2, v125
	s_waitcnt vmcnt(4)
	v_mov_b32_e32 v3, v126
	v_mov_b32_e32 v233, v60
	s_waitcnt lgkmcnt(3)
	v_pk_fma_f32 v[62:63], v[162:163], v[0:1], v[2:3] op_sel_hi:[0,1,1] neg_lo:[1,0,0] neg_hi:[1,0,0]
	v_mov_b32_e32 v0, v127
	v_mov_b32_e32 v1, v128
	s_waitcnt lgkmcnt(2)
	v_pk_fma_f32 v[88:89], v[162:163], v[4:5], v[0:1] op_sel_hi:[0,1,1] neg_lo:[1,0,0] neg_hi:[1,0,0]
	v_mov_b32_e32 v0, v129
	s_waitcnt vmcnt(3)
	v_mov_b32_e32 v1, v130
	s_waitcnt lgkmcnt(1)
	v_pk_fma_f32 v[90:91], v[162:163], v[6:7], v[0:1] op_sel_hi:[0,1,1] neg_lo:[1,0,0] neg_hi:[1,0,0]
	v_mov_b32_e32 v0, v131
	v_mov_b32_e32 v1, v132
	s_waitcnt lgkmcnt(0)
	v_pk_fma_f32 v[92:93], v[162:163], v[8:9], v[0:1] op_sel_hi:[0,1,1] neg_lo:[1,0,0] neg_hi:[1,0,0]
	ds_read2_b32 v[0:1], v255 offset0:19 offset1:20
	ds_read2_b32 v[4:5], v255 offset0:21 offset1:22
	ds_read2_b32 v[6:7], v255 offset0:23 offset1:24
	ds_read2_b32 v[8:9], v255 offset0:25 offset1:26
	v_mov_b32_e32 v2, v133
	s_waitcnt vmcnt(2)
	v_mov_b32_e32 v3, v134
	v_mov_b32_e32 v234, v61
	s_waitcnt lgkmcnt(3)
	v_pk_fma_f32 v[94:95], v[162:163], v[0:1], v[2:3] op_sel_hi:[0,1,1] neg_lo:[1,0,0] neg_hi:[1,0,0]
	v_mov_b32_e32 v0, v135
	v_mov_b32_e32 v1, v136
	ds_read2_b32 v[2:3], v255 offset0:27 offset1:28
	s_waitcnt lgkmcnt(3)
	v_pk_fma_f32 v[24:25], v[162:163], v[4:5], v[0:1] op_sel_hi:[0,1,1] neg_lo:[1,0,0] neg_hi:[1,0,0]
	ds_read2_b32 v[4:5], v255 offset0:29 offset1:30
	v_mov_b32_e32 v0, v137
	s_waitcnt vmcnt(1)
	v_mov_b32_e32 v1, v138
	s_waitcnt lgkmcnt(3)
	v_pk_fma_f32 v[32:33], v[162:163], v[6:7], v[0:1] op_sel_hi:[0,1,1] neg_lo:[1,0,0] neg_hi:[1,0,0]
	v_mov_b32_e32 v0, v139
	v_mov_b32_e32 v1, v140
	s_waitcnt lgkmcnt(2)
	v_pk_fma_f32 v[158:159], v[162:163], v[8:9], v[0:1] op_sel_hi:[0,1,1] neg_lo:[1,0,0] neg_hi:[1,0,0]
	v_mov_b32_e32 v0, v141
	s_waitcnt vmcnt(0)
	v_mov_b32_e32 v1, v142
	s_waitcnt lgkmcnt(1)
	v_pk_fma_f32 v[34:35], v[162:163], v[2:3], v[0:1] op_sel_hi:[0,1,1] neg_lo:[1,0,0] neg_hi:[1,0,0]
	v_mov_b32_e32 v0, v143
	v_mov_b32_e32 v1, v144
	s_waitcnt lgkmcnt(0)
	v_pk_fma_f32 v[36:37], v[162:163], v[4:5], v[0:1] op_sel_hi:[0,1,1] neg_lo:[1,0,0] neg_hi:[1,0,0]
	v_mov_b32_e32 v0, v160
	v_mov_b32_e32 v1, v161
	;; [unrolled: 1-line block ×6, first 2 shown]
	scratch_store_dwordx4 off, v[0:3], s2   ; 16-byte Folded Spill
	s_nop 0
	scratch_store_dwordx4 off, v[4:7], s2 offset:16 ; 16-byte Folded Spill
	scratch_store_dwordx4 off, v[8:11], s2 offset:32 ; 16-byte Folded Spill
	;; [unrolled: 1-line block ×7, first 2 shown]
	s_movk_i32 s2, 0x1724
	v_mov_b32_e32 v235, v62
	v_mov_b32_e32 v236, v63
	;; [unrolled: 1-line block ×47, first 2 shown]
	scratch_store_dwordx4 off, v[0:3], s2   ; 16-byte Folded Spill
	s_nop 0
	scratch_store_dwordx4 off, v[4:7], s2 offset:16 ; 16-byte Folded Spill
	scratch_store_dwordx4 off, v[8:11], s2 offset:32 ; 16-byte Folded Spill
	scratch_store_dwordx4 off, v[12:15], s2 offset:48 ; 16-byte Folded Spill
	scratch_store_dwordx4 off, v[16:19], s2 offset:64 ; 16-byte Folded Spill
	scratch_store_dwordx4 off, v[20:23], s2 offset:80 ; 16-byte Folded Spill
	scratch_store_dwordx4 off, v[24:27], s2 offset:96 ; 16-byte Folded Spill
	scratch_store_dwordx4 off, v[28:31], s2 offset:112 ; 16-byte Folded Spill
	s_movk_i32 s2, 0x151c
	v_mov_b32_e32 v6, v29
	scratch_store_dwordx4 off, v[0:3], s2   ; 16-byte Folded Spill
	s_nop 0
	scratch_store_dwordx4 off, v[4:7], s2 offset:16 ; 16-byte Folded Spill
	scratch_store_dwordx4 off, v[8:11], s2 offset:32 ; 16-byte Folded Spill
	scratch_store_dwordx4 off, v[12:15], s2 offset:48 ; 16-byte Folded Spill
	scratch_store_dwordx4 off, v[16:19], s2 offset:64 ; 16-byte Folded Spill
	scratch_store_dwordx4 off, v[20:23], s2 offset:80 ; 16-byte Folded Spill
	scratch_store_dwordx4 off, v[24:27], s2 offset:96 ; 16-byte Folded Spill
	scratch_store_dwordx4 off, v[28:31], s2 offset:112 ; 16-byte Folded Spill
	s_movk_i32 s2, 0x15a4
	v_mov_b32_e32 v7, v30
	;; [unrolled: 11-line block ×3, first 2 shown]
	scratch_store_dwordx4 off, v[0:3], s2   ; 16-byte Folded Spill
	s_nop 0
	scratch_store_dwordx4 off, v[4:7], s2 offset:16 ; 16-byte Folded Spill
	scratch_store_dwordx4 off, v[8:11], s2 offset:32 ; 16-byte Folded Spill
	scratch_store_dwordx4 off, v[12:15], s2 offset:48 ; 16-byte Folded Spill
	scratch_store_dwordx4 off, v[16:19], s2 offset:64 ; 16-byte Folded Spill
	scratch_store_dwordx4 off, v[20:23], s2 offset:80 ; 16-byte Folded Spill
	scratch_store_dwordx4 off, v[24:27], s2 offset:96 ; 16-byte Folded Spill
	scratch_store_dwordx4 off, v[28:31], s2 offset:112 ; 16-byte Folded Spill
	v_mov_b32_e32 v9, v60
	s_movk_i32 s2, 0x131c
	scratch_store_dwordx4 off, v[0:3], s2   ; 16-byte Folded Spill
	s_nop 0
	scratch_store_dwordx4 off, v[4:7], s2 offset:16 ; 16-byte Folded Spill
	scratch_store_dwordx4 off, v[8:11], s2 offset:32 ; 16-byte Folded Spill
	scratch_store_dwordx4 off, v[12:15], s2 offset:48 ; 16-byte Folded Spill
	scratch_store_dwordx4 off, v[16:19], s2 offset:64 ; 16-byte Folded Spill
	scratch_store_dwordx4 off, v[20:23], s2 offset:80 ; 16-byte Folded Spill
	scratch_store_dwordx4 off, v[24:27], s2 offset:96 ; 16-byte Folded Spill
	scratch_store_dwordx4 off, v[28:31], s2 offset:112 ; 16-byte Folded Spill
	v_mov_b32_e32 v10, v61
	s_movk_i32 s2, 0xf98
	;; [unrolled: 11-line block ×4, first 2 shown]
	scratch_store_dwordx4 off, v[0:3], off offset:3348 ; 16-byte Folded Spill
	s_nop 0
	scratch_store_dwordx4 off, v[4:7], off offset:3364 ; 16-byte Folded Spill
	scratch_store_dwordx4 off, v[8:11], off offset:3380 ; 16-byte Folded Spill
	;; [unrolled: 1-line block ×7, first 2 shown]
	v_mov_b32_e32 v13, v88
	scratch_store_dwordx4 off, v[0:3], s2   ; 16-byte Folded Spill
	s_nop 0
	scratch_store_dwordx4 off, v[4:7], s2 offset:16 ; 16-byte Folded Spill
	scratch_store_dwordx4 off, v[8:11], s2 offset:32 ; 16-byte Folded Spill
	;; [unrolled: 1-line block ×7, first 2 shown]
	v_mov_b32_e32 v14, v89
	s_movk_i32 s2, 0x1824
	scratch_store_dwordx4 off, v[0:3], off offset:1936 ; 16-byte Folded Spill
	s_nop 0
	scratch_store_dwordx4 off, v[4:7], off offset:1952 ; 16-byte Folded Spill
	scratch_store_dwordx4 off, v[8:11], off offset:1968 ; 16-byte Folded Spill
	scratch_store_dwordx4 off, v[12:15], off offset:1984 ; 16-byte Folded Spill
	scratch_store_dwordx4 off, v[16:19], off offset:2000 ; 16-byte Folded Spill
	scratch_store_dwordx4 off, v[20:23], off offset:2016 ; 16-byte Folded Spill
	scratch_store_dwordx4 off, v[24:27], off offset:2032 ; 16-byte Folded Spill
	scratch_store_dwordx4 off, v[28:31], off offset:2048 ; 16-byte Folded Spill
	v_mov_b32_e32 v15, v90
	scratch_store_dwordx4 off, v[0:3], off offset:3864 ; 16-byte Folded Spill
	s_nop 0
	scratch_store_dwordx4 off, v[4:7], off offset:3880 ; 16-byte Folded Spill
	scratch_store_dwordx4 off, v[8:11], off offset:3896 ; 16-byte Folded Spill
	scratch_store_dwordx4 off, v[12:15], off offset:3912 ; 16-byte Folded Spill
	scratch_store_dwordx4 off, v[16:19], off offset:3928 ; 16-byte Folded Spill
	scratch_store_dwordx4 off, v[20:23], off offset:3944 ; 16-byte Folded Spill
	scratch_store_dwordx4 off, v[24:27], off offset:3960 ; 16-byte Folded Spill
	scratch_store_dwordx4 off, v[28:31], off offset:3976 ; 16-byte Folded Spill
	v_mov_b32_e32 v16, v91
	;; [unrolled: 10-line block ×10, first 2 shown]
	v_mov_b32_e32 v228, v27
	v_mov_b32_e32 v229, v28
	;; [unrolled: 1-line block ×15, first 2 shown]
	scratch_store_dwordx4 off, v[224:227], off offset:528 ; 16-byte Folded Spill
	s_nop 0
	scratch_store_dwordx4 off, v[228:231], off offset:544 ; 16-byte Folded Spill
	scratch_store_dwordx4 off, v[232:235], off offset:560 ; 16-byte Folded Spill
	;; [unrolled: 1-line block ×8, first 2 shown]
	s_nop 0
	scratch_store_dwordx4 off, v[100:103], off offset:2336 ; 16-byte Folded Spill
	scratch_store_dwordx4 off, v[104:107], off offset:2352 ; 16-byte Folded Spill
	;; [unrolled: 1-line block ×7, first 2 shown]
	v_mov_b32_e32 v249, v158
	v_mov_b32_e32 v250, v159
	;; [unrolled: 1-line block ×11, first 2 shown]
	scratch_store_dwordx4 off, v[224:227], off offset:272 ; 16-byte Folded Spill
	s_nop 0
	scratch_store_dwordx4 off, v[228:231], off offset:288 ; 16-byte Folded Spill
	scratch_store_dwordx4 off, v[232:235], off offset:304 ; 16-byte Folded Spill
	;; [unrolled: 1-line block ×8, first 2 shown]
	s_nop 0
	scratch_store_dwordx4 off, v[100:103], off offset:2080 ; 16-byte Folded Spill
	scratch_store_dwordx4 off, v[104:107], off offset:2096 ; 16-byte Folded Spill
	;; [unrolled: 1-line block ×7, first 2 shown]
	v_mov_b32_e32 v252, v35
	s_nop 0
	v_mov_b32_e32 v124, v35
	scratch_store_dwordx4 off, v[96:99], off offset:1168 ; 16-byte Folded Spill
	s_nop 0
	scratch_store_dwordx4 off, v[100:103], off offset:1184 ; 16-byte Folded Spill
	scratch_store_dwordx4 off, v[104:107], off offset:1200 ; 16-byte Folded Spill
	;; [unrolled: 1-line block ×7, first 2 shown]
	v_mov_b32_e32 v114, v160
	v_mov_b32_e32 v115, v161
	;; [unrolled: 1-line block ×3, first 2 shown]
	scratch_store_dwordx2 off, v[36:37], off offset:136 ; 8-byte Folded Spill
	scratch_store_dwordx4 off, v[160:163], s2 ; 16-byte Folded Spill
	s_nop 0
	scratch_store_dwordx4 off, v[164:167], s2 offset:16 ; 16-byte Folded Spill
	scratch_store_dwordx4 off, v[168:171], s2 offset:32 ; 16-byte Folded Spill
	;; [unrolled: 1-line block ×7, first 2 shown]
	s_movk_i32 s2, 0x18a4
	v_mov_b32_e32 v117, v26
	v_mov_b32_e32 v118, v27
	;; [unrolled: 1-line block ×12, first 2 shown]
	scratch_store_dwordx4 off, v[160:163], s2 ; 16-byte Folded Spill
	s_nop 0
	scratch_store_dwordx4 off, v[164:167], s2 offset:16 ; 16-byte Folded Spill
	scratch_store_dwordx4 off, v[168:171], s2 offset:32 ; 16-byte Folded Spill
	;; [unrolled: 1-line block ×7, first 2 shown]
	scratch_store_dwordx4 off, v[0:3], off offset:2448 ; 16-byte Folded Spill
	s_nop 0
	scratch_store_dwordx4 off, v[4:7], off offset:2464 ; 16-byte Folded Spill
	scratch_store_dwordx4 off, v[8:11], off offset:2480 ; 16-byte Folded Spill
	scratch_store_dwordx4 off, v[12:15], off offset:2496 ; 16-byte Folded Spill
	scratch_store_dwordx4 off, v[16:19], off offset:2512 ; 16-byte Folded Spill
	scratch_store_dwordx4 off, v[20:23], off offset:2528 ; 16-byte Folded Spill
	scratch_store_dwordx4 off, v[24:27], off offset:2544 ; 16-byte Folded Spill
	scratch_store_dwordx4 off, v[28:31], off offset:2560 ; 16-byte Folded Spill
	scratch_store_dwordx4 off, v[0:3], off offset:1808 ; 16-byte Folded Spill
	s_nop 0
	scratch_store_dwordx4 off, v[4:7], off offset:1824 ; 16-byte Folded Spill
	scratch_store_dwordx4 off, v[8:11], off offset:1840 ; 16-byte Folded Spill
	scratch_store_dwordx4 off, v[12:15], off offset:1856 ; 16-byte Folded Spill
	scratch_store_dwordx4 off, v[16:19], off offset:1872 ; 16-byte Folded Spill
	scratch_store_dwordx4 off, v[20:23], off offset:1888 ; 16-byte Folded Spill
	scratch_store_dwordx4 off, v[24:27], off offset:1904 ; 16-byte Folded Spill
	scratch_store_dwordx4 off, v[28:31], off offset:1920 ; 16-byte Folded Spill
	;; [unrolled: 9-line block ×7, first 2 shown]
	s_nop 0
	v_mov_b32_e32 v24, v33
	scratch_store_dwordx4 off, v[0:3], off offset:656 ; 16-byte Folded Spill
	s_nop 0
	scratch_store_dwordx4 off, v[4:7], off offset:672 ; 16-byte Folded Spill
	scratch_store_dwordx4 off, v[8:11], off offset:688 ; 16-byte Folded Spill
	;; [unrolled: 1-line block ×8, first 2 shown]
	s_nop 0
	scratch_store_dwordx4 off, v[118:121], off offset:24 ; 16-byte Folded Spill
	scratch_store_dwordx4 off, v[122:125], off offset:40 ; 16-byte Folded Spill
	;; [unrolled: 1-line block ×7, first 2 shown]
.LBB60_48:
	s_or_b64 exec, exec, s[0:1]
	s_waitcnt vmcnt(63) expcnt(7) lgkmcnt(15)
	s_barrier
	scratch_load_dword v0, off, off offset:4 ; 4-byte Folded Reload
	v_mov_b32_e32 v1, v255
	s_cmp_lt_i32 s22, 5
	s_waitcnt vmcnt(0)
	v_lshl_add_u32 v26, v0, 2, v1
	ds_write_b32 v26, v37
	s_waitcnt lgkmcnt(0)
	s_barrier
	ds_read_b32 v28, v255 offset:12
	v_mov_b32_e32 v26, 3
	s_cbranch_scc1 .LBB60_51
; %bb.49:
	s_movk_i32 s0, 0x1018
	scratch_load_dword v0, off, s0          ; 4-byte Folded Reload
	v_mov_b32_e32 v26, 3
	s_mov_b32 s0, 4
	s_waitcnt vmcnt(0)
	v_add3_u32 v27, v0, 0, 16
.LBB60_50:                              ; =>This Inner Loop Header: Depth=1
	ds_read_b32 v29, v27
	v_add_u32_e32 v27, 4, v27
	s_waitcnt lgkmcnt(0)
	v_cmp_lt_f32_e64 vcc, |v28|, |v29|
	s_nop 1
	v_cndmask_b32_e32 v28, v28, v29, vcc
	v_mov_b32_e32 v29, s0
	s_add_i32 s0, s0, 1
	v_cndmask_b32_e32 v26, v26, v29, vcc
	s_cmp_lg_u32 s22, s0
	s_cbranch_scc1 .LBB60_50
.LBB60_51:
	s_waitcnt lgkmcnt(0)
	v_cmp_eq_f32_e32 vcc, 0, v28
	s_and_saveexec_b64 s[0:1], vcc
	s_xor_b64 s[0:1], exec, s[0:1]
	s_cbranch_execz .LBB60_53
; %bb.52:
	scratch_load_dword v0, off, off offset:144 ; 4-byte Folded Reload
	s_waitcnt vmcnt(0)
	v_cmp_ne_u32_e32 vcc, 0, v0
	s_nop 1
	v_cndmask_b32_e32 v0, 4, v0, vcc
	scratch_store_dword off, v0, off offset:144 ; 4-byte Folded Spill
.LBB60_53:
	s_andn2_saveexec_b64 s[0:1], s[0:1]
	s_cbranch_execz .LBB60_55
; %bb.54:
	v_div_scale_f32 v27, s[2:3], v28, v28, 1.0
	v_rcp_f32_e32 v29, v27
	v_div_scale_f32 v30, vcc, 1.0, v28, 1.0
	v_fma_f32 v31, -v27, v29, 1.0
	v_fmac_f32_e32 v29, v31, v29
	v_mul_f32_e32 v31, v30, v29
	v_fma_f32 v60, -v27, v31, v30
	v_fmac_f32_e32 v31, v60, v29
	v_fma_f32 v27, -v27, v31, v30
	v_div_fmas_f32 v27, v27, v29, v31
	v_div_fixup_f32 v28, v27, v28, 1.0
.LBB60_55:
	s_or_b64 exec, exec, s[0:1]
	scratch_load_dword v0, off, off offset:4 ; 4-byte Folded Reload
	s_waitcnt vmcnt(0)
	v_cmp_ne_u32_e32 vcc, v0, v26
	s_and_saveexec_b64 s[0:1], vcc
	s_xor_b64 s[0:1], exec, s[0:1]
	s_cbranch_execz .LBB60_61
; %bb.56:
	scratch_load_dword v0, off, off offset:4 ; 4-byte Folded Reload
	s_waitcnt vmcnt(0)
	v_cmp_eq_u32_e32 vcc, 3, v0
	s_and_saveexec_b64 s[2:3], vcc
	s_cbranch_execz .LBB60_60
; %bb.57:
	v_cmp_ne_u32_e32 vcc, 3, v26
	s_xor_b64 s[12:13], s[20:21], -1
	s_and_b64 s[14:15], s[12:13], vcc
	s_and_saveexec_b64 s[12:13], s[14:15]
	s_cbranch_execz .LBB60_59
; %bb.58:
	s_movk_i32 s14, 0x159c
	scratch_load_dwordx2 v[60:61], off, s14 ; 8-byte Folded Reload
	v_ashrrev_i32_e32 v27, 31, v26
	s_waitcnt vmcnt(0)
	v_lshl_add_u64 v[30:31], v[26:27], 2, v[60:61]
	global_load_dword v27, v[30:31], off
	global_load_dword v29, v[60:61], off offset:12
	s_waitcnt vmcnt(1)
	global_store_dword v[60:61], v27, off offset:12
	s_waitcnt vmcnt(1)
	global_store_dword v[30:31], v29, off
.LBB60_59:
	s_or_b64 exec, exec, s[12:13]
	v_mov_b32_e32 v27, v26
	v_mov_b32_e32 v0, v26
	scratch_store_dword off, v27, off offset:3860 ; 4-byte Folded Spill
	scratch_store_dword off, v0, off offset:4 ; 4-byte Folded Spill
.LBB60_60:
	s_or_b64 exec, exec, s[2:3]
.LBB60_61:
	s_or_saveexec_b64 s[0:1], s[0:1]
	v_mov_b32_e32 v7, v73
	v_mov_b32_e32 v6, v72
	;; [unrolled: 1-line block ×3, first 2 shown]
	s_xor_b64 exec, exec, s[0:1]
	s_cbranch_execz .LBB60_63
; %bb.62:
	scratch_load_dwordx4 v[38:41], off, off offset:8 ; 16-byte Folded Reload
	scratch_load_dwordx4 v[42:45], off, off offset:24 ; 16-byte Folded Reload
	;; [unrolled: 1-line block ×8, first 2 shown]
	v_mov_b32_e32 v0, 3
	s_waitcnt vmcnt(6)
	ds_write2_b32 v255, v42, v43 offset0:4 offset1:5
	ds_write2_b32 v255, v44, v45 offset0:6 offset1:7
	s_waitcnt vmcnt(5)
	ds_write2_b32 v255, v46, v47 offset0:8 offset1:9
	ds_write2_b32 v255, v48, v49 offset0:10 offset1:11
	;; [unrolled: 3-line block ×6, first 2 shown]
	s_waitcnt vmcnt(0)
	ds_write2_b32 v255, v66, v67 offset0:28 offset1:29
	scratch_load_dwordx2 v[26:27], off, off offset:136 ; 8-byte Folded Reload
	s_waitcnt vmcnt(0)
	ds_write_b32 v255, v27 offset:120
	scratch_store_dword off, v0, off offset:4 ; 4-byte Folded Spill
.LBB60_63:
	s_or_b64 exec, exec, s[0:1]
	s_waitcnt lgkmcnt(0)
	s_barrier
	scratch_load_dword v0, off, off offset:4 ; 4-byte Folded Reload
	s_waitcnt vmcnt(0)
	v_cmp_lt_i32_e32 vcc, 3, v0
	s_and_saveexec_b64 s[0:1], vcc
	s_cbranch_execz .LBB60_65
; %bb.64:
	ds_read2_b32 v[0:1], v255 offset0:4 offset1:5
	ds_read2_b32 v[2:3], v255 offset0:6 offset1:7
	;; [unrolled: 1-line block ×3, first 2 shown]
	v_mul_f32_e32 v26, v37, v28
	ds_read2_b32 v[6:7], v255 offset0:10 offset1:11
	scratch_load_dwordx4 v[28:31], off, off offset:8 ; 16-byte Folded Reload
	scratch_load_dwordx4 v[32:35], off, off offset:24 ; 16-byte Folded Reload
	;; [unrolled: 1-line block ×8, first 2 shown]
	s_movk_i32 s2, 0x18a4
	v_mov_b32_e32 v147, v26
	v_mov_b32_e32 v111, v255
	s_waitcnt vmcnt(3)
	v_mov_b64_e32 v[28:29], v[32:33]
	s_waitcnt lgkmcnt(3)
	v_pk_fma_f32 v[16:17], v[26:27], v[0:1], v[28:29] op_sel_hi:[0,1,1] neg_lo:[1,0,0] neg_hi:[1,0,0]
	ds_read2_b32 v[0:1], v255 offset0:12 offset1:13
	v_mov_b64_e32 v[30:31], v[34:35]
	v_mov_b64_e32 v[32:33], v[36:37]
	;; [unrolled: 1-line block ×4, first 2 shown]
	s_waitcnt lgkmcnt(3)
	v_pk_fma_f32 v[84:85], v[26:27], v[2:3], v[30:31] op_sel_hi:[0,1,1] neg_lo:[1,0,0] neg_hi:[1,0,0]
	s_waitcnt lgkmcnt(2)
	v_pk_fma_f32 v[180:181], v[26:27], v[4:5], v[32:33] op_sel_hi:[0,1,1] neg_lo:[1,0,0] neg_hi:[1,0,0]
	;; [unrolled: 2-line block ×3, first 2 shown]
	ds_read2_b32 v[2:3], v255 offset0:14 offset1:15
	ds_read2_b32 v[4:5], v255 offset0:16 offset1:17
	;; [unrolled: 1-line block ×3, first 2 shown]
	s_waitcnt lgkmcnt(3)
	v_pk_fma_f32 v[82:83], v[26:27], v[0:1], v[36:37] op_sel_hi:[0,1,1] neg_lo:[1,0,0] neg_hi:[1,0,0]
	ds_read2_b32 v[0:1], v255 offset0:20 offset1:21
	ds_read2_b32 v[8:9], v255 offset0:22 offset1:23
	;; [unrolled: 1-line block ×5, first 2 shown]
	ds_read_b32 v27, v255 offset:120
	v_mov_b64_e32 v[38:39], v[42:43]
	v_mov_b64_e32 v[40:41], v[44:45]
	v_mov_b64_e32 v[42:43], v[46:47]
	s_waitcnt vmcnt(0)
	v_mov_b64_e32 v[44:45], v[48:49]
	v_mov_b64_e32 v[46:47], v[50:51]
	;; [unrolled: 1-line block ×5, first 2 shown]
	s_waitcnt lgkmcnt(0)
	v_pk_fma_f32 v[86:87], v[26:27], v[2:3], v[38:39] op_sel_hi:[0,1,1] neg_lo:[1,0,0] neg_hi:[1,0,0]
	v_mov_b64_e32 v[28:29], v[40:41]
	v_mov_b64_e32 v[30:31], v[42:43]
	;; [unrolled: 1-line block ×7, first 2 shown]
	scratch_load_dwordx4 v[50:53], off, s2  ; 16-byte Folded Reload
	scratch_load_dwordx4 v[54:57], off, s2 offset:16 ; 16-byte Folded Reload
	scratch_load_dwordx4 v[58:61], off, s2 offset:32 ; 16-byte Folded Reload
	;; [unrolled: 1-line block ×7, first 2 shown]
	v_pk_fma_f32 v[42:43], v[26:27], v[4:5], v[28:29] op_sel_hi:[0,1,1] neg_lo:[1,0,0] neg_hi:[1,0,0]
	v_pk_fma_f32 v[28:29], v[26:27], v[12:13], v[38:39] op_sel_hi:[0,1,1] neg_lo:[1,0,0] neg_hi:[1,0,0]
	v_mov_b64_e32 v[12:13], v[16:17]
	v_pk_fma_f32 v[20:21], v[26:27], v[0:1], v[32:33] op_sel_hi:[0,1,1] neg_lo:[1,0,0] neg_hi:[1,0,0]
	v_pk_fma_f32 v[22:23], v[26:27], v[8:9], v[34:35] op_sel_hi:[0,1,1] neg_lo:[1,0,0] neg_hi:[1,0,0]
	;; [unrolled: 1-line block ×3, first 2 shown]
	v_mov_b32_e32 v11, v26
	v_mov_b32_e32 v3, v26
	;; [unrolled: 1-line block ×4, first 2 shown]
	s_movk_i32 s2, 0x1724
	v_pk_fma_f32 v[44:45], v[26:27], v[6:7], v[30:31] op_sel_hi:[0,1,1] neg_lo:[1,0,0] neg_hi:[1,0,0]
	v_pk_fma_f32 v[112:113], v[26:27], v[14:15], v[40:41] op_sel_hi:[0,1,1] neg_lo:[1,0,0] neg_hi:[1,0,0]
	v_mov_b64_e32 v[194:195], v[82:83]
	v_mov_b64_e32 v[236:237], v[42:43]
	s_waitcnt vmcnt(5)
	v_mov_b32_e32 v58, v180
	v_mov_b32_e32 v59, v181
	s_waitcnt vmcnt(4)
	v_mov_b32_e32 v62, v194
	v_mov_b32_e32 v63, v195
	;; [unrolled: 3-line block ×3, first 2 shown]
	v_mov_b32_e32 v146, v52
	v_mov_b32_e32 v145, v51
	;; [unrolled: 1-line block ×9, first 2 shown]
	scratch_store_dwordx4 off, v[0:3], s2   ; 16-byte Folded Spill
	s_nop 0
	scratch_store_dwordx4 off, v[4:7], s2 offset:16 ; 16-byte Folded Spill
	scratch_store_dwordx4 off, v[8:11], s2 offset:32 ; 16-byte Folded Spill
	;; [unrolled: 1-line block ×7, first 2 shown]
	v_mov_b64_e32 v[6:7], v[84:85]
	s_movk_i32 s2, 0x15a4
	v_mov_b32_e32 v172, v144
	v_mov_b32_e32 v173, v145
	;; [unrolled: 1-line block ×3, first 2 shown]
	v_mov_b64_e32 v[36:37], v[6:7]
	v_mov_b64_e32 v[30:31], v[0:1]
	v_mov_b64_e32 v[34:35], v[4:5]
	v_mov_b64_e32 v[32:33], v[2:3]
	scratch_store_dwordx4 off, v[0:3], s2   ; 16-byte Folded Spill
	s_nop 0
	scratch_store_dwordx4 off, v[4:7], s2 offset:16 ; 16-byte Folded Spill
	scratch_store_dwordx4 off, v[8:11], s2 offset:32 ; 16-byte Folded Spill
	;; [unrolled: 1-line block ×7, first 2 shown]
	s_movk_i32 s2, 0x131c
	v_mov_b32_e32 v178, v36
	v_mov_b32_e32 v179, v37
	s_waitcnt vmcnt(16)
	v_mov_b64_e32 v[78:79], v[12:13]
	v_mov_b64_e32 v[76:77], v[10:11]
	;; [unrolled: 1-line block ×3, first 2 shown]
	v_mov_b32_e32 v8, v180
	v_mov_b32_e32 v9, v181
	;; [unrolled: 1-line block ×5, first 2 shown]
	scratch_store_dwordx4 off, v[0:3], s2   ; 16-byte Folded Spill
	s_nop 0
	scratch_store_dwordx4 off, v[4:7], s2 offset:16 ; 16-byte Folded Spill
	scratch_store_dwordx4 off, v[8:11], s2 offset:32 ; 16-byte Folded Spill
	;; [unrolled: 1-line block ×7, first 2 shown]
	v_mov_b32_e32 v4, v78
	v_mov_b32_e32 v5, v79
	;; [unrolled: 1-line block ×4, first 2 shown]
	s_movk_i32 s2, 0x129c
	v_mov_b32_e32 v54, v78
	v_mov_b32_e32 v55, v79
	v_mov_b64_e32 v[10:11], v[18:19]
	v_mov_b64_e32 v[98:99], v[10:11]
	;; [unrolled: 1-line block ×7, first 2 shown]
	scratch_store_dwordx4 off, v[0:3], s2   ; 16-byte Folded Spill
	s_nop 0
	scratch_store_dwordx4 off, v[4:7], s2 offset:16 ; 16-byte Folded Spill
	scratch_store_dwordx4 off, v[8:11], s2 offset:32 ; 16-byte Folded Spill
	;; [unrolled: 1-line block ×7, first 2 shown]
	v_mov_b32_e32 v10, v98
	v_mov_b32_e32 v12, v194
	;; [unrolled: 1-line block ×3, first 2 shown]
	s_movk_i32 s2, 0x111c
	v_mov_b32_e32 v60, v98
	v_mov_b32_e32 v61, v99
	v_mov_b64_e32 v[192:193], v[10:11]
	v_mov_b64_e32 v[190:191], v[8:9]
	v_mov_b64_e32 v[188:189], v[6:7]
	v_mov_b64_e32 v[186:187], v[4:5]
	v_mov_b64_e32 v[184:185], v[2:3]
	v_mov_b64_e32 v[182:183], v[0:1]
	scratch_store_dwordx4 off, v[0:3], s2   ; 16-byte Folded Spill
	s_nop 0
	scratch_store_dwordx4 off, v[4:7], s2 offset:16 ; 16-byte Folded Spill
	scratch_store_dwordx4 off, v[8:11], s2 offset:32 ; 16-byte Folded Spill
	;; [unrolled: 1-line block ×7, first 2 shown]
	v_mov_b64_e32 v[14:15], v[86:87]
	v_mov_b32_e32 v12, v194
	s_movk_i32 s2, 0xf98
	v_mov_b64_e32 v[106:107], v[36:37]
	v_mov_b64_e32 v[218:219], v[14:15]
	;; [unrolled: 1-line block ×9, first 2 shown]
	v_mov_b32_e32 v6, v106
	v_mov_b32_e32 v7, v107
	;; [unrolled: 1-line block ×4, first 2 shown]
	v_mov_b64_e32 v[104:105], v[34:35]
	v_mov_b64_e32 v[102:103], v[32:33]
	;; [unrolled: 1-line block ×3, first 2 shown]
	scratch_store_dwordx4 off, v[0:3], off offset:3864 ; 16-byte Folded Spill
	s_nop 0
	scratch_store_dwordx4 off, v[4:7], off offset:3880 ; 16-byte Folded Spill
	scratch_store_dwordx4 off, v[8:11], off offset:3896 ; 16-byte Folded Spill
	;; [unrolled: 1-line block ×7, first 2 shown]
	v_mov_b32_e32 v14, v218
	v_mov_b32_e32 v16, v236
	;; [unrolled: 1-line block ×7, first 2 shown]
	v_mov_b64_e32 v[234:235], v[14:15]
	v_mov_b64_e32 v[232:233], v[12:13]
	;; [unrolled: 1-line block ×8, first 2 shown]
	scratch_store_dwordx4 off, v[0:3], off offset:3476 ; 16-byte Folded Spill
	s_nop 0
	scratch_store_dwordx4 off, v[4:7], off offset:3492 ; 16-byte Folded Spill
	scratch_store_dwordx4 off, v[8:11], off offset:3508 ; 16-byte Folded Spill
	;; [unrolled: 1-line block ×7, first 2 shown]
	v_mov_b64_e32 v[18:19], v[44:45]
	v_mov_b32_e32 v16, v236
	v_mov_b64_e32 v[44:45], v[14:15]
	v_mov_b64_e32 v[30:31], v[0:1]
	;; [unrolled: 1-line block ×10, first 2 shown]
	scratch_store_dwordx4 off, v[0:3], off offset:2964 ; 16-byte Folded Spill
	s_nop 0
	scratch_store_dwordx4 off, v[4:7], off offset:2980 ; 16-byte Folded Spill
	scratch_store_dwordx4 off, v[8:11], off offset:2996 ; 16-byte Folded Spill
	scratch_store_dwordx4 off, v[12:15], off offset:3012 ; 16-byte Folded Spill
	scratch_store_dwordx4 off, v[16:19], off offset:3028 ; 16-byte Folded Spill
	scratch_store_dwordx4 off, v[20:23], off offset:3044 ; 16-byte Folded Spill
	scratch_store_dwordx4 off, v[24:27], off offset:3060 ; 16-byte Folded Spill
	scratch_store_dwordx4 off, v[28:31], off offset:3076 ; 16-byte Folded Spill
	v_mov_b32_e32 v68, v48
	v_mov_b32_e32 v69, v49
	v_mov_b64_e32 v[134:135], v[20:21]
	v_mov_b32_e32 v53, v26
	v_mov_b32_e32 v70, v134
	;; [unrolled: 1-line block ×3, first 2 shown]
	scratch_store_dwordx4 off, v[50:53], off offset:2704 ; 16-byte Folded Spill
	s_nop 0
	scratch_store_dwordx4 off, v[54:57], off offset:2720 ; 16-byte Folded Spill
	scratch_store_dwordx4 off, v[58:61], off offset:2736 ; 16-byte Folded Spill
	;; [unrolled: 1-line block ×7, first 2 shown]
	v_mov_b64_e32 v[170:171], v[22:23]
	v_mov_b32_e32 v72, v170
	v_mov_b32_e32 v73, v171
	scratch_store_dwordx4 off, v[50:53], off offset:2576 ; 16-byte Folded Spill
	s_nop 0
	scratch_store_dwordx4 off, v[54:57], off offset:2592 ; 16-byte Folded Spill
	scratch_store_dwordx4 off, v[58:61], off offset:2608 ; 16-byte Folded Spill
	;; [unrolled: 1-line block ×7, first 2 shown]
	v_mov_b64_e32 v[128:129], v[14:15]
	v_mov_b64_e32 v[118:119], v[4:5]
	;; [unrolled: 1-line block ×24, first 2 shown]
	v_mov_b32_e32 v54, v86
	v_mov_b32_e32 v55, v87
	;; [unrolled: 1-line block ×4, first 2 shown]
	scratch_store_dwordx4 off, v[50:53], off offset:2320 ; 16-byte Folded Spill
	s_nop 0
	scratch_store_dwordx4 off, v[54:57], off offset:2336 ; 16-byte Folded Spill
	scratch_store_dwordx4 off, v[58:61], off offset:2352 ; 16-byte Folded Spill
	;; [unrolled: 1-line block ×7, first 2 shown]
	v_mov_b64_e32 v[140:141], v[86:87]
	v_mov_b64_e32 v[138:139], v[84:85]
	v_mov_b64_e32 v[136:137], v[82:83]
	v_mov_b64_e32 v[78:79], v[100:101]
	v_mov_b64_e32 v[80:81], v[102:103]
	v_mov_b64_e32 v[82:83], v[104:105]
	v_mov_b64_e32 v[84:85], v[106:107]
	scratch_store_dwordx4 off, v[88:91], s2 ; 16-byte Folded Spill
	s_nop 0
	scratch_store_dwordx4 off, v[92:95], s2 offset:16 ; 16-byte Folded Spill
	scratch_store_dwordx4 off, v[96:99], s2 offset:32 ; 16-byte Folded Spill
	;; [unrolled: 1-line block ×7, first 2 shown]
	scratch_store_dwordx4 off, v[30:33], off offset:1040 ; 16-byte Folded Spill
	s_nop 0
	scratch_store_dwordx4 off, v[34:37], off offset:1056 ; 16-byte Folded Spill
	scratch_store_dwordx4 off, v[38:41], off offset:1072 ; 16-byte Folded Spill
	;; [unrolled: 1-line block ×7, first 2 shown]
	v_mov_b64_e32 v[76:77], v[28:29]
	v_mov_b64_e32 v[106:107], v[14:15]
	v_mov_b32_e32 v74, v24
	v_mov_b32_e32 v75, v25
	v_mov_b64_e32 v[104:105], v[12:13]
	v_mov_b64_e32 v[102:103], v[10:11]
	;; [unrolled: 1-line block ×7, first 2 shown]
	scratch_store_dwordx4 off, v[0:3], off offset:528 ; 16-byte Folded Spill
	s_nop 0
	scratch_store_dwordx4 off, v[4:7], off offset:544 ; 16-byte Folded Spill
	scratch_store_dwordx4 off, v[8:11], off offset:560 ; 16-byte Folded Spill
	;; [unrolled: 1-line block ×8, first 2 shown]
	s_nop 0
	scratch_store_dwordx4 off, v[54:57], off offset:288 ; 16-byte Folded Spill
	scratch_store_dwordx4 off, v[58:61], off offset:304 ; 16-byte Folded Spill
	;; [unrolled: 1-line block ×7, first 2 shown]
	s_nop 0
	v_mov_b64_e32 v[76:77], v[112:113]
	v_mov_b64_e32 v[108:109], v[236:237]
	s_movk_i32 s2, 0x151c
	v_mov_b64_e32 v[42:43], v[136:137]
	v_mov_b32_e32 v4, v140
	v_mov_b32_e32 v5, v141
	v_mov_b64_e32 v[44:45], v[138:139]
	v_mov_b64_e32 v[46:47], v[140:141]
	v_mov_b32_e32 v20, v134
	v_mov_b32_e32 v21, v135
	;; [unrolled: 1-line block ×5, first 2 shown]
	scratch_store_dwordx4 off, v[48:51], off offset:1168 ; 16-byte Folded Spill
	s_nop 0
	scratch_store_dwordx4 off, v[52:55], off offset:1184 ; 16-byte Folded Spill
	scratch_store_dwordx4 off, v[56:59], off offset:1200 ; 16-byte Folded Spill
	;; [unrolled: 1-line block ×7, first 2 shown]
	scratch_load_dwordx2 v[28:29], off, off offset:136 ; 8-byte Folded Reload
	s_nop 0
	scratch_store_dwordx4 off, v[78:81], s2 ; 16-byte Folded Spill
	s_nop 0
	scratch_store_dwordx4 off, v[82:85], s2 offset:16 ; 16-byte Folded Spill
	scratch_store_dwordx4 off, v[86:89], s2 offset:32 ; 16-byte Folded Spill
	;; [unrolled: 1-line block ×7, first 2 shown]
	s_movk_i32 s2, 0xf98
	v_mov_b32_e32 v227, v26
	s_waitcnt vmcnt(8)
	v_fma_f32 v254, -v26, v27, v29
	v_mov_b32_e32 v6, v84
	v_mov_b32_e32 v7, v85
	scratch_load_dwordx4 v[60:63], off, s2  ; 16-byte Folded Reload
	scratch_load_dwordx4 v[64:67], off, s2 offset:16 ; 16-byte Folded Reload
	scratch_load_dwordx4 v[68:71], off, s2 offset:32 ; 16-byte Folded Reload
	;; [unrolled: 1-line block ×7, first 2 shown]
	s_nop 0
	scratch_store_dwordx4 off, v[182:185], off offset:3348 ; 16-byte Folded Spill
	s_nop 0
	scratch_store_dwordx4 off, v[186:189], off offset:3364 ; 16-byte Folded Spill
	scratch_store_dwordx4 off, v[190:193], off offset:3380 ; 16-byte Folded Spill
	;; [unrolled: 1-line block ×8, first 2 shown]
	s_nop 0
	scratch_store_dwordx4 off, v[208:211], off offset:1952 ; 16-byte Folded Spill
	scratch_store_dwordx4 off, v[212:215], off offset:1968 ; 16-byte Folded Spill
	;; [unrolled: 1-line block ×7, first 2 shown]
	v_mov_b64_e32 v[200:201], v[106:107]
	v_mov_b64_e32 v[198:199], v[104:105]
	;; [unrolled: 1-line block ×9, first 2 shown]
	v_mov_b32_e32 v16, v202
	v_mov_b32_e32 v17, v203
	s_movk_i32 s2, 0x151c
	v_mov_b32_e32 v226, v146
	s_waitcnt vmcnt(21)
	v_mov_b64_e32 v[30:31], v[60:61]
	v_mov_b32_e32 v10, v70
	v_mov_b32_e32 v11, v71
	v_mov_b64_e32 v[32:33], v[62:63]
	v_mov_b64_e32 v[34:35], v[64:65]
	;; [unrolled: 1-line block ×5, first 2 shown]
	scratch_load_dwordx4 v[48:51], off, off offset:1040 ; 16-byte Folded Reload
	scratch_load_dwordx4 v[52:55], off, off offset:1056 ; 16-byte Folded Reload
	scratch_load_dwordx4 v[56:59], off, off offset:1072 ; 16-byte Folded Reload
	scratch_load_dwordx4 v[60:63], off, off offset:1088 ; 16-byte Folded Reload
	scratch_load_dwordx4 v[64:67], off, off offset:1104 ; 16-byte Folded Reload
	scratch_load_dwordx4 v[68:71], off, off offset:1120 ; 16-byte Folded Reload
	scratch_load_dwordx4 v[72:75], off, off offset:1136 ; 16-byte Folded Reload
	scratch_load_dwordx4 v[76:79], off, off offset:1152 ; 16-byte Folded Reload
	s_nop 0
	scratch_store_dwordx4 off, v[114:117], off offset:912 ; 16-byte Folded Spill
	s_nop 0
	scratch_store_dwordx4 off, v[118:121], off offset:928 ; 16-byte Folded Spill
	scratch_store_dwordx4 off, v[122:125], off offset:944 ; 16-byte Folded Spill
	;; [unrolled: 1-line block ×8, first 2 shown]
	s_nop 0
	scratch_store_dwordx4 off, v[152:155], off offset:416 ; 16-byte Folded Spill
	scratch_store_dwordx4 off, v[156:159], off offset:432 ; 16-byte Folded Spill
	;; [unrolled: 1-line block ×7, first 2 shown]
	v_mov_b32_e32 v224, v144
	v_mov_b32_e32 v225, v145
	s_waitcnt vmcnt(19)
	v_mov_b32_e32 v18, v66
	v_mov_b32_e32 v19, v67
	scratch_load_dwordx4 v[48:51], off, off offset:528 ; 16-byte Folded Reload
	scratch_load_dwordx4 v[52:55], off, off offset:544 ; 16-byte Folded Reload
	;; [unrolled: 1-line block ×16, first 2 shown]
	s_waitcnt vmcnt(0)
	v_mov_b64_e32 v[140:141], v[46:47]
	v_mov_b64_e32 v[138:139], v[44:45]
	;; [unrolled: 1-line block ×3, first 2 shown]
	v_mov_b32_e32 v228, v140
	v_mov_b32_e32 v229, v141
	v_mov_b64_e32 v[106:107], v[72:73]
	v_mov_b32_e32 v24, v106
	v_mov_b32_e32 v25, v107
	;; [unrolled: 1-line block ×4, first 2 shown]
	scratch_store_dwordx4 off, v[0:3], off offset:2064 ; 16-byte Folded Spill
	s_nop 0
	scratch_store_dwordx4 off, v[4:7], off offset:2080 ; 16-byte Folded Spill
	scratch_store_dwordx4 off, v[8:11], off offset:2096 ; 16-byte Folded Spill
	;; [unrolled: 1-line block ×7, first 2 shown]
	v_mov_b64_e32 v[104:105], v[70:71]
	v_mov_b64_e32 v[102:103], v[68:69]
	;; [unrolled: 1-line block ×4, first 2 shown]
	scratch_load_dwordx4 v[48:51], off, off offset:1168 ; 16-byte Folded Reload
	scratch_load_dwordx4 v[52:55], off, off offset:1184 ; 16-byte Folded Reload
	;; [unrolled: 1-line block ×8, first 2 shown]
	v_mov_b64_e32 v[6:7], v[42:43]
	v_mov_b64_e32 v[8:9], v[44:45]
	;; [unrolled: 1-line block ×3, first 2 shown]
	v_mov_b32_e32 v4, v10
	v_mov_b32_e32 v5, v11
	v_mov_b64_e32 v[98:99], v[124:125]
	v_mov_b64_e32 v[108:109], v[134:135]
	;; [unrolled: 1-line block ×6, first 2 shown]
	v_mov_b32_e32 v26, v108
	v_mov_b32_e32 v27, v109
	s_waitcnt vmcnt(7)
	v_mov_b32_e32 v3, v51
	scratch_load_dwordx4 v[42:45], off, s2  ; 16-byte Folded Reload
	scratch_load_dwordx4 v[46:49], off, s2 offset:16 ; 16-byte Folded Reload
	scratch_load_dwordx4 v[50:53], off, s2 offset:32 ; 16-byte Folded Reload
	;; [unrolled: 1-line block ×7, first 2 shown]
	s_movk_i32 s2, 0x121c
	scratch_store_dwordx4 off, v[172:175], s2 ; 16-byte Folded Spill
	s_nop 0
	scratch_store_dwordx4 off, v[176:179], s2 offset:16 ; 16-byte Folded Spill
	scratch_store_dwordx4 off, v[180:183], s2 offset:32 ; 16-byte Folded Spill
	;; [unrolled: 1-line block ×7, first 2 shown]
	s_movk_i32 s2, 0x151c
	s_waitcnt vmcnt(16)
	v_mov_b64_e32 v[28:29], v[76:77]
	v_mov_b64_e32 v[110:111], v[28:29]
	v_mov_b32_e32 v252, v110
	v_mov_b32_e32 v253, v111
	s_waitcnt vmcnt(14)
	v_mov_b64_e32 v[6:7], v[42:43]
	v_mov_b64_e32 v[10:11], v[46:47]
	;; [unrolled: 1-line block ×4, first 2 shown]
	v_mov_b32_e32 v10, v40
	v_mov_b32_e32 v11, v41
	scratch_load_dwordx4 v[30:33], off, off offset:3348 ; 16-byte Folded Reload
	scratch_load_dwordx4 v[34:37], off, off offset:3364 ; 16-byte Folded Reload
	;; [unrolled: 1-line block ×8, first 2 shown]
	v_mov_b32_e32 v8, v180
	v_mov_b32_e32 v9, v181
	;; [unrolled: 1-line block ×4, first 2 shown]
	s_waitcnt vmcnt(4)
	v_mov_b64_e32 v[216:217], v[42:43]
	scratch_load_dwordx4 v[42:45], off, off offset:1936 ; 16-byte Folded Reload
	scratch_load_dwordx4 v[46:49], off, off offset:1952 ; 16-byte Folded Reload
	;; [unrolled: 1-line block ×16, first 2 shown]
	v_mov_b32_e32 v12, v216
	v_mov_b32_e32 v13, v217
	s_waitcnt vmcnt(11)
	v_mov_b64_e32 v[58:59], v[236:237]
	v_mov_b32_e32 v236, v216
	v_mov_b32_e32 v237, v217
	;; [unrolled: 1-line block ×6, first 2 shown]
	v_mov_b64_e32 v[42:43], v[186:187]
	v_mov_b64_e32 v[44:45], v[188:189]
	;; [unrolled: 1-line block ×8, first 2 shown]
	scratch_load_dwordx4 v[172:175], off, off offset:912 ; 16-byte Folded Reload
	scratch_load_dwordx4 v[176:179], off, off offset:928 ; 16-byte Folded Reload
	;; [unrolled: 1-line block ×8, first 2 shown]
	s_waitcnt vmcnt(11)
	v_mov_b64_e32 v[76:77], v[164:165]
	v_mov_b64_e32 v[78:79], v[166:167]
	v_mov_b32_e32 v18, v78
	v_mov_b32_e32 v19, v79
	v_mov_b64_e32 v[96:97], v[14:15]
	v_mov_b64_e32 v[94:95], v[12:13]
	;; [unrolled: 1-line block ×8, first 2 shown]
	v_mov_b32_e32 v242, v78
	v_mov_b32_e32 v243, v79
	s_waitcnt vmcnt(0)
	v_mov_b64_e32 v[200:201], v[192:193]
	v_mov_b32_e32 v20, v192
	v_mov_b32_e32 v21, v193
	v_mov_b64_e32 v[198:199], v[190:191]
	v_mov_b64_e32 v[196:197], v[188:189]
	;; [unrolled: 1-line block ×10, first 2 shown]
	scratch_load_dwordx4 v[148:151], off, off offset:400 ; 16-byte Folded Reload
	scratch_load_dwordx4 v[152:155], off, off offset:416 ; 16-byte Folded Reload
	;; [unrolled: 1-line block ×8, first 2 shown]
	v_mov_b32_e32 v244, v200
	v_mov_b32_e32 v245, v201
	s_waitcnt vmcnt(2)
	v_mov_b32_e32 v22, v170
	v_mov_b32_e32 v23, v171
	v_mov_b64_e32 v[108:109], v[26:27]
	v_mov_b64_e32 v[106:107], v[24:25]
	;; [unrolled: 1-line block ×6, first 2 shown]
	scratch_load_dwordx4 v[0:3], off, s2    ; 16-byte Folded Reload
	scratch_load_dwordx4 v[4:7], off, s2 offset:16 ; 16-byte Folded Reload
	scratch_load_dwordx4 v[8:11], off, s2 offset:32 ; 16-byte Folded Reload
	;; [unrolled: 1-line block ×7, first 2 shown]
	s_movk_i32 s2, 0x121c
	v_mov_b32_e32 v246, v170
	v_mov_b32_e32 v247, v171
	s_waitcnt vmcnt(6)
	v_mov_b64_e32 v[132:133], v[6:7]
	v_mov_b64_e32 v[130:131], v[4:5]
	;; [unrolled: 1-line block ×4, first 2 shown]
	scratch_load_dwordx4 v[0:3], off, s2    ; 16-byte Folded Reload
	scratch_load_dwordx4 v[4:7], off, s2 offset:16 ; 16-byte Folded Reload
	scratch_load_dwordx4 v[8:11], off, s2 offset:32 ; 16-byte Folded Reload
	;; [unrolled: 1-line block ×7, first 2 shown]
	s_movk_i32 s2, 0xf98
	v_mov_b32_e32 v230, v132
	v_mov_b32_e32 v231, v133
	s_waitcnt vmcnt(5)
	v_mov_b32_e32 v232, v8
	v_mov_b32_e32 v233, v9
	scratch_load_dwordx4 v[0:3], off, s2    ; 16-byte Folded Reload
	scratch_load_dwordx4 v[4:7], off, s2 offset:16 ; 16-byte Folded Reload
	scratch_load_dwordx4 v[8:11], off, s2 offset:32 ; 16-byte Folded Reload
	;; [unrolled: 1-line block ×7, first 2 shown]
	s_movk_i32 s2, 0x1824
	s_waitcnt vmcnt(5)
	v_mov_b64_e32 v[124:125], v[10:11]
	v_mov_b64_e32 v[122:123], v[8:9]
	;; [unrolled: 1-line block ×6, first 2 shown]
	scratch_load_dwordx4 v[0:3], off, off offset:1936 ; 16-byte Folded Reload
	scratch_load_dwordx4 v[4:7], off, off offset:1952 ; 16-byte Folded Reload
	;; [unrolled: 1-line block ×24, first 2 shown]
	v_mov_b32_e32 v234, v124
	v_mov_b32_e32 v235, v125
	s_waitcnt vmcnt(16)
	v_mov_b64_e32 v[28:29], v[42:43]
	v_mov_b64_e32 v[30:31], v[44:45]
	;; [unrolled: 1-line block ×10, first 2 shown]
	v_mov_b32_e32 v238, v14
	v_mov_b32_e32 v239, v15
	s_waitcnt vmcnt(4)
	v_mov_b64_e32 v[0:1], v[148:149]
	v_mov_b64_e32 v[2:3], v[150:151]
	;; [unrolled: 1-line block ×3, first 2 shown]
	s_waitcnt vmcnt(1)
	v_mov_b64_e32 v[16:17], v[164:165]
	v_mov_b64_e32 v[26:27], v[174:175]
	;; [unrolled: 1-line block ×11, first 2 shown]
	v_mov_b32_e32 v250, v26
	scratch_store_dwordx4 off, v[144:147], s2 ; 16-byte Folded Spill
	s_nop 0
	scratch_store_dwordx4 off, v[148:151], s2 offset:16 ; 16-byte Folded Spill
	scratch_store_dwordx4 off, v[152:155], s2 offset:32 ; 16-byte Folded Spill
	;; [unrolled: 1-line block ×7, first 2 shown]
	v_mov_b32_e32 v26, v111
	scratch_store_dwordx4 off, v[82:85], off offset:1168 ; 16-byte Folded Spill
	s_nop 0
	scratch_store_dwordx4 off, v[86:89], off offset:1184 ; 16-byte Folded Spill
	scratch_store_dwordx4 off, v[90:93], off offset:1200 ; 16-byte Folded Spill
	;; [unrolled: 1-line block ×7, first 2 shown]
	v_mov_b32_e32 v104, v136
	v_mov_b32_e32 v251, v27
	;; [unrolled: 1-line block ×7, first 2 shown]
	s_movk_i32 s2, 0x17a4
	scratch_store_dwordx2 off, v[26:27], off offset:136 ; 8-byte Folded Spill
	scratch_store_dwordx4 off, v[104:107], s2 ; 16-byte Folded Spill
	s_nop 0
	scratch_store_dwordx4 off, v[108:111], s2 offset:16 ; 16-byte Folded Spill
	scratch_store_dwordx4 off, v[112:115], s2 offset:32 ; 16-byte Folded Spill
	;; [unrolled: 1-line block ×7, first 2 shown]
	s_movk_i32 s2, 0x121c
	v_mov_b32_e32 v4, v140
	v_mov_b32_e32 v9, v141
	scratch_load_dwordx4 v[138:141], off, s2 ; 16-byte Folded Reload
	scratch_load_dwordx4 v[142:145], off, s2 offset:16 ; 16-byte Folded Reload
	scratch_load_dwordx4 v[146:149], off, s2 offset:32 ; 16-byte Folded Reload
	;; [unrolled: 1-line block ×7, first 2 shown]
	v_mov_b32_e32 v248, v200
	v_mov_b32_e32 v249, v201
	v_mov_b64_e32 v[10:11], v[126:127]
	v_mov_b64_e32 v[16:17], v[132:133]
	;; [unrolled: 1-line block ×4, first 2 shown]
	v_mov_b32_e32 v6, v16
	v_mov_b32_e32 v7, v17
	s_waitcnt vmcnt(5)
	v_mov_b32_e32 v8, v146
	v_mov_b32_e32 v10, v124
	scratch_store_dwordx4 off, v[0:3], off offset:2448 ; 16-byte Folded Spill
	s_nop 0
	scratch_store_dwordx4 off, v[4:7], off offset:2464 ; 16-byte Folded Spill
	scratch_store_dwordx4 off, v[8:11], off offset:2480 ; 16-byte Folded Spill
	;; [unrolled: 1-line block ×8, first 2 shown]
	s_nop 0
	scratch_store_dwordx4 off, v[118:121], off offset:1824 ; 16-byte Folded Spill
	scratch_store_dwordx4 off, v[122:125], off offset:1840 ; 16-byte Folded Spill
	;; [unrolled: 1-line block ×7, first 2 shown]
	scratch_load_dwordx4 v[172:175], off, off offset:3348 ; 16-byte Folded Reload
	scratch_load_dwordx4 v[176:179], off, off offset:3364 ; 16-byte Folded Reload
	scratch_load_dwordx4 v[180:183], off, off offset:3380 ; 16-byte Folded Reload
	scratch_load_dwordx4 v[184:187], off, off offset:3396 ; 16-byte Folded Reload
	scratch_load_dwordx4 v[188:191], off, off offset:3412 ; 16-byte Folded Reload
	scratch_load_dwordx4 v[192:195], off, off offset:3428 ; 16-byte Folded Reload
	scratch_load_dwordx4 v[196:199], off, off offset:3444 ; 16-byte Folded Reload
	scratch_load_dwordx4 v[200:203], off, off offset:3460 ; 16-byte Folded Reload
	v_mov_b64_e32 v[142:143], v[58:59]
	s_waitcnt vmcnt(4)
	v_mov_b32_e32 v12, v184
	scratch_store_dwordx4 off, v[0:3], off offset:1680 ; 16-byte Folded Spill
	s_nop 0
	scratch_store_dwordx4 off, v[4:7], off offset:1696 ; 16-byte Folded Spill
	scratch_store_dwordx4 off, v[8:11], off offset:1712 ; 16-byte Folded Spill
	;; [unrolled: 1-line block ×8, first 2 shown]
	s_nop 0
	scratch_store_dwordx4 off, v[176:179], off offset:1568 ; 16-byte Folded Spill
	scratch_store_dwordx4 off, v[180:183], off offset:1584 ; 16-byte Folded Spill
	;; [unrolled: 1-line block ×3, first 2 shown]
	s_waitcnt vmcnt(15)
	scratch_store_dwordx4 off, v[188:191], off offset:1616 ; 16-byte Folded Spill
	s_waitcnt vmcnt(15)
	scratch_store_dwordx4 off, v[192:195], off offset:1632 ; 16-byte Folded Spill
	;; [unrolled: 2-line block ×4, first 2 shown]
	scratch_load_dwordx4 v[190:193], off, off offset:1936 ; 16-byte Folded Reload
	s_nop 0
	scratch_load_dwordx4 v[194:197], off, off offset:1952 ; 16-byte Folded Reload
	scratch_load_dwordx4 v[198:201], off, off offset:1968 ; 16-byte Folded Reload
	scratch_load_dwordx4 v[202:205], off, off offset:1984 ; 16-byte Folded Reload
	scratch_load_dwordx4 v[206:209], off, off offset:2000 ; 16-byte Folded Reload
	scratch_load_dwordx4 v[210:213], off, off offset:2016 ; 16-byte Folded Reload
	scratch_load_dwordx4 v[214:217], off, off offset:2032 ; 16-byte Folded Reload
	scratch_load_dwordx4 v[218:221], off, off offset:2048 ; 16-byte Folded Reload
	s_waitcnt vmcnt(4)
	v_mov_b32_e32 v14, v204
	scratch_store_dwordx4 off, v[0:3], off offset:1296 ; 16-byte Folded Spill
	s_nop 0
	scratch_store_dwordx4 off, v[4:7], off offset:1312 ; 16-byte Folded Spill
	scratch_store_dwordx4 off, v[8:11], off offset:1328 ; 16-byte Folded Spill
	;; [unrolled: 1-line block ×8, first 2 shown]
	s_nop 0
	scratch_store_dwordx4 off, v[194:197], off offset:1440 ; 16-byte Folded Spill
	scratch_store_dwordx4 off, v[198:201], off offset:1456 ; 16-byte Folded Spill
	;; [unrolled: 1-line block ×3, first 2 shown]
	s_waitcnt vmcnt(15)
	scratch_store_dwordx4 off, v[206:209], off offset:1488 ; 16-byte Folded Spill
	s_waitcnt vmcnt(15)
	scratch_store_dwordx4 off, v[210:213], off offset:1504 ; 16-byte Folded Spill
	;; [unrolled: 2-line block ×4, first 2 shown]
	v_mov_b32_e32 v16, v142
	v_mov_b64_e32 v[140:141], v[42:43]
	v_mov_b64_e32 v[138:139], v[40:41]
	;; [unrolled: 1-line block ×8, first 2 shown]
	scratch_store_dwordx4 off, v[0:3], off offset:784 ; 16-byte Folded Spill
	s_nop 0
	scratch_store_dwordx4 off, v[4:7], off offset:800 ; 16-byte Folded Spill
	scratch_store_dwordx4 off, v[8:11], off offset:816 ; 16-byte Folded Spill
	;; [unrolled: 1-line block ×8, first 2 shown]
	s_nop 0
	scratch_store_dwordx4 off, v[130:133], off offset:2208 ; 16-byte Folded Spill
	scratch_store_dwordx4 off, v[134:137], off offset:2224 ; 16-byte Folded Spill
	;; [unrolled: 1-line block ×7, first 2 shown]
	v_mov_b32_e32 v18, v48
	v_mov_b32_e32 v19, v49
	scratch_load_dwordx4 v[20:23], off, off offset:912 ; 16-byte Folded Reload
	scratch_load_dwordx4 v[24:27], off, off offset:928 ; 16-byte Folded Reload
	;; [unrolled: 1-line block ×8, first 2 shown]
	s_nop 0
	scratch_store_dwordx4 off, v[224:227], off offset:8 ; 16-byte Folded Spill
	s_nop 0
	scratch_store_dwordx4 off, v[228:231], off offset:24 ; 16-byte Folded Spill
	scratch_store_dwordx4 off, v[232:235], off offset:40 ; 16-byte Folded Spill
	;; [unrolled: 1-line block ×7, first 2 shown]
	v_mov_b32_e32 v17, v143
	s_waitcnt vmcnt(10)
	v_mov_b64_e32 v[42:43], v[40:41]
	v_mov_b64_e32 v[40:41], v[38:39]
	;; [unrolled: 1-line block ×11, first 2 shown]
	v_mov_b32_e32 v20, v42
	v_mov_b32_e32 v21, v43
	scratch_load_dwordx4 v[22:25], off, off offset:400 ; 16-byte Folded Reload
	scratch_load_dwordx4 v[26:29], off, off offset:416 ; 16-byte Folded Reload
	;; [unrolled: 1-line block ×8, first 2 shown]
	s_waitcnt vmcnt(1)
	v_mov_b64_e32 v[46:47], v[44:45]
	v_mov_b64_e32 v[44:45], v[42:43]
	;; [unrolled: 1-line block ×12, first 2 shown]
	v_mov_b32_e32 v22, v46
	v_mov_b32_e32 v23, v47
	scratch_load_dwordx4 v[24:27], off, off offset:528 ; 16-byte Folded Reload
	scratch_load_dwordx4 v[28:31], off, off offset:544 ; 16-byte Folded Reload
	;; [unrolled: 1-line block ×8, first 2 shown]
	s_waitcnt vmcnt(1)
	v_mov_b64_e32 v[248:249], v[48:49]
	v_mov_b32_e32 v24, v248
	scratch_store_dwordx4 off, v[0:3], off offset:656 ; 16-byte Folded Spill
	s_nop 0
	scratch_store_dwordx4 off, v[4:7], off offset:672 ; 16-byte Folded Spill
	scratch_store_dwordx4 off, v[8:11], off offset:688 ; 16-byte Folded Spill
	;; [unrolled: 1-line block ×7, first 2 shown]
	v_mov_b64_e32 v[246:247], v[46:47]
	v_mov_b64_e32 v[244:245], v[44:45]
	;; [unrolled: 1-line block ×4, first 2 shown]
	scratch_load_dwordx4 v[24:27], off, off offset:272 ; 16-byte Folded Reload
	scratch_load_dwordx4 v[28:31], off, off offset:288 ; 16-byte Folded Reload
	;; [unrolled: 1-line block ×8, first 2 shown]
	v_mov_b32_e32 v223, v249
	v_mov_b32_e32 v74, v4
	s_waitcnt vmcnt(1)
	v_mov_b32_e32 v206, v50
	v_mov_b32_e32 v207, v51
	scratch_load_dwordx4 v[38:41], off, off offset:1168 ; 16-byte Folded Reload
	scratch_load_dwordx4 v[42:45], off, off offset:1184 ; 16-byte Folded Reload
	;; [unrolled: 1-line block ×8, first 2 shown]
	s_waitcnt vmcnt(0)
	v_mov_b32_e32 v252, v66
.LBB60_65:
	s_or_b64 exec, exec, s[0:1]
	s_barrier
	scratch_load_dword v0, off, off offset:4 ; 4-byte Folded Reload
	v_mov_b32_e32 v1, v255
	s_cmp_lt_i32 s22, 6
	s_waitcnt vmcnt(0)
	v_lshl_add_u32 v26, v0, 2, v1
	ds_write_b32 v26, v74
	s_waitcnt lgkmcnt(0)
	s_barrier
	ds_read_b32 v28, v255 offset:16
	v_mov_b32_e32 v26, 4
	s_cbranch_scc1 .LBB60_68
; %bb.66:
	s_movk_i32 s0, 0x1018
	scratch_load_dword v0, off, s0          ; 4-byte Folded Reload
	v_mov_b32_e32 v26, 4
	s_mov_b32 s0, 5
	s_waitcnt vmcnt(0)
	v_add3_u32 v27, v0, 0, 20
.LBB60_67:                              ; =>This Inner Loop Header: Depth=1
	ds_read_b32 v29, v27
	v_add_u32_e32 v27, 4, v27
	s_waitcnt lgkmcnt(0)
	v_cmp_lt_f32_e64 vcc, |v28|, |v29|
	s_nop 1
	v_cndmask_b32_e32 v28, v28, v29, vcc
	v_mov_b32_e32 v29, s0
	s_add_i32 s0, s0, 1
	v_cndmask_b32_e32 v26, v26, v29, vcc
	s_cmp_lg_u32 s22, s0
	s_cbranch_scc1 .LBB60_67
.LBB60_68:
	s_waitcnt lgkmcnt(0)
	v_cmp_eq_f32_e32 vcc, 0, v28
	s_and_saveexec_b64 s[0:1], vcc
	s_xor_b64 s[0:1], exec, s[0:1]
	s_cbranch_execz .LBB60_70
; %bb.69:
	scratch_load_dword v0, off, off offset:144 ; 4-byte Folded Reload
	s_waitcnt vmcnt(0)
	v_cmp_ne_u32_e32 vcc, 0, v0
	s_nop 1
	v_cndmask_b32_e32 v0, 5, v0, vcc
	scratch_store_dword off, v0, off offset:144 ; 4-byte Folded Spill
.LBB60_70:
	s_andn2_saveexec_b64 s[0:1], s[0:1]
	s_cbranch_execz .LBB60_72
; %bb.71:
	v_div_scale_f32 v27, s[2:3], v28, v28, 1.0
	v_rcp_f32_e32 v29, v27
	v_div_scale_f32 v30, vcc, 1.0, v28, 1.0
	v_fma_f32 v31, -v27, v29, 1.0
	v_fmac_f32_e32 v29, v31, v29
	v_mul_f32_e32 v31, v30, v29
	v_fma_f32 v60, -v27, v31, v30
	v_fmac_f32_e32 v31, v60, v29
	v_fma_f32 v27, -v27, v31, v30
	v_div_fmas_f32 v27, v27, v29, v31
	v_div_fixup_f32 v28, v27, v28, 1.0
.LBB60_72:
	s_or_b64 exec, exec, s[0:1]
	scratch_load_dword v0, off, off offset:4 ; 4-byte Folded Reload
	s_waitcnt vmcnt(0)
	v_cmp_ne_u32_e32 vcc, v0, v26
	s_and_saveexec_b64 s[0:1], vcc
	s_xor_b64 s[0:1], exec, s[0:1]
	s_cbranch_execz .LBB60_78
; %bb.73:
	scratch_load_dword v0, off, off offset:4 ; 4-byte Folded Reload
	s_waitcnt vmcnt(0)
	v_cmp_eq_u32_e32 vcc, 4, v0
	s_and_saveexec_b64 s[2:3], vcc
	s_cbranch_execz .LBB60_77
; %bb.74:
	v_cmp_ne_u32_e32 vcc, 4, v26
	s_xor_b64 s[12:13], s[20:21], -1
	s_and_b64 s[14:15], s[12:13], vcc
	s_and_saveexec_b64 s[12:13], s[14:15]
	s_cbranch_execz .LBB60_76
; %bb.75:
	s_movk_i32 s14, 0x159c
	scratch_load_dwordx2 v[60:61], off, s14 ; 8-byte Folded Reload
	v_ashrrev_i32_e32 v27, 31, v26
	s_waitcnt vmcnt(0)
	v_lshl_add_u64 v[30:31], v[26:27], 2, v[60:61]
	global_load_dword v27, v[30:31], off
	global_load_dword v29, v[60:61], off offset:16
	s_waitcnt vmcnt(1)
	global_store_dword v[60:61], v27, off offset:16
	s_waitcnt vmcnt(1)
	global_store_dword v[30:31], v29, off
.LBB60_76:
	s_or_b64 exec, exec, s[12:13]
	v_mov_b32_e32 v27, v26
	v_mov_b32_e32 v0, v26
	scratch_store_dword off, v27, off offset:3860 ; 4-byte Folded Spill
	scratch_store_dword off, v0, off offset:4 ; 4-byte Folded Spill
.LBB60_77:
	s_or_b64 exec, exec, s[2:3]
.LBB60_78:
	s_andn2_saveexec_b64 s[0:1], s[0:1]
	s_cbranch_execz .LBB60_80
; %bb.79:
	scratch_load_dwordx4 v[30:33], off, off offset:8 ; 16-byte Folded Reload
	scratch_load_dwordx4 v[34:37], off, off offset:24 ; 16-byte Folded Reload
	;; [unrolled: 1-line block ×8, first 2 shown]
	v_mov_b32_e32 v0, 4
	s_waitcnt vmcnt(6)
	ds_write2_b32 v255, v35, v36 offset0:5 offset1:6
	s_waitcnt vmcnt(5)
	ds_write2_b32 v255, v37, v38 offset0:7 offset1:8
	ds_write2_b32 v255, v39, v40 offset0:9 offset1:10
	s_waitcnt vmcnt(4)
	ds_write2_b32 v255, v41, v42 offset0:11 offset1:12
	;; [unrolled: 3-line block ×6, first 2 shown]
	ds_write2_b32 v255, v59, v60 offset0:29 offset1:30
	scratch_store_dword off, v0, off offset:4 ; 4-byte Folded Spill
.LBB60_80:
	s_or_b64 exec, exec, s[0:1]
	s_waitcnt lgkmcnt(0)
	s_barrier
	scratch_load_dword v0, off, off offset:4 ; 4-byte Folded Reload
	s_waitcnt vmcnt(0)
	v_cmp_lt_i32_e32 vcc, 4, v0
	s_and_saveexec_b64 s[0:1], vcc
	s_cbranch_execz .LBB60_82
; %bb.81:
	s_movk_i32 s2, 0x1824
	scratch_load_dwordx4 v[36:39], off, s2  ; 16-byte Folded Reload
	scratch_load_dwordx4 v[40:43], off, s2 offset:16 ; 16-byte Folded Reload
	scratch_load_dwordx4 v[44:47], off, s2 offset:32 ; 16-byte Folded Reload
	;; [unrolled: 1-line block ×7, first 2 shown]
	ds_read2_b32 v[0:1], v255 offset0:5 offset1:6
	scratch_load_dwordx4 v[114:117], off, off offset:8 ; 16-byte Folded Reload
	scratch_load_dwordx4 v[118:121], off, off offset:24 ; 16-byte Folded Reload
	;; [unrolled: 1-line block ×8, first 2 shown]
	ds_read2_b32 v[4:5], v255 offset0:7 offset1:8
	ds_read2_b32 v[6:7], v255 offset0:9 offset1:10
	;; [unrolled: 1-line block ×3, first 2 shown]
	s_waitcnt vmcnt(14)
	v_mul_f32_e32 v40, v74, v28
	v_mov_b32_e32 v10, v255
	s_movk_i32 s2, 0x151c
	v_mov_b32_e32 v228, v40
	v_mov_b32_e32 v100, v40
	;; [unrolled: 1-line block ×5, first 2 shown]
	s_waitcnt vmcnt(6)
	v_mov_b32_e32 v2, v119
	v_mov_b32_e32 v3, v120
	s_waitcnt lgkmcnt(3)
	v_pk_fma_f32 v[26:27], v[40:41], v[0:1], v[2:3] op_sel_hi:[0,1,1] neg_lo:[1,0,0] neg_hi:[1,0,0]
	v_mov_b32_e32 v0, v121
	s_waitcnt vmcnt(5)
	v_mov_b32_e32 v1, v122
	s_waitcnt lgkmcnt(2)
	v_pk_fma_f32 v[28:29], v[40:41], v[4:5], v[0:1] op_sel_hi:[0,1,1] neg_lo:[1,0,0] neg_hi:[1,0,0]
	v_mov_b32_e32 v0, v123
	v_mov_b32_e32 v1, v124
	s_waitcnt lgkmcnt(1)
	v_pk_fma_f32 v[30:31], v[40:41], v[6:7], v[0:1] op_sel_hi:[0,1,1] neg_lo:[1,0,0] neg_hi:[1,0,0]
	v_mov_b32_e32 v0, v125
	s_waitcnt vmcnt(4)
	v_mov_b32_e32 v1, v126
	s_waitcnt lgkmcnt(0)
	v_pk_fma_f32 v[60:61], v[40:41], v[8:9], v[0:1] op_sel_hi:[0,1,1] neg_lo:[1,0,0] neg_hi:[1,0,0]
	ds_read2_b32 v[0:1], v255 offset0:13 offset1:14
	ds_read2_b32 v[4:5], v255 offset0:15 offset1:16
	;; [unrolled: 1-line block ×4, first 2 shown]
	v_mov_b32_e32 v2, v127
	v_mov_b32_e32 v3, v128
	;; [unrolled: 1-line block ×3, first 2 shown]
	s_waitcnt lgkmcnt(3)
	v_pk_fma_f32 v[62:63], v[40:41], v[0:1], v[2:3] op_sel_hi:[0,1,1] neg_lo:[1,0,0] neg_hi:[1,0,0]
	v_mov_b32_e32 v0, v129
	s_waitcnt vmcnt(3)
	v_mov_b32_e32 v1, v130
	s_waitcnt lgkmcnt(2)
	v_pk_fma_f32 v[88:89], v[40:41], v[4:5], v[0:1] op_sel_hi:[0,1,1] neg_lo:[1,0,0] neg_hi:[1,0,0]
	v_mov_b32_e32 v0, v131
	v_mov_b32_e32 v1, v132
	s_waitcnt lgkmcnt(1)
	v_pk_fma_f32 v[90:91], v[40:41], v[6:7], v[0:1] op_sel_hi:[0,1,1] neg_lo:[1,0,0] neg_hi:[1,0,0]
	v_mov_b32_e32 v0, v133
	s_waitcnt vmcnt(2)
	v_mov_b32_e32 v1, v134
	s_waitcnt lgkmcnt(0)
	v_pk_fma_f32 v[92:93], v[40:41], v[8:9], v[0:1] op_sel_hi:[0,1,1] neg_lo:[1,0,0] neg_hi:[1,0,0]
	ds_read2_b32 v[0:1], v255 offset0:21 offset1:22
	v_mov_b32_e32 v2, v135
	v_mov_b32_e32 v3, v136
	ds_read2_b32 v[4:5], v255 offset0:23 offset1:24
	ds_read2_b32 v[6:7], v255 offset0:25 offset1:26
	;; [unrolled: 1-line block ×3, first 2 shown]
	v_mov_b32_e32 v235, v60
	s_waitcnt lgkmcnt(3)
	v_pk_fma_f32 v[94:95], v[40:41], v[0:1], v[2:3] op_sel_hi:[0,1,1] neg_lo:[1,0,0] neg_hi:[1,0,0]
	ds_read2_b32 v[2:3], v255 offset0:29 offset1:30
	v_mov_b32_e32 v0, v137
	s_waitcnt vmcnt(1)
	v_mov_b32_e32 v1, v138
	s_waitcnt lgkmcnt(3)
	v_pk_fma_f32 v[24:25], v[40:41], v[4:5], v[0:1] op_sel_hi:[0,1,1] neg_lo:[1,0,0] neg_hi:[1,0,0]
	v_mov_b32_e32 v0, v139
	v_mov_b32_e32 v1, v140
	s_waitcnt lgkmcnt(2)
	v_pk_fma_f32 v[32:33], v[40:41], v[6:7], v[0:1] op_sel_hi:[0,1,1] neg_lo:[1,0,0] neg_hi:[1,0,0]
	v_mov_b32_e32 v0, v141
	s_waitcnt vmcnt(0)
	v_mov_b32_e32 v1, v142
	s_waitcnt lgkmcnt(1)
	v_pk_fma_f32 v[158:159], v[40:41], v[8:9], v[0:1] op_sel_hi:[0,1,1] neg_lo:[1,0,0] neg_hi:[1,0,0]
	v_mov_b32_e32 v0, v143
	v_mov_b32_e32 v1, v144
	s_waitcnt lgkmcnt(0)
	v_pk_fma_f32 v[34:35], v[40:41], v[2:3], v[0:1] op_sel_hi:[0,1,1] neg_lo:[1,0,0] neg_hi:[1,0,0]
	v_mov_b32_e32 v0, v36
	v_mov_b32_e32 v1, v37
	;; [unrolled: 1-line block ×8, first 2 shown]
	scratch_store_dwordx4 off, v[0:3], s2   ; 16-byte Folded Spill
	s_nop 0
	scratch_store_dwordx4 off, v[4:7], s2 offset:16 ; 16-byte Folded Spill
	scratch_store_dwordx4 off, v[8:11], s2 offset:32 ; 16-byte Folded Spill
	;; [unrolled: 1-line block ×7, first 2 shown]
	s_movk_i32 s2, 0x15a4
	v_mov_b32_e32 v236, v61
	v_mov_b32_e32 v237, v62
	;; [unrolled: 1-line block ×47, first 2 shown]
	scratch_store_dwordx4 off, v[0:3], s2   ; 16-byte Folded Spill
	s_nop 0
	scratch_store_dwordx4 off, v[4:7], s2 offset:16 ; 16-byte Folded Spill
	scratch_store_dwordx4 off, v[8:11], s2 offset:32 ; 16-byte Folded Spill
	scratch_store_dwordx4 off, v[12:15], s2 offset:48 ; 16-byte Folded Spill
	scratch_store_dwordx4 off, v[16:19], s2 offset:64 ; 16-byte Folded Spill
	scratch_store_dwordx4 off, v[20:23], s2 offset:80 ; 16-byte Folded Spill
	scratch_store_dwordx4 off, v[24:27], s2 offset:96 ; 16-byte Folded Spill
	scratch_store_dwordx4 off, v[28:31], s2 offset:112 ; 16-byte Folded Spill
	s_movk_i32 s2, 0x121c
	v_mov_b32_e32 v8, v29
	scratch_store_dwordx4 off, v[0:3], s2   ; 16-byte Folded Spill
	s_nop 0
	scratch_store_dwordx4 off, v[4:7], s2 offset:16 ; 16-byte Folded Spill
	scratch_store_dwordx4 off, v[8:11], s2 offset:32 ; 16-byte Folded Spill
	scratch_store_dwordx4 off, v[12:15], s2 offset:48 ; 16-byte Folded Spill
	scratch_store_dwordx4 off, v[16:19], s2 offset:64 ; 16-byte Folded Spill
	scratch_store_dwordx4 off, v[20:23], s2 offset:80 ; 16-byte Folded Spill
	scratch_store_dwordx4 off, v[24:27], s2 offset:96 ; 16-byte Folded Spill
	scratch_store_dwordx4 off, v[28:31], s2 offset:112 ; 16-byte Folded Spill
	s_movk_i32 s2, 0x131c
	v_mov_b32_e32 v9, v30
	;; [unrolled: 11-line block ×3, first 2 shown]
	scratch_store_dwordx4 off, v[0:3], s2   ; 16-byte Folded Spill
	s_nop 0
	scratch_store_dwordx4 off, v[4:7], s2 offset:16 ; 16-byte Folded Spill
	scratch_store_dwordx4 off, v[8:11], s2 offset:32 ; 16-byte Folded Spill
	scratch_store_dwordx4 off, v[12:15], s2 offset:48 ; 16-byte Folded Spill
	scratch_store_dwordx4 off, v[16:19], s2 offset:64 ; 16-byte Folded Spill
	scratch_store_dwordx4 off, v[20:23], s2 offset:80 ; 16-byte Folded Spill
	scratch_store_dwordx4 off, v[24:27], s2 offset:96 ; 16-byte Folded Spill
	scratch_store_dwordx4 off, v[28:31], s2 offset:112 ; 16-byte Folded Spill
	v_mov_b32_e32 v11, v60
	s_movk_i32 s2, 0x129c
	scratch_store_dwordx4 off, v[0:3], s2   ; 16-byte Folded Spill
	s_nop 0
	scratch_store_dwordx4 off, v[4:7], s2 offset:16 ; 16-byte Folded Spill
	scratch_store_dwordx4 off, v[8:11], s2 offset:32 ; 16-byte Folded Spill
	;; [unrolled: 1-line block ×7, first 2 shown]
	v_mov_b32_e32 v12, v61
	s_movk_i32 s2, 0x111c
	scratch_store_dwordx4 off, v[0:3], off offset:3348 ; 16-byte Folded Spill
	s_nop 0
	scratch_store_dwordx4 off, v[4:7], off offset:3364 ; 16-byte Folded Spill
	scratch_store_dwordx4 off, v[8:11], off offset:3380 ; 16-byte Folded Spill
	;; [unrolled: 1-line block ×7, first 2 shown]
	v_mov_b32_e32 v13, v62
	scratch_store_dwordx4 off, v[0:3], s2   ; 16-byte Folded Spill
	s_nop 0
	scratch_store_dwordx4 off, v[4:7], s2 offset:16 ; 16-byte Folded Spill
	scratch_store_dwordx4 off, v[8:11], s2 offset:32 ; 16-byte Folded Spill
	;; [unrolled: 1-line block ×7, first 2 shown]
	v_mov_b32_e32 v14, v63
	s_movk_i32 s2, 0x1724
	scratch_store_dwordx4 off, v[0:3], off offset:1936 ; 16-byte Folded Spill
	s_nop 0
	scratch_store_dwordx4 off, v[4:7], off offset:1952 ; 16-byte Folded Spill
	scratch_store_dwordx4 off, v[8:11], off offset:1968 ; 16-byte Folded Spill
	scratch_store_dwordx4 off, v[12:15], off offset:1984 ; 16-byte Folded Spill
	scratch_store_dwordx4 off, v[16:19], off offset:2000 ; 16-byte Folded Spill
	scratch_store_dwordx4 off, v[20:23], off offset:2016 ; 16-byte Folded Spill
	scratch_store_dwordx4 off, v[24:27], off offset:2032 ; 16-byte Folded Spill
	scratch_store_dwordx4 off, v[28:31], off offset:2048 ; 16-byte Folded Spill
	v_mov_b32_e32 v15, v88
	scratch_store_dwordx4 off, v[0:3], off offset:3864 ; 16-byte Folded Spill
	s_nop 0
	scratch_store_dwordx4 off, v[4:7], off offset:3880 ; 16-byte Folded Spill
	scratch_store_dwordx4 off, v[8:11], off offset:3896 ; 16-byte Folded Spill
	scratch_store_dwordx4 off, v[12:15], off offset:3912 ; 16-byte Folded Spill
	scratch_store_dwordx4 off, v[16:19], off offset:3928 ; 16-byte Folded Spill
	scratch_store_dwordx4 off, v[20:23], off offset:3944 ; 16-byte Folded Spill
	scratch_store_dwordx4 off, v[24:27], off offset:3960 ; 16-byte Folded Spill
	scratch_store_dwordx4 off, v[28:31], off offset:3976 ; 16-byte Folded Spill
	v_mov_b32_e32 v16, v89
	;; [unrolled: 10-line block ×10, first 2 shown]
	v_mov_b32_e32 v230, v27
	v_mov_b32_e32 v231, v28
	;; [unrolled: 1-line block ×15, first 2 shown]
	scratch_store_dwordx4 off, v[224:227], off offset:528 ; 16-byte Folded Spill
	s_nop 0
	scratch_store_dwordx4 off, v[228:231], off offset:544 ; 16-byte Folded Spill
	scratch_store_dwordx4 off, v[232:235], off offset:560 ; 16-byte Folded Spill
	;; [unrolled: 1-line block ×8, first 2 shown]
	s_nop 0
	scratch_store_dwordx4 off, v[100:103], off offset:2336 ; 16-byte Folded Spill
	scratch_store_dwordx4 off, v[104:107], off offset:2352 ; 16-byte Folded Spill
	;; [unrolled: 1-line block ×7, first 2 shown]
	v_mov_b32_e32 v249, v32
	v_mov_b32_e32 v250, v33
	;; [unrolled: 1-line block ×8, first 2 shown]
	scratch_store_dwordx4 off, v[224:227], off offset:272 ; 16-byte Folded Spill
	s_nop 0
	scratch_store_dwordx4 off, v[228:231], off offset:288 ; 16-byte Folded Spill
	scratch_store_dwordx4 off, v[232:235], off offset:304 ; 16-byte Folded Spill
	;; [unrolled: 1-line block ×8, first 2 shown]
	s_nop 0
	scratch_store_dwordx4 off, v[100:103], off offset:2080 ; 16-byte Folded Spill
	scratch_store_dwordx4 off, v[104:107], off offset:2096 ; 16-byte Folded Spill
	scratch_store_dwordx4 off, v[108:111], off offset:2112 ; 16-byte Folded Spill
	scratch_store_dwordx4 off, v[112:115], off offset:2128 ; 16-byte Folded Spill
	scratch_store_dwordx4 off, v[116:119], off offset:2144 ; 16-byte Folded Spill
	scratch_store_dwordx4 off, v[120:123], off offset:2160 ; 16-byte Folded Spill
	scratch_store_dwordx4 off, v[124:127], off offset:2176 ; 16-byte Folded Spill
	v_mov_b32_e32 v252, v159
	s_nop 0
	v_mov_b32_e32 v124, v159
	scratch_store_dwordx4 off, v[96:99], off offset:1168 ; 16-byte Folded Spill
	s_nop 0
	scratch_store_dwordx4 off, v[100:103], off offset:1184 ; 16-byte Folded Spill
	scratch_store_dwordx4 off, v[104:107], off offset:1200 ; 16-byte Folded Spill
	;; [unrolled: 1-line block ×7, first 2 shown]
	v_mov_b32_e32 v114, v36
	v_mov_b32_e32 v115, v37
	;; [unrolled: 1-line block ×8, first 2 shown]
	scratch_store_dwordx2 off, v[34:35], off offset:136 ; 8-byte Folded Spill
	scratch_store_dwordx4 off, v[36:39], s2 ; 16-byte Folded Spill
	s_nop 0
	scratch_store_dwordx4 off, v[40:43], s2 offset:16 ; 16-byte Folded Spill
	scratch_store_dwordx4 off, v[44:47], s2 offset:32 ; 16-byte Folded Spill
	scratch_store_dwordx4 off, v[48:51], s2 offset:48 ; 16-byte Folded Spill
	scratch_store_dwordx4 off, v[52:55], s2 offset:64 ; 16-byte Folded Spill
	scratch_store_dwordx4 off, v[56:59], s2 offset:80 ; 16-byte Folded Spill
	scratch_store_dwordx4 off, v[60:63], s2 offset:96 ; 16-byte Folded Spill
	scratch_store_dwordx4 off, v[64:67], s2 offset:112 ; 16-byte Folded Spill
	s_movk_i32 s2, 0x17a4
	v_mov_b32_e32 v119, v26
	v_mov_b32_e32 v120, v27
	;; [unrolled: 1-line block ×6, first 2 shown]
	scratch_store_dwordx4 off, v[36:39], s2 ; 16-byte Folded Spill
	s_nop 0
	scratch_store_dwordx4 off, v[40:43], s2 offset:16 ; 16-byte Folded Spill
	scratch_store_dwordx4 off, v[44:47], s2 offset:32 ; 16-byte Folded Spill
	;; [unrolled: 1-line block ×7, first 2 shown]
	scratch_store_dwordx4 off, v[0:3], off offset:2448 ; 16-byte Folded Spill
	s_nop 0
	scratch_store_dwordx4 off, v[4:7], off offset:2464 ; 16-byte Folded Spill
	scratch_store_dwordx4 off, v[8:11], off offset:2480 ; 16-byte Folded Spill
	scratch_store_dwordx4 off, v[12:15], off offset:2496 ; 16-byte Folded Spill
	scratch_store_dwordx4 off, v[16:19], off offset:2512 ; 16-byte Folded Spill
	scratch_store_dwordx4 off, v[20:23], off offset:2528 ; 16-byte Folded Spill
	scratch_store_dwordx4 off, v[24:27], off offset:2544 ; 16-byte Folded Spill
	scratch_store_dwordx4 off, v[28:31], off offset:2560 ; 16-byte Folded Spill
	scratch_store_dwordx4 off, v[0:3], off offset:1808 ; 16-byte Folded Spill
	s_nop 0
	scratch_store_dwordx4 off, v[4:7], off offset:1824 ; 16-byte Folded Spill
	scratch_store_dwordx4 off, v[8:11], off offset:1840 ; 16-byte Folded Spill
	scratch_store_dwordx4 off, v[12:15], off offset:1856 ; 16-byte Folded Spill
	scratch_store_dwordx4 off, v[16:19], off offset:1872 ; 16-byte Folded Spill
	scratch_store_dwordx4 off, v[20:23], off offset:1888 ; 16-byte Folded Spill
	scratch_store_dwordx4 off, v[24:27], off offset:1904 ; 16-byte Folded Spill
	scratch_store_dwordx4 off, v[28:31], off offset:1920 ; 16-byte Folded Spill
	scratch_store_dwordx4 off, v[0:3], off offset:1680 ; 16-byte Folded Spill
	s_nop 0
	scratch_store_dwordx4 off, v[4:7], off offset:1696 ; 16-byte Folded Spill
	scratch_store_dwordx4 off, v[8:11], off offset:1712 ; 16-byte Folded Spill
	scratch_store_dwordx4 off, v[12:15], off offset:1728 ; 16-byte Folded Spill
	scratch_store_dwordx4 off, v[16:19], off offset:1744 ; 16-byte Folded Spill
	scratch_store_dwordx4 off, v[20:23], off offset:1760 ; 16-byte Folded Spill
	scratch_store_dwordx4 off, v[24:27], off offset:1776 ; 16-byte Folded Spill
	scratch_store_dwordx4 off, v[28:31], off offset:1792 ; 16-byte Folded Spill
	scratch_store_dwordx4 off, v[0:3], off offset:1552 ; 16-byte Folded Spill
	s_nop 0
	scratch_store_dwordx4 off, v[4:7], off offset:1568 ; 16-byte Folded Spill
	scratch_store_dwordx4 off, v[8:11], off offset:1584 ; 16-byte Folded Spill
	scratch_store_dwordx4 off, v[12:15], off offset:1600 ; 16-byte Folded Spill
	scratch_store_dwordx4 off, v[16:19], off offset:1616 ; 16-byte Folded Spill
	scratch_store_dwordx4 off, v[20:23], off offset:1632 ; 16-byte Folded Spill
	scratch_store_dwordx4 off, v[24:27], off offset:1648 ; 16-byte Folded Spill
	scratch_store_dwordx4 off, v[28:31], off offset:1664 ; 16-byte Folded Spill
	scratch_store_dwordx4 off, v[0:3], off offset:1296 ; 16-byte Folded Spill
	s_nop 0
	scratch_store_dwordx4 off, v[4:7], off offset:1312 ; 16-byte Folded Spill
	scratch_store_dwordx4 off, v[8:11], off offset:1328 ; 16-byte Folded Spill
	scratch_store_dwordx4 off, v[12:15], off offset:1344 ; 16-byte Folded Spill
	scratch_store_dwordx4 off, v[16:19], off offset:1360 ; 16-byte Folded Spill
	scratch_store_dwordx4 off, v[20:23], off offset:1376 ; 16-byte Folded Spill
	scratch_store_dwordx4 off, v[24:27], off offset:1392 ; 16-byte Folded Spill
	scratch_store_dwordx4 off, v[28:31], off offset:1408 ; 16-byte Folded Spill
	scratch_store_dwordx4 off, v[0:3], off offset:1424 ; 16-byte Folded Spill
	s_nop 0
	scratch_store_dwordx4 off, v[4:7], off offset:1440 ; 16-byte Folded Spill
	scratch_store_dwordx4 off, v[8:11], off offset:1456 ; 16-byte Folded Spill
	scratch_store_dwordx4 off, v[12:15], off offset:1472 ; 16-byte Folded Spill
	scratch_store_dwordx4 off, v[16:19], off offset:1488 ; 16-byte Folded Spill
	scratch_store_dwordx4 off, v[20:23], off offset:1504 ; 16-byte Folded Spill
	scratch_store_dwordx4 off, v[24:27], off offset:1520 ; 16-byte Folded Spill
	scratch_store_dwordx4 off, v[28:31], off offset:1536 ; 16-byte Folded Spill
	scratch_store_dwordx4 off, v[0:3], off offset:784 ; 16-byte Folded Spill
	s_nop 0
	scratch_store_dwordx4 off, v[4:7], off offset:800 ; 16-byte Folded Spill
	scratch_store_dwordx4 off, v[8:11], off offset:816 ; 16-byte Folded Spill
	scratch_store_dwordx4 off, v[12:15], off offset:832 ; 16-byte Folded Spill
	scratch_store_dwordx4 off, v[16:19], off offset:848 ; 16-byte Folded Spill
	scratch_store_dwordx4 off, v[20:23], off offset:864 ; 16-byte Folded Spill
	scratch_store_dwordx4 off, v[24:27], off offset:880 ; 16-byte Folded Spill
	scratch_store_dwordx4 off, v[28:31], off offset:896 ; 16-byte Folded Spill
	s_nop 0
	v_mov_b32_e32 v24, v25
	scratch_store_dwordx4 off, v[0:3], off offset:656 ; 16-byte Folded Spill
	s_nop 0
	scratch_store_dwordx4 off, v[4:7], off offset:672 ; 16-byte Folded Spill
	scratch_store_dwordx4 off, v[8:11], off offset:688 ; 16-byte Folded Spill
	;; [unrolled: 1-line block ×8, first 2 shown]
	s_nop 0
	scratch_store_dwordx4 off, v[118:121], off offset:24 ; 16-byte Folded Spill
	scratch_store_dwordx4 off, v[122:125], off offset:40 ; 16-byte Folded Spill
	;; [unrolled: 1-line block ×7, first 2 shown]
.LBB60_82:
	s_or_b64 exec, exec, s[0:1]
	s_waitcnt vmcnt(63) expcnt(7) lgkmcnt(15)
	s_barrier
	scratch_load_dword v0, off, off offset:4 ; 4-byte Folded Reload
	v_mov_b32_e32 v1, v255
	s_cmp_lt_i32 s22, 7
	s_waitcnt vmcnt(0)
	v_lshl_add_u32 v26, v0, 2, v1
	ds_write_b32 v26, v9
	s_waitcnt lgkmcnt(0)
	s_barrier
	ds_read_b32 v28, v255 offset:20
	v_mov_b32_e32 v26, 5
	s_cbranch_scc1 .LBB60_85
; %bb.83:
	s_movk_i32 s0, 0x1018
	scratch_load_dword v0, off, s0          ; 4-byte Folded Reload
	v_mov_b32_e32 v26, 5
	s_mov_b32 s0, 6
	s_waitcnt vmcnt(0)
	v_add3_u32 v27, v0, 0, 24
.LBB60_84:                              ; =>This Inner Loop Header: Depth=1
	ds_read_b32 v29, v27
	v_add_u32_e32 v27, 4, v27
	s_waitcnt lgkmcnt(0)
	v_cmp_lt_f32_e64 vcc, |v28|, |v29|
	s_nop 1
	v_cndmask_b32_e32 v28, v28, v29, vcc
	v_mov_b32_e32 v29, s0
	s_add_i32 s0, s0, 1
	v_cndmask_b32_e32 v26, v26, v29, vcc
	s_cmp_lg_u32 s22, s0
	s_cbranch_scc1 .LBB60_84
.LBB60_85:
	s_waitcnt lgkmcnt(0)
	v_cmp_eq_f32_e32 vcc, 0, v28
	s_and_saveexec_b64 s[0:1], vcc
	s_xor_b64 s[0:1], exec, s[0:1]
	s_cbranch_execz .LBB60_87
; %bb.86:
	scratch_load_dword v0, off, off offset:144 ; 4-byte Folded Reload
	s_waitcnt vmcnt(0)
	v_cmp_ne_u32_e32 vcc, 0, v0
	s_nop 1
	v_cndmask_b32_e32 v0, 6, v0, vcc
	scratch_store_dword off, v0, off offset:144 ; 4-byte Folded Spill
.LBB60_87:
	s_andn2_saveexec_b64 s[0:1], s[0:1]
	s_cbranch_execz .LBB60_89
; %bb.88:
	v_div_scale_f32 v27, s[2:3], v28, v28, 1.0
	v_rcp_f32_e32 v29, v27
	v_div_scale_f32 v30, vcc, 1.0, v28, 1.0
	v_fma_f32 v31, -v27, v29, 1.0
	v_fmac_f32_e32 v29, v31, v29
	v_mul_f32_e32 v31, v30, v29
	v_fma_f32 v60, -v27, v31, v30
	v_fmac_f32_e32 v31, v60, v29
	v_fma_f32 v27, -v27, v31, v30
	v_div_fmas_f32 v27, v27, v29, v31
	v_div_fixup_f32 v28, v27, v28, 1.0
.LBB60_89:
	s_or_b64 exec, exec, s[0:1]
	scratch_load_dword v0, off, off offset:4 ; 4-byte Folded Reload
	s_waitcnt vmcnt(0)
	v_cmp_ne_u32_e32 vcc, v0, v26
	s_and_saveexec_b64 s[0:1], vcc
	s_xor_b64 s[0:1], exec, s[0:1]
	s_cbranch_execz .LBB60_95
; %bb.90:
	scratch_load_dword v0, off, off offset:4 ; 4-byte Folded Reload
	s_waitcnt vmcnt(0)
	v_cmp_eq_u32_e32 vcc, 5, v0
	s_and_saveexec_b64 s[2:3], vcc
	s_cbranch_execz .LBB60_94
; %bb.91:
	v_cmp_ne_u32_e32 vcc, 5, v26
	s_xor_b64 s[12:13], s[20:21], -1
	s_and_b64 s[14:15], s[12:13], vcc
	s_and_saveexec_b64 s[12:13], s[14:15]
	s_cbranch_execz .LBB60_93
; %bb.92:
	s_movk_i32 s14, 0x159c
	scratch_load_dwordx2 v[60:61], off, s14 ; 8-byte Folded Reload
	v_ashrrev_i32_e32 v27, 31, v26
	s_waitcnt vmcnt(0)
	v_lshl_add_u64 v[30:31], v[26:27], 2, v[60:61]
	global_load_dword v27, v[30:31], off
	global_load_dword v29, v[60:61], off offset:20
	s_waitcnt vmcnt(1)
	global_store_dword v[60:61], v27, off offset:20
	s_waitcnt vmcnt(1)
	global_store_dword v[30:31], v29, off
.LBB60_93:
	s_or_b64 exec, exec, s[12:13]
	v_mov_b32_e32 v27, v26
	v_mov_b32_e32 v0, v26
	scratch_store_dword off, v27, off offset:3860 ; 4-byte Folded Spill
	scratch_store_dword off, v0, off offset:4 ; 4-byte Folded Spill
.LBB60_94:
	s_or_b64 exec, exec, s[2:3]
.LBB60_95:
	s_or_saveexec_b64 s[0:1], s[0:1]
	v_mov_b32_e32 v159, v7
	v_mov_b32_e32 v152, v8
	s_xor_b64 exec, exec, s[0:1]
	s_cbranch_execz .LBB60_97
; %bb.96:
	scratch_load_dwordx4 v[30:33], off, off offset:8 ; 16-byte Folded Reload
	scratch_load_dwordx4 v[34:37], off, off offset:24 ; 16-byte Folded Reload
	scratch_load_dwordx4 v[38:41], off, off offset:40 ; 16-byte Folded Reload
	scratch_load_dwordx4 v[42:45], off, off offset:56 ; 16-byte Folded Reload
	scratch_load_dwordx4 v[46:49], off, off offset:72 ; 16-byte Folded Reload
	scratch_load_dwordx4 v[50:53], off, off offset:88 ; 16-byte Folded Reload
	scratch_load_dwordx4 v[54:57], off, off offset:104 ; 16-byte Folded Reload
	scratch_load_dwordx4 v[58:61], off, off offset:120 ; 16-byte Folded Reload
	v_mov_b32_e32 v0, 5
	s_waitcnt vmcnt(6)
	ds_write2_b32 v255, v36, v37 offset0:6 offset1:7
	s_waitcnt vmcnt(5)
	ds_write2_b32 v255, v38, v39 offset0:8 offset1:9
	ds_write2_b32 v255, v40, v41 offset0:10 offset1:11
	s_waitcnt vmcnt(4)
	ds_write2_b32 v255, v42, v43 offset0:12 offset1:13
	;; [unrolled: 3-line block ×6, first 2 shown]
	scratch_load_dwordx2 v[26:27], off, off offset:136 ; 8-byte Folded Reload
	s_waitcnt vmcnt(0)
	ds_write_b32 v255, v27 offset:120
	scratch_store_dword off, v0, off offset:4 ; 4-byte Folded Spill
.LBB60_97:
	s_or_b64 exec, exec, s[0:1]
	s_waitcnt lgkmcnt(0)
	s_barrier
	scratch_load_dword v0, off, off offset:4 ; 4-byte Folded Reload
	s_waitcnt vmcnt(0)
	v_cmp_lt_i32_e32 vcc, 5, v0
	s_and_saveexec_b64 s[0:1], vcc
	s_cbranch_execz .LBB60_99
; %bb.98:
	ds_read2_b32 v[0:1], v255 offset0:6 offset1:7
	ds_read2_b32 v[2:3], v255 offset0:8 offset1:9
	;; [unrolled: 1-line block ×3, first 2 shown]
	v_mul_f32_e32 v112, v9, v28
	ds_read2_b32 v[6:7], v255 offset0:12 offset1:13
	scratch_load_dwordx4 v[28:31], off, off offset:8 ; 16-byte Folded Reload
	scratch_load_dwordx4 v[32:35], off, off offset:24 ; 16-byte Folded Reload
	scratch_load_dwordx4 v[36:39], off, off offset:40 ; 16-byte Folded Reload
	scratch_load_dwordx4 v[40:43], off, off offset:56 ; 16-byte Folded Reload
	scratch_load_dwordx4 v[44:47], off, off offset:72 ; 16-byte Folded Reload
	scratch_load_dwordx4 v[48:51], off, off offset:88 ; 16-byte Folded Reload
	scratch_load_dwordx4 v[52:55], off, off offset:104 ; 16-byte Folded Reload
	scratch_load_dwordx4 v[56:59], off, off offset:120 ; 16-byte Folded Reload
	v_mov_b32_e32 v113, v255
	s_movk_i32 s2, 0x17a4
	v_mov_b32_e32 v225, v112
	v_mov_b32_e32 v123, v112
	;; [unrolled: 1-line block ×3, first 2 shown]
	s_waitcnt vmcnt(2)
	v_mov_b64_e32 v[28:29], v[34:35]
	s_waitcnt lgkmcnt(3)
	v_pk_fma_f32 v[158:159], v[112:113], v[0:1], v[28:29] op_sel_hi:[0,1,1] neg_lo:[1,0,0] neg_hi:[1,0,0]
	ds_read2_b32 v[0:1], v255 offset0:14 offset1:15
	v_mov_b64_e32 v[30:31], v[36:37]
	v_mov_b64_e32 v[32:33], v[38:39]
	;; [unrolled: 1-line block ×7, first 2 shown]
	s_waitcnt vmcnt(0)
	v_mov_b64_e32 v[44:45], v[50:51]
	v_mov_b64_e32 v[46:47], v[52:53]
	;; [unrolled: 1-line block ×4, first 2 shown]
	s_waitcnt lgkmcnt(3)
	v_pk_fma_f32 v[16:17], v[112:113], v[2:3], v[30:31] op_sel_hi:[0,1,1] neg_lo:[1,0,0] neg_hi:[1,0,0]
	s_waitcnt lgkmcnt(2)
	v_pk_fma_f32 v[14:15], v[112:113], v[4:5], v[32:33] op_sel_hi:[0,1,1] neg_lo:[1,0,0] neg_hi:[1,0,0]
	;; [unrolled: 2-line block ×4, first 2 shown]
	v_mov_b64_e32 v[28:29], v[38:39]
	ds_read2_b32 v[2:3], v255 offset0:16 offset1:17
	ds_read2_b32 v[4:5], v255 offset0:18 offset1:19
	;; [unrolled: 1-line block ×7, first 2 shown]
	v_mov_b64_e32 v[30:31], v[40:41]
	v_mov_b64_e32 v[32:33], v[42:43]
	;; [unrolled: 1-line block ×6, first 2 shown]
	scratch_load_dwordx4 v[50:53], off, s2  ; 16-byte Folded Reload
	scratch_load_dwordx4 v[54:57], off, s2 offset:16 ; 16-byte Folded Reload
	scratch_load_dwordx4 v[58:61], off, s2 offset:32 ; 16-byte Folded Reload
	;; [unrolled: 1-line block ×7, first 2 shown]
	s_waitcnt lgkmcnt(6)
	v_pk_fma_f32 v[42:43], v[112:113], v[2:3], v[28:29] op_sel_hi:[0,1,1] neg_lo:[1,0,0] neg_hi:[1,0,0]
	s_waitcnt lgkmcnt(5)
	v_pk_fma_f32 v[28:29], v[112:113], v[4:5], v[30:31] op_sel_hi:[0,1,1] neg_lo:[1,0,0] neg_hi:[1,0,0]
	;; [unrolled: 2-line block ×6, first 2 shown]
	v_mov_b32_e32 v5, v112
	v_mov_b32_e32 v6, v158
	;; [unrolled: 1-line block ×3, first 2 shown]
	s_movk_i32 s2, 0x15a4
	s_waitcnt lgkmcnt(0)
	v_pk_fma_f32 v[114:115], v[112:113], v[12:13], v[40:41] op_sel_hi:[0,1,1] neg_lo:[1,0,0] neg_hi:[1,0,0]
	v_mov_b64_e32 v[104:105], v[42:43]
	v_mov_b64_e32 v[214:215], v[42:43]
	s_waitcnt vmcnt(6)
	v_mov_b32_e32 v55, v112
	v_mov_b32_e32 v56, v158
	;; [unrolled: 1-line block ×3, first 2 shown]
	s_waitcnt vmcnt(3)
	v_mov_b32_e32 v66, v214
	v_mov_b32_e32 v67, v215
	;; [unrolled: 1-line block ×4, first 2 shown]
	v_mov_b64_e32 v[218:219], v[214:215]
	v_mov_b32_e32 v226, v158
	v_mov_b32_e32 v227, v159
	;; [unrolled: 1-line block ×12, first 2 shown]
	scratch_store_dwordx4 off, v[0:3], s2   ; 16-byte Folded Spill
	s_nop 0
	scratch_store_dwordx4 off, v[4:7], s2 offset:16 ; 16-byte Folded Spill
	scratch_store_dwordx4 off, v[8:11], s2 offset:32 ; 16-byte Folded Spill
	;; [unrolled: 1-line block ×7, first 2 shown]
	s_movk_i32 s2, 0x131c
	v_mov_b32_e32 v220, v118
	v_mov_b32_e32 v221, v119
	;; [unrolled: 1-line block ×10, first 2 shown]
	v_mov_b64_e32 v[8:9], v[16:17]
	v_mov_b64_e32 v[168:169], v[8:9]
	;; [unrolled: 1-line block ×6, first 2 shown]
	scratch_store_dwordx4 off, v[0:3], s2   ; 16-byte Folded Spill
	s_nop 0
	scratch_store_dwordx4 off, v[4:7], s2 offset:16 ; 16-byte Folded Spill
	scratch_store_dwordx4 off, v[8:11], s2 offset:32 ; 16-byte Folded Spill
	;; [unrolled: 1-line block ×7, first 2 shown]
	s_movk_i32 s2, 0x129c
	v_mov_b32_e32 v58, v168
	v_mov_b32_e32 v59, v169
	;; [unrolled: 1-line block ×5, first 2 shown]
	v_mov_b64_e32 v[10:11], v[14:15]
	v_mov_b64_e32 v[180:181], v[10:11]
	;; [unrolled: 1-line block ×7, first 2 shown]
	scratch_store_dwordx4 off, v[0:3], s2   ; 16-byte Folded Spill
	s_nop 0
	scratch_store_dwordx4 off, v[4:7], s2 offset:16 ; 16-byte Folded Spill
	scratch_store_dwordx4 off, v[8:11], s2 offset:32 ; 16-byte Folded Spill
	scratch_store_dwordx4 off, v[12:15], s2 offset:48 ; 16-byte Folded Spill
	scratch_store_dwordx4 off, v[16:19], s2 offset:64 ; 16-byte Folded Spill
	scratch_store_dwordx4 off, v[20:23], s2 offset:80 ; 16-byte Folded Spill
	scratch_store_dwordx4 off, v[24:27], s2 offset:96 ; 16-byte Folded Spill
	scratch_store_dwordx4 off, v[28:31], s2 offset:112 ; 16-byte Folded Spill
	s_movk_i32 s2, 0x111c
	v_mov_b32_e32 v60, v180
	v_mov_b32_e32 v61, v181
	;; [unrolled: 1-line block ×4, first 2 shown]
	v_mov_b64_e32 v[86:87], v[18:19]
	s_waitcnt vmcnt(24)
	v_mov_b64_e32 v[84:85], v[10:11]
	v_mov_b32_e32 v12, v86
	v_mov_b32_e32 v13, v87
	v_mov_b64_e32 v[82:83], v[8:9]
	v_mov_b64_e32 v[80:81], v[6:7]
	;; [unrolled: 1-line block ×5, first 2 shown]
	scratch_store_dwordx4 off, v[0:3], s2   ; 16-byte Folded Spill
	s_nop 0
	scratch_store_dwordx4 off, v[4:7], s2 offset:16 ; 16-byte Folded Spill
	scratch_store_dwordx4 off, v[8:11], s2 offset:32 ; 16-byte Folded Spill
	;; [unrolled: 1-line block ×7, first 2 shown]
	v_mov_b64_e32 v[14:15], v[88:89]
	v_mov_b32_e32 v12, v86
	v_mov_b32_e32 v62, v86
	;; [unrolled: 1-line block ×5, first 2 shown]
	s_movk_i32 s2, 0x121c
	scratch_store_dwordx4 off, v[0:3], off offset:3864 ; 16-byte Folded Spill
	s_nop 0
	scratch_store_dwordx4 off, v[4:7], off offset:3880 ; 16-byte Folded Spill
	scratch_store_dwordx4 off, v[8:11], off offset:3896 ; 16-byte Folded Spill
	;; [unrolled: 1-line block ×7, first 2 shown]
	v_mov_b32_e32 v16, v104
	v_mov_b32_e32 v17, v105
	scratch_store_dwordx4 off, v[0:3], off offset:3476 ; 16-byte Folded Spill
	s_nop 0
	scratch_store_dwordx4 off, v[4:7], off offset:3492 ; 16-byte Folded Spill
	scratch_store_dwordx4 off, v[8:11], off offset:3508 ; 16-byte Folded Spill
	;; [unrolled: 1-line block ×7, first 2 shown]
	v_mov_b32_e32 v16, v104
	v_mov_b64_e32 v[18:19], v[28:29]
	v_mov_b64_e32 v[138:139], v[14:15]
	v_mov_b64_e32 v[142:143], v[18:19]
	v_mov_b64_e32 v[196:197], v[14:15]
	v_mov_b64_e32 v[136:137], v[12:13]
	v_mov_b64_e32 v[134:135], v[10:11]
	v_mov_b64_e32 v[132:133], v[8:9]
	v_mov_b64_e32 v[130:131], v[6:7]
	v_mov_b64_e32 v[128:129], v[4:5]
	v_mov_b64_e32 v[126:127], v[2:3]
	v_mov_b64_e32 v[124:125], v[0:1]
	v_mov_b64_e32 v[140:141], v[16:17]
	v_mov_b64_e32 v[194:195], v[12:13]
	v_mov_b64_e32 v[192:193], v[10:11]
	v_mov_b64_e32 v[190:191], v[8:9]
	v_mov_b64_e32 v[188:189], v[6:7]
	v_mov_b64_e32 v[186:187], v[4:5]
	v_mov_b64_e32 v[184:185], v[2:3]
	v_mov_b64_e32 v[182:183], v[0:1]
	scratch_store_dwordx4 off, v[0:3], off offset:2964 ; 16-byte Folded Spill
	s_nop 0
	scratch_store_dwordx4 off, v[4:7], off offset:2980 ; 16-byte Folded Spill
	scratch_store_dwordx4 off, v[8:11], off offset:2996 ; 16-byte Folded Spill
	;; [unrolled: 1-line block ×7, first 2 shown]
	v_mov_b32_e32 v16, v214
	v_mov_b32_e32 v17, v215
	;; [unrolled: 1-line block ×10, first 2 shown]
	v_mov_b64_e32 v[200:201], v[142:143]
	v_mov_b32_e32 v22, v242
	v_mov_b32_e32 v23, v243
	;; [unrolled: 1-line block ×4, first 2 shown]
	v_mov_b64_e32 v[198:199], v[140:141]
	v_mov_b64_e32 v[48:49], v[20:21]
	v_mov_b32_e32 v70, v48
	v_mov_b32_e32 v71, v49
	scratch_store_dwordx4 off, v[50:53], off offset:2704 ; 16-byte Folded Spill
	s_nop 0
	scratch_store_dwordx4 off, v[54:57], off offset:2720 ; 16-byte Folded Spill
	scratch_store_dwordx4 off, v[58:61], off offset:2736 ; 16-byte Folded Spill
	;; [unrolled: 1-line block ×7, first 2 shown]
	v_mov_b32_e32 v50, v118
	v_mov_b32_e32 v51, v119
	;; [unrolled: 1-line block ×11, first 2 shown]
	scratch_store_dwordx4 off, v[50:53], off offset:2576 ; 16-byte Folded Spill
	s_nop 0
	scratch_store_dwordx4 off, v[54:57], off offset:2592 ; 16-byte Folded Spill
	scratch_store_dwordx4 off, v[58:61], off offset:2608 ; 16-byte Folded Spill
	;; [unrolled: 1-line block ×7, first 2 shown]
	v_mov_b64_e32 v[64:65], v[14:15]
	v_mov_b64_e32 v[62:63], v[12:13]
	;; [unrolled: 1-line block ×9, first 2 shown]
	scratch_store_dwordx4 off, v[50:53], off offset:1936 ; 16-byte Folded Spill
	s_nop 0
	scratch_store_dwordx4 off, v[54:57], off offset:1952 ; 16-byte Folded Spill
	scratch_store_dwordx4 off, v[58:61], off offset:1968 ; 16-byte Folded Spill
	;; [unrolled: 1-line block ×7, first 2 shown]
	v_mov_b64_e32 v[40:41], v[12:13]
	v_mov_b64_e32 v[38:39], v[10:11]
	;; [unrolled: 1-line block ×9, first 2 shown]
	v_mov_b32_e32 v50, v118
	v_mov_b32_e32 v51, v119
	;; [unrolled: 1-line block ×14, first 2 shown]
	scratch_store_dwordx4 off, v[28:31], off offset:912 ; 16-byte Folded Spill
	s_nop 0
	scratch_store_dwordx4 off, v[32:35], off offset:928 ; 16-byte Folded Spill
	scratch_store_dwordx4 off, v[36:39], off offset:944 ; 16-byte Folded Spill
	;; [unrolled: 1-line block ×7, first 2 shown]
	v_mov_b64_e32 v[216:217], v[14:15]
	v_mov_b64_e32 v[196:197], v[14:15]
	;; [unrolled: 1-line block ×16, first 2 shown]
	v_mov_b32_e32 v18, v200
	v_mov_b32_e32 v19, v201
	v_mov_b64_e32 v[12:13], v[86:87]
	v_mov_b64_e32 v[78:79], v[124:125]
	;; [unrolled: 1-line block ×4, first 2 shown]
	v_mov_b32_e32 v60, v180
	v_mov_b32_e32 v61, v181
	;; [unrolled: 1-line block ×8, first 2 shown]
	v_mov_b64_e32 v[80:81], v[126:127]
	v_mov_b32_e32 v74, v102
	v_mov_b32_e32 v75, v103
	v_mov_b64_e32 v[144:145], v[20:21]
	v_mov_b64_e32 v[142:143], v[18:19]
	;; [unrolled: 1-line block ×3, first 2 shown]
	scratch_store_dwordx4 off, v[50:53], off offset:2320 ; 16-byte Folded Spill
	s_nop 0
	scratch_store_dwordx4 off, v[54:57], off offset:2336 ; 16-byte Folded Spill
	scratch_store_dwordx4 off, v[58:61], off offset:2352 ; 16-byte Folded Spill
	;; [unrolled: 1-line block ×7, first 2 shown]
	v_mov_b64_e32 v[82:83], v[128:129]
	v_mov_b64_e32 v[84:85], v[130:131]
	v_mov_b64_e32 v[86:87], v[132:133]
	v_mov_b64_e32 v[88:89], v[134:135]
	v_mov_b64_e32 v[90:91], v[136:137]
	v_mov_b64_e32 v[92:93], v[138:139]
	v_mov_b32_e32 v58, v168
	v_mov_b32_e32 v59, v169
	v_mov_b64_e32 v[144:145], v[8:9]
	v_mov_b64_e32 v[134:135], v[10:11]
	;; [unrolled: 1-line block ×18, first 2 shown]
	v_mov_b32_e32 v62, v12
	v_mov_b64_e32 v[174:175], v[8:9]
	v_mov_b64_e32 v[172:173], v[6:7]
	;; [unrolled: 1-line block ×6, first 2 shown]
	scratch_load_dwordx4 v[0:3], off, off offset:1936 ; 16-byte Folded Reload
	scratch_load_dwordx4 v[4:7], off, off offset:1952 ; 16-byte Folded Reload
	;; [unrolled: 1-line block ×8, first 2 shown]
	s_nop 0
	scratch_store_dwordx4 off, v[202:205], off offset:2192 ; 16-byte Folded Spill
	s_nop 0
	scratch_store_dwordx4 off, v[206:209], off offset:2208 ; 16-byte Folded Spill
	scratch_store_dwordx4 off, v[210:213], off offset:2224 ; 16-byte Folded Spill
	;; [unrolled: 1-line block ×8, first 2 shown]
	s_nop 0
	scratch_store_dwordx4 off, v[186:189], off offset:1056 ; 16-byte Folded Spill
	scratch_store_dwordx4 off, v[190:193], off offset:1072 ; 16-byte Folded Spill
	;; [unrolled: 1-line block ×7, first 2 shown]
	v_mov_b32_e32 v50, v118
	v_mov_b32_e32 v51, v119
	;; [unrolled: 1-line block ×12, first 2 shown]
	v_mov_b64_e32 v[188:189], v[114:115]
	s_waitcnt vmcnt(20)
	v_mov_b32_e32 v64, v14
	v_mov_b32_e32 v65, v15
	scratch_load_dwordx4 v[0:3], off, off offset:912 ; 16-byte Folded Reload
	scratch_load_dwordx4 v[4:7], off, off offset:928 ; 16-byte Folded Reload
	;; [unrolled: 1-line block ×8, first 2 shown]
	s_nop 0
	scratch_store_dwordx4 off, v[220:223], off offset:400 ; 16-byte Folded Spill
	s_nop 0
	scratch_store_dwordx4 off, v[224:227], off offset:416 ; 16-byte Folded Spill
	scratch_store_dwordx4 off, v[228:231], off offset:432 ; 16-byte Folded Spill
	;; [unrolled: 1-line block ×7, first 2 shown]
	s_waitcnt vmcnt(12)
	v_mov_b32_e32 v12, v178
	v_mov_b32_e32 v13, v179
	;; [unrolled: 1-line block ×14, first 2 shown]
	s_waitcnt vmcnt(10)
	v_mov_b64_e32 v[48:49], v[20:21]
	v_mov_b32_e32 v70, v48
	v_mov_b32_e32 v71, v49
	scratch_store_dwordx4 off, v[78:81], off offset:528 ; 16-byte Folded Spill
	s_nop 0
	scratch_store_dwordx4 off, v[82:85], off offset:544 ; 16-byte Folded Spill
	scratch_store_dwordx4 off, v[86:89], off offset:560 ; 16-byte Folded Spill
	;; [unrolled: 1-line block ×8, first 2 shown]
	s_nop 0
	scratch_store_dwordx4 off, v[54:57], off offset:288 ; 16-byte Folded Spill
	scratch_store_dwordx4 off, v[58:61], off offset:304 ; 16-byte Folded Spill
	;; [unrolled: 1-line block ×7, first 2 shown]
	scratch_load_dwordx2 v[28:29], off, off offset:136 ; 8-byte Folded Reload
	s_waitcnt vmcnt(26)
	ds_read_b32 v27, v255 offset:120
	v_mov_b64_e32 v[44:45], v[16:17]
	scratch_store_dwordx4 off, v[166:169], off offset:3348 ; 16-byte Folded Spill
	s_nop 0
	scratch_store_dwordx4 off, v[170:173], off offset:3364 ; 16-byte Folded Spill
	scratch_store_dwordx4 off, v[174:177], off offset:3380 ; 16-byte Folded Spill
	;; [unrolled: 1-line block ×7, first 2 shown]
	v_mov_b64_e32 v[46:47], v[18:19]
	v_mov_b64_e32 v[58:59], v[136:137]
	;; [unrolled: 1-line block ×6, first 2 shown]
	v_mov_b32_e32 v55, v112
	v_mov_b64_e32 v[68:69], v[124:125]
	v_mov_b64_e32 v[70:71], v[126:127]
	;; [unrolled: 1-line block ×6, first 2 shown]
	v_mov_b32_e32 v174, v118
	v_mov_b32_e32 v175, v119
	;; [unrolled: 1-line block ×13, first 2 shown]
	s_waitcnt vmcnt(8) lgkmcnt(0)
	v_fma_f32 v80, -v112, v27, v29
	scratch_load_dwordx4 v[14:17], off, off offset:1936 ; 16-byte Folded Reload
	scratch_load_dwordx4 v[18:21], off, off offset:1952 ; 16-byte Folded Reload
	;; [unrolled: 1-line block ×16, first 2 shown]
	s_waitcnt vmcnt(12)
	v_mov_b32_e32 v14, v28
	v_mov_b32_e32 v15, v29
	scratch_load_dwordx4 v[20:23], off, off offset:1040 ; 16-byte Folded Reload
	scratch_load_dwordx4 v[24:27], off, off offset:1056 ; 16-byte Folded Reload
	;; [unrolled: 1-line block ×8, first 2 shown]
	s_waitcnt vmcnt(11)
	v_mov_b32_e32 v16, v222
	v_mov_b32_e32 v17, v223
	;; [unrolled: 1-line block ×4, first 2 shown]
	s_waitcnt vmcnt(3)
	v_mov_b64_e32 v[242:243], v[38:39]
	v_mov_b64_e32 v[240:241], v[36:37]
	scratch_load_dwordx4 v[20:23], off, off offset:912 ; 16-byte Folded Reload
	scratch_load_dwordx4 v[24:27], off, off offset:928 ; 16-byte Folded Reload
	;; [unrolled: 1-line block ×8, first 2 shown]
	v_mov_b32_e32 v18, v242
	v_mov_b32_e32 v19, v243
	;; [unrolled: 1-line block ×4, first 2 shown]
	s_waitcnt vmcnt(2)
	v_mov_b64_e32 v[144:145], v[40:41]
	v_mov_b64_e32 v[142:143], v[38:39]
	;; [unrolled: 1-line block ×3, first 2 shown]
	scratch_load_dwordx4 v[22:25], off, off offset:400 ; 16-byte Folded Reload
	scratch_load_dwordx4 v[26:29], off, off offset:416 ; 16-byte Folded Reload
	;; [unrolled: 1-line block ×8, first 2 shown]
	v_mov_b32_e32 v20, v144
	v_mov_b32_e32 v21, v145
	v_mov_b64_e32 v[244:245], v[144:145]
	v_mov_b64_e32 v[242:243], v[142:143]
	;; [unrolled: 1-line block ×3, first 2 shown]
	v_mov_b32_e32 v194, v244
	v_mov_b32_e32 v195, v245
	s_waitcnt vmcnt(0)
	v_mov_b32_e32 v50, v118
	v_mov_b32_e32 v51, v119
	;; [unrolled: 1-line block ×4, first 2 shown]
	v_mov_b64_e32 v[110:111], v[44:45]
	v_mov_b64_e32 v[108:109], v[42:43]
	;; [unrolled: 1-line block ×4, first 2 shown]
	v_mov_b32_e32 v22, v110
	v_mov_b32_e32 v23, v111
	scratch_load_dwordx4 v[82:85], off, off offset:528 ; 16-byte Folded Reload
	scratch_load_dwordx4 v[86:89], off, off offset:544 ; 16-byte Folded Reload
	scratch_load_dwordx4 v[90:93], off, off offset:560 ; 16-byte Folded Reload
	scratch_load_dwordx4 v[94:97], off, off offset:576 ; 16-byte Folded Reload
	scratch_load_dwordx4 v[98:101], off, off offset:592 ; 16-byte Folded Reload
	scratch_load_dwordx4 v[102:105], off, off offset:608 ; 16-byte Folded Reload
	scratch_load_dwordx4 v[106:109], off, off offset:624 ; 16-byte Folded Reload
	scratch_load_dwordx4 v[110:113], off, off offset:640 ; 16-byte Folded Reload
	s_waitcnt vmcnt(1)
	v_mov_b32_e32 v24, v106
	v_mov_b32_e32 v25, v107
	scratch_load_dwordx4 v[82:85], off, off offset:272 ; 16-byte Folded Reload
	scratch_load_dwordx4 v[86:89], off, off offset:288 ; 16-byte Folded Reload
	;; [unrolled: 1-line block ×8, first 2 shown]
	s_waitcnt vmcnt(1)
	v_mov_b32_e32 v26, v108
	v_mov_b32_e32 v27, v109
	scratch_store_dwordx4 off, v[0:3], off offset:2064 ; 16-byte Folded Spill
	s_nop 0
	scratch_store_dwordx4 off, v[4:7], off offset:2080 ; 16-byte Folded Spill
	scratch_store_dwordx4 off, v[8:11], off offset:2096 ; 16-byte Folded Spill
	;; [unrolled: 1-line block ×7, first 2 shown]
	v_mov_b64_e32 v[14:15], v[68:69]
	v_mov_b64_e32 v[16:17], v[70:71]
	;; [unrolled: 1-line block ×6, first 2 shown]
	v_mov_b32_e32 v184, v24
	v_mov_b32_e32 v185, v25
	scratch_load_dwordx4 v[0:3], off, off offset:3348 ; 16-byte Folded Reload
	scratch_load_dwordx4 v[4:7], off, off offset:3364 ; 16-byte Folded Reload
	;; [unrolled: 1-line block ×8, first 2 shown]
	v_mov_b32_e32 v200, v108
	v_mov_b32_e32 v201, v109
	s_waitcnt vmcnt(5)
	v_mov_b64_e32 v[42:43], v[10:11]
	s_waitcnt vmcnt(4)
	v_mov_b32_e32 v186, v12
	v_mov_b32_e32 v187, v13
	v_mov_b64_e32 v[40:41], v[8:9]
	v_mov_b64_e32 v[38:39], v[6:7]
	;; [unrolled: 1-line block ×6, first 2 shown]
	scratch_load_dwordx4 v[0:3], off, off offset:1936 ; 16-byte Folded Reload
	scratch_load_dwordx4 v[4:7], off, off offset:1952 ; 16-byte Folded Reload
	scratch_load_dwordx4 v[8:11], off, off offset:1968 ; 16-byte Folded Reload
	scratch_load_dwordx4 v[12:15], off, off offset:1984 ; 16-byte Folded Reload
	scratch_load_dwordx4 v[16:19], off, off offset:2000 ; 16-byte Folded Reload
	scratch_load_dwordx4 v[20:23], off, off offset:2016 ; 16-byte Folded Reload
	scratch_load_dwordx4 v[24:27], off, off offset:2032 ; 16-byte Folded Reload
	scratch_load_dwordx4 v[28:31], off, off offset:2048 ; 16-byte Folded Reload
	v_mov_b64_e32 v[116:117], v[44:45]
	s_waitcnt vmcnt(4)
	v_mov_b32_e32 v188, v14
	v_mov_b32_e32 v189, v15
	scratch_load_dwordx4 v[0:3], off, off offset:400 ; 16-byte Folded Reload
	scratch_load_dwordx4 v[4:7], off, off offset:416 ; 16-byte Folded Reload
	;; [unrolled: 1-line block ×8, first 2 shown]
	v_mov_b64_e32 v[160:161], v[174:175]
	v_mov_b64_e32 v[162:163], v[176:177]
	;; [unrolled: 1-line block ×9, first 2 shown]
	v_mov_b32_e32 v252, v188
	s_waitcnt vmcnt(4)
	v_mov_b64_e32 v[138:139], v[14:15]
	v_mov_b64_e32 v[136:137], v[12:13]
	s_waitcnt vmcnt(2)
	v_mov_b64_e32 v[146:147], v[22:23]
	v_mov_b64_e32 v[134:135], v[10:11]
	;; [unrolled: 1-line block ×10, first 2 shown]
	scratch_load_dwordx4 v[0:3], off, off offset:528 ; 16-byte Folded Reload
	scratch_load_dwordx4 v[4:7], off, off offset:544 ; 16-byte Folded Reload
	;; [unrolled: 1-line block ×8, first 2 shown]
	s_waitcnt vmcnt(5)
	v_mov_b64_e32 v[0:1], v[58:59]
	v_mov_b64_e32 v[2:3], v[60:61]
	;; [unrolled: 1-line block ×5, first 2 shown]
	v_mov_b32_e32 v196, v146
	v_mov_b32_e32 v197, v147
	;; [unrolled: 1-line block ×6, first 2 shown]
	s_waitcnt vmcnt(1)
	v_mov_b32_e32 v198, v24
	v_mov_b32_e32 v199, v25
	scratch_store_dwordx4 off, v[0:3], s2   ; 16-byte Folded Spill
	s_nop 0
	scratch_store_dwordx4 off, v[4:7], s2 offset:16 ; 16-byte Folded Spill
	scratch_store_dwordx4 off, v[8:11], s2 offset:32 ; 16-byte Folded Spill
	;; [unrolled: 1-line block ×6, first 2 shown]
	s_waitcnt vmcnt(7)
	scratch_store_dwordx4 off, v[28:31], s2 offset:112 ; 16-byte Folded Spill
	s_movk_i32 s2, 0xf98
	v_mov_b64_e32 v[176:177], v[190:191]
	v_mov_b64_e32 v[178:179], v[192:193]
	;; [unrolled: 1-line block ×6, first 2 shown]
	v_mov_b32_e32 v58, v8
	v_mov_b32_e32 v59, v9
	v_mov_b64_e32 v[0:1], v[68:69]
	v_mov_b64_e32 v[2:3], v[70:71]
	;; [unrolled: 1-line block ×6, first 2 shown]
	scratch_store_dwordx4 off, v[0:3], s2   ; 16-byte Folded Spill
	s_nop 0
	scratch_store_dwordx4 off, v[4:7], s2 offset:16 ; 16-byte Folded Spill
	scratch_store_dwordx4 off, v[8:11], s2 offset:32 ; 16-byte Folded Spill
	;; [unrolled: 1-line block ×7, first 2 shown]
	s_movk_i32 s2, 0x1724
	v_mov_b32_e32 v72, v146
	v_mov_b32_e32 v73, v147
	;; [unrolled: 1-line block ×10, first 2 shown]
	scratch_load_dwordx4 v[0:3], off, off offset:1936 ; 16-byte Folded Reload
	scratch_load_dwordx4 v[4:7], off, off offset:1952 ; 16-byte Folded Reload
	scratch_load_dwordx4 v[8:11], off, off offset:1968 ; 16-byte Folded Reload
	scratch_load_dwordx4 v[12:15], off, off offset:1984 ; 16-byte Folded Reload
	scratch_load_dwordx4 v[16:19], off, off offset:2000 ; 16-byte Folded Reload
	scratch_load_dwordx4 v[20:23], off, off offset:2016 ; 16-byte Folded Reload
	scratch_load_dwordx4 v[24:27], off, off offset:2032 ; 16-byte Folded Reload
	scratch_load_dwordx4 v[28:31], off, off offset:2048 ; 16-byte Folded Reload
	s_waitcnt vmcnt(4)
	v_mov_b64_e32 v[204:205], v[14:15]
	v_mov_b64_e32 v[202:203], v[12:13]
	;; [unrolled: 1-line block ×8, first 2 shown]
	scratch_load_dwordx4 v[0:3], off, off offset:1040 ; 16-byte Folded Reload
	scratch_load_dwordx4 v[4:7], off, off offset:1056 ; 16-byte Folded Reload
	;; [unrolled: 1-line block ×8, first 2 shown]
	v_mov_b32_e32 v64, v204
	v_mov_b32_e32 v65, v205
	s_waitcnt vmcnt(3)
	v_mov_b32_e32 v68, v18
	v_mov_b32_e32 v69, v19
	scratch_load_dwordx4 v[0:3], off, off offset:528 ; 16-byte Folded Reload
	scratch_load_dwordx4 v[4:7], off, off offset:544 ; 16-byte Folded Reload
	;; [unrolled: 1-line block ×8, first 2 shown]
	s_nop 0
	scratch_store_dwordx4 off, v[118:121], s2 ; 16-byte Folded Spill
	s_nop 0
	scratch_store_dwordx4 off, v[122:125], s2 offset:16 ; 16-byte Folded Spill
	scratch_store_dwordx4 off, v[126:129], s2 offset:32 ; 16-byte Folded Spill
	;; [unrolled: 1-line block ×7, first 2 shown]
	s_waitcnt vmcnt(9)
	v_mov_b32_e32 v26, v189
	v_mov_b32_e32 v27, v80
	s_movk_i32 s2, 0x151c
	scratch_store_dwordx2 off, v[26:27], off offset:136 ; 8-byte Folded Spill
	v_mov_b32_e32 v26, v158
	scratch_store_dwordx4 off, v[152:155], s2 ; 16-byte Folded Spill
	s_nop 0
	scratch_store_dwordx4 off, v[156:159], s2 offset:16 ; 16-byte Folded Spill
	scratch_store_dwordx4 off, v[160:163], s2 offset:32 ; 16-byte Folded Spill
	;; [unrolled: 1-line block ×7, first 2 shown]
	s_movk_i32 s2, 0x121c
	scratch_load_dwordx4 v[82:85], off, s2  ; 16-byte Folded Reload
	scratch_load_dwordx4 v[86:89], off, s2 offset:16 ; 16-byte Folded Reload
	scratch_load_dwordx4 v[90:93], off, s2 offset:32 ; 16-byte Folded Reload
	scratch_load_dwordx4 v[94:97], off, s2 offset:48 ; 16-byte Folded Reload
	scratch_load_dwordx4 v[98:101], off, s2 offset:64 ; 16-byte Folded Reload
	scratch_load_dwordx4 v[102:105], off, s2 offset:80 ; 16-byte Folded Reload
	scratch_load_dwordx4 v[106:109], off, s2 offset:96 ; 16-byte Folded Reload
	scratch_load_dwordx4 v[110:113], off, s2 offset:112 ; 16-byte Folded Reload
	s_movk_i32 s2, 0xf98
	v_mov_b32_e32 v74, v24
	v_mov_b32_e32 v75, v25
	s_waitcnt vmcnt(5)
	v_mov_b64_e32 v[152:153], v[90:91]
	v_mov_b64_e32 v[150:151], v[88:89]
	v_mov_b64_e32 v[148:149], v[86:87]
	v_mov_b64_e32 v[146:147], v[84:85]
	v_mov_b64_e32 v[144:145], v[82:83]
	scratch_load_dwordx4 v[82:85], off, s2  ; 16-byte Folded Reload
	scratch_load_dwordx4 v[86:89], off, s2 offset:16 ; 16-byte Folded Reload
	scratch_load_dwordx4 v[90:93], off, s2 offset:32 ; 16-byte Folded Reload
	;; [unrolled: 1-line block ×7, first 2 shown]
	s_waitcnt vmcnt(0)
	v_mov_b64_e32 v[114:115], v[42:43]
	v_mov_b64_e32 v[112:113], v[40:41]
	;; [unrolled: 1-line block ×6, first 2 shown]
	v_mov_b32_e32 v147, v153
	v_mov_b64_e32 v[0:1], v[82:83]
	v_mov_b64_e32 v[2:3], v[84:85]
	;; [unrolled: 1-line block ×6, first 2 shown]
	scratch_store_dwordx4 off, v[0:3], off offset:2448 ; 16-byte Folded Spill
	s_nop 0
	scratch_store_dwordx4 off, v[4:7], off offset:2464 ; 16-byte Folded Spill
	scratch_store_dwordx4 off, v[8:11], off offset:2480 ; 16-byte Folded Spill
	scratch_store_dwordx4 off, v[12:15], off offset:2496 ; 16-byte Folded Spill
	scratch_store_dwordx4 off, v[16:19], off offset:2512 ; 16-byte Folded Spill
	scratch_store_dwordx4 off, v[20:23], off offset:2528 ; 16-byte Folded Spill
	scratch_store_dwordx4 off, v[24:27], off offset:2544 ; 16-byte Folded Spill
	scratch_store_dwordx4 off, v[28:31], off offset:2560 ; 16-byte Folded Spill
	scratch_store_dwordx4 off, v[0:3], off offset:1808 ; 16-byte Folded Spill
	s_nop 0
	scratch_store_dwordx4 off, v[4:7], off offset:1824 ; 16-byte Folded Spill
	scratch_store_dwordx4 off, v[8:11], off offset:1840 ; 16-byte Folded Spill
	scratch_store_dwordx4 off, v[12:15], off offset:1856 ; 16-byte Folded Spill
	scratch_store_dwordx4 off, v[16:19], off offset:1872 ; 16-byte Folded Spill
	scratch_store_dwordx4 off, v[20:23], off offset:1888 ; 16-byte Folded Spill
	scratch_store_dwordx4 off, v[24:27], off offset:1904 ; 16-byte Folded Spill
	scratch_store_dwordx4 off, v[28:31], off offset:1920 ; 16-byte Folded Spill
	v_mov_b32_e32 v12, v116
	scratch_store_dwordx4 off, v[0:3], off offset:1680 ; 16-byte Folded Spill
	s_nop 0
	scratch_store_dwordx4 off, v[4:7], off offset:1696 ; 16-byte Folded Spill
	scratch_store_dwordx4 off, v[8:11], off offset:1712 ; 16-byte Folded Spill
	scratch_store_dwordx4 off, v[12:15], off offset:1728 ; 16-byte Folded Spill
	scratch_store_dwordx4 off, v[16:19], off offset:1744 ; 16-byte Folded Spill
	scratch_store_dwordx4 off, v[20:23], off offset:1760 ; 16-byte Folded Spill
	scratch_store_dwordx4 off, v[24:27], off offset:1776 ; 16-byte Folded Spill
	scratch_store_dwordx4 off, v[28:31], off offset:1792 ; 16-byte Folded Spill
	scratch_store_dwordx4 off, v[104:107], off offset:1552 ; 16-byte Folded Spill
	s_nop 0
	scratch_store_dwordx4 off, v[108:111], off offset:1568 ; 16-byte Folded Spill
	scratch_store_dwordx4 off, v[112:115], off offset:1584 ; 16-byte Folded Spill
	scratch_store_dwordx4 off, v[116:119], off offset:1600 ; 16-byte Folded Spill
	scratch_store_dwordx4 off, v[120:123], off offset:1616 ; 16-byte Folded Spill
	scratch_store_dwordx4 off, v[124:127], off offset:1632 ; 16-byte Folded Spill
	scratch_store_dwordx4 off, v[128:131], off offset:1648 ; 16-byte Folded Spill
	scratch_store_dwordx4 off, v[132:135], off offset:1664 ; 16-byte Folded Spill
	v_mov_b32_e32 v14, v204
	;; [unrolled: 19-line block ×3, first 2 shown]
	scratch_store_dwordx4 off, v[0:3], off offset:784 ; 16-byte Folded Spill
	s_nop 0
	scratch_store_dwordx4 off, v[4:7], off offset:800 ; 16-byte Folded Spill
	scratch_store_dwordx4 off, v[8:11], off offset:816 ; 16-byte Folded Spill
	;; [unrolled: 1-line block ×7, first 2 shown]
	scratch_load_dwordx4 v[82:85], off, off offset:1040 ; 16-byte Folded Reload
	scratch_load_dwordx4 v[86:89], off, off offset:1056 ; 16-byte Folded Reload
	;; [unrolled: 1-line block ×8, first 2 shown]
	v_mov_b32_e32 v17, v223
	s_waitcnt vmcnt(3)
	v_mov_b64_e32 v[46:47], v[98:99]
	v_mov_b64_e32 v[48:49], v[100:101]
	scratch_load_dwordx4 v[82:85], off, off offset:912 ; 16-byte Folded Reload
	scratch_load_dwordx4 v[86:89], off, off offset:928 ; 16-byte Folded Reload
	;; [unrolled: 1-line block ×8, first 2 shown]
	v_mov_b32_e32 v18, v48
	v_mov_b32_e32 v19, v49
	scratch_store_dwordx4 off, v[50:53], off offset:8 ; 16-byte Folded Spill
	s_nop 0
	scratch_store_dwordx4 off, v[54:57], off offset:24 ; 16-byte Folded Spill
	scratch_store_dwordx4 off, v[58:61], off offset:40 ; 16-byte Folded Spill
	;; [unrolled: 1-line block ×7, first 2 shown]
	v_mov_b32_e32 v66, v188
	s_waitcnt vmcnt(10)
	v_mov_b64_e32 v[44:45], v[98:99]
	v_mov_b64_e32 v[46:47], v[100:101]
	;; [unrolled: 1-line block ×3, first 2 shown]
	v_mov_b32_e32 v20, v48
	v_mov_b32_e32 v21, v49
	scratch_load_dwordx4 v[28:31], off, off offset:400 ; 16-byte Folded Reload
	scratch_load_dwordx4 v[32:35], off, off offset:416 ; 16-byte Folded Reload
	;; [unrolled: 1-line block ×8, first 2 shown]
	s_waitcnt vmcnt(2)
	v_mov_b64_e32 v[110:111], v[50:51]
	v_mov_b64_e32 v[108:109], v[48:49]
	;; [unrolled: 1-line block ×4, first 2 shown]
	scratch_load_dwordx4 v[28:31], off, off offset:528 ; 16-byte Folded Reload
	scratch_load_dwordx4 v[32:35], off, off offset:544 ; 16-byte Folded Reload
	;; [unrolled: 1-line block ×8, first 2 shown]
	v_mov_b32_e32 v22, v110
	v_mov_b32_e32 v23, v111
	s_waitcnt vmcnt(1)
	v_mov_b64_e32 v[248:249], v[52:53]
	v_mov_b32_e32 v24, v248
	scratch_store_dwordx4 off, v[0:3], off offset:656 ; 16-byte Folded Spill
	s_nop 0
	scratch_store_dwordx4 off, v[4:7], off offset:672 ; 16-byte Folded Spill
	scratch_store_dwordx4 off, v[8:11], off offset:688 ; 16-byte Folded Spill
	;; [unrolled: 1-line block ×7, first 2 shown]
	v_mov_b64_e32 v[246:247], v[50:51]
	v_mov_b64_e32 v[244:245], v[48:49]
	;; [unrolled: 1-line block ×4, first 2 shown]
	scratch_load_dwordx4 v[28:31], off, off offset:272 ; 16-byte Folded Reload
	scratch_load_dwordx4 v[32:35], off, off offset:288 ; 16-byte Folded Reload
	;; [unrolled: 1-line block ×8, first 2 shown]
	s_waitcnt vmcnt(1)
	v_mov_b64_e32 v[38:39], v[160:161]
	v_mov_b32_e32 v223, v249
	v_mov_b64_e32 v[40:41], v[162:163]
	v_mov_b64_e32 v[42:43], v[164:165]
	;; [unrolled: 1-line block ×7, first 2 shown]
	v_mov_b32_e32 v6, v158
	v_mov_b32_e32 v206, v54
	;; [unrolled: 1-line block ×3, first 2 shown]
	s_waitcnt vmcnt(0)
	v_mov_b64_e32 v[54:55], v[176:177]
	v_mov_b64_e32 v[56:57], v[178:179]
	;; [unrolled: 1-line block ×6, first 2 shown]
	scratch_store_dwordx4 off, v[38:41], off offset:1168 ; 16-byte Folded Spill
	s_nop 0
	scratch_store_dwordx4 off, v[42:45], off offset:1184 ; 16-byte Folded Spill
	scratch_store_dwordx4 off, v[46:49], off offset:1200 ; 16-byte Folded Spill
	;; [unrolled: 1-line block ×7, first 2 shown]
.LBB60_99:
	s_or_b64 exec, exec, s[0:1]
	s_barrier
	scratch_load_dword v0, off, off offset:4 ; 4-byte Folded Reload
	v_mov_b32_e32 v1, v255
	s_cmp_lt_i32 s22, 8
	s_waitcnt vmcnt(0)
	v_lshl_add_u32 v26, v0, 2, v1
	ds_write_b32 v26, v6
	s_waitcnt lgkmcnt(0)
	s_barrier
	ds_read_b32 v28, v255 offset:24
	v_mov_b32_e32 v26, 6
	s_cbranch_scc1 .LBB60_527
; %bb.100:
	s_movk_i32 s0, 0x1018
	scratch_load_dword v0, off, s0          ; 4-byte Folded Reload
	v_mov_b32_e32 v26, 6
	s_mov_b32 s0, 7
	v_mov_b32_e32 v8, v152
	v_mov_b32_e32 v7, v159
	s_waitcnt vmcnt(0)
	v_add3_u32 v27, v0, 0, 28
.LBB60_101:                             ; =>This Inner Loop Header: Depth=1
	ds_read_b32 v29, v27
	v_add_u32_e32 v27, 4, v27
	s_waitcnt lgkmcnt(0)
	v_cmp_lt_f32_e64 vcc, |v28|, |v29|
	s_nop 1
	v_cndmask_b32_e32 v28, v28, v29, vcc
	v_mov_b32_e32 v29, s0
	s_add_i32 s0, s0, 1
	v_cndmask_b32_e32 v26, v26, v29, vcc
	s_cmp_lg_u32 s22, s0
	s_cbranch_scc1 .LBB60_101
; %bb.102:
	v_cmp_eq_f32_e32 vcc, 0, v28
	s_and_saveexec_b64 s[0:1], vcc
	s_xor_b64 s[0:1], exec, s[0:1]
	s_cbranch_execz .LBB60_104
.LBB60_103:
	scratch_load_dword v0, off, off offset:144 ; 4-byte Folded Reload
	s_waitcnt vmcnt(0)
	v_cmp_ne_u32_e32 vcc, 0, v0
	s_nop 1
	v_cndmask_b32_e32 v0, 7, v0, vcc
	scratch_store_dword off, v0, off offset:144 ; 4-byte Folded Spill
.LBB60_104:
	s_andn2_saveexec_b64 s[0:1], s[0:1]
	s_cbranch_execz .LBB60_106
; %bb.105:
	v_div_scale_f32 v27, s[2:3], v28, v28, 1.0
	v_rcp_f32_e32 v29, v27
	v_div_scale_f32 v30, vcc, 1.0, v28, 1.0
	v_fma_f32 v31, -v27, v29, 1.0
	v_fmac_f32_e32 v29, v31, v29
	v_mul_f32_e32 v31, v30, v29
	v_fma_f32 v60, -v27, v31, v30
	v_fmac_f32_e32 v31, v60, v29
	v_fma_f32 v27, -v27, v31, v30
	v_div_fmas_f32 v27, v27, v29, v31
	v_div_fixup_f32 v28, v27, v28, 1.0
.LBB60_106:
	s_or_b64 exec, exec, s[0:1]
	scratch_load_dword v0, off, off offset:4 ; 4-byte Folded Reload
	s_waitcnt vmcnt(0)
	v_cmp_ne_u32_e32 vcc, v0, v26
	s_and_saveexec_b64 s[0:1], vcc
	s_xor_b64 s[0:1], exec, s[0:1]
	s_cbranch_execz .LBB60_112
; %bb.107:
	scratch_load_dword v0, off, off offset:4 ; 4-byte Folded Reload
	s_waitcnt vmcnt(0)
	v_cmp_eq_u32_e32 vcc, 6, v0
	s_and_saveexec_b64 s[2:3], vcc
	s_cbranch_execz .LBB60_111
; %bb.108:
	v_cmp_ne_u32_e32 vcc, 6, v26
	s_xor_b64 s[12:13], s[20:21], -1
	s_and_b64 s[14:15], s[12:13], vcc
	s_and_saveexec_b64 s[12:13], s[14:15]
	s_cbranch_execz .LBB60_110
; %bb.109:
	s_movk_i32 s14, 0x159c
	scratch_load_dwordx2 v[60:61], off, s14 ; 8-byte Folded Reload
	v_ashrrev_i32_e32 v27, 31, v26
	s_waitcnt vmcnt(0)
	v_lshl_add_u64 v[30:31], v[26:27], 2, v[60:61]
	global_load_dword v27, v[30:31], off
	global_load_dword v29, v[60:61], off offset:24
	s_waitcnt vmcnt(1)
	global_store_dword v[60:61], v27, off offset:24
	s_waitcnt vmcnt(1)
	global_store_dword v[30:31], v29, off
.LBB60_110:
	s_or_b64 exec, exec, s[12:13]
	v_mov_b32_e32 v27, v26
	v_mov_b32_e32 v0, v26
	scratch_store_dword off, v27, off offset:3860 ; 4-byte Folded Spill
	scratch_store_dword off, v0, off offset:4 ; 4-byte Folded Spill
.LBB60_111:
	s_or_b64 exec, exec, s[2:3]
.LBB60_112:
	s_andn2_saveexec_b64 s[0:1], s[0:1]
	s_cbranch_execz .LBB60_114
; %bb.113:
	scratch_load_dwordx4 v[30:33], off, off offset:8 ; 16-byte Folded Reload
	scratch_load_dwordx4 v[34:37], off, off offset:24 ; 16-byte Folded Reload
	;; [unrolled: 1-line block ×8, first 2 shown]
	v_mov_b32_e32 v0, 6
	s_waitcnt vmcnt(5)
	ds_write2_b32 v255, v37, v38 offset0:7 offset1:8
	ds_write2_b32 v255, v39, v40 offset0:9 offset1:10
	s_waitcnt vmcnt(4)
	ds_write2_b32 v255, v41, v42 offset0:11 offset1:12
	ds_write2_b32 v255, v43, v44 offset0:13 offset1:14
	;; [unrolled: 3-line block ×6, first 2 shown]
	scratch_store_dword off, v0, off offset:4 ; 4-byte Folded Spill
.LBB60_114:
	s_or_b64 exec, exec, s[0:1]
	s_waitcnt lgkmcnt(0)
	s_barrier
	scratch_load_dword v0, off, off offset:4 ; 4-byte Folded Reload
	s_waitcnt vmcnt(0)
	v_cmp_lt_i32_e32 vcc, 6, v0
	s_and_saveexec_b64 s[0:1], vcc
	s_cbranch_execz .LBB60_116
; %bb.115:
	s_movk_i32 s2, 0x1724
	scratch_load_dwordx4 v[64:67], off, s2  ; 16-byte Folded Reload
	scratch_load_dwordx4 v[68:71], off, s2 offset:16 ; 16-byte Folded Reload
	scratch_load_dwordx4 v[72:75], off, s2 offset:32 ; 16-byte Folded Reload
	;; [unrolled: 1-line block ×7, first 2 shown]
	ds_read2_b32 v[0:1], v255 offset0:7 offset1:8
	scratch_load_dwordx4 v[114:117], off, off offset:8 ; 16-byte Folded Reload
	scratch_load_dwordx4 v[118:121], off, off offset:24 ; 16-byte Folded Reload
	;; [unrolled: 1-line block ×8, first 2 shown]
	s_waitcnt vmcnt(14)
	v_mul_f32_e32 v70, v6, v28
	ds_read2_b32 v[4:5], v255 offset0:9 offset1:10
	ds_read2_b32 v[6:7], v255 offset0:11 offset1:12
	;; [unrolled: 1-line block ×3, first 2 shown]
	v_mov_b32_e32 v10, v255
	s_movk_i32 s2, 0x121c
	v_mov_b32_e32 v230, v70
	v_mov_b32_e32 v40, v70
	v_mov_b32_e32 v102, v70
	v_mov_b32_e32 v224, v64
	v_mov_b32_e32 v225, v65
	v_mov_b32_e32 v226, v66
	s_waitcnt vmcnt(6)
	v_mov_b32_e32 v2, v121
	s_waitcnt vmcnt(5)
	v_mov_b32_e32 v3, v122
	s_waitcnt lgkmcnt(3)
	v_pk_fma_f32 v[26:27], v[70:71], v[0:1], v[2:3] op_sel_hi:[0,1,1] neg_lo:[1,0,0] neg_hi:[1,0,0]
	v_mov_b32_e32 v0, v123
	v_mov_b32_e32 v1, v124
	s_waitcnt lgkmcnt(2)
	v_pk_fma_f32 v[28:29], v[70:71], v[4:5], v[0:1] op_sel_hi:[0,1,1] neg_lo:[1,0,0] neg_hi:[1,0,0]
	v_mov_b32_e32 v0, v125
	s_waitcnt vmcnt(4)
	v_mov_b32_e32 v1, v126
	s_waitcnt lgkmcnt(1)
	v_pk_fma_f32 v[30:31], v[70:71], v[6:7], v[0:1] op_sel_hi:[0,1,1] neg_lo:[1,0,0] neg_hi:[1,0,0]
	v_mov_b32_e32 v0, v127
	v_mov_b32_e32 v1, v128
	s_waitcnt lgkmcnt(0)
	v_pk_fma_f32 v[60:61], v[70:71], v[8:9], v[0:1] op_sel_hi:[0,1,1] neg_lo:[1,0,0] neg_hi:[1,0,0]
	ds_read2_b32 v[0:1], v255 offset0:15 offset1:16
	ds_read2_b32 v[4:5], v255 offset0:17 offset1:18
	;; [unrolled: 1-line block ×4, first 2 shown]
	v_mov_b32_e32 v2, v129
	s_waitcnt vmcnt(3)
	v_mov_b32_e32 v3, v130
	v_mov_b32_e32 v227, v67
	s_waitcnt lgkmcnt(3)
	v_pk_fma_f32 v[62:63], v[70:71], v[0:1], v[2:3] op_sel_hi:[0,1,1] neg_lo:[1,0,0] neg_hi:[1,0,0]
	v_mov_b32_e32 v0, v131
	v_mov_b32_e32 v1, v132
	s_waitcnt lgkmcnt(2)
	v_pk_fma_f32 v[88:89], v[70:71], v[4:5], v[0:1] op_sel_hi:[0,1,1] neg_lo:[1,0,0] neg_hi:[1,0,0]
	v_mov_b32_e32 v0, v133
	s_waitcnt vmcnt(2)
	v_mov_b32_e32 v1, v134
	s_waitcnt lgkmcnt(1)
	v_pk_fma_f32 v[90:91], v[70:71], v[6:7], v[0:1] op_sel_hi:[0,1,1] neg_lo:[1,0,0] neg_hi:[1,0,0]
	v_mov_b32_e32 v0, v135
	v_mov_b32_e32 v1, v136
	s_waitcnt lgkmcnt(0)
	v_pk_fma_f32 v[92:93], v[70:71], v[8:9], v[0:1] op_sel_hi:[0,1,1] neg_lo:[1,0,0] neg_hi:[1,0,0]
	ds_read2_b32 v[0:1], v255 offset0:23 offset1:24
	ds_read2_b32 v[4:5], v255 offset0:25 offset1:26
	;; [unrolled: 1-line block ×4, first 2 shown]
	v_mov_b32_e32 v2, v137
	s_waitcnt vmcnt(1)
	v_mov_b32_e32 v3, v138
	v_mov_b32_e32 v228, v68
	s_waitcnt lgkmcnt(3)
	v_pk_fma_f32 v[94:95], v[70:71], v[0:1], v[2:3] op_sel_hi:[0,1,1] neg_lo:[1,0,0] neg_hi:[1,0,0]
	v_mov_b32_e32 v0, v139
	v_mov_b32_e32 v1, v140
	s_waitcnt lgkmcnt(2)
	v_pk_fma_f32 v[24:25], v[70:71], v[4:5], v[0:1] op_sel_hi:[0,1,1] neg_lo:[1,0,0] neg_hi:[1,0,0]
	v_mov_b32_e32 v0, v141
	s_waitcnt vmcnt(0)
	v_mov_b32_e32 v1, v142
	s_waitcnt lgkmcnt(1)
	v_pk_fma_f32 v[32:33], v[70:71], v[6:7], v[0:1] op_sel_hi:[0,1,1] neg_lo:[1,0,0] neg_hi:[1,0,0]
	v_mov_b32_e32 v0, v143
	v_mov_b32_e32 v1, v144
	s_waitcnt lgkmcnt(0)
	v_pk_fma_f32 v[158:159], v[70:71], v[8:9], v[0:1] op_sel_hi:[0,1,1] neg_lo:[1,0,0] neg_hi:[1,0,0]
	v_mov_b32_e32 v0, v64
	v_mov_b32_e32 v1, v65
	;; [unrolled: 1-line block ×10, first 2 shown]
	scratch_store_dwordx4 off, v[0:3], s2   ; 16-byte Folded Spill
	s_nop 0
	scratch_store_dwordx4 off, v[4:7], s2 offset:16 ; 16-byte Folded Spill
	scratch_store_dwordx4 off, v[8:11], s2 offset:32 ; 16-byte Folded Spill
	;; [unrolled: 1-line block ×7, first 2 shown]
	s_movk_i32 s2, 0x131c
	v_mov_b32_e32 v229, v69
	v_mov_b32_e32 v237, v60
	;; [unrolled: 1-line block ×57, first 2 shown]
	scratch_store_dwordx4 off, v[0:3], s2   ; 16-byte Folded Spill
	s_nop 0
	scratch_store_dwordx4 off, v[4:7], s2 offset:16 ; 16-byte Folded Spill
	scratch_store_dwordx4 off, v[8:11], s2 offset:32 ; 16-byte Folded Spill
	scratch_store_dwordx4 off, v[12:15], s2 offset:48 ; 16-byte Folded Spill
	scratch_store_dwordx4 off, v[16:19], s2 offset:64 ; 16-byte Folded Spill
	scratch_store_dwordx4 off, v[20:23], s2 offset:80 ; 16-byte Folded Spill
	scratch_store_dwordx4 off, v[24:27], s2 offset:96 ; 16-byte Folded Spill
	scratch_store_dwordx4 off, v[28:31], s2 offset:112 ; 16-byte Folded Spill
	s_movk_i32 s2, 0xf98
	v_mov_b32_e32 v10, v29
	scratch_store_dwordx4 off, v[0:3], s2   ; 16-byte Folded Spill
	s_nop 0
	scratch_store_dwordx4 off, v[4:7], s2 offset:16 ; 16-byte Folded Spill
	scratch_store_dwordx4 off, v[8:11], s2 offset:32 ; 16-byte Folded Spill
	scratch_store_dwordx4 off, v[12:15], s2 offset:48 ; 16-byte Folded Spill
	scratch_store_dwordx4 off, v[16:19], s2 offset:64 ; 16-byte Folded Spill
	scratch_store_dwordx4 off, v[20:23], s2 offset:80 ; 16-byte Folded Spill
	scratch_store_dwordx4 off, v[24:27], s2 offset:96 ; 16-byte Folded Spill
	scratch_store_dwordx4 off, v[28:31], s2 offset:112 ; 16-byte Folded Spill
	s_movk_i32 s2, 0x129c
	v_mov_b32_e32 v11, v30
	;; [unrolled: 11-line block ×3, first 2 shown]
	scratch_store_dwordx4 off, v[0:3], off offset:3348 ; 16-byte Folded Spill
	s_nop 0
	scratch_store_dwordx4 off, v[4:7], off offset:3364 ; 16-byte Folded Spill
	scratch_store_dwordx4 off, v[8:11], off offset:3380 ; 16-byte Folded Spill
	;; [unrolled: 1-line block ×7, first 2 shown]
	v_mov_b32_e32 v13, v60
	scratch_store_dwordx4 off, v[0:3], s2   ; 16-byte Folded Spill
	s_nop 0
	scratch_store_dwordx4 off, v[4:7], s2 offset:16 ; 16-byte Folded Spill
	scratch_store_dwordx4 off, v[8:11], s2 offset:32 ; 16-byte Folded Spill
	;; [unrolled: 1-line block ×7, first 2 shown]
	v_mov_b32_e32 v14, v61
	s_movk_i32 s2, 0x15a4
	scratch_store_dwordx4 off, v[0:3], off offset:1936 ; 16-byte Folded Spill
	s_nop 0
	scratch_store_dwordx4 off, v[4:7], off offset:1952 ; 16-byte Folded Spill
	scratch_store_dwordx4 off, v[8:11], off offset:1968 ; 16-byte Folded Spill
	scratch_store_dwordx4 off, v[12:15], off offset:1984 ; 16-byte Folded Spill
	scratch_store_dwordx4 off, v[16:19], off offset:2000 ; 16-byte Folded Spill
	scratch_store_dwordx4 off, v[20:23], off offset:2016 ; 16-byte Folded Spill
	scratch_store_dwordx4 off, v[24:27], off offset:2032 ; 16-byte Folded Spill
	scratch_store_dwordx4 off, v[28:31], off offset:2048 ; 16-byte Folded Spill
	v_mov_b32_e32 v15, v62
	scratch_store_dwordx4 off, v[0:3], off offset:3864 ; 16-byte Folded Spill
	s_nop 0
	scratch_store_dwordx4 off, v[4:7], off offset:3880 ; 16-byte Folded Spill
	scratch_store_dwordx4 off, v[8:11], off offset:3896 ; 16-byte Folded Spill
	scratch_store_dwordx4 off, v[12:15], off offset:3912 ; 16-byte Folded Spill
	scratch_store_dwordx4 off, v[16:19], off offset:3928 ; 16-byte Folded Spill
	scratch_store_dwordx4 off, v[20:23], off offset:3944 ; 16-byte Folded Spill
	scratch_store_dwordx4 off, v[24:27], off offset:3960 ; 16-byte Folded Spill
	scratch_store_dwordx4 off, v[28:31], off offset:3976 ; 16-byte Folded Spill
	v_mov_b32_e32 v16, v63
	;; [unrolled: 10-line block ×10, first 2 shown]
	v_mov_b32_e32 v232, v27
	v_mov_b32_e32 v233, v28
	;; [unrolled: 1-line block ×12, first 2 shown]
	scratch_store_dwordx4 off, v[224:227], off offset:528 ; 16-byte Folded Spill
	s_nop 0
	scratch_store_dwordx4 off, v[228:231], off offset:544 ; 16-byte Folded Spill
	scratch_store_dwordx4 off, v[232:235], off offset:560 ; 16-byte Folded Spill
	;; [unrolled: 1-line block ×8, first 2 shown]
	s_nop 0
	scratch_store_dwordx4 off, v[38:41], off offset:2336 ; 16-byte Folded Spill
	scratch_store_dwordx4 off, v[42:45], off offset:2352 ; 16-byte Folded Spill
	;; [unrolled: 1-line block ×7, first 2 shown]
	v_mov_b32_e32 v249, v24
	v_mov_b32_e32 v250, v25
	;; [unrolled: 1-line block ×13, first 2 shown]
	scratch_store_dwordx4 off, v[224:227], off offset:272 ; 16-byte Folded Spill
	s_nop 0
	scratch_store_dwordx4 off, v[228:231], off offset:288 ; 16-byte Folded Spill
	scratch_store_dwordx4 off, v[232:235], off offset:304 ; 16-byte Folded Spill
	;; [unrolled: 1-line block ×7, first 2 shown]
	v_mov_b32_e32 v96, v64
	v_mov_b32_e32 v97, v65
	;; [unrolled: 1-line block ×6, first 2 shown]
	scratch_store_dwordx4 off, v[96:99], off offset:2064 ; 16-byte Folded Spill
	s_nop 0
	scratch_store_dwordx4 off, v[100:103], off offset:2080 ; 16-byte Folded Spill
	scratch_store_dwordx4 off, v[104:107], off offset:2096 ; 16-byte Folded Spill
	;; [unrolled: 1-line block ×7, first 2 shown]
	v_mov_b32_e32 v128, v61
	v_mov_b32_e32 v129, v62
	;; [unrolled: 1-line block ×4, first 2 shown]
	scratch_store_dwordx4 off, v[96:99], off offset:1168 ; 16-byte Folded Spill
	s_nop 0
	scratch_store_dwordx4 off, v[100:103], off offset:1184 ; 16-byte Folded Spill
	scratch_store_dwordx4 off, v[104:107], off offset:1200 ; 16-byte Folded Spill
	;; [unrolled: 1-line block ×7, first 2 shown]
	v_mov_b32_e32 v114, v64
	v_mov_b32_e32 v115, v65
	;; [unrolled: 1-line block ×7, first 2 shown]
	scratch_store_dwordx2 off, v[158:159], off offset:136 ; 8-byte Folded Spill
	scratch_store_dwordx4 off, v[64:67], s2 ; 16-byte Folded Spill
	s_nop 0
	scratch_store_dwordx4 off, v[68:71], s2 offset:16 ; 16-byte Folded Spill
	scratch_store_dwordx4 off, v[72:75], s2 offset:32 ; 16-byte Folded Spill
	;; [unrolled: 1-line block ×7, first 2 shown]
	s_movk_i32 s2, 0x151c
	v_mov_b32_e32 v121, v26
	v_mov_b32_e32 v122, v27
	;; [unrolled: 1-line block ×7, first 2 shown]
	scratch_store_dwordx4 off, v[64:67], s2 ; 16-byte Folded Spill
	s_nop 0
	scratch_store_dwordx4 off, v[68:71], s2 offset:16 ; 16-byte Folded Spill
	scratch_store_dwordx4 off, v[72:75], s2 offset:32 ; 16-byte Folded Spill
	;; [unrolled: 1-line block ×7, first 2 shown]
	scratch_store_dwordx4 off, v[0:3], off offset:2448 ; 16-byte Folded Spill
	s_nop 0
	scratch_store_dwordx4 off, v[4:7], off offset:2464 ; 16-byte Folded Spill
	scratch_store_dwordx4 off, v[8:11], off offset:2480 ; 16-byte Folded Spill
	scratch_store_dwordx4 off, v[12:15], off offset:2496 ; 16-byte Folded Spill
	scratch_store_dwordx4 off, v[16:19], off offset:2512 ; 16-byte Folded Spill
	scratch_store_dwordx4 off, v[20:23], off offset:2528 ; 16-byte Folded Spill
	scratch_store_dwordx4 off, v[24:27], off offset:2544 ; 16-byte Folded Spill
	scratch_store_dwordx4 off, v[28:31], off offset:2560 ; 16-byte Folded Spill
	scratch_store_dwordx4 off, v[0:3], off offset:1808 ; 16-byte Folded Spill
	s_nop 0
	scratch_store_dwordx4 off, v[4:7], off offset:1824 ; 16-byte Folded Spill
	scratch_store_dwordx4 off, v[8:11], off offset:1840 ; 16-byte Folded Spill
	scratch_store_dwordx4 off, v[12:15], off offset:1856 ; 16-byte Folded Spill
	scratch_store_dwordx4 off, v[16:19], off offset:1872 ; 16-byte Folded Spill
	scratch_store_dwordx4 off, v[20:23], off offset:1888 ; 16-byte Folded Spill
	scratch_store_dwordx4 off, v[24:27], off offset:1904 ; 16-byte Folded Spill
	scratch_store_dwordx4 off, v[28:31], off offset:1920 ; 16-byte Folded Spill
	;; [unrolled: 9-line block ×7, first 2 shown]
	s_nop 0
	v_mov_b32_e32 v26, v95
	scratch_store_dwordx4 off, v[2:5], off offset:656 ; 16-byte Folded Spill
	s_nop 0
	scratch_store_dwordx4 off, v[6:9], off offset:672 ; 16-byte Folded Spill
	scratch_store_dwordx4 off, v[10:13], off offset:688 ; 16-byte Folded Spill
	;; [unrolled: 1-line block ×8, first 2 shown]
	s_nop 0
	scratch_store_dwordx4 off, v[118:121], off offset:24 ; 16-byte Folded Spill
	scratch_store_dwordx4 off, v[122:125], off offset:40 ; 16-byte Folded Spill
	;; [unrolled: 1-line block ×7, first 2 shown]
	v_mov_b32_e32 v223, v24
	v_mov_b32_e32 v206, v25
	;; [unrolled: 1-line block ×4, first 2 shown]
.LBB60_116:
	s_or_b64 exec, exec, s[0:1]
	s_waitcnt vmcnt(63) expcnt(7) lgkmcnt(15)
	s_barrier
	scratch_load_dword v0, off, off offset:4 ; 4-byte Folded Reload
	v_mov_b32_e32 v1, v255
	s_cmp_lt_i32 s22, 9
	s_waitcnt vmcnt(0)
	v_lshl_add_u32 v26, v0, 2, v1
	ds_write_b32 v26, v7
	s_waitcnt lgkmcnt(0)
	s_barrier
	ds_read_b32 v28, v255 offset:28
	v_mov_b32_e32 v26, 7
	s_cbranch_scc1 .LBB60_119
; %bb.117:
	s_movk_i32 s0, 0x1018
	scratch_load_dword v0, off, s0          ; 4-byte Folded Reload
	v_mov_b32_e32 v26, 7
	s_mov_b32 s0, 8
	s_waitcnt vmcnt(0)
	v_add3_u32 v27, v0, 0, 32
.LBB60_118:                             ; =>This Inner Loop Header: Depth=1
	ds_read_b32 v29, v27
	v_add_u32_e32 v27, 4, v27
	s_waitcnt lgkmcnt(0)
	v_cmp_lt_f32_e64 vcc, |v28|, |v29|
	s_nop 1
	v_cndmask_b32_e32 v28, v28, v29, vcc
	v_mov_b32_e32 v29, s0
	s_add_i32 s0, s0, 1
	v_cndmask_b32_e32 v26, v26, v29, vcc
	s_cmp_lg_u32 s22, s0
	s_cbranch_scc1 .LBB60_118
.LBB60_119:
	s_waitcnt lgkmcnt(0)
	v_cmp_eq_f32_e32 vcc, 0, v28
	s_and_saveexec_b64 s[0:1], vcc
	s_xor_b64 s[0:1], exec, s[0:1]
	s_cbranch_execz .LBB60_121
; %bb.120:
	scratch_load_dword v0, off, off offset:144 ; 4-byte Folded Reload
	s_waitcnt vmcnt(0)
	v_cmp_ne_u32_e32 vcc, 0, v0
	s_nop 1
	v_cndmask_b32_e32 v0, 8, v0, vcc
	scratch_store_dword off, v0, off offset:144 ; 4-byte Folded Spill
.LBB60_121:
	s_andn2_saveexec_b64 s[0:1], s[0:1]
	s_cbranch_execz .LBB60_123
; %bb.122:
	v_div_scale_f32 v27, s[2:3], v28, v28, 1.0
	v_rcp_f32_e32 v29, v27
	v_div_scale_f32 v30, vcc, 1.0, v28, 1.0
	v_fma_f32 v31, -v27, v29, 1.0
	v_fmac_f32_e32 v29, v31, v29
	v_mul_f32_e32 v31, v30, v29
	v_fma_f32 v60, -v27, v31, v30
	v_fmac_f32_e32 v31, v60, v29
	v_fma_f32 v27, -v27, v31, v30
	v_div_fmas_f32 v27, v27, v29, v31
	v_div_fixup_f32 v28, v27, v28, 1.0
.LBB60_123:
	s_or_b64 exec, exec, s[0:1]
	scratch_load_dword v0, off, off offset:4 ; 4-byte Folded Reload
	s_waitcnt vmcnt(0)
	v_cmp_ne_u32_e32 vcc, v0, v26
	s_and_saveexec_b64 s[0:1], vcc
	s_xor_b64 s[0:1], exec, s[0:1]
	s_cbranch_execz .LBB60_129
; %bb.124:
	scratch_load_dword v0, off, off offset:4 ; 4-byte Folded Reload
	s_waitcnt vmcnt(0)
	v_cmp_eq_u32_e32 vcc, 7, v0
	s_and_saveexec_b64 s[2:3], vcc
	s_cbranch_execz .LBB60_128
; %bb.125:
	v_cmp_ne_u32_e32 vcc, 7, v26
	s_xor_b64 s[12:13], s[20:21], -1
	s_and_b64 s[14:15], s[12:13], vcc
	s_and_saveexec_b64 s[12:13], s[14:15]
	s_cbranch_execz .LBB60_127
; %bb.126:
	s_movk_i32 s14, 0x159c
	scratch_load_dwordx2 v[60:61], off, s14 ; 8-byte Folded Reload
	v_ashrrev_i32_e32 v27, 31, v26
	s_waitcnt vmcnt(0)
	v_lshl_add_u64 v[30:31], v[26:27], 2, v[60:61]
	global_load_dword v27, v[30:31], off
	global_load_dword v29, v[60:61], off offset:28
	s_waitcnt vmcnt(1)
	global_store_dword v[60:61], v27, off offset:28
	s_waitcnt vmcnt(1)
	global_store_dword v[30:31], v29, off
.LBB60_127:
	s_or_b64 exec, exec, s[12:13]
	v_mov_b32_e32 v27, v26
	v_mov_b32_e32 v0, v26
	scratch_store_dword off, v27, off offset:3860 ; 4-byte Folded Spill
	scratch_store_dword off, v0, off offset:4 ; 4-byte Folded Spill
.LBB60_128:
	s_or_b64 exec, exec, s[2:3]
.LBB60_129:
	s_andn2_saveexec_b64 s[0:1], s[0:1]
	s_cbranch_execz .LBB60_131
; %bb.130:
	scratch_load_dwordx4 v[30:33], off, off offset:8 ; 16-byte Folded Reload
	scratch_load_dwordx4 v[34:37], off, off offset:24 ; 16-byte Folded Reload
	;; [unrolled: 1-line block ×8, first 2 shown]
	v_mov_b32_e32 v0, 7
	s_waitcnt vmcnt(5)
	ds_write2_b32 v255, v38, v39 offset0:8 offset1:9
	ds_write2_b32 v255, v40, v41 offset0:10 offset1:11
	s_waitcnt vmcnt(4)
	ds_write2_b32 v255, v42, v43 offset0:12 offset1:13
	ds_write2_b32 v255, v44, v45 offset0:14 offset1:15
	;; [unrolled: 3-line block ×5, first 2 shown]
	s_waitcnt vmcnt(0)
	ds_write2_b32 v255, v58, v59 offset0:28 offset1:29
	scratch_load_dwordx2 v[26:27], off, off offset:136 ; 8-byte Folded Reload
	s_waitcnt vmcnt(0)
	ds_write_b32 v255, v27 offset:120
	scratch_store_dword off, v0, off offset:4 ; 4-byte Folded Spill
.LBB60_131:
	s_or_b64 exec, exec, s[0:1]
	s_waitcnt lgkmcnt(0)
	s_barrier
	scratch_load_dword v0, off, off offset:4 ; 4-byte Folded Reload
	s_waitcnt vmcnt(0)
	v_cmp_lt_i32_e32 vcc, 7, v0
	s_and_saveexec_b64 s[0:1], vcc
	s_cbranch_execz .LBB60_133
; %bb.132:
	ds_read2_b32 v[0:1], v255 offset0:8 offset1:9
	ds_read2_b32 v[2:3], v255 offset0:10 offset1:11
	;; [unrolled: 1-line block ×3, first 2 shown]
	v_mul_f32_e32 v26, v7, v28
	ds_read2_b32 v[6:7], v255 offset0:14 offset1:15
	scratch_load_dwordx4 v[50:53], off, off offset:8 ; 16-byte Folded Reload
	scratch_load_dwordx4 v[54:57], off, off offset:24 ; 16-byte Folded Reload
	;; [unrolled: 1-line block ×8, first 2 shown]
	s_movk_i32 s2, 0x151c
	v_mov_b32_e32 v18, v255
	s_waitcnt vmcnt(5) lgkmcnt(3)
	v_pk_fma_f32 v[14:15], v[26:27], v[0:1], v[58:59] op_sel_hi:[0,1,1] neg_lo:[1,0,0] neg_hi:[1,0,0]
	ds_read2_b32 v[0:1], v255 offset0:16 offset1:17
	s_waitcnt lgkmcnt(3)
	v_pk_fma_f32 v[22:23], v[26:27], v[2:3], v[60:61] op_sel_hi:[0,1,1] neg_lo:[1,0,0] neg_hi:[1,0,0]
	s_waitcnt vmcnt(4) lgkmcnt(2)
	v_pk_fma_f32 v[12:13], v[26:27], v[4:5], v[62:63] op_sel_hi:[0,1,1] neg_lo:[1,0,0] neg_hi:[1,0,0]
	s_waitcnt lgkmcnt(1)
	v_pk_fma_f32 v[28:29], v[26:27], v[6:7], v[64:65] op_sel_hi:[0,1,1] neg_lo:[1,0,0] neg_hi:[1,0,0]
	ds_read2_b32 v[2:3], v255 offset0:18 offset1:19
	ds_read2_b32 v[4:5], v255 offset0:20 offset1:21
	;; [unrolled: 1-line block ×3, first 2 shown]
	s_waitcnt vmcnt(3) lgkmcnt(3)
	v_pk_fma_f32 v[16:17], v[26:27], v[0:1], v[66:67] op_sel_hi:[0,1,1] neg_lo:[1,0,0] neg_hi:[1,0,0]
	ds_read2_b32 v[0:1], v255 offset0:24 offset1:25
	ds_read2_b32 v[8:9], v255 offset0:26 offset1:27
	;; [unrolled: 1-line block ×3, first 2 shown]
	ds_read_b32 v27, v255 offset:120
	scratch_load_dwordx4 v[184:187], off, s2 ; 16-byte Folded Reload
	scratch_load_dwordx4 v[188:191], off, s2 offset:16 ; 16-byte Folded Reload
	scratch_load_dwordx4 v[192:195], off, s2 offset:32 ; 16-byte Folded Reload
	;; [unrolled: 1-line block ×7, first 2 shown]
	s_movk_i32 s2, 0x131c
	s_waitcnt vmcnt(6)
	v_mov_b32_e32 v191, v26
	s_waitcnt lgkmcnt(0)
	v_pk_fma_f32 v[86:87], v[26:27], v[8:9], v[76:77] op_sel_hi:[0,1,1] neg_lo:[1,0,0] neg_hi:[1,0,0]
	v_mov_b64_e32 v[8:9], v[14:15]
	v_pk_fma_f32 v[148:149], v[26:27], v[2:3], v[68:69] op_sel_hi:[0,1,1] neg_lo:[1,0,0] neg_hi:[1,0,0]
	v_pk_fma_f32 v[20:21], v[26:27], v[4:5], v[70:71] op_sel_hi:[0,1,1] neg_lo:[1,0,0] neg_hi:[1,0,0]
	;; [unrolled: 1-line block ×4, first 2 shown]
	v_mov_b32_e32 v7, v26
	v_pk_fma_f32 v[150:151], v[26:27], v[10:11], v[78:79] op_sel_hi:[0,1,1] neg_lo:[1,0,0] neg_hi:[1,0,0]
	v_mov_b32_e32 v124, v148
	v_mov_b32_e32 v125, v149
	;; [unrolled: 1-line block ×17, first 2 shown]
	v_mov_b64_e32 v[58:59], v[8:9]
	v_mov_b64_e32 v[56:57], v[6:7]
	;; [unrolled: 1-line block ×5, first 2 shown]
	scratch_store_dwordx4 off, v[0:3], s2   ; 16-byte Folded Spill
	s_nop 0
	scratch_store_dwordx4 off, v[4:7], s2 offset:16 ; 16-byte Folded Spill
	scratch_store_dwordx4 off, v[8:11], s2 offset:32 ; 16-byte Folded Spill
	;; [unrolled: 1-line block ×7, first 2 shown]
	s_movk_i32 s2, 0x129c
	v_mov_b32_e32 v130, v184
	v_mov_b32_e32 v131, v185
	;; [unrolled: 1-line block ×36, first 2 shown]
	v_mov_b64_e32 v[10:11], v[22:23]
	s_waitcnt vmcnt(11)
	v_mov_b64_e32 v[202:203], v[10:11]
	v_mov_b64_e32 v[200:201], v[8:9]
	;; [unrolled: 1-line block ×6, first 2 shown]
	scratch_store_dwordx4 off, v[0:3], s2   ; 16-byte Folded Spill
	s_nop 0
	scratch_store_dwordx4 off, v[4:7], s2 offset:16 ; 16-byte Folded Spill
	scratch_store_dwordx4 off, v[8:11], s2 offset:32 ; 16-byte Folded Spill
	;; [unrolled: 1-line block ×7, first 2 shown]
	s_movk_i32 s2, 0x111c
	v_mov_b32_e32 v116, v202
	v_mov_b32_e32 v117, v203
	;; [unrolled: 1-line block ×8, first 2 shown]
	v_mov_b64_e32 v[72:73], v[12:13]
	scratch_store_dwordx4 off, v[0:3], s2   ; 16-byte Folded Spill
	s_nop 0
	scratch_store_dwordx4 off, v[4:7], s2 offset:16 ; 16-byte Folded Spill
	scratch_store_dwordx4 off, v[8:11], s2 offset:32 ; 16-byte Folded Spill
	;; [unrolled: 1-line block ×7, first 2 shown]
	v_mov_b32_e32 v142, v72
	v_mov_b32_e32 v143, v73
	v_mov_b32_e32 v118, v72
	v_mov_b32_e32 v119, v73
	s_movk_i32 s2, 0x121c
	v_mov_b64_e32 v[14:15], v[28:29]
	s_waitcnt vmcnt(24)
	v_mov_b64_e32 v[218:219], v[14:15]
	v_mov_b64_e32 v[216:217], v[12:13]
	;; [unrolled: 1-line block ×8, first 2 shown]
	scratch_store_dwordx4 off, v[0:3], off offset:3864 ; 16-byte Folded Spill
	s_nop 0
	scratch_store_dwordx4 off, v[4:7], off offset:3880 ; 16-byte Folded Spill
	scratch_store_dwordx4 off, v[8:11], off offset:3896 ; 16-byte Folded Spill
	;; [unrolled: 1-line block ×7, first 2 shown]
	v_mov_b32_e32 v120, v218
	v_mov_b32_e32 v121, v219
	;; [unrolled: 1-line block ×8, first 2 shown]
	v_mov_b64_e32 v[102:103], v[14:15]
	v_mov_b64_e32 v[100:101], v[12:13]
	;; [unrolled: 1-line block ×9, first 2 shown]
	scratch_store_dwordx4 off, v[0:3], off offset:3476 ; 16-byte Folded Spill
	s_nop 0
	scratch_store_dwordx4 off, v[4:7], off offset:3492 ; 16-byte Folded Spill
	scratch_store_dwordx4 off, v[8:11], off offset:3508 ; 16-byte Folded Spill
	;; [unrolled: 1-line block ×7, first 2 shown]
	v_mov_b32_e32 v18, v148
	v_mov_b32_e32 v19, v149
	v_mov_b32_e32 v122, v104
	v_mov_b32_e32 v123, v105
	v_mov_b32_e32 v76, v104
	v_mov_b32_e32 v77, v105
	v_mov_b64_e32 v[234:235], v[102:103]
	v_mov_b64_e32 v[232:233], v[100:101]
	;; [unrolled: 1-line block ×8, first 2 shown]
	v_mov_b32_e32 v146, v104
	v_mov_b32_e32 v147, v105
	;; [unrolled: 1-line block ×4, first 2 shown]
	v_mov_b64_e32 v[236:237], v[104:105]
	v_mov_b32_e32 v92, v188
	v_mov_b32_e32 v94, v190
	v_mov_b32_e32 v137, v26
	scratch_store_dwordx4 off, v[0:3], off offset:2964 ; 16-byte Folded Spill
	s_nop 0
	scratch_store_dwordx4 off, v[4:7], off offset:2980 ; 16-byte Folded Spill
	scratch_store_dwordx4 off, v[8:11], off offset:2996 ; 16-byte Folded Spill
	scratch_store_dwordx4 off, v[12:15], off offset:3012 ; 16-byte Folded Spill
	scratch_store_dwordx4 off, v[16:19], off offset:3028 ; 16-byte Folded Spill
	scratch_store_dwordx4 off, v[20:23], off offset:3044 ; 16-byte Folded Spill
	scratch_store_dwordx4 off, v[24:27], off offset:3060 ; 16-byte Folded Spill
	scratch_store_dwordx4 off, v[28:31], off offset:3076 ; 16-byte Folded Spill
	v_mov_b64_e32 v[42:43], v[14:15]
	s_nop 0
	v_mov_b64_e32 v[30:31], v[2:3]
	v_mov_b64_e32 v[28:29], v[0:1]
	;; [unrolled: 1-line block ×10, first 2 shown]
	scratch_store_dwordx4 off, v[0:3], off offset:2704 ; 16-byte Folded Spill
	s_nop 0
	scratch_store_dwordx4 off, v[4:7], off offset:2720 ; 16-byte Folded Spill
	scratch_store_dwordx4 off, v[8:11], off offset:2736 ; 16-byte Folded Spill
	;; [unrolled: 1-line block ×7, first 2 shown]
	v_mov_b32_e32 v22, v128
	v_mov_b32_e32 v23, v129
	;; [unrolled: 1-line block ×9, first 2 shown]
	v_mov_b64_e32 v[84:85], v[12:13]
	scratch_store_dwordx4 off, v[0:3], off offset:2576 ; 16-byte Folded Spill
	s_nop 0
	scratch_store_dwordx4 off, v[4:7], off offset:2592 ; 16-byte Folded Spill
	scratch_store_dwordx4 off, v[8:11], off offset:2608 ; 16-byte Folded Spill
	;; [unrolled: 1-line block ×7, first 2 shown]
	v_mov_b32_e32 v164, v84
	v_mov_b32_e32 v24, v176
	;; [unrolled: 1-line block ×7, first 2 shown]
	scratch_store_dwordx4 off, v[0:3], off offset:2320 ; 16-byte Folded Spill
	s_nop 0
	scratch_store_dwordx4 off, v[4:7], off offset:2336 ; 16-byte Folded Spill
	scratch_store_dwordx4 off, v[8:11], off offset:2352 ; 16-byte Folded Spill
	;; [unrolled: 1-line block ×7, first 2 shown]
	v_mov_b32_e32 v16, v236
	v_mov_b32_e32 v17, v237
	scratch_store_dwordx4 off, v[28:31], off offset:912 ; 16-byte Folded Spill
	s_nop 0
	scratch_store_dwordx4 off, v[32:35], off offset:928 ; 16-byte Folded Spill
	scratch_store_dwordx4 off, v[36:39], off offset:944 ; 16-byte Folded Spill
	;; [unrolled: 1-line block ×7, first 2 shown]
	v_mov_b32_e32 v67, v26
	v_mov_b32_e32 v72, v12
	;; [unrolled: 1-line block ×3, first 2 shown]
	scratch_store_dwordx4 off, v[106:109], off offset:400 ; 16-byte Folded Spill
	s_nop 0
	scratch_store_dwordx4 off, v[110:113], off offset:416 ; 16-byte Folded Spill
	scratch_store_dwordx4 off, v[114:117], off offset:432 ; 16-byte Folded Spill
	;; [unrolled: 1-line block ×8, first 2 shown]
	s_nop 0
	scratch_store_dwordx4 off, v[64:67], off offset:288 ; 16-byte Folded Spill
	scratch_store_dwordx4 off, v[68:71], off offset:304 ; 16-byte Folded Spill
	;; [unrolled: 1-line block ×7, first 2 shown]
	scratch_load_dwordx2 v[28:29], off, off offset:136 ; 8-byte Folded Reload
	v_mov_b64_e32 v[114:115], v[150:151]
	v_mov_b32_e32 v93, v26
	v_mov_b32_e32 v95, v26
	scratch_store_dwordx4 off, v[50:53], s2 ; 16-byte Folded Spill
	s_nop 0
	scratch_store_dwordx4 off, v[54:57], s2 offset:16 ; 16-byte Folded Spill
	scratch_store_dwordx4 off, v[58:61], s2 offset:32 ; 16-byte Folded Spill
	;; [unrolled: 1-line block ×7, first 2 shown]
	s_movk_i32 s2, 0xf98
	scratch_store_dwordx4 off, v[192:195], s2 ; 16-byte Folded Spill
	s_nop 0
	scratch_store_dwordx4 off, v[196:199], s2 offset:16 ; 16-byte Folded Spill
	scratch_store_dwordx4 off, v[200:203], s2 offset:32 ; 16-byte Folded Spill
	;; [unrolled: 1-line block ×7, first 2 shown]
	v_mov_b64_e32 v[70:71], v[10:11]
	v_mov_b64_e32 v[68:69], v[8:9]
	;; [unrolled: 1-line block ×7, first 2 shown]
	s_waitcnt vmcnt(16)
	v_fma_f32 v118, -v26, v27, v29
	s_movk_i32 s2, 0x121c
	scratch_store_dwordx4 off, v[60:63], off offset:3348 ; 16-byte Folded Spill
	s_nop 0
	scratch_store_dwordx4 off, v[64:67], off offset:3364 ; 16-byte Folded Spill
	scratch_store_dwordx4 off, v[68:71], off offset:3380 ; 16-byte Folded Spill
	;; [unrolled: 1-line block ×8, first 2 shown]
	s_nop 0
	scratch_store_dwordx4 off, v[208:211], off offset:1952 ; 16-byte Folded Spill
	scratch_store_dwordx4 off, v[212:215], off offset:1968 ; 16-byte Folded Spill
	;; [unrolled: 1-line block ×7, first 2 shown]
	scratch_load_dwordx4 v[22:25], off, off offset:912 ; 16-byte Folded Reload
	scratch_load_dwordx4 v[26:29], off, off offset:928 ; 16-byte Folded Reload
	;; [unrolled: 1-line block ×8, first 2 shown]
	v_mov_b64_e32 v[60:61], v[152:153]
	v_mov_b64_e32 v[62:63], v[154:155]
	v_mov_b64_e32 v[64:65], v[156:157]
	v_mov_b64_e32 v[66:67], v[158:159]
	v_mov_b64_e32 v[68:69], v[160:161]
	v_mov_b64_e32 v[70:71], v[162:163]
	v_mov_b64_e32 v[72:73], v[164:165]
	v_mov_b64_e32 v[74:75], v[166:167]
	v_mov_b64_e32 v[76:77], v[168:169]
	v_mov_b64_e32 v[84:85], v[176:177]
	s_waitcnt vmcnt(7)
	v_mov_b32_e32 v24, v84
	v_mov_b32_e32 v25, v85
	v_mov_b64_e32 v[78:79], v[170:171]
	v_mov_b64_e32 v[80:81], v[172:173]
	;; [unrolled: 1-line block ×4, first 2 shown]
	v_mov_b32_e32 v14, v218
	v_mov_b32_e32 v15, v219
	v_mov_b64_e32 v[98:99], v[222:223]
	v_mov_b64_e32 v[100:101], v[224:225]
	;; [unrolled: 1-line block ×17, first 2 shown]
	scratch_load_dwordx4 v[120:123], off, off offset:400 ; 16-byte Folded Reload
	scratch_load_dwordx4 v[124:127], off, off offset:416 ; 16-byte Folded Reload
	;; [unrolled: 1-line block ×8, first 2 shown]
	v_mov_b32_e32 v18, v234
	v_mov_b32_e32 v19, v235
	s_waitcnt vmcnt(10)
	v_mov_b32_e32 v20, v42
	v_mov_b32_e32 v21, v43
	s_waitcnt vmcnt(4)
	v_mov_b64_e32 v[206:207], v[134:135]
	v_mov_b64_e32 v[204:205], v[132:133]
	s_waitcnt vmcnt(2)
	v_mov_b64_e32 v[214:215], v[142:143]
	v_mov_b64_e32 v[202:203], v[130:131]
	;; [unrolled: 1-line block ×10, first 2 shown]
	scratch_load_dwordx4 v[134:137], off, off offset:272 ; 16-byte Folded Reload
	scratch_load_dwordx4 v[138:141], off, off offset:288 ; 16-byte Folded Reload
	;; [unrolled: 1-line block ×8, first 2 shown]
	v_mov_b32_e32 v22, v214
	v_mov_b32_e32 v23, v215
	;; [unrolled: 1-line block ×11, first 2 shown]
	s_waitcnt vmcnt(1)
	v_mov_b32_e32 v26, v160
	v_mov_b32_e32 v27, v161
	scratch_store_dwordx4 off, v[0:3], off offset:2064 ; 16-byte Folded Spill
	s_nop 0
	scratch_store_dwordx4 off, v[4:7], off offset:2080 ; 16-byte Folded Spill
	scratch_store_dwordx4 off, v[8:11], off offset:2096 ; 16-byte Folded Spill
	;; [unrolled: 1-line block ×7, first 2 shown]
	scratch_load_dwordx4 v[0:3], off, s2    ; 16-byte Folded Reload
	s_nop 0
	scratch_load_dwordx4 v[4:7], off, s2 offset:16 ; 16-byte Folded Reload
	scratch_load_dwordx4 v[8:11], off, s2 offset:32 ; 16-byte Folded Reload
	;; [unrolled: 1-line block ×7, first 2 shown]
	s_movk_i32 s2, 0xf98
	v_mov_b64_e32 v[182:183], v[160:161]
	v_mov_b64_e32 v[180:181], v[158:159]
	;; [unrolled: 1-line block ×6, first 2 shown]
	s_waitcnt vmcnt(16)
	v_mov_b64_e32 v[170:171], v[148:149]
	v_mov_b64_e32 v[168:169], v[146:147]
	v_mov_b64_e32 v[166:167], v[144:145]
	v_mov_b64_e32 v[164:165], v[142:143]
	v_mov_b64_e32 v[162:163], v[140:141]
	v_mov_b64_e32 v[160:161], v[138:139]
	v_mov_b64_e32 v[158:159], v[136:137]
	v_mov_b64_e32 v[156:157], v[134:135]
	v_mov_b32_e32 v144, v234
	v_mov_b32_e32 v145, v235
	;; [unrolled: 1-line block ×4, first 2 shown]
	v_mov_b64_e32 v[154:155], v[114:115]
	v_mov_b32_e32 v148, v214
	v_mov_b32_e32 v149, v215
	s_waitcnt vmcnt(5)
	v_mov_b64_e32 v[58:59], v[8:9]
	v_mov_b64_e32 v[56:57], v[6:7]
	;; [unrolled: 1-line block ×5, first 2 shown]
	scratch_load_dwordx4 v[0:3], off, s2    ; 16-byte Folded Reload
	scratch_load_dwordx4 v[4:7], off, s2 offset:16 ; 16-byte Folded Reload
	scratch_load_dwordx4 v[8:11], off, s2 offset:32 ; 16-byte Folded Reload
	;; [unrolled: 1-line block ×7, first 2 shown]
	v_mov_b32_e32 v134, v58
	v_mov_b32_e32 v135, v59
	s_waitcnt vmcnt(5)
	v_mov_b32_e32 v136, v10
	v_mov_b32_e32 v137, v11
	scratch_load_dwordx4 v[0:3], off, off offset:3348 ; 16-byte Folded Reload
	scratch_load_dwordx4 v[4:7], off, off offset:3364 ; 16-byte Folded Reload
	;; [unrolled: 1-line block ×16, first 2 shown]
	s_waitcnt vmcnt(3)
	v_mov_b64_e32 v[30:31], v[236:237]
	scratch_store_dwordx4 off, v[216:219], off offset:1040 ; 16-byte Folded Spill
	s_nop 0
	scratch_store_dwordx4 off, v[220:223], off offset:1056 ; 16-byte Folded Spill
	scratch_store_dwordx4 off, v[224:227], off offset:1072 ; 16-byte Folded Spill
	;; [unrolled: 1-line block ×7, first 2 shown]
	scratch_load_dwordx4 v[216:219], off, off offset:912 ; 16-byte Folded Reload
	s_nop 0
	scratch_load_dwordx4 v[220:223], off, off offset:928 ; 16-byte Folded Reload
	scratch_load_dwordx4 v[224:227], off, off offset:944 ; 16-byte Folded Reload
	;; [unrolled: 1-line block ×7, first 2 shown]
	s_nop 0
	scratch_store_dwordx4 off, v[60:63], off offset:528 ; 16-byte Folded Spill
	s_nop 0
	scratch_store_dwordx4 off, v[64:67], off offset:544 ; 16-byte Folded Spill
	scratch_store_dwordx4 off, v[68:71], off offset:560 ; 16-byte Folded Spill
	;; [unrolled: 1-line block ×7, first 2 shown]
	v_mov_b64_e32 v[76:77], v[172:173]
	v_mov_b64_e32 v[86:87], v[182:183]
	;; [unrolled: 1-line block ×3, first 2 shown]
	v_mov_b32_e32 v152, v86
	v_mov_b32_e32 v153, v87
	;; [unrolled: 1-line block ×4, first 2 shown]
	v_mov_b64_e32 v[62:63], v[158:159]
	v_mov_b64_e32 v[64:65], v[160:161]
	;; [unrolled: 1-line block ×12, first 2 shown]
	v_mov_b32_e32 v88, v184
	v_mov_b32_e32 v89, v185
	v_mov_b32_e32 v90, v186
	v_mov_b32_e32 v91, v187
	v_mov_b32_e32 v66, v180
	v_mov_b32_e32 v252, v180
	v_mov_b32_e32 v138, v12
	v_mov_b32_e32 v140, v28
	v_mov_b32_e32 v141, v29
	v_mov_b32_e32 v139, v13
	v_mov_b64_e32 v[14:15], v[96:97]
	v_mov_b64_e32 v[16:17], v[98:99]
	s_waitcnt vmcnt(10)
	v_mov_b64_e32 v[112:113], v[232:233]
	v_mov_b64_e32 v[116:117], v[236:237]
	v_mov_b32_e32 v146, v116
	v_mov_b32_e32 v147, v117
	v_mov_b64_e32 v[178:179], v[152:153]
	v_mov_b64_e32 v[176:177], v[150:151]
	;; [unrolled: 1-line block ×14, first 2 shown]
	scratch_load_dwordx4 v[120:123], off, s2 ; 16-byte Folded Reload
	scratch_load_dwordx4 v[124:127], off, s2 offset:16 ; 16-byte Folded Reload
	scratch_load_dwordx4 v[128:131], off, s2 offset:32 ; 16-byte Folded Reload
	;; [unrolled: 1-line block ×7, first 2 shown]
	v_mov_b64_e32 v[18:19], v[100:101]
	v_mov_b64_e32 v[20:21], v[102:103]
	;; [unrolled: 1-line block ×6, first 2 shown]
	v_mov_b32_e32 v100, v12
	v_mov_b32_e32 v101, v13
	s_waitcnt vmcnt(4)
	v_mov_b64_e32 v[132:133], v[12:13]
	v_mov_b64_e32 v[114:115], v[234:235]
	scratch_load_dwordx4 v[206:209], off, off offset:1936 ; 16-byte Folded Reload
	scratch_load_dwordx4 v[210:213], off, off offset:1952 ; 16-byte Folded Reload
	;; [unrolled: 1-line block ×8, first 2 shown]
	s_movk_i32 s2, 0x15a4
	v_mov_b32_e32 v96, v58
	v_mov_b32_e32 v97, v59
	s_waitcnt vmcnt(9)
	v_mov_b32_e32 v147, v59
	v_mov_b32_e32 v114, v86
	;; [unrolled: 1-line block ×5, first 2 shown]
	v_mov_b64_e32 v[32:33], v[120:121]
	v_mov_b64_e32 v[34:35], v[122:123]
	;; [unrolled: 1-line block ×21, first 2 shown]
	v_mov_b32_e32 v104, v16
	v_mov_b32_e32 v105, v17
	scratch_store_dwordx4 off, v[0:3], off offset:2192 ; 16-byte Folded Spill
	s_nop 0
	scratch_store_dwordx4 off, v[4:7], off offset:2208 ; 16-byte Folded Spill
	scratch_store_dwordx4 off, v[8:11], off offset:2224 ; 16-byte Folded Spill
	;; [unrolled: 1-line block ×7, first 2 shown]
	scratch_load_dwordx4 v[0:3], off, off offset:1040 ; 16-byte Folded Reload
	s_nop 0
	scratch_load_dwordx4 v[4:7], off, off offset:1056 ; 16-byte Folded Reload
	scratch_load_dwordx4 v[8:11], off, off offset:1072 ; 16-byte Folded Reload
	;; [unrolled: 1-line block ×7, first 2 shown]
	s_waitcnt vmcnt(20)
	v_mov_b32_e32 v102, v220
	v_mov_b32_e32 v103, v221
	v_mov_b32_e32 v98, v42
	v_mov_b32_e32 v99, v43
	s_waitcnt vmcnt(3)
	v_mov_b32_e32 v106, v18
	v_mov_b32_e32 v107, v19
	scratch_load_dwordx4 v[0:3], off, off offset:912 ; 16-byte Folded Reload
	scratch_load_dwordx4 v[4:7], off, off offset:928 ; 16-byte Folded Reload
	scratch_load_dwordx4 v[8:11], off, off offset:944 ; 16-byte Folded Reload
	scratch_load_dwordx4 v[12:15], off, off offset:960 ; 16-byte Folded Reload
	scratch_load_dwordx4 v[16:19], off, off offset:976 ; 16-byte Folded Reload
	scratch_load_dwordx4 v[20:23], off, off offset:992 ; 16-byte Folded Reload
	scratch_load_dwordx4 v[24:27], off, off offset:1008 ; 16-byte Folded Reload
	scratch_load_dwordx4 v[28:31], off, off offset:1024 ; 16-byte Folded Reload
	s_waitcnt vmcnt(2)
	v_mov_b32_e32 v108, v20
	v_mov_b32_e32 v109, v21
	scratch_load_dwordx4 v[0:3], off, off offset:400 ; 16-byte Folded Reload
	scratch_load_dwordx4 v[4:7], off, off offset:416 ; 16-byte Folded Reload
	;; [unrolled: 1-line block ×8, first 2 shown]
	s_waitcnt vmcnt(4)
	v_mov_b64_e32 v[236:237], v[14:15]
	v_mov_b64_e32 v[234:235], v[12:13]
	s_waitcnt vmcnt(2)
	v_mov_b64_e32 v[244:245], v[22:23]
	v_mov_b64_e32 v[232:233], v[10:11]
	;; [unrolled: 1-line block ×10, first 2 shown]
	scratch_load_dwordx4 v[0:3], off, off offset:528 ; 16-byte Folded Reload
	scratch_load_dwordx4 v[4:7], off, off offset:544 ; 16-byte Folded Reload
	;; [unrolled: 1-line block ×8, first 2 shown]
	s_waitcnt vmcnt(1)
	v_mov_b32_e32 v26, v181
	v_mov_b32_e32 v27, v118
	v_mov_b64_e32 v[0:1], v[32:33]
	scratch_store_dwordx4 off, v[184:187], s2 ; 16-byte Folded Spill
	s_nop 0
	scratch_store_dwordx4 off, v[188:191], s2 offset:16 ; 16-byte Folded Spill
	scratch_store_dwordx4 off, v[192:195], s2 offset:32 ; 16-byte Folded Spill
	;; [unrolled: 1-line block ×7, first 2 shown]
	scratch_store_dwordx2 off, v[26:27], off offset:136 ; 8-byte Folded Spill
	v_mov_b32_e32 v26, v58
	v_mov_b64_e32 v[2:3], v[34:35]
	v_mov_b64_e32 v[4:5], v[36:37]
	;; [unrolled: 1-line block ×5, first 2 shown]
	v_mov_b32_e32 v110, v244
	v_mov_b32_e32 v111, v245
	;; [unrolled: 1-line block ×4, first 2 shown]
	scratch_store_dwordx4 off, v[0:3], off offset:2448 ; 16-byte Folded Spill
	s_nop 0
	scratch_store_dwordx4 off, v[4:7], off offset:2464 ; 16-byte Folded Spill
	scratch_store_dwordx4 off, v[8:11], off offset:2480 ; 16-byte Folded Spill
	;; [unrolled: 1-line block ×6, first 2 shown]
	s_waitcnt vmcnt(16)
	scratch_store_dwordx4 off, v[28:31], off offset:2560 ; 16-byte Folded Spill
	scratch_store_dwordx4 off, v[0:3], off offset:1808 ; 16-byte Folded Spill
	s_nop 0
	scratch_store_dwordx4 off, v[4:7], off offset:1824 ; 16-byte Folded Spill
	scratch_store_dwordx4 off, v[8:11], off offset:1840 ; 16-byte Folded Spill
	;; [unrolled: 1-line block ×7, first 2 shown]
	v_mov_b32_e32 v12, v132
	scratch_store_dwordx4 off, v[0:3], off offset:1680 ; 16-byte Folded Spill
	s_nop 0
	scratch_store_dwordx4 off, v[4:7], off offset:1696 ; 16-byte Folded Spill
	scratch_store_dwordx4 off, v[8:11], off offset:1712 ; 16-byte Folded Spill
	;; [unrolled: 1-line block ×7, first 2 shown]
                                        ; kill: def $vgpr0_vgpr1_vgpr2_vgpr3_vgpr4_vgpr5_vgpr6_vgpr7_vgpr8_vgpr9_vgpr10_vgpr11 killed $vgpr120_vgpr121_vgpr122_vgpr123_vgpr124_vgpr125_vgpr126_vgpr127_vgpr128_vgpr129_vgpr130_vgpr131 killed $exec
	v_mov_b32_e32 v13, v133
	scratch_store_dwordx4 off, v[0:3], off offset:1552 ; 16-byte Folded Spill
	s_nop 0
	scratch_store_dwordx4 off, v[4:7], off offset:1568 ; 16-byte Folded Spill
	scratch_store_dwordx4 off, v[8:11], off offset:1584 ; 16-byte Folded Spill
	;; [unrolled: 1-line block ×7, first 2 shown]
	v_mov_b32_e32 v14, v220
	scratch_store_dwordx4 off, v[0:3], off offset:1296 ; 16-byte Folded Spill
	s_nop 0
	scratch_store_dwordx4 off, v[4:7], off offset:1312 ; 16-byte Folded Spill
	scratch_store_dwordx4 off, v[8:11], off offset:1328 ; 16-byte Folded Spill
	;; [unrolled: 1-line block ×8, first 2 shown]
	s_nop 0
	scratch_store_dwordx4 off, v[210:213], off offset:1440 ; 16-byte Folded Spill
	scratch_store_dwordx4 off, v[214:217], off offset:1456 ; 16-byte Folded Spill
	;; [unrolled: 1-line block ×7, first 2 shown]
	scratch_load_dwordx4 v[28:31], off, off offset:2192 ; 16-byte Folded Reload
	scratch_load_dwordx4 v[32:35], off, off offset:2208 ; 16-byte Folded Reload
	;; [unrolled: 1-line block ×8, first 2 shown]
	v_mov_b32_e32 v206, v86
	v_mov_b32_e32 v207, v87
	s_waitcnt vmcnt(3)
	v_mov_b64_e32 v[136:137], v[44:45]
	v_mov_b32_e32 v16, v136
	scratch_store_dwordx4 off, v[0:3], off offset:784 ; 16-byte Folded Spill
	s_nop 0
	scratch_store_dwordx4 off, v[4:7], off offset:800 ; 16-byte Folded Spill
	scratch_store_dwordx4 off, v[8:11], off offset:816 ; 16-byte Folded Spill
	scratch_store_dwordx4 off, v[12:15], off offset:832 ; 16-byte Folded Spill
	scratch_store_dwordx4 off, v[16:19], off offset:848 ; 16-byte Folded Spill
	scratch_store_dwordx4 off, v[20:23], off offset:864 ; 16-byte Folded Spill
	scratch_store_dwordx4 off, v[24:27], off offset:880 ; 16-byte Folded Spill
	scratch_store_dwordx4 off, v[28:31], off offset:896 ; 16-byte Folded Spill
                                        ; kill: def $vgpr0_vgpr1_vgpr2_vgpr3_vgpr4_vgpr5_vgpr6_vgpr7_vgpr8_vgpr9_vgpr10_vgpr11_vgpr12_vgpr13_vgpr14_vgpr15 killed $vgpr28_vgpr29_vgpr30_vgpr31_vgpr32_vgpr33_vgpr34_vgpr35_vgpr36_vgpr37_vgpr38_vgpr39_vgpr40_vgpr41_vgpr42_vgpr43 killed $exec
	scratch_load_dwordx4 v[28:31], off, off offset:1040 ; 16-byte Folded Reload
	s_nop 0
	scratch_load_dwordx4 v[32:35], off, off offset:1056 ; 16-byte Folded Reload
	scratch_load_dwordx4 v[36:39], off, off offset:1072 ; 16-byte Folded Reload
	;; [unrolled: 1-line block ×7, first 2 shown]
	v_mov_b32_e32 v17, v137
	s_waitcnt vmcnt(2)
	v_mov_b64_e32 v[48:49], v[46:47]
	v_mov_b64_e32 v[46:47], v[44:45]
	;; [unrolled: 1-line block ×10, first 2 shown]
	v_mov_b32_e32 v18, v48
	v_mov_b32_e32 v19, v49
	scratch_load_dwordx4 v[28:31], off, off offset:912 ; 16-byte Folded Reload
	scratch_load_dwordx4 v[32:35], off, off offset:928 ; 16-byte Folded Reload
	;; [unrolled: 1-line block ×8, first 2 shown]
	s_nop 0
	scratch_store_dwordx4 off, v[88:91], off offset:8 ; 16-byte Folded Spill
	s_nop 0
	scratch_store_dwordx4 off, v[92:95], off offset:24 ; 16-byte Folded Spill
	scratch_store_dwordx4 off, v[96:99], off offset:40 ; 16-byte Folded Spill
	;; [unrolled: 1-line block ×7, first 2 shown]
	v_mov_b64_e32 v[104:105], v[238:239]
	v_mov_b64_e32 v[106:107], v[240:241]
	;; [unrolled: 1-line block ×4, first 2 shown]
	v_mov_b32_e32 v22, v110
	v_mov_b32_e32 v23, v111
	s_waitcnt vmcnt(10)
	v_mov_b32_e32 v20, v48
	v_mov_b32_e32 v21, v49
	scratch_load_dwordx4 v[28:31], off, off offset:528 ; 16-byte Folded Reload
	scratch_load_dwordx4 v[32:35], off, off offset:544 ; 16-byte Folded Reload
	;; [unrolled: 1-line block ×8, first 2 shown]
	s_waitcnt vmcnt(0)
	v_mov_b64_e32 v[54:55], v[168:169]
	v_mov_b64_e32 v[56:57], v[170:171]
	;; [unrolled: 1-line block ×7, first 2 shown]
	v_mov_b32_e32 v24, v248
	scratch_store_dwordx4 off, v[0:3], off offset:656 ; 16-byte Folded Spill
	s_nop 0
	scratch_store_dwordx4 off, v[4:7], off offset:672 ; 16-byte Folded Spill
	scratch_store_dwordx4 off, v[8:11], off offset:688 ; 16-byte Folded Spill
	;; [unrolled: 1-line block ×7, first 2 shown]
	v_mov_b64_e32 v[246:247], v[50:51]
	v_mov_b64_e32 v[244:245], v[48:49]
	;; [unrolled: 1-line block ×5, first 2 shown]
	v_mov_b32_e32 v223, v249
	v_mov_b64_e32 v[40:41], v[154:155]
	v_mov_b64_e32 v[42:43], v[156:157]
	;; [unrolled: 1-line block ×7, first 2 shown]
	scratch_store_dwordx4 off, v[38:41], off offset:1168 ; 16-byte Folded Spill
	s_nop 0
	scratch_store_dwordx4 off, v[42:45], off offset:1184 ; 16-byte Folded Spill
	scratch_store_dwordx4 off, v[46:49], off offset:1200 ; 16-byte Folded Spill
	;; [unrolled: 1-line block ×7, first 2 shown]
	v_mov_b32_e32 v8, v26
.LBB60_133:
	s_or_b64 exec, exec, s[0:1]
	s_barrier
	scratch_load_dword v0, off, off offset:4 ; 4-byte Folded Reload
	v_mov_b32_e32 v1, v255
	s_cmp_lt_i32 s22, 10
	s_waitcnt vmcnt(0)
	v_lshl_add_u32 v26, v0, 2, v1
	ds_write_b32 v26, v8
	s_waitcnt lgkmcnt(0)
	s_barrier
	ds_read_b32 v28, v255 offset:32
	v_mov_b32_e32 v26, 8
	s_cbranch_scc1 .LBB60_528
; %bb.134:
	s_movk_i32 s0, 0x1018
	scratch_load_dword v0, off, s0          ; 4-byte Folded Reload
	v_mov_b32_e32 v26, 8
	s_mov_b32 s0, 9
	v_mov_b32_e32 v32, v206
	s_waitcnt vmcnt(0)
	v_add3_u32 v27, v0, 0, 36
.LBB60_135:                             ; =>This Inner Loop Header: Depth=1
	ds_read_b32 v29, v27
	v_add_u32_e32 v27, 4, v27
	s_waitcnt lgkmcnt(0)
	v_cmp_lt_f32_e64 vcc, |v28|, |v29|
	s_nop 1
	v_cndmask_b32_e32 v28, v28, v29, vcc
	v_mov_b32_e32 v29, s0
	s_add_i32 s0, s0, 1
	v_cndmask_b32_e32 v26, v26, v29, vcc
	s_cmp_lg_u32 s22, s0
	s_cbranch_scc1 .LBB60_135
; %bb.136:
	v_cmp_eq_f32_e32 vcc, 0, v28
	s_and_saveexec_b64 s[0:1], vcc
	s_xor_b64 s[0:1], exec, s[0:1]
	s_cbranch_execz .LBB60_138
.LBB60_137:
	scratch_load_dword v0, off, off offset:144 ; 4-byte Folded Reload
	s_waitcnt vmcnt(0)
	v_cmp_ne_u32_e32 vcc, 0, v0
	s_nop 1
	v_cndmask_b32_e32 v0, 9, v0, vcc
	scratch_store_dword off, v0, off offset:144 ; 4-byte Folded Spill
.LBB60_138:
	s_andn2_saveexec_b64 s[0:1], s[0:1]
	s_cbranch_execz .LBB60_140
; %bb.139:
	v_div_scale_f32 v27, s[2:3], v28, v28, 1.0
	v_rcp_f32_e32 v29, v27
	v_div_scale_f32 v30, vcc, 1.0, v28, 1.0
	v_fma_f32 v31, -v27, v29, 1.0
	v_fmac_f32_e32 v29, v31, v29
	v_mul_f32_e32 v31, v30, v29
	v_fma_f32 v60, -v27, v31, v30
	v_fmac_f32_e32 v31, v60, v29
	v_fma_f32 v27, -v27, v31, v30
	v_div_fmas_f32 v27, v27, v29, v31
	v_div_fixup_f32 v28, v27, v28, 1.0
.LBB60_140:
	s_or_b64 exec, exec, s[0:1]
	scratch_load_dword v0, off, off offset:4 ; 4-byte Folded Reload
	s_waitcnt vmcnt(0)
	v_cmp_ne_u32_e32 vcc, v0, v26
	s_and_saveexec_b64 s[0:1], vcc
	s_xor_b64 s[0:1], exec, s[0:1]
	s_cbranch_execz .LBB60_146
; %bb.141:
	scratch_load_dword v0, off, off offset:4 ; 4-byte Folded Reload
	s_waitcnt vmcnt(0)
	v_cmp_eq_u32_e32 vcc, 8, v0
	s_and_saveexec_b64 s[2:3], vcc
	s_cbranch_execz .LBB60_145
; %bb.142:
	v_cmp_ne_u32_e32 vcc, 8, v26
	s_xor_b64 s[12:13], s[20:21], -1
	s_and_b64 s[14:15], s[12:13], vcc
	s_and_saveexec_b64 s[12:13], s[14:15]
	s_cbranch_execz .LBB60_144
; %bb.143:
	s_movk_i32 s14, 0x159c
	scratch_load_dwordx2 v[60:61], off, s14 ; 8-byte Folded Reload
	v_ashrrev_i32_e32 v27, 31, v26
	s_waitcnt vmcnt(0)
	v_lshl_add_u64 v[30:31], v[26:27], 2, v[60:61]
	global_load_dword v27, v[30:31], off
	global_load_dword v29, v[60:61], off offset:32
	s_waitcnt vmcnt(1)
	global_store_dword v[60:61], v27, off offset:32
	s_waitcnt vmcnt(1)
	global_store_dword v[30:31], v29, off
.LBB60_144:
	s_or_b64 exec, exec, s[12:13]
	v_mov_b32_e32 v27, v26
	v_mov_b32_e32 v0, v26
	scratch_store_dword off, v27, off offset:3860 ; 4-byte Folded Spill
	scratch_store_dword off, v0, off offset:4 ; 4-byte Folded Spill
.LBB60_145:
	s_or_b64 exec, exec, s[2:3]
.LBB60_146:
	s_andn2_saveexec_b64 s[0:1], s[0:1]
	s_cbranch_execz .LBB60_148
; %bb.147:
	scratch_load_dwordx4 v[36:39], off, off offset:8 ; 16-byte Folded Reload
	scratch_load_dwordx4 v[40:43], off, off offset:24 ; 16-byte Folded Reload
	;; [unrolled: 1-line block ×8, first 2 shown]
	v_mov_b32_e32 v0, 8
	s_waitcnt vmcnt(5)
	ds_write2_b32 v255, v45, v46 offset0:9 offset1:10
	s_waitcnt vmcnt(4)
	ds_write2_b32 v255, v47, v48 offset0:11 offset1:12
	ds_write2_b32 v255, v49, v50 offset0:13 offset1:14
	s_waitcnt vmcnt(3)
	ds_write2_b32 v255, v51, v52 offset0:15 offset1:16
	ds_write2_b32 v255, v53, v54 offset0:17 offset1:18
	s_waitcnt vmcnt(2)
	ds_write2_b32 v255, v55, v56 offset0:19 offset1:20
	ds_write2_b32 v255, v57, v58 offset0:21 offset1:22
	s_waitcnt vmcnt(1)
	ds_write2_b32 v255, v59, v60 offset0:23 offset1:24
	ds_write2_b32 v255, v61, v62 offset0:25 offset1:26
	s_waitcnt vmcnt(0)
	ds_write2_b32 v255, v63, v64 offset0:27 offset1:28
	ds_write2_b32 v255, v65, v66 offset0:29 offset1:30
	scratch_store_dword off, v0, off offset:4 ; 4-byte Folded Spill
.LBB60_148:
	s_or_b64 exec, exec, s[0:1]
	s_waitcnt lgkmcnt(0)
	s_barrier
	scratch_load_dword v0, off, off offset:4 ; 4-byte Folded Reload
	s_waitcnt vmcnt(0)
	v_cmp_lt_i32_e32 vcc, 8, v0
	s_and_saveexec_b64 s[0:1], vcc
	s_cbranch_execz .LBB60_150
; %bb.149:
	s_movk_i32 s2, 0x15a4
	scratch_load_dwordx4 v[64:67], off, s2  ; 16-byte Folded Reload
	scratch_load_dwordx4 v[68:71], off, s2 offset:16 ; 16-byte Folded Reload
	scratch_load_dwordx4 v[72:75], off, s2 offset:32 ; 16-byte Folded Reload
	;; [unrolled: 1-line block ×7, first 2 shown]
	ds_read2_b32 v[0:1], v255 offset0:9 offset1:10
	scratch_load_dwordx4 v[114:117], off, off offset:8 ; 16-byte Folded Reload
	scratch_load_dwordx4 v[118:121], off, off offset:24 ; 16-byte Folded Reload
	scratch_load_dwordx4 v[122:125], off, off offset:40 ; 16-byte Folded Reload
	scratch_load_dwordx4 v[126:129], off, off offset:56 ; 16-byte Folded Reload
	scratch_load_dwordx4 v[130:133], off, off offset:72 ; 16-byte Folded Reload
	scratch_load_dwordx4 v[134:137], off, off offset:88 ; 16-byte Folded Reload
	scratch_load_dwordx4 v[138:141], off, off offset:104 ; 16-byte Folded Reload
	scratch_load_dwordx4 v[142:145], off, off offset:120 ; 16-byte Folded Reload
	s_waitcnt vmcnt(13)
	v_mul_f32_e32 v72, v8, v28
	ds_read2_b32 v[4:5], v255 offset0:11 offset1:12
	ds_read2_b32 v[6:7], v255 offset0:13 offset1:14
	;; [unrolled: 1-line block ×3, first 2 shown]
	s_movk_i32 s2, 0xf98
	v_mov_b32_e32 v232, v72
	v_mov_b32_e32 v42, v72
	;; [unrolled: 1-line block ×7, first 2 shown]
	s_waitcnt vmcnt(5)
	v_mov_b32_e32 v2, v123
	v_mov_b32_e32 v3, v124
	s_waitcnt lgkmcnt(3)
	v_pk_fma_f32 v[26:27], v[72:73], v[0:1], v[2:3] op_sel_hi:[0,1,1] neg_lo:[1,0,0] neg_hi:[1,0,0]
	v_mov_b32_e32 v0, v125
	s_waitcnt vmcnt(4)
	v_mov_b32_e32 v1, v126
	s_waitcnt lgkmcnt(2)
	v_pk_fma_f32 v[28:29], v[72:73], v[4:5], v[0:1] op_sel_hi:[0,1,1] neg_lo:[1,0,0] neg_hi:[1,0,0]
	v_mov_b32_e32 v0, v127
	v_mov_b32_e32 v1, v128
	s_waitcnt lgkmcnt(1)
	v_pk_fma_f32 v[30:31], v[72:73], v[6:7], v[0:1] op_sel_hi:[0,1,1] neg_lo:[1,0,0] neg_hi:[1,0,0]
	v_mov_b32_e32 v0, v129
	s_waitcnt vmcnt(3)
	v_mov_b32_e32 v1, v130
	s_waitcnt lgkmcnt(0)
	v_pk_fma_f32 v[60:61], v[72:73], v[8:9], v[0:1] op_sel_hi:[0,1,1] neg_lo:[1,0,0] neg_hi:[1,0,0]
	ds_read2_b32 v[0:1], v255 offset0:17 offset1:18
	ds_read2_b32 v[4:5], v255 offset0:19 offset1:20
	;; [unrolled: 1-line block ×4, first 2 shown]
	v_mov_b32_e32 v2, v131
	v_mov_b32_e32 v3, v132
	;; [unrolled: 1-line block ×3, first 2 shown]
	s_waitcnt lgkmcnt(3)
	v_pk_fma_f32 v[62:63], v[72:73], v[0:1], v[2:3] op_sel_hi:[0,1,1] neg_lo:[1,0,0] neg_hi:[1,0,0]
	v_mov_b32_e32 v0, v133
	s_waitcnt vmcnt(2)
	v_mov_b32_e32 v1, v134
	s_waitcnt lgkmcnt(2)
	v_pk_fma_f32 v[88:89], v[72:73], v[4:5], v[0:1] op_sel_hi:[0,1,1] neg_lo:[1,0,0] neg_hi:[1,0,0]
	v_mov_b32_e32 v0, v135
	v_mov_b32_e32 v1, v136
	s_waitcnt lgkmcnt(1)
	v_pk_fma_f32 v[90:91], v[72:73], v[6:7], v[0:1] op_sel_hi:[0,1,1] neg_lo:[1,0,0] neg_hi:[1,0,0]
	v_mov_b32_e32 v0, v137
	s_waitcnt vmcnt(1)
	v_mov_b32_e32 v1, v138
	s_waitcnt lgkmcnt(0)
	v_pk_fma_f32 v[92:93], v[72:73], v[8:9], v[0:1] op_sel_hi:[0,1,1] neg_lo:[1,0,0] neg_hi:[1,0,0]
	ds_read2_b32 v[0:1], v255 offset0:25 offset1:26
	ds_read2_b32 v[4:5], v255 offset0:27 offset1:28
	;; [unrolled: 1-line block ×3, first 2 shown]
	v_mov_b32_e32 v2, v139
	v_mov_b32_e32 v3, v140
	;; [unrolled: 1-line block ×3, first 2 shown]
	s_waitcnt lgkmcnt(2)
	v_pk_fma_f32 v[94:95], v[72:73], v[0:1], v[2:3] op_sel_hi:[0,1,1] neg_lo:[1,0,0] neg_hi:[1,0,0]
	v_mov_b32_e32 v0, v141
	s_waitcnt vmcnt(0)
	v_mov_b32_e32 v1, v142
	s_waitcnt lgkmcnt(1)
	v_pk_fma_f32 v[24:25], v[72:73], v[4:5], v[0:1] op_sel_hi:[0,1,1] neg_lo:[1,0,0] neg_hi:[1,0,0]
	v_mov_b32_e32 v0, v143
	v_mov_b32_e32 v1, v144
	s_waitcnt lgkmcnt(0)
	v_pk_fma_f32 v[32:33], v[72:73], v[6:7], v[0:1] op_sel_hi:[0,1,1] neg_lo:[1,0,0] neg_hi:[1,0,0]
	v_mov_b32_e32 v0, v64
	v_mov_b32_e32 v1, v65
	;; [unrolled: 1-line block ×10, first 2 shown]
	scratch_store_dwordx4 off, v[0:3], s2   ; 16-byte Folded Spill
	s_nop 0
	scratch_store_dwordx4 off, v[4:7], s2 offset:16 ; 16-byte Folded Spill
	scratch_store_dwordx4 off, v[8:11], s2 offset:32 ; 16-byte Folded Spill
	;; [unrolled: 1-line block ×7, first 2 shown]
	s_movk_i32 s2, 0x129c
	v_mov_b32_e32 v228, v68
	v_mov_b32_e32 v229, v69
	;; [unrolled: 1-line block ×58, first 2 shown]
	scratch_store_dwordx4 off, v[0:3], s2   ; 16-byte Folded Spill
	s_nop 0
	scratch_store_dwordx4 off, v[4:7], s2 offset:16 ; 16-byte Folded Spill
	scratch_store_dwordx4 off, v[8:11], s2 offset:32 ; 16-byte Folded Spill
	;; [unrolled: 1-line block ×7, first 2 shown]
	s_movk_i32 s2, 0x111c
	v_mov_b32_e32 v12, v29
	scratch_store_dwordx4 off, v[0:3], off offset:3348 ; 16-byte Folded Spill
	s_nop 0
	scratch_store_dwordx4 off, v[4:7], off offset:3364 ; 16-byte Folded Spill
	scratch_store_dwordx4 off, v[8:11], off offset:3380 ; 16-byte Folded Spill
	;; [unrolled: 1-line block ×7, first 2 shown]
	v_mov_b32_e32 v13, v30
	scratch_store_dwordx4 off, v[0:3], s2   ; 16-byte Folded Spill
	s_nop 0
	scratch_store_dwordx4 off, v[4:7], s2 offset:16 ; 16-byte Folded Spill
	scratch_store_dwordx4 off, v[8:11], s2 offset:32 ; 16-byte Folded Spill
	;; [unrolled: 1-line block ×7, first 2 shown]
	s_movk_i32 s2, 0x131c
	v_mov_b32_e32 v14, v31
	scratch_store_dwordx4 off, v[0:3], off offset:1936 ; 16-byte Folded Spill
	s_nop 0
	scratch_store_dwordx4 off, v[4:7], off offset:1952 ; 16-byte Folded Spill
	scratch_store_dwordx4 off, v[8:11], off offset:1968 ; 16-byte Folded Spill
	scratch_store_dwordx4 off, v[12:15], off offset:1984 ; 16-byte Folded Spill
	scratch_store_dwordx4 off, v[16:19], off offset:2000 ; 16-byte Folded Spill
	scratch_store_dwordx4 off, v[20:23], off offset:2016 ; 16-byte Folded Spill
	scratch_store_dwordx4 off, v[24:27], off offset:2032 ; 16-byte Folded Spill
	scratch_store_dwordx4 off, v[28:31], off offset:2048 ; 16-byte Folded Spill
	v_mov_b32_e32 v15, v60
	scratch_store_dwordx4 off, v[0:3], off offset:3864 ; 16-byte Folded Spill
	s_nop 0
	scratch_store_dwordx4 off, v[4:7], off offset:3880 ; 16-byte Folded Spill
	scratch_store_dwordx4 off, v[8:11], off offset:3896 ; 16-byte Folded Spill
	scratch_store_dwordx4 off, v[12:15], off offset:3912 ; 16-byte Folded Spill
	scratch_store_dwordx4 off, v[16:19], off offset:3928 ; 16-byte Folded Spill
	scratch_store_dwordx4 off, v[20:23], off offset:3944 ; 16-byte Folded Spill
	scratch_store_dwordx4 off, v[24:27], off offset:3960 ; 16-byte Folded Spill
	scratch_store_dwordx4 off, v[28:31], off offset:3976 ; 16-byte Folded Spill
	;; [unrolled: 10-line block ×10, first 2 shown]
	v_mov_b32_e32 v233, v26
	v_mov_b32_e32 v234, v27
	;; [unrolled: 1-line block ×12, first 2 shown]
	scratch_store_dwordx4 off, v[224:227], off offset:528 ; 16-byte Folded Spill
	s_nop 0
	scratch_store_dwordx4 off, v[228:231], off offset:544 ; 16-byte Folded Spill
	scratch_store_dwordx4 off, v[232:235], off offset:560 ; 16-byte Folded Spill
	;; [unrolled: 1-line block ×8, first 2 shown]
	s_nop 0
	scratch_store_dwordx4 off, v[38:41], off offset:2336 ; 16-byte Folded Spill
	scratch_store_dwordx4 off, v[42:45], off offset:2352 ; 16-byte Folded Spill
	;; [unrolled: 1-line block ×7, first 2 shown]
	v_mov_b32_e32 v249, v94
	v_mov_b32_e32 v250, v95
	;; [unrolled: 1-line block ×13, first 2 shown]
	scratch_store_dwordx4 off, v[224:227], off offset:272 ; 16-byte Folded Spill
	s_nop 0
	scratch_store_dwordx4 off, v[228:231], off offset:288 ; 16-byte Folded Spill
	scratch_store_dwordx4 off, v[232:235], off offset:304 ; 16-byte Folded Spill
	;; [unrolled: 1-line block ×7, first 2 shown]
	v_mov_b32_e32 v96, v64
	v_mov_b32_e32 v97, v65
	;; [unrolled: 1-line block ×6, first 2 shown]
	scratch_store_dwordx4 off, v[96:99], off offset:2064 ; 16-byte Folded Spill
	s_nop 0
	scratch_store_dwordx4 off, v[100:103], off offset:2080 ; 16-byte Folded Spill
	scratch_store_dwordx4 off, v[104:107], off offset:2096 ; 16-byte Folded Spill
	;; [unrolled: 1-line block ×7, first 2 shown]
	v_mov_b32_e32 v129, v60
	v_mov_b32_e32 v130, v61
	;; [unrolled: 1-line block ×5, first 2 shown]
	scratch_store_dwordx4 off, v[96:99], off offset:1168 ; 16-byte Folded Spill
	s_nop 0
	scratch_store_dwordx4 off, v[100:103], off offset:1184 ; 16-byte Folded Spill
	scratch_store_dwordx4 off, v[104:107], off offset:1200 ; 16-byte Folded Spill
	scratch_store_dwordx4 off, v[108:111], off offset:1216 ; 16-byte Folded Spill
	scratch_store_dwordx4 off, v[112:115], off offset:1232 ; 16-byte Folded Spill
	scratch_store_dwordx4 off, v[116:119], off offset:1248 ; 16-byte Folded Spill
	scratch_store_dwordx4 off, v[120:123], off offset:1264 ; 16-byte Folded Spill
	scratch_store_dwordx4 off, v[124:127], off offset:1280 ; 16-byte Folded Spill
	v_mov_b32_e32 v114, v64
	v_mov_b32_e32 v115, v65
	;; [unrolled: 1-line block ×9, first 2 shown]
	scratch_store_dwordx2 off, v[32:33], off offset:136 ; 8-byte Folded Spill
	scratch_store_dwordx4 off, v[64:67], s2 ; 16-byte Folded Spill
	s_nop 0
	scratch_store_dwordx4 off, v[68:71], s2 offset:16 ; 16-byte Folded Spill
	scratch_store_dwordx4 off, v[72:75], s2 offset:32 ; 16-byte Folded Spill
	;; [unrolled: 1-line block ×7, first 2 shown]
	s_movk_i32 s2, 0x121c
	v_mov_b32_e32 v123, v26
	v_mov_b32_e32 v124, v27
	;; [unrolled: 1-line block ×5, first 2 shown]
	scratch_store_dwordx4 off, v[64:67], s2 ; 16-byte Folded Spill
	s_nop 0
	scratch_store_dwordx4 off, v[68:71], s2 offset:16 ; 16-byte Folded Spill
	scratch_store_dwordx4 off, v[72:75], s2 offset:32 ; 16-byte Folded Spill
	;; [unrolled: 1-line block ×7, first 2 shown]
	scratch_store_dwordx4 off, v[0:3], off offset:2448 ; 16-byte Folded Spill
	s_nop 0
	scratch_store_dwordx4 off, v[4:7], off offset:2464 ; 16-byte Folded Spill
	scratch_store_dwordx4 off, v[8:11], off offset:2480 ; 16-byte Folded Spill
	scratch_store_dwordx4 off, v[12:15], off offset:2496 ; 16-byte Folded Spill
	scratch_store_dwordx4 off, v[16:19], off offset:2512 ; 16-byte Folded Spill
	scratch_store_dwordx4 off, v[20:23], off offset:2528 ; 16-byte Folded Spill
	scratch_store_dwordx4 off, v[24:27], off offset:2544 ; 16-byte Folded Spill
	scratch_store_dwordx4 off, v[28:31], off offset:2560 ; 16-byte Folded Spill
	scratch_store_dwordx4 off, v[0:3], off offset:1808 ; 16-byte Folded Spill
	s_nop 0
	scratch_store_dwordx4 off, v[4:7], off offset:1824 ; 16-byte Folded Spill
	scratch_store_dwordx4 off, v[8:11], off offset:1840 ; 16-byte Folded Spill
	scratch_store_dwordx4 off, v[12:15], off offset:1856 ; 16-byte Folded Spill
	scratch_store_dwordx4 off, v[16:19], off offset:1872 ; 16-byte Folded Spill
	scratch_store_dwordx4 off, v[20:23], off offset:1888 ; 16-byte Folded Spill
	scratch_store_dwordx4 off, v[24:27], off offset:1904 ; 16-byte Folded Spill
	scratch_store_dwordx4 off, v[28:31], off offset:1920 ; 16-byte Folded Spill
	;; [unrolled: 9-line block ×7, first 2 shown]
	v_mov_b32_e32 v223, v94
	v_mov_b32_e32 v26, v93
	scratch_store_dwordx4 off, v[2:5], off offset:656 ; 16-byte Folded Spill
	s_nop 0
	scratch_store_dwordx4 off, v[6:9], off offset:672 ; 16-byte Folded Spill
	scratch_store_dwordx4 off, v[10:13], off offset:688 ; 16-byte Folded Spill
	;; [unrolled: 1-line block ×8, first 2 shown]
	s_nop 0
	scratch_store_dwordx4 off, v[118:121], off offset:24 ; 16-byte Folded Spill
	scratch_store_dwordx4 off, v[122:125], off offset:40 ; 16-byte Folded Spill
	;; [unrolled: 1-line block ×7, first 2 shown]
	v_mov_b32_e32 v32, v95
	v_mov_b32_e32 v207, v24
	;; [unrolled: 1-line block ×3, first 2 shown]
.LBB60_150:
	s_or_b64 exec, exec, s[0:1]
	s_waitcnt vmcnt(63) expcnt(7) lgkmcnt(15)
	s_barrier
	scratch_load_dword v0, off, off offset:4 ; 4-byte Folded Reload
	v_mov_b32_e32 v1, v255
	s_cmp_lt_i32 s22, 11
	s_waitcnt vmcnt(0)
	v_lshl_add_u32 v26, v0, 2, v1
	ds_write_b32 v26, v147
	s_waitcnt lgkmcnt(0)
	s_barrier
	ds_read_b32 v28, v255 offset:36
	v_mov_b32_e32 v26, 9
	s_cbranch_scc1 .LBB60_529
; %bb.151:
	s_movk_i32 s0, 0x1018
	scratch_load_dword v0, off, s0          ; 4-byte Folded Reload
	scratch_load_dwordx4 v[38:41], off, off offset:2448 ; 16-byte Folded Reload
	scratch_load_dwordx4 v[42:45], off, off offset:2464 ; 16-byte Folded Reload
	;; [unrolled: 1-line block ×8, first 2 shown]
	v_mov_b32_e32 v26, 9
	s_mov_b32 s0, 10
	s_waitcnt vmcnt(5)
	v_mov_b32_e32 v10, v48
	v_add3_u32 v27, v0, 0, 40
.LBB60_152:                             ; =>This Inner Loop Header: Depth=1
	ds_read_b32 v29, v27
	v_add_u32_e32 v27, 4, v27
	s_waitcnt lgkmcnt(0)
	v_cmp_lt_f32_e64 vcc, |v28|, |v29|
	s_nop 1
	v_cndmask_b32_e32 v28, v28, v29, vcc
	v_mov_b32_e32 v29, s0
	s_add_i32 s0, s0, 1
	v_cndmask_b32_e32 v26, v26, v29, vcc
	s_cmp_lg_u32 s22, s0
	s_cbranch_scc1 .LBB60_152
; %bb.153:
	v_cmp_eq_f32_e32 vcc, 0, v28
	s_and_saveexec_b64 s[0:1], vcc
	s_xor_b64 s[0:1], exec, s[0:1]
	s_cbranch_execz .LBB60_155
.LBB60_154:
	scratch_load_dword v0, off, off offset:144 ; 4-byte Folded Reload
	s_waitcnt vmcnt(0)
	v_cmp_ne_u32_e32 vcc, 0, v0
	s_nop 1
	v_cndmask_b32_e32 v0, 10, v0, vcc
	scratch_store_dword off, v0, off offset:144 ; 4-byte Folded Spill
.LBB60_155:
	s_andn2_saveexec_b64 s[0:1], s[0:1]
	s_cbranch_execz .LBB60_157
; %bb.156:
	v_div_scale_f32 v27, s[2:3], v28, v28, 1.0
	v_rcp_f32_e32 v29, v27
	v_div_scale_f32 v30, vcc, 1.0, v28, 1.0
	v_fma_f32 v31, -v27, v29, 1.0
	v_fmac_f32_e32 v29, v31, v29
	v_mul_f32_e32 v31, v30, v29
	s_waitcnt vmcnt(2)
	v_fma_f32 v60, -v27, v31, v30
	v_fmac_f32_e32 v31, v60, v29
	v_fma_f32 v27, -v27, v31, v30
	v_div_fmas_f32 v27, v27, v29, v31
	v_div_fixup_f32 v28, v27, v28, 1.0
.LBB60_157:
	s_or_b64 exec, exec, s[0:1]
	scratch_load_dword v0, off, off offset:4 ; 4-byte Folded Reload
	s_waitcnt vmcnt(0)
	v_cmp_ne_u32_e32 vcc, v0, v26
	s_and_saveexec_b64 s[0:1], vcc
	s_xor_b64 s[0:1], exec, s[0:1]
	s_cbranch_execz .LBB60_163
; %bb.158:
	scratch_load_dword v0, off, off offset:4 ; 4-byte Folded Reload
	s_waitcnt vmcnt(0)
	v_cmp_eq_u32_e32 vcc, 9, v0
	s_and_saveexec_b64 s[2:3], vcc
	s_cbranch_execz .LBB60_162
; %bb.159:
	v_cmp_ne_u32_e32 vcc, 9, v26
	s_xor_b64 s[12:13], s[20:21], -1
	s_and_b64 s[14:15], s[12:13], vcc
	s_and_saveexec_b64 s[12:13], s[14:15]
	s_cbranch_execz .LBB60_161
; %bb.160:
	s_movk_i32 s14, 0x159c
	scratch_load_dwordx2 v[60:61], off, s14 ; 8-byte Folded Reload
	v_ashrrev_i32_e32 v27, 31, v26
	s_waitcnt vmcnt(0)
	v_lshl_add_u64 v[30:31], v[26:27], 2, v[60:61]
	global_load_dword v27, v[30:31], off
	global_load_dword v29, v[60:61], off offset:36
	s_waitcnt vmcnt(1)
	global_store_dword v[60:61], v27, off offset:36
	s_waitcnt vmcnt(1)
	global_store_dword v[30:31], v29, off
.LBB60_161:
	s_or_b64 exec, exec, s[12:13]
	v_mov_b32_e32 v27, v26
	v_mov_b32_e32 v0, v26
	scratch_store_dword off, v27, off offset:3860 ; 4-byte Folded Spill
	scratch_store_dword off, v0, off offset:4 ; 4-byte Folded Spill
.LBB60_162:
	s_or_b64 exec, exec, s[2:3]
.LBB60_163:
	s_andn2_saveexec_b64 s[0:1], s[0:1]
	s_cbranch_execz .LBB60_165
; %bb.164:
	scratch_load_dwordx4 v[36:39], off, off offset:8 ; 16-byte Folded Reload
	scratch_load_dwordx4 v[40:43], off, off offset:24 ; 16-byte Folded Reload
	scratch_load_dwordx4 v[44:47], off, off offset:40 ; 16-byte Folded Reload
	scratch_load_dwordx4 v[48:51], off, off offset:56 ; 16-byte Folded Reload
	scratch_load_dwordx4 v[52:55], off, off offset:72 ; 16-byte Folded Reload
	scratch_load_dwordx4 v[56:59], off, off offset:88 ; 16-byte Folded Reload
	scratch_load_dwordx4 v[60:63], off, off offset:104 ; 16-byte Folded Reload
	scratch_load_dwordx4 v[64:67], off, off offset:120 ; 16-byte Folded Reload
	v_mov_b32_e32 v0, 9
	s_waitcnt vmcnt(5)
	ds_write2_b32 v255, v46, v47 offset0:10 offset1:11
	s_waitcnt vmcnt(4)
	ds_write2_b32 v255, v48, v49 offset0:12 offset1:13
	ds_write2_b32 v255, v50, v51 offset0:14 offset1:15
	s_waitcnt vmcnt(3)
	ds_write2_b32 v255, v52, v53 offset0:16 offset1:17
	;; [unrolled: 3-line block ×5, first 2 shown]
	scratch_load_dwordx2 v[26:27], off, off offset:136 ; 8-byte Folded Reload
	s_waitcnt vmcnt(0)
	ds_write_b32 v255, v27 offset:120
	scratch_store_dword off, v0, off offset:4 ; 4-byte Folded Spill
.LBB60_165:
	s_or_b64 exec, exec, s[0:1]
	s_waitcnt lgkmcnt(0)
	s_barrier
	scratch_load_dword v0, off, off offset:4 ; 4-byte Folded Reload
	s_waitcnt vmcnt(0)
	v_cmp_lt_i32_e32 vcc, 9, v0
	s_and_saveexec_b64 s[0:1], vcc
	s_cbranch_execz .LBB60_167
; %bb.166:
	ds_read2_b32 v[0:1], v255 offset0:10 offset1:11
	ds_read2_b32 v[2:3], v255 offset0:12 offset1:13
	;; [unrolled: 1-line block ×3, first 2 shown]
	v_mul_f32_e32 v120, v147, v28
	ds_read2_b32 v[6:7], v255 offset0:16 offset1:17
	scratch_load_dwordx4 v[28:31], off, off offset:8 ; 16-byte Folded Reload
	scratch_load_dwordx4 v[32:35], off, off offset:24 ; 16-byte Folded Reload
	scratch_load_dwordx4 v[36:39], off, off offset:40 ; 16-byte Folded Reload
	scratch_load_dwordx4 v[40:43], off, off offset:56 ; 16-byte Folded Reload
	scratch_load_dwordx4 v[44:47], off, off offset:72 ; 16-byte Folded Reload
	scratch_load_dwordx4 v[48:51], off, off offset:88 ; 16-byte Folded Reload
	scratch_load_dwordx4 v[52:55], off, off offset:104 ; 16-byte Folded Reload
	scratch_load_dwordx4 v[56:59], off, off offset:120 ; 16-byte Folded Reload
	s_movk_i32 s2, 0x121c
	v_mov_b32_e32 v14, v255
	v_mov_b32_e32 v157, v120
	;; [unrolled: 1-line block ×4, first 2 shown]
	s_waitcnt vmcnt(1)
	v_mov_b64_e32 v[28:29], v[38:39]
	s_waitcnt lgkmcnt(3)
	v_pk_fma_f32 v[10:11], v[120:121], v[0:1], v[28:29] op_sel_hi:[0,1,1] neg_lo:[1,0,0] neg_hi:[1,0,0]
	ds_read2_b32 v[0:1], v255 offset0:18 offset1:19
	v_mov_b64_e32 v[30:31], v[40:41]
	v_mov_b64_e32 v[32:33], v[42:43]
	v_mov_b64_e32 v[34:35], v[44:45]
	v_mov_b64_e32 v[36:37], v[46:47]
	v_mov_b64_e32 v[38:39], v[48:49]
	v_mov_b64_e32 v[40:41], v[50:51]
	v_mov_b64_e32 v[42:43], v[52:53]
	s_waitcnt vmcnt(0)
	v_mov_b64_e32 v[44:45], v[54:55]
	v_mov_b64_e32 v[46:47], v[56:57]
	s_waitcnt lgkmcnt(3)
	v_pk_fma_f32 v[12:13], v[120:121], v[2:3], v[30:31] op_sel_hi:[0,1,1] neg_lo:[1,0,0] neg_hi:[1,0,0]
	s_waitcnt lgkmcnt(2)
	v_pk_fma_f32 v[20:21], v[120:121], v[4:5], v[32:33] op_sel_hi:[0,1,1] neg_lo:[1,0,0] neg_hi:[1,0,0]
	;; [unrolled: 2-line block ×3, first 2 shown]
	ds_read2_b32 v[2:3], v255 offset0:20 offset1:21
	ds_read2_b32 v[4:5], v255 offset0:22 offset1:23
	;; [unrolled: 1-line block ×3, first 2 shown]
	s_waitcnt lgkmcnt(3)
	v_pk_fma_f32 v[18:19], v[120:121], v[0:1], v[36:37] op_sel_hi:[0,1,1] neg_lo:[1,0,0] neg_hi:[1,0,0]
	ds_read2_b32 v[0:1], v255 offset0:26 offset1:27
	ds_read2_b32 v[8:9], v255 offset0:28 offset1:29
	ds_read_b32 v118, v255 offset:120
	scratch_load_dwordx4 v[50:53], off, s2  ; 16-byte Folded Reload
	scratch_load_dwordx4 v[54:57], off, s2 offset:16 ; 16-byte Folded Reload
	scratch_load_dwordx4 v[58:61], off, s2 offset:32 ; 16-byte Folded Reload
	;; [unrolled: 1-line block ×7, first 2 shown]
	s_waitcnt lgkmcnt(5)
	v_pk_fma_f32 v[48:49], v[120:121], v[2:3], v[38:39] op_sel_hi:[0,1,1] neg_lo:[1,0,0] neg_hi:[1,0,0]
	s_waitcnt lgkmcnt(4)
	v_pk_fma_f32 v[170:171], v[120:121], v[4:5], v[40:41] op_sel_hi:[0,1,1] neg_lo:[1,0,0] neg_hi:[1,0,0]
	;; [unrolled: 2-line block ×5, first 2 shown]
	v_mov_b32_e32 v9, v120
	s_movk_i32 s2, 0x129c
	v_mov_b32_e32 v218, v170
	v_mov_b32_e32 v219, v171
	s_waitcnt vmcnt(5)
	v_mov_b32_e32 v232, v58
	v_mov_b32_e32 v231, v57
	;; [unrolled: 1-line block ×18, first 2 shown]
	s_waitcnt vmcnt(2)
	v_mov_b64_e32 v[70:71], v[10:11]
	v_mov_b64_e32 v[68:69], v[8:9]
	;; [unrolled: 1-line block ×6, first 2 shown]
	scratch_store_dwordx4 off, v[0:3], s2   ; 16-byte Folded Spill
	s_nop 0
	scratch_store_dwordx4 off, v[4:7], s2 offset:16 ; 16-byte Folded Spill
	scratch_store_dwordx4 off, v[8:11], s2 offset:32 ; 16-byte Folded Spill
	;; [unrolled: 1-line block ×7, first 2 shown]
	s_movk_i32 s2, 0x111c
	v_mov_b32_e32 v158, v70
	v_mov_b32_e32 v159, v71
	;; [unrolled: 1-line block ×20, first 2 shown]
	v_mov_b64_e32 v[84:85], v[12:13]
	scratch_store_dwordx4 off, v[0:3], s2   ; 16-byte Folded Spill
	s_nop 0
	scratch_store_dwordx4 off, v[4:7], s2 offset:16 ; 16-byte Folded Spill
	scratch_store_dwordx4 off, v[8:11], s2 offset:32 ; 16-byte Folded Spill
	;; [unrolled: 1-line block ×7, first 2 shown]
	v_mov_b32_e32 v160, v84
	v_mov_b32_e32 v161, v85
	s_movk_i32 s2, 0x131c
	v_mov_b64_e32 v[14:15], v[20:21]
	v_mov_b64_e32 v[46:47], v[14:15]
	;; [unrolled: 1-line block ×9, first 2 shown]
	scratch_store_dwordx4 off, v[32:35], off offset:1936 ; 16-byte Folded Spill
	s_nop 0
	scratch_store_dwordx4 off, v[36:39], off offset:1952 ; 16-byte Folded Spill
	scratch_store_dwordx4 off, v[40:43], off offset:1968 ; 16-byte Folded Spill
	;; [unrolled: 1-line block ×8, first 2 shown]
	s_nop 0
	scratch_store_dwordx4 off, v[4:7], off offset:3880 ; 16-byte Folded Spill
	scratch_store_dwordx4 off, v[8:11], off offset:3896 ; 16-byte Folded Spill
	;; [unrolled: 1-line block ×7, first 2 shown]
	v_mov_b32_e32 v32, v230
	v_mov_b32_e32 v33, v231
	;; [unrolled: 1-line block ×12, first 2 shown]
	v_mov_b64_e32 v[102:103], v[14:15]
	v_mov_b64_e32 v[100:101], v[12:13]
	;; [unrolled: 1-line block ×9, first 2 shown]
	scratch_store_dwordx4 off, v[0:3], off offset:3476 ; 16-byte Folded Spill
	s_nop 0
	scratch_store_dwordx4 off, v[4:7], off offset:3492 ; 16-byte Folded Spill
	scratch_store_dwordx4 off, v[8:11], off offset:3508 ; 16-byte Folded Spill
	scratch_store_dwordx4 off, v[12:15], off offset:3524 ; 16-byte Folded Spill
	scratch_store_dwordx4 off, v[16:19], off offset:3540 ; 16-byte Folded Spill
	scratch_store_dwordx4 off, v[20:23], off offset:3556 ; 16-byte Folded Spill
	scratch_store_dwordx4 off, v[24:27], off offset:3572 ; 16-byte Folded Spill
	scratch_store_dwordx4 off, v[28:31], off offset:3588 ; 16-byte Folded Spill
	v_mov_b32_e32 v14, v46
	v_mov_b32_e32 v26, v224
	v_mov_b32_e32 v27, v225
	v_mov_b32_e32 v28, v226
	v_mov_b32_e32 v29, v227
	v_mov_b32_e32 v30, v228
	v_mov_b32_e32 v31, v229
	v_mov_b32_e32 v15, v47
	v_mov_b32_e32 v42, v104
	v_mov_b32_e32 v43, v105
	v_mov_b32_e32 v164, v104
	v_mov_b32_e32 v165, v105
	v_mov_b32_e32 v212, v104
	v_mov_b32_e32 v213, v105
	v_mov_b64_e32 v[44:45], v[18:19]
	scratch_store_dwordx4 off, v[0:3], off offset:2964 ; 16-byte Folded Spill
	s_nop 0
	scratch_store_dwordx4 off, v[4:7], off offset:2980 ; 16-byte Folded Spill
	scratch_store_dwordx4 off, v[8:11], off offset:2996 ; 16-byte Folded Spill
	;; [unrolled: 1-line block ×7, first 2 shown]
	v_mov_b64_e32 v[20:21], v[48:49]
	v_mov_b32_e32 v14, v46
	v_mov_b64_e32 v[190:191], v[44:45]
	v_mov_b32_e32 v166, v44
	v_mov_b32_e32 v167, v45
	v_mov_b64_e32 v[188:189], v[42:43]
	v_mov_b64_e32 v[136:137], v[14:15]
	;; [unrolled: 1-line block ×12, first 2 shown]
	scratch_store_dwordx4 off, v[0:3], off offset:2704 ; 16-byte Folded Spill
	s_nop 0
	scratch_store_dwordx4 off, v[4:7], off offset:2720 ; 16-byte Folded Spill
	scratch_store_dwordx4 off, v[8:11], off offset:2736 ; 16-byte Folded Spill
	;; [unrolled: 1-line block ×7, first 2 shown]
	v_mov_b32_e32 v22, v170
	v_mov_b32_e32 v23, v171
	;; [unrolled: 1-line block ×6, first 2 shown]
	scratch_store_dwordx4 off, v[0:3], off offset:2576 ; 16-byte Folded Spill
	s_nop 0
	scratch_store_dwordx4 off, v[4:7], off offset:2592 ; 16-byte Folded Spill
	scratch_store_dwordx4 off, v[8:11], off offset:2608 ; 16-byte Folded Spill
	;; [unrolled: 1-line block ×7, first 2 shown]
	v_mov_b64_e32 v[116:117], v[10:11]
	v_mov_b64_e32 v[186:187], v[40:41]
	s_waitcnt vmcnt(62)
	v_mov_b64_e32 v[82:83], v[24:25]
	v_mov_b64_e32 v[72:73], v[14:15]
	;; [unrolled: 1-line block ×25, first 2 shown]
	scratch_store_dwordx4 off, v[0:3], off offset:2320 ; 16-byte Folded Spill
	s_nop 0
	scratch_store_dwordx4 off, v[4:7], off offset:2336 ; 16-byte Folded Spill
	scratch_store_dwordx4 off, v[8:11], off offset:2352 ; 16-byte Folded Spill
	scratch_store_dwordx4 off, v[12:15], off offset:2368 ; 16-byte Folded Spill
	scratch_store_dwordx4 off, v[16:19], off offset:2384 ; 16-byte Folded Spill
	scratch_store_dwordx4 off, v[20:23], off offset:2400 ; 16-byte Folded Spill
	scratch_store_dwordx4 off, v[24:27], off offset:2416 ; 16-byte Folded Spill
	scratch_store_dwordx4 off, v[28:31], off offset:2432 ; 16-byte Folded Spill
	scratch_load_dwordx4 v[26:29], off, off offset:1936 ; 16-byte Folded Reload
	s_nop 0
	scratch_load_dwordx4 v[30:33], off, off offset:1952 ; 16-byte Folded Reload
	scratch_load_dwordx4 v[34:37], off, off offset:1968 ; 16-byte Folded Reload
	;; [unrolled: 1-line block ×7, first 2 shown]
	s_waitcnt vmcnt(2)
	v_mov_b64_e32 v[44:45], v[188:189]
	v_mov_b64_e32 v[46:47], v[190:191]
	v_mov_b32_e32 v206, v116
	v_mov_b32_e32 v207, v117
	scratch_store_dwordx4 off, v[88:91], off offset:2192 ; 16-byte Folded Spill
	s_nop 0
	scratch_store_dwordx4 off, v[92:95], off offset:2208 ; 16-byte Folded Spill
	scratch_store_dwordx4 off, v[96:99], off offset:2224 ; 16-byte Folded Spill
	;; [unrolled: 1-line block ×6, first 2 shown]
	s_waitcnt lgkmcnt(0)
	scratch_store_dwordx4 off, v[116:119], off offset:2304 ; 16-byte Folded Spill
	v_mov_b32_e32 v214, v46
	v_mov_b32_e32 v215, v47
	;; [unrolled: 1-line block ×8, first 2 shown]
	v_mov_b64_e32 v[24:25], v[12:13]
	v_mov_b64_e32 v[94:95], v[24:25]
	v_mov_b32_e32 v210, v40
	v_mov_b32_e32 v211, v41
	v_mov_b64_e32 v[28:29], v[172:173]
	v_mov_b64_e32 v[30:31], v[174:175]
	;; [unrolled: 1-line block ×8, first 2 shown]
	scratch_store_dwordx4 off, v[28:31], off offset:1040 ; 16-byte Folded Spill
	s_nop 0
	scratch_store_dwordx4 off, v[32:35], off offset:1056 ; 16-byte Folded Spill
	scratch_store_dwordx4 off, v[36:39], off offset:1072 ; 16-byte Folded Spill
	;; [unrolled: 1-line block ×4, first 2 shown]
	s_waitcnt vmcnt(14)
	scratch_store_dwordx4 off, v[48:51], off offset:1120 ; 16-byte Folded Spill
	s_waitcnt vmcnt(14)
	scratch_store_dwordx4 off, v[52:55], off offset:1136 ; 16-byte Folded Spill
	scratch_store_dwordx4 off, v[56:59], off offset:1152 ; 16-byte Folded Spill
	scratch_store_dwordx4 off, v[148:151], off offset:400 ; 16-byte Folded Spill
	s_nop 0
	scratch_store_dwordx4 off, v[152:155], off offset:416 ; 16-byte Folded Spill
	scratch_store_dwordx4 off, v[156:159], off offset:432 ; 16-byte Folded Spill
	scratch_store_dwordx4 off, v[160:163], off offset:448 ; 16-byte Folded Spill
	scratch_store_dwordx4 off, v[164:167], off offset:464 ; 16-byte Folded Spill
	scratch_store_dwordx4 off, v[168:171], off offset:480 ; 16-byte Folded Spill
	scratch_store_dwordx4 off, v[172:175], off offset:496 ; 16-byte Folded Spill
	scratch_store_dwordx4 off, v[176:179], off offset:512 ; 16-byte Folded Spill
	scratch_store_dwordx4 off, v[196:199], off offset:272 ; 16-byte Folded Spill
	s_nop 0
	scratch_store_dwordx4 off, v[200:203], off offset:288 ; 16-byte Folded Spill
	scratch_store_dwordx4 off, v[204:207], off offset:304 ; 16-byte Folded Spill
	scratch_store_dwordx4 off, v[208:211], off offset:320 ; 16-byte Folded Spill
	scratch_store_dwordx4 off, v[212:215], off offset:336 ; 16-byte Folded Spill
	scratch_store_dwordx4 off, v[216:219], off offset:352 ; 16-byte Folded Spill
	;; [unrolled: 9-line block ×3, first 2 shown]
	scratch_store_dwordx4 off, v[82:85], off offset:624 ; 16-byte Folded Spill
	scratch_store_dwordx4 off, v[86:89], off offset:640 ; 16-byte Folded Spill
	scratch_load_dwordx2 v[28:29], off, off offset:136 ; 8-byte Folded Reload
	v_mov_b32_e32 v223, v120
	v_mov_b64_e32 v[92:93], v[10:11]
	v_mov_b64_e32 v[90:91], v[8:9]
	;; [unrolled: 1-line block ×6, first 2 shown]
	v_mov_b32_e32 v59, v223
	v_mov_b32_e32 v54, v228
	;; [unrolled: 1-line block ×14, first 2 shown]
	s_waitcnt vmcnt(0)
	v_fma_f32 v118, -v120, v118, v29
	scratch_load_dwordx4 v[14:17], off, off offset:1936 ; 16-byte Folded Reload
	scratch_load_dwordx4 v[18:21], off, off offset:1952 ; 16-byte Folded Reload
	;; [unrolled: 1-line block ×8, first 2 shown]
	s_waitcnt vmcnt(4)
	v_mov_b32_e32 v14, v28
	v_mov_b32_e32 v15, v29
	scratch_load_dwordx4 v[16:19], off, off offset:2192 ; 16-byte Folded Reload
	scratch_load_dwordx4 v[20:23], off, off offset:2208 ; 16-byte Folded Reload
	;; [unrolled: 1-line block ×8, first 2 shown]
	s_waitcnt vmcnt(3)
	v_mov_b64_e32 v[34:35], v[32:33]
	v_mov_b64_e32 v[32:33], v[30:31]
	;; [unrolled: 1-line block ×9, first 2 shown]
	v_mov_b32_e32 v16, v34
	v_mov_b32_e32 v17, v35
	scratch_load_dwordx4 v[18:21], off, off offset:1040 ; 16-byte Folded Reload
	scratch_load_dwordx4 v[22:25], off, off offset:1056 ; 16-byte Folded Reload
	scratch_load_dwordx4 v[26:29], off, off offset:1072 ; 16-byte Folded Reload
	scratch_load_dwordx4 v[30:33], off, off offset:1088 ; 16-byte Folded Reload
	scratch_load_dwordx4 v[34:37], off, off offset:1104 ; 16-byte Folded Reload
	scratch_load_dwordx4 v[38:41], off, off offset:1120 ; 16-byte Folded Reload
	scratch_load_dwordx4 v[42:45], off, off offset:1136 ; 16-byte Folded Reload
	scratch_load_dwordx4 v[46:49], off, off offset:1152 ; 16-byte Folded Reload
	s_waitcnt vmcnt(0)
	v_mov_b64_e32 v[48:49], v[36:37]
	v_mov_b64_e32 v[46:47], v[34:35]
	;; [unrolled: 1-line block ×10, first 2 shown]
	v_mov_b32_e32 v20, v142
	v_mov_b32_e32 v21, v143
	scratch_store_dwordx4 off, v[122:125], off offset:912 ; 16-byte Folded Spill
	s_nop 0
	scratch_store_dwordx4 off, v[126:129], off offset:928 ; 16-byte Folded Spill
	scratch_store_dwordx4 off, v[130:133], off offset:944 ; 16-byte Folded Spill
	;; [unrolled: 1-line block ×7, first 2 shown]
	scratch_load_dwordx4 v[162:165], off, off offset:400 ; 16-byte Folded Reload
	scratch_load_dwordx4 v[166:169], off, off offset:416 ; 16-byte Folded Reload
	;; [unrolled: 1-line block ×8, first 2 shown]
	v_mov_b32_e32 v18, v48
	v_mov_b32_e32 v19, v49
	;; [unrolled: 1-line block ×4, first 2 shown]
	s_waitcnt vmcnt(2)
	v_mov_b32_e32 v22, v184
	v_mov_b32_e32 v23, v185
	scratch_load_dwordx4 v[170:173], off, off offset:528 ; 16-byte Folded Reload
	scratch_load_dwordx4 v[174:177], off, off offset:544 ; 16-byte Folded Reload
	;; [unrolled: 1-line block ×16, first 2 shown]
	s_waitcnt vmcnt(9)
	v_mov_b32_e32 v24, v194
	v_mov_b32_e32 v25, v195
	s_waitcnt vmcnt(8)
	v_mov_b64_e32 v[208:209], v[194:195]
	s_waitcnt vmcnt(1)
	v_mov_b32_e32 v26, v146
	v_mov_b32_e32 v27, v147
	v_mov_b64_e32 v[206:207], v[192:193]
	v_mov_b64_e32 v[204:205], v[190:191]
	;; [unrolled: 1-line block ×5, first 2 shown]
	scratch_store_dwordx4 off, v[0:3], off offset:2064 ; 16-byte Folded Spill
	s_nop 0
	scratch_store_dwordx4 off, v[4:7], off offset:2080 ; 16-byte Folded Spill
	scratch_store_dwordx4 off, v[8:11], off offset:2096 ; 16-byte Folded Spill
	;; [unrolled: 1-line block ×7, first 2 shown]
	v_mov_b64_e32 v[196:197], v[182:183]
	v_mov_b64_e32 v[194:195], v[180:181]
	;; [unrolled: 1-line block ×7, first 2 shown]
	scratch_load_dwordx4 v[148:151], off, off offset:1936 ; 16-byte Folded Reload
	scratch_load_dwordx4 v[152:155], off, off offset:1952 ; 16-byte Folded Reload
	scratch_load_dwordx4 v[156:159], off, off offset:1968 ; 16-byte Folded Reload
	scratch_load_dwordx4 v[160:163], off, off offset:1984 ; 16-byte Folded Reload
	scratch_load_dwordx4 v[164:167], off, off offset:2000 ; 16-byte Folded Reload
	scratch_load_dwordx4 v[168:171], off, off offset:2016 ; 16-byte Folded Reload
	scratch_load_dwordx4 v[172:175], off, off offset:2032 ; 16-byte Folded Reload
	scratch_load_dwordx4 v[176:179], off, off offset:2048 ; 16-byte Folded Reload
	v_mov_b64_e32 v[12:13], v[82:83]
	v_mov_b64_e32 v[14:15], v[84:85]
	;; [unrolled: 1-line block ×7, first 2 shown]
	v_mov_b32_e32 v76, v146
	v_mov_b32_e32 v77, v147
	;; [unrolled: 1-line block ×6, first 2 shown]
	s_waitcnt vmcnt(4)
	v_mov_b64_e32 v[80:81], v[148:149]
	v_mov_b64_e32 v[82:83], v[150:151]
	;; [unrolled: 1-line block ×8, first 2 shown]
	scratch_load_dwordx4 v[152:155], off, off offset:2192 ; 16-byte Folded Reload
	scratch_load_dwordx4 v[156:159], off, off offset:2208 ; 16-byte Folded Reload
	;; [unrolled: 1-line block ×8, first 2 shown]
	v_mov_b32_e32 v64, v94
	v_mov_b32_e32 v65, v95
	;; [unrolled: 1-line block ×10, first 2 shown]
	s_waitcnt vmcnt(3)
	v_mov_b32_e32 v66, v168
	v_mov_b32_e32 v67, v169
	scratch_load_dwordx4 v[148:151], off, off offset:912 ; 16-byte Folded Reload
	scratch_load_dwordx4 v[152:155], off, off offset:928 ; 16-byte Folded Reload
	;; [unrolled: 1-line block ×8, first 2 shown]
	s_waitcnt vmcnt(2)
	v_mov_b64_e32 v[42:43], v[164:165]
	v_mov_b64_e32 v[44:45], v[166:167]
	;; [unrolled: 1-line block ×3, first 2 shown]
	scratch_load_dwordx4 v[148:151], off, off offset:400 ; 16-byte Folded Reload
	scratch_load_dwordx4 v[152:155], off, off offset:416 ; 16-byte Folded Reload
	;; [unrolled: 1-line block ×8, first 2 shown]
	v_mov_b32_e32 v70, v46
	v_mov_b32_e32 v71, v47
	s_waitcnt vmcnt(4)
	v_mov_b64_e32 v[26:27], v[148:149]
	v_mov_b64_e32 v[28:29], v[150:151]
	s_waitcnt vmcnt(2)
	v_mov_b64_e32 v[42:43], v[164:165]
	v_mov_b64_e32 v[30:31], v[152:153]
	;; [unrolled: 1-line block ×9, first 2 shown]
	s_waitcnt vmcnt(0)
	v_mov_b64_e32 v[170:171], v[184:185]
	v_mov_b64_e32 v[172:173], v[186:187]
	;; [unrolled: 1-line block ×20, first 2 shown]
	v_mov_b32_e32 v72, v48
	v_mov_b32_e32 v73, v49
	;; [unrolled: 1-line block ×4, first 2 shown]
	v_mov_b64_e32 v[190:191], v[64:65]
	v_mov_b64_e32 v[202:203], v[76:77]
	scratch_store_dwordx4 off, v[12:15], off offset:3348 ; 16-byte Folded Spill
	s_nop 0
	scratch_store_dwordx4 off, v[16:19], off offset:3364 ; 16-byte Folded Spill
	scratch_store_dwordx4 off, v[20:23], off offset:3380 ; 16-byte Folded Spill
	;; [unrolled: 1-line block ×7, first 2 shown]
	v_mov_b64_e32 v[188:189], v[62:63]
	v_mov_b64_e32 v[186:187], v[60:61]
	;; [unrolled: 1-line block ×12, first 2 shown]
	scratch_load_dwordx4 v[40:43], off, off offset:1936 ; 16-byte Folded Reload
	scratch_load_dwordx4 v[44:47], off, off offset:1952 ; 16-byte Folded Reload
	;; [unrolled: 1-line block ×8, first 2 shown]
	v_mov_b64_e32 v[174:175], v[146:147]
	v_mov_b64_e32 v[172:173], v[144:145]
	v_mov_b64_e32 v[170:171], v[142:143]
	v_mov_b64_e32 v[168:169], v[140:141]
	v_mov_b64_e32 v[166:167], v[138:139]
	v_mov_b64_e32 v[164:165], v[136:137]
	v_mov_b64_e32 v[204:205], v[242:243]
	v_mov_b32_e32 v26, v205
	v_mov_b32_e32 v27, v118
	;; [unrolled: 1-line block ×6, first 2 shown]
	s_waitcnt vmcnt(4)
	v_mov_b64_e32 v[220:221], v[54:55]
	v_mov_b64_e32 v[218:219], v[52:53]
	v_mov_b64_e32 v[216:217], v[50:51]
	v_mov_b64_e32 v[214:215], v[48:49]
	v_mov_b64_e32 v[212:213], v[46:47]
	v_mov_b64_e32 v[210:211], v[44:45]
	v_mov_b64_e32 v[208:209], v[42:43]
	v_mov_b64_e32 v[206:207], v[40:41]
	scratch_load_dwordx4 v[40:43], off, off offset:2192 ; 16-byte Folded Reload
	scratch_load_dwordx4 v[44:47], off, off offset:2208 ; 16-byte Folded Reload
	;; [unrolled: 1-line block ×8, first 2 shown]
	v_mov_b32_e32 v102, v220
	v_mov_b32_e32 v103, v221
	s_waitcnt vmcnt(3)
	v_mov_b64_e32 v[16:17], v[56:57]
	scratch_load_dwordx4 v[40:43], off, off offset:1040 ; 16-byte Folded Reload
	scratch_load_dwordx4 v[44:47], off, off offset:1056 ; 16-byte Folded Reload
	;; [unrolled: 1-line block ×8, first 2 shown]
	v_mov_b32_e32 v104, v16
	v_mov_b32_e32 v105, v17
	s_waitcnt vmcnt(4)
	v_mov_b64_e32 v[0:1], v[40:41]
	s_waitcnt vmcnt(3)
	v_mov_b64_e32 v[16:17], v[56:57]
	v_mov_b64_e32 v[2:3], v[42:43]
	;; [unrolled: 1-line block ×9, first 2 shown]
	scratch_load_dwordx4 v[40:43], off, off offset:912 ; 16-byte Folded Reload
	scratch_load_dwordx4 v[44:47], off, off offset:928 ; 16-byte Folded Reload
	;; [unrolled: 1-line block ×8, first 2 shown]
	v_mov_b64_e32 v[0:1], v[28:29]
	v_mov_b64_e32 v[2:3], v[30:31]
	v_mov_b64_e32 v[4:5], v[32:33]
	v_mov_b64_e32 v[6:7], v[34:35]
	v_mov_b64_e32 v[8:9], v[36:37]
	v_mov_b64_e32 v[10:11], v[38:39]
	v_mov_b32_e32 v106, v18
	v_mov_b32_e32 v107, v19
	;; [unrolled: 1-line block ×3, first 2 shown]
	s_waitcnt vmcnt(4)
	v_mov_b64_e32 v[136:137], v[54:55]
	v_mov_b64_e32 v[134:135], v[52:53]
	s_waitcnt vmcnt(2)
	v_mov_b64_e32 v[142:143], v[60:61]
	v_mov_b64_e32 v[132:133], v[50:51]
	;; [unrolled: 1-line block ×9, first 2 shown]
	scratch_load_dwordx4 v[40:43], off, off offset:400 ; 16-byte Folded Reload
	scratch_load_dwordx4 v[44:47], off, off offset:416 ; 16-byte Folded Reload
	;; [unrolled: 1-line block ×8, first 2 shown]
	v_mov_b32_e32 v108, v142
	v_mov_b32_e32 v109, v143
	s_waitcnt vmcnt(0)
	v_mov_b64_e32 v[74:75], v[62:63]
	v_mov_b64_e32 v[72:73], v[60:61]
	;; [unrolled: 1-line block ×12, first 2 shown]
	scratch_load_dwordx4 v[40:43], off, off offset:528 ; 16-byte Folded Reload
	scratch_load_dwordx4 v[44:47], off, off offset:544 ; 16-byte Folded Reload
	;; [unrolled: 1-line block ×8, first 2 shown]
	v_mov_b32_e32 v110, v74
	v_mov_b32_e32 v111, v75
	scratch_store_dwordx4 off, v[224:227], s2 ; 16-byte Folded Spill
	s_nop 0
	scratch_store_dwordx4 off, v[228:231], s2 offset:16 ; 16-byte Folded Spill
	scratch_store_dwordx4 off, v[232:235], s2 offset:32 ; 16-byte Folded Spill
	;; [unrolled: 1-line block ×7, first 2 shown]
	s_movk_i32 s2, 0xf98
	scratch_store_dwordx2 off, v[26:27], off offset:136 ; 8-byte Folded Spill
	scratch_store_dwordx4 off, v[0:3], s2   ; 16-byte Folded Spill
	s_nop 0
	scratch_store_dwordx4 off, v[4:7], s2 offset:16 ; 16-byte Folded Spill
	scratch_store_dwordx4 off, v[8:11], s2 offset:32 ; 16-byte Folded Spill
	scratch_store_dwordx4 off, v[12:15], s2 offset:48 ; 16-byte Folded Spill
	scratch_store_dwordx4 off, v[16:19], s2 offset:64 ; 16-byte Folded Spill
	scratch_store_dwordx4 off, v[20:23], s2 offset:80 ; 16-byte Folded Spill
	scratch_store_dwordx4 off, v[24:27], s2 offset:96 ; 16-byte Folded Spill
	scratch_store_dwordx4 off, v[28:31], s2 offset:112 ; 16-byte Folded Spill
	scratch_store_dwordx4 off, v[0:3], off offset:1808 ; 16-byte Folded Spill
	s_nop 0
	scratch_store_dwordx4 off, v[4:7], off offset:1824 ; 16-byte Folded Spill
	scratch_store_dwordx4 off, v[8:11], off offset:1840 ; 16-byte Folded Spill
	;; [unrolled: 1-line block ×7, first 2 shown]
	v_mov_b32_e32 v252, v204
	s_waitcnt vmcnt(25)
	v_mov_b64_e32 v[74:75], v[64:65]
	v_mov_b64_e32 v[72:73], v[62:63]
	;; [unrolled: 1-line block ×13, first 2 shown]
	scratch_load_dwordx4 v[14:17], off, off offset:3348 ; 16-byte Folded Reload
	scratch_load_dwordx4 v[18:21], off, off offset:3364 ; 16-byte Folded Reload
	;; [unrolled: 1-line block ×8, first 2 shown]
	v_mov_b32_e32 v112, v74
	v_mov_b32_e32 v113, v75
	v_mov_b64_e32 v[54:55], v[192:193]
	v_mov_b64_e32 v[56:57], v[194:195]
	;; [unrolled: 1-line block ×6, first 2 shown]
	v_mov_b32_e32 v66, v204
	s_waitcnt vmcnt(4)
	v_mov_b32_e32 v12, v26
	scratch_store_dwordx4 off, v[0:3], off offset:1680 ; 16-byte Folded Spill
	s_nop 0
	scratch_store_dwordx4 off, v[4:7], off offset:1696 ; 16-byte Folded Spill
	scratch_store_dwordx4 off, v[8:11], off offset:1712 ; 16-byte Folded Spill
	;; [unrolled: 1-line block ×6, first 2 shown]
	s_waitcnt vmcnt(10)
	scratch_store_dwordx4 off, v[28:31], off offset:1792 ; 16-byte Folded Spill
	scratch_store_dwordx4 off, v[14:17], off offset:1552 ; 16-byte Folded Spill
	s_nop 0
	scratch_store_dwordx4 off, v[18:21], off offset:1568 ; 16-byte Folded Spill
	scratch_store_dwordx4 off, v[22:25], off offset:1584 ; 16-byte Folded Spill
	;; [unrolled: 1-line block ×4, first 2 shown]
	s_waitcnt vmcnt(15)
	scratch_store_dwordx4 off, v[34:37], off offset:1632 ; 16-byte Folded Spill
	s_waitcnt vmcnt(15)
	scratch_store_dwordx4 off, v[38:41], off offset:1648 ; 16-byte Folded Spill
	;; [unrolled: 2-line block ×3, first 2 shown]
	v_mov_b32_e32 v14, v220
	scratch_store_dwordx4 off, v[0:3], off offset:1296 ; 16-byte Folded Spill
	s_nop 0
	scratch_store_dwordx4 off, v[4:7], off offset:1312 ; 16-byte Folded Spill
	scratch_store_dwordx4 off, v[8:11], off offset:1328 ; 16-byte Folded Spill
	;; [unrolled: 1-line block ×8, first 2 shown]
	s_nop 0
	scratch_store_dwordx4 off, v[210:213], off offset:1440 ; 16-byte Folded Spill
	scratch_store_dwordx4 off, v[214:217], off offset:1456 ; 16-byte Folded Spill
	;; [unrolled: 1-line block ×7, first 2 shown]
	scratch_load_dwordx4 v[0:3], off, off offset:2192 ; 16-byte Folded Reload
	scratch_load_dwordx4 v[4:7], off, off offset:2208 ; 16-byte Folded Reload
	;; [unrolled: 1-line block ×8, first 2 shown]
	s_waitcnt vmcnt(7)
	scratch_store_dwordx4 off, v[0:3], off offset:784 ; 16-byte Folded Spill
	s_waitcnt vmcnt(7)
	scratch_store_dwordx4 off, v[4:7], off offset:800 ; 16-byte Folded Spill
	;; [unrolled: 2-line block ×8, first 2 shown]
	scratch_load_dwordx4 v[18:21], off, off offset:1040 ; 16-byte Folded Reload
	s_nop 0
	scratch_load_dwordx4 v[22:25], off, off offset:1056 ; 16-byte Folded Reload
	scratch_load_dwordx4 v[26:29], off, off offset:1072 ; 16-byte Folded Reload
	;; [unrolled: 1-line block ×7, first 2 shown]
	s_nop 0
	scratch_store_dwordx4 off, v[88:91], off offset:8 ; 16-byte Folded Spill
	s_nop 0
	scratch_store_dwordx4 off, v[92:95], off offset:24 ; 16-byte Folded Spill
	scratch_store_dwordx4 off, v[96:99], off offset:40 ; 16-byte Folded Spill
	;; [unrolled: 1-line block ×7, first 2 shown]
	scratch_load_dwordx4 v[88:91], off, off offset:400 ; 16-byte Folded Reload
	s_nop 0
	scratch_load_dwordx4 v[92:95], off, off offset:416 ; 16-byte Folded Reload
	scratch_load_dwordx4 v[96:99], off, off offset:432 ; 16-byte Folded Reload
	;; [unrolled: 1-line block ×7, first 2 shown]
	v_mov_b32_e32 v223, v75
	v_mov_b32_e32 v207, v175
	s_waitcnt vmcnt(16)
	v_mov_b64_e32 v[48:49], v[36:37]
	v_mov_b64_e32 v[46:47], v[34:35]
	;; [unrolled: 1-line block ×14, first 2 shown]
	v_mov_b32_e32 v18, v48
	v_mov_b32_e32 v19, v49
	v_mov_b64_e32 v[26:27], v[126:127]
	v_mov_b64_e32 v[28:29], v[128:129]
	;; [unrolled: 1-line block ×4, first 2 shown]
	v_mov_b32_e32 v20, v42
	v_mov_b32_e32 v21, v43
	s_waitcnt vmcnt(2)
	v_mov_b32_e32 v22, v110
	v_mov_b32_e32 v23, v111
	;; [unrolled: 1-line block ×3, first 2 shown]
	v_mov_b64_e32 v[32:33], v[132:133]
	scratch_store_dwordx4 off, v[0:3], off offset:656 ; 16-byte Folded Spill
	s_nop 0
	scratch_store_dwordx4 off, v[4:7], off offset:672 ; 16-byte Folded Spill
	scratch_store_dwordx4 off, v[8:11], off offset:688 ; 16-byte Folded Spill
	scratch_store_dwordx4 off, v[12:15], off offset:704 ; 16-byte Folded Spill
	scratch_store_dwordx4 off, v[16:19], off offset:720 ; 16-byte Folded Spill
	scratch_store_dwordx4 off, v[20:23], off offset:736 ; 16-byte Folded Spill
	scratch_store_dwordx4 off, v[24:27], off offset:752 ; 16-byte Folded Spill
	scratch_store_dwordx4 off, v[28:31], off offset:768 ; 16-byte Folded Spill
	v_mov_b64_e32 v[38:39], v[176:177]
	v_mov_b32_e32 v10, v120
	v_mov_b32_e32 v32, v174
	v_mov_b64_e32 v[40:41], v[178:179]
	v_mov_b64_e32 v[42:43], v[180:181]
	v_mov_b64_e32 v[44:45], v[182:183]
	v_mov_b64_e32 v[46:47], v[184:185]
	v_mov_b64_e32 v[48:49], v[186:187]
	v_mov_b64_e32 v[50:51], v[188:189]
	v_mov_b64_e32 v[52:53], v[190:191]
	v_mov_b64_e32 v[34:35], v[134:135]
	v_mov_b64_e32 v[36:37], v[136:137]
	scratch_store_dwordx4 off, v[38:41], off offset:1168 ; 16-byte Folded Spill
	s_nop 0
	scratch_store_dwordx4 off, v[42:45], off offset:1184 ; 16-byte Folded Spill
	scratch_store_dwordx4 off, v[46:49], off offset:1200 ; 16-byte Folded Spill
	scratch_store_dwordx4 off, v[50:53], off offset:1216 ; 16-byte Folded Spill
	scratch_store_dwordx4 off, v[54:57], off offset:1232 ; 16-byte Folded Spill
	scratch_store_dwordx4 off, v[58:61], off offset:1248 ; 16-byte Folded Spill
	scratch_store_dwordx4 off, v[62:65], off offset:1264 ; 16-byte Folded Spill
	scratch_store_dwordx4 off, v[66:69], off offset:1280 ; 16-byte Folded Spill
.LBB60_167:
	s_or_b64 exec, exec, s[0:1]
	s_barrier
	scratch_load_dword v0, off, off offset:4 ; 4-byte Folded Reload
	v_mov_b32_e32 v1, v255
	s_cmp_lt_i32 s22, 12
	s_waitcnt vmcnt(0)
	v_lshl_add_u32 v26, v0, 2, v1
	ds_write_b32 v26, v10
	s_waitcnt lgkmcnt(0)
	s_barrier
	ds_read_b32 v28, v255 offset:40
	v_mov_b32_e32 v26, 10
	s_cbranch_scc1 .LBB60_530
; %bb.168:
	s_movk_i32 s0, 0x1018
	scratch_load_dword v0, off, s0          ; 4-byte Folded Reload
	scratch_load_dwordx4 v[38:41], off, off offset:1808 ; 16-byte Folded Reload
	scratch_load_dwordx4 v[42:45], off, off offset:1824 ; 16-byte Folded Reload
	;; [unrolled: 1-line block ×8, first 2 shown]
	v_mov_b32_e32 v26, 10
	s_mov_b32 s0, 11
	s_waitcnt vmcnt(5)
	v_mov_b32_e32 v11, v49
	v_add3_u32 v27, v0, 0, 44
.LBB60_169:                             ; =>This Inner Loop Header: Depth=1
	ds_read_b32 v29, v27
	v_add_u32_e32 v27, 4, v27
	s_waitcnt lgkmcnt(0)
	v_cmp_lt_f32_e64 vcc, |v28|, |v29|
	s_nop 1
	v_cndmask_b32_e32 v28, v28, v29, vcc
	v_mov_b32_e32 v29, s0
	s_add_i32 s0, s0, 1
	v_cndmask_b32_e32 v26, v26, v29, vcc
	s_cmp_lg_u32 s22, s0
	s_cbranch_scc1 .LBB60_169
; %bb.170:
	v_cmp_eq_f32_e32 vcc, 0, v28
	s_and_saveexec_b64 s[0:1], vcc
	s_xor_b64 s[0:1], exec, s[0:1]
	s_cbranch_execz .LBB60_172
.LBB60_171:
	scratch_load_dword v0, off, off offset:144 ; 4-byte Folded Reload
	s_waitcnt vmcnt(0)
	v_cmp_ne_u32_e32 vcc, 0, v0
	s_nop 1
	v_cndmask_b32_e32 v0, 11, v0, vcc
	scratch_store_dword off, v0, off offset:144 ; 4-byte Folded Spill
.LBB60_172:
	s_andn2_saveexec_b64 s[0:1], s[0:1]
	s_cbranch_execz .LBB60_174
; %bb.173:
	v_div_scale_f32 v27, s[2:3], v28, v28, 1.0
	v_rcp_f32_e32 v29, v27
	v_div_scale_f32 v30, vcc, 1.0, v28, 1.0
	v_fma_f32 v31, -v27, v29, 1.0
	v_fmac_f32_e32 v29, v31, v29
	v_mul_f32_e32 v31, v30, v29
	s_waitcnt vmcnt(2)
	v_fma_f32 v60, -v27, v31, v30
	v_fmac_f32_e32 v31, v60, v29
	v_fma_f32 v27, -v27, v31, v30
	v_div_fmas_f32 v27, v27, v29, v31
	v_div_fixup_f32 v28, v27, v28, 1.0
.LBB60_174:
	s_or_b64 exec, exec, s[0:1]
	scratch_load_dword v0, off, off offset:4 ; 4-byte Folded Reload
	s_waitcnt vmcnt(0)
	v_cmp_ne_u32_e32 vcc, v0, v26
	s_and_saveexec_b64 s[0:1], vcc
	s_xor_b64 s[0:1], exec, s[0:1]
	s_cbranch_execz .LBB60_180
; %bb.175:
	scratch_load_dword v0, off, off offset:4 ; 4-byte Folded Reload
	s_waitcnt vmcnt(0)
	v_cmp_eq_u32_e32 vcc, 10, v0
	s_and_saveexec_b64 s[2:3], vcc
	s_cbranch_execz .LBB60_179
; %bb.176:
	v_cmp_ne_u32_e32 vcc, 10, v26
	s_xor_b64 s[12:13], s[20:21], -1
	s_and_b64 s[14:15], s[12:13], vcc
	s_and_saveexec_b64 s[12:13], s[14:15]
	s_cbranch_execz .LBB60_178
; %bb.177:
	s_movk_i32 s14, 0x159c
	scratch_load_dwordx2 v[60:61], off, s14 ; 8-byte Folded Reload
	v_ashrrev_i32_e32 v27, 31, v26
	s_waitcnt vmcnt(0)
	v_lshl_add_u64 v[30:31], v[26:27], 2, v[60:61]
	global_load_dword v27, v[30:31], off
	global_load_dword v29, v[60:61], off offset:40
	s_waitcnt vmcnt(1)
	global_store_dword v[60:61], v27, off offset:40
	s_waitcnt vmcnt(1)
	global_store_dword v[30:31], v29, off
.LBB60_178:
	s_or_b64 exec, exec, s[12:13]
	v_mov_b32_e32 v27, v26
	v_mov_b32_e32 v0, v26
	scratch_store_dword off, v27, off offset:3860 ; 4-byte Folded Spill
	scratch_store_dword off, v0, off offset:4 ; 4-byte Folded Spill
.LBB60_179:
	s_or_b64 exec, exec, s[2:3]
.LBB60_180:
	s_andn2_saveexec_b64 s[0:1], s[0:1]
	s_cbranch_execz .LBB60_182
; %bb.181:
	scratch_load_dwordx4 v[36:39], off, off offset:8 ; 16-byte Folded Reload
	scratch_load_dwordx4 v[40:43], off, off offset:24 ; 16-byte Folded Reload
	scratch_load_dwordx4 v[44:47], off, off offset:40 ; 16-byte Folded Reload
	scratch_load_dwordx4 v[48:51], off, off offset:56 ; 16-byte Folded Reload
	scratch_load_dwordx4 v[52:55], off, off offset:72 ; 16-byte Folded Reload
	scratch_load_dwordx4 v[56:59], off, off offset:88 ; 16-byte Folded Reload
	scratch_load_dwordx4 v[60:63], off, off offset:104 ; 16-byte Folded Reload
	scratch_load_dwordx4 v[64:67], off, off offset:120 ; 16-byte Folded Reload
	v_mov_b32_e32 v0, 10
	s_waitcnt vmcnt(4)
	ds_write2_b32 v255, v47, v48 offset0:11 offset1:12
	ds_write2_b32 v255, v49, v50 offset0:13 offset1:14
	s_waitcnt vmcnt(3)
	ds_write2_b32 v255, v51, v52 offset0:15 offset1:16
	ds_write2_b32 v255, v53, v54 offset0:17 offset1:18
	;; [unrolled: 3-line block ×5, first 2 shown]
	scratch_store_dword off, v0, off offset:4 ; 4-byte Folded Spill
.LBB60_182:
	s_or_b64 exec, exec, s[0:1]
	s_waitcnt lgkmcnt(0)
	s_barrier
	scratch_load_dword v0, off, off offset:4 ; 4-byte Folded Reload
	s_waitcnt vmcnt(0)
	v_cmp_lt_i32_e32 vcc, 10, v0
	s_and_saveexec_b64 s[0:1], vcc
	s_cbranch_execz .LBB60_184
; %bb.183:
	s_movk_i32 s2, 0x131c
	scratch_load_dwordx4 v[64:67], off, s2  ; 16-byte Folded Reload
	scratch_load_dwordx4 v[68:71], off, s2 offset:16 ; 16-byte Folded Reload
	scratch_load_dwordx4 v[72:75], off, s2 offset:32 ; 16-byte Folded Reload
	scratch_load_dwordx4 v[76:79], off, s2 offset:48 ; 16-byte Folded Reload
	scratch_load_dwordx4 v[80:83], off, s2 offset:64 ; 16-byte Folded Reload
	scratch_load_dwordx4 v[84:87], off, s2 offset:80 ; 16-byte Folded Reload
	scratch_load_dwordx4 v[88:91], off, s2 offset:96 ; 16-byte Folded Reload
	scratch_load_dwordx4 v[92:95], off, s2 offset:112 ; 16-byte Folded Reload
	s_waitcnt vmcnt(5)
	v_mul_f32_e32 v74, v10, v28
	ds_read2_b32 v[0:1], v255 offset0:11 offset1:12
	scratch_load_dwordx4 v[16:19], off, off offset:8 ; 16-byte Folded Reload
	scratch_load_dwordx4 v[20:23], off, off offset:24 ; 16-byte Folded Reload
	;; [unrolled: 1-line block ×8, first 2 shown]
	ds_read2_b32 v[4:5], v255 offset0:13 offset1:14
	ds_read2_b32 v[6:7], v255 offset0:15 offset1:16
	;; [unrolled: 1-line block ×3, first 2 shown]
	v_mov_b32_e32 v10, v74
	s_movk_i32 s2, 0x111c
	v_mov_b32_e32 v234, v74
	v_mov_b32_e32 v106, v74
	;; [unrolled: 1-line block ×7, first 2 shown]
	s_waitcnt vmcnt(5)
	v_mov_b32_e32 v2, v27
	s_waitcnt vmcnt(4)
	v_mov_b32_e32 v3, v28
	s_waitcnt lgkmcnt(3)
	v_pk_fma_f32 v[26:27], v[74:75], v[0:1], v[2:3] op_sel_hi:[0,1,1] neg_lo:[1,0,0] neg_hi:[1,0,0]
	v_mov_b32_e32 v0, v29
	v_mov_b32_e32 v1, v30
	s_waitcnt lgkmcnt(2)
	v_pk_fma_f32 v[28:29], v[74:75], v[4:5], v[0:1] op_sel_hi:[0,1,1] neg_lo:[1,0,0] neg_hi:[1,0,0]
	v_mov_b32_e32 v0, v31
	s_waitcnt vmcnt(3)
	v_mov_b32_e32 v1, v32
	s_waitcnt lgkmcnt(1)
	v_pk_fma_f32 v[30:31], v[74:75], v[6:7], v[0:1] op_sel_hi:[0,1,1] neg_lo:[1,0,0] neg_hi:[1,0,0]
	v_mov_b32_e32 v0, v33
	v_mov_b32_e32 v1, v34
	s_waitcnt lgkmcnt(0)
	v_pk_fma_f32 v[60:61], v[74:75], v[8:9], v[0:1] op_sel_hi:[0,1,1] neg_lo:[1,0,0] neg_hi:[1,0,0]
	ds_read2_b32 v[0:1], v255 offset0:19 offset1:20
	ds_read2_b32 v[4:5], v255 offset0:21 offset1:22
	;; [unrolled: 1-line block ×4, first 2 shown]
	v_mov_b32_e32 v2, v35
	s_waitcnt vmcnt(2)
	v_mov_b32_e32 v3, v36
	v_mov_b32_e32 v11, v26
	s_waitcnt lgkmcnt(3)
	v_pk_fma_f32 v[62:63], v[74:75], v[0:1], v[2:3] op_sel_hi:[0,1,1] neg_lo:[1,0,0] neg_hi:[1,0,0]
	v_mov_b32_e32 v0, v37
	v_mov_b32_e32 v1, v38
	ds_read2_b32 v[2:3], v255 offset0:27 offset1:28
	s_waitcnt lgkmcnt(3)
	v_pk_fma_f32 v[88:89], v[74:75], v[4:5], v[0:1] op_sel_hi:[0,1,1] neg_lo:[1,0,0] neg_hi:[1,0,0]
	ds_read2_b32 v[4:5], v255 offset0:29 offset1:30
	v_mov_b32_e32 v0, v39
	s_waitcnt vmcnt(1)
	v_mov_b32_e32 v1, v40
	s_waitcnt lgkmcnt(3)
	v_pk_fma_f32 v[90:91], v[74:75], v[6:7], v[0:1] op_sel_hi:[0,1,1] neg_lo:[1,0,0] neg_hi:[1,0,0]
	v_mov_b32_e32 v0, v41
	v_mov_b32_e32 v1, v42
	s_waitcnt lgkmcnt(2)
	v_pk_fma_f32 v[92:93], v[74:75], v[8:9], v[0:1] op_sel_hi:[0,1,1] neg_lo:[1,0,0] neg_hi:[1,0,0]
	v_mov_b32_e32 v0, v43
	s_waitcnt vmcnt(0)
	v_mov_b32_e32 v1, v44
	s_waitcnt lgkmcnt(1)
	v_pk_fma_f32 v[94:95], v[74:75], v[2:3], v[0:1] op_sel_hi:[0,1,1] neg_lo:[1,0,0] neg_hi:[1,0,0]
	v_mov_b32_e32 v0, v45
	v_mov_b32_e32 v1, v46
	s_waitcnt lgkmcnt(0)
	v_pk_fma_f32 v[126:127], v[74:75], v[4:5], v[0:1] op_sel_hi:[0,1,1] neg_lo:[1,0,0] neg_hi:[1,0,0]
	v_mov_b32_e32 v0, v64
	v_mov_b32_e32 v1, v65
	;; [unrolled: 1-line block ×12, first 2 shown]
	scratch_store_dwordx4 off, v[0:3], off offset:3348 ; 16-byte Folded Spill
	s_nop 0
	scratch_store_dwordx4 off, v[4:7], off offset:3364 ; 16-byte Folded Spill
	scratch_store_dwordx4 off, v[8:11], off offset:3380 ; 16-byte Folded Spill
	;; [unrolled: 1-line block ×7, first 2 shown]
	v_mov_b32_e32 v229, v69
	v_mov_b32_e32 v230, v70
	;; [unrolled: 1-line block ×54, first 2 shown]
	scratch_store_dwordx4 off, v[0:3], s2   ; 16-byte Folded Spill
	s_nop 0
	scratch_store_dwordx4 off, v[4:7], s2 offset:16 ; 16-byte Folded Spill
	scratch_store_dwordx4 off, v[8:11], s2 offset:32 ; 16-byte Folded Spill
	;; [unrolled: 1-line block ×7, first 2 shown]
	s_movk_i32 s2, 0x129c
	v_mov_b32_e32 v14, v29
	scratch_store_dwordx4 off, v[0:3], off offset:1936 ; 16-byte Folded Spill
	s_nop 0
	scratch_store_dwordx4 off, v[4:7], off offset:1952 ; 16-byte Folded Spill
	scratch_store_dwordx4 off, v[8:11], off offset:1968 ; 16-byte Folded Spill
	scratch_store_dwordx4 off, v[12:15], off offset:1984 ; 16-byte Folded Spill
	scratch_store_dwordx4 off, v[16:19], off offset:2000 ; 16-byte Folded Spill
	scratch_store_dwordx4 off, v[20:23], off offset:2016 ; 16-byte Folded Spill
	scratch_store_dwordx4 off, v[24:27], off offset:2032 ; 16-byte Folded Spill
	scratch_store_dwordx4 off, v[28:31], off offset:2048 ; 16-byte Folded Spill
	v_mov_b32_e32 v15, v30
	scratch_store_dwordx4 off, v[0:3], off offset:3864 ; 16-byte Folded Spill
	s_nop 0
	scratch_store_dwordx4 off, v[4:7], off offset:3880 ; 16-byte Folded Spill
	scratch_store_dwordx4 off, v[8:11], off offset:3896 ; 16-byte Folded Spill
	scratch_store_dwordx4 off, v[12:15], off offset:3912 ; 16-byte Folded Spill
	scratch_store_dwordx4 off, v[16:19], off offset:3928 ; 16-byte Folded Spill
	scratch_store_dwordx4 off, v[20:23], off offset:3944 ; 16-byte Folded Spill
	scratch_store_dwordx4 off, v[24:27], off offset:3960 ; 16-byte Folded Spill
	scratch_store_dwordx4 off, v[28:31], off offset:3976 ; 16-byte Folded Spill
	;; [unrolled: 10-line block ×10, first 2 shown]
	s_nop 0
	v_mov_b32_e32 v24, v91
	v_mov_b32_e32 v25, v92
	;; [unrolled: 1-line block ×8, first 2 shown]
	scratch_store_dwordx4 off, v[224:227], off offset:528 ; 16-byte Folded Spill
	s_nop 0
	scratch_store_dwordx4 off, v[228:231], off offset:544 ; 16-byte Folded Spill
	scratch_store_dwordx4 off, v[232:235], off offset:560 ; 16-byte Folded Spill
	;; [unrolled: 1-line block ×8, first 2 shown]
	s_nop 0
	scratch_store_dwordx4 off, v[4:7], off offset:2336 ; 16-byte Folded Spill
	scratch_store_dwordx4 off, v[8:11], off offset:2352 ; 16-byte Folded Spill
	;; [unrolled: 1-line block ×7, first 2 shown]
	v_mov_b32_e32 v249, v92
	v_mov_b32_e32 v250, v93
	scratch_store_dwordx4 off, v[224:227], off offset:272 ; 16-byte Folded Spill
	s_nop 0
	scratch_store_dwordx4 off, v[228:231], off offset:288 ; 16-byte Folded Spill
	scratch_store_dwordx4 off, v[232:235], off offset:304 ; 16-byte Folded Spill
	;; [unrolled: 1-line block ×7, first 2 shown]
	v_mov_b32_e32 v43, v26
	v_mov_b32_e32 v44, v27
	;; [unrolled: 1-line block ×6, first 2 shown]
	scratch_store_dwordx4 off, v[32:35], off offset:2064 ; 16-byte Folded Spill
	s_nop 0
	scratch_store_dwordx4 off, v[36:39], off offset:2080 ; 16-byte Folded Spill
	scratch_store_dwordx4 off, v[40:43], off offset:2096 ; 16-byte Folded Spill
	;; [unrolled: 1-line block ×7, first 2 shown]
	v_mov_b32_e32 v107, v26
	v_mov_b32_e32 v108, v27
	;; [unrolled: 1-line block ×10, first 2 shown]
	scratch_store_dwordx4 off, v[96:99], off offset:1168 ; 16-byte Folded Spill
	s_nop 0
	scratch_store_dwordx4 off, v[100:103], off offset:1184 ; 16-byte Folded Spill
	scratch_store_dwordx4 off, v[104:107], off offset:1200 ; 16-byte Folded Spill
	;; [unrolled: 1-line block ×7, first 2 shown]
	scratch_store_dwordx2 off, v[126:127], off offset:136 ; 8-byte Folded Spill
	s_nop 0
	v_mov_b32_e32 v125, v126
	v_mov_b32_e32 v126, v127
	scratch_store_dwordx4 off, v[96:99], off offset:8 ; 16-byte Folded Spill
	s_nop 0
	scratch_store_dwordx4 off, v[100:103], off offset:24 ; 16-byte Folded Spill
	scratch_store_dwordx4 off, v[104:107], off offset:40 ; 16-byte Folded Spill
	;; [unrolled: 1-line block ×7, first 2 shown]
	scratch_store_dwordx4 off, v[64:67], s2 ; 16-byte Folded Spill
	s_nop 0
	scratch_store_dwordx4 off, v[68:71], s2 offset:16 ; 16-byte Folded Spill
	scratch_store_dwordx4 off, v[72:75], s2 offset:32 ; 16-byte Folded Spill
	;; [unrolled: 1-line block ×7, first 2 shown]
	s_movk_i32 s2, 0xf98
	scratch_store_dwordx4 off, v[64:67], s2 ; 16-byte Folded Spill
	s_nop 0
	scratch_store_dwordx4 off, v[68:71], s2 offset:16 ; 16-byte Folded Spill
	scratch_store_dwordx4 off, v[72:75], s2 offset:32 ; 16-byte Folded Spill
	;; [unrolled: 1-line block ×7, first 2 shown]
	scratch_store_dwordx4 off, v[0:3], off offset:1680 ; 16-byte Folded Spill
	s_nop 0
	scratch_store_dwordx4 off, v[4:7], off offset:1696 ; 16-byte Folded Spill
	scratch_store_dwordx4 off, v[8:11], off offset:1712 ; 16-byte Folded Spill
	scratch_store_dwordx4 off, v[12:15], off offset:1728 ; 16-byte Folded Spill
	scratch_store_dwordx4 off, v[16:19], off offset:1744 ; 16-byte Folded Spill
	scratch_store_dwordx4 off, v[20:23], off offset:1760 ; 16-byte Folded Spill
	scratch_store_dwordx4 off, v[24:27], off offset:1776 ; 16-byte Folded Spill
	scratch_store_dwordx4 off, v[28:31], off offset:1792 ; 16-byte Folded Spill
	scratch_store_dwordx4 off, v[0:3], off offset:1552 ; 16-byte Folded Spill
	s_nop 0
	scratch_store_dwordx4 off, v[4:7], off offset:1568 ; 16-byte Folded Spill
	scratch_store_dwordx4 off, v[8:11], off offset:1584 ; 16-byte Folded Spill
	scratch_store_dwordx4 off, v[12:15], off offset:1600 ; 16-byte Folded Spill
	scratch_store_dwordx4 off, v[16:19], off offset:1616 ; 16-byte Folded Spill
	scratch_store_dwordx4 off, v[20:23], off offset:1632 ; 16-byte Folded Spill
	scratch_store_dwordx4 off, v[24:27], off offset:1648 ; 16-byte Folded Spill
	scratch_store_dwordx4 off, v[28:31], off offset:1664 ; 16-byte Folded Spill
	;; [unrolled: 9-line block ×6, first 2 shown]
	v_mov_b32_e32 v223, v92
	v_mov_b32_e32 v32, v93
	;; [unrolled: 1-line block ×4, first 2 shown]
.LBB60_184:
	s_or_b64 exec, exec, s[0:1]
	s_waitcnt vmcnt(63) expcnt(7) lgkmcnt(15)
	s_barrier
	scratch_load_dword v0, off, off offset:4 ; 4-byte Folded Reload
	v_mov_b32_e32 v1, v255
	s_cmp_lt_i32 s22, 13
	s_waitcnt vmcnt(0)
	v_lshl_add_u32 v26, v0, 2, v1
	ds_write_b32 v26, v11
	s_waitcnt lgkmcnt(0)
	s_barrier
	ds_read_b32 v28, v255 offset:44
	v_mov_b32_e32 v26, 11
	s_cbranch_scc1 .LBB60_531
; %bb.185:
	s_movk_i32 s0, 0x1018
	scratch_load_dword v0, off, s0          ; 4-byte Folded Reload
	scratch_load_dwordx4 v[38:41], off, off offset:1680 ; 16-byte Folded Reload
	scratch_load_dwordx4 v[42:45], off, off offset:1696 ; 16-byte Folded Reload
	;; [unrolled: 1-line block ×8, first 2 shown]
	v_mov_b32_e32 v26, 11
	s_mov_b32 s0, 12
	s_waitcnt vmcnt(4)
	v_mov_b32_e32 v12, v50
	v_add3_u32 v27, v0, 0, 48
.LBB60_186:                             ; =>This Inner Loop Header: Depth=1
	ds_read_b32 v29, v27
	v_add_u32_e32 v27, 4, v27
	s_waitcnt lgkmcnt(0)
	v_cmp_lt_f32_e64 vcc, |v28|, |v29|
	s_nop 1
	v_cndmask_b32_e32 v28, v28, v29, vcc
	v_mov_b32_e32 v29, s0
	s_add_i32 s0, s0, 1
	v_cndmask_b32_e32 v26, v26, v29, vcc
	s_cmp_lg_u32 s22, s0
	s_cbranch_scc1 .LBB60_186
; %bb.187:
	v_cmp_eq_f32_e32 vcc, 0, v28
	s_and_saveexec_b64 s[0:1], vcc
	s_xor_b64 s[0:1], exec, s[0:1]
	s_cbranch_execz .LBB60_189
.LBB60_188:
	scratch_load_dword v0, off, off offset:144 ; 4-byte Folded Reload
	s_waitcnt vmcnt(0)
	v_cmp_ne_u32_e32 vcc, 0, v0
	s_nop 1
	v_cndmask_b32_e32 v0, 12, v0, vcc
	scratch_store_dword off, v0, off offset:144 ; 4-byte Folded Spill
.LBB60_189:
	s_andn2_saveexec_b64 s[0:1], s[0:1]
	s_cbranch_execz .LBB60_191
; %bb.190:
	v_div_scale_f32 v27, s[2:3], v28, v28, 1.0
	v_rcp_f32_e32 v29, v27
	v_div_scale_f32 v30, vcc, 1.0, v28, 1.0
	v_fma_f32 v31, -v27, v29, 1.0
	v_fmac_f32_e32 v29, v31, v29
	v_mul_f32_e32 v31, v30, v29
	s_waitcnt vmcnt(2)
	v_fma_f32 v60, -v27, v31, v30
	v_fmac_f32_e32 v31, v60, v29
	v_fma_f32 v27, -v27, v31, v30
	v_div_fmas_f32 v27, v27, v29, v31
	v_div_fixup_f32 v28, v27, v28, 1.0
.LBB60_191:
	s_or_b64 exec, exec, s[0:1]
	scratch_load_dword v0, off, off offset:4 ; 4-byte Folded Reload
	s_waitcnt vmcnt(0)
	v_cmp_ne_u32_e32 vcc, v0, v26
	s_and_saveexec_b64 s[0:1], vcc
	s_xor_b64 s[0:1], exec, s[0:1]
	s_cbranch_execz .LBB60_197
; %bb.192:
	scratch_load_dword v0, off, off offset:4 ; 4-byte Folded Reload
	s_waitcnt vmcnt(0)
	v_cmp_eq_u32_e32 vcc, 11, v0
	s_and_saveexec_b64 s[2:3], vcc
	s_cbranch_execz .LBB60_196
; %bb.193:
	v_cmp_ne_u32_e32 vcc, 11, v26
	s_xor_b64 s[12:13], s[20:21], -1
	s_and_b64 s[14:15], s[12:13], vcc
	s_and_saveexec_b64 s[12:13], s[14:15]
	s_cbranch_execz .LBB60_195
; %bb.194:
	s_movk_i32 s14, 0x159c
	scratch_load_dwordx2 v[60:61], off, s14 ; 8-byte Folded Reload
	v_ashrrev_i32_e32 v27, 31, v26
	s_waitcnt vmcnt(0)
	v_lshl_add_u64 v[30:31], v[26:27], 2, v[60:61]
	global_load_dword v27, v[30:31], off
	global_load_dword v29, v[60:61], off offset:44
	s_waitcnt vmcnt(1)
	global_store_dword v[60:61], v27, off offset:44
	s_waitcnt vmcnt(1)
	global_store_dword v[30:31], v29, off
.LBB60_195:
	s_or_b64 exec, exec, s[12:13]
	v_mov_b32_e32 v27, v26
	v_mov_b32_e32 v0, v26
	scratch_store_dword off, v27, off offset:3860 ; 4-byte Folded Spill
	scratch_store_dword off, v0, off offset:4 ; 4-byte Folded Spill
.LBB60_196:
	s_or_b64 exec, exec, s[2:3]
.LBB60_197:
	s_andn2_saveexec_b64 s[0:1], s[0:1]
	s_cbranch_execz .LBB60_199
; %bb.198:
	scratch_load_dwordx4 v[36:39], off, off offset:8 ; 16-byte Folded Reload
	scratch_load_dwordx4 v[40:43], off, off offset:24 ; 16-byte Folded Reload
	;; [unrolled: 1-line block ×8, first 2 shown]
	v_mov_b32_e32 v0, 11
	s_waitcnt vmcnt(4)
	ds_write2_b32 v255, v48, v49 offset0:12 offset1:13
	ds_write2_b32 v255, v50, v51 offset0:14 offset1:15
	s_waitcnt vmcnt(3)
	ds_write2_b32 v255, v52, v53 offset0:16 offset1:17
	ds_write2_b32 v255, v54, v55 offset0:18 offset1:19
	;; [unrolled: 3-line block ×4, first 2 shown]
	s_waitcnt vmcnt(0)
	ds_write2_b32 v255, v64, v65 offset0:28 offset1:29
	scratch_load_dwordx2 v[26:27], off, off offset:136 ; 8-byte Folded Reload
	s_waitcnt vmcnt(0)
	ds_write_b32 v255, v27 offset:120
	scratch_store_dword off, v0, off offset:4 ; 4-byte Folded Spill
.LBB60_199:
	s_or_b64 exec, exec, s[0:1]
	s_waitcnt lgkmcnt(0)
	s_barrier
	scratch_load_dword v0, off, off offset:4 ; 4-byte Folded Reload
	s_waitcnt vmcnt(0)
	v_cmp_lt_i32_e32 vcc, 11, v0
	s_and_saveexec_b64 s[0:1], vcc
	s_cbranch_execz .LBB60_201
; %bb.200:
	ds_read2_b32 v[0:1], v255 offset0:12 offset1:13
	ds_read2_b32 v[2:3], v255 offset0:14 offset1:15
	;; [unrolled: 1-line block ×3, first 2 shown]
	v_mul_f32_e32 v26, v11, v28
	ds_read2_b32 v[6:7], v255 offset0:18 offset1:19
	scratch_load_dwordx4 v[28:31], off, off offset:8 ; 16-byte Folded Reload
	scratch_load_dwordx4 v[32:35], off, off offset:24 ; 16-byte Folded Reload
	;; [unrolled: 1-line block ×8, first 2 shown]
	s_movk_i32 s2, 0xf98
	v_mov_b32_e32 v11, v26
	s_waitcnt vmcnt(1)
	v_mov_b64_e32 v[28:29], v[40:41]
	s_waitcnt lgkmcnt(3)
	v_pk_fma_f32 v[12:13], v[26:27], v[0:1], v[28:29] op_sel_hi:[0,1,1] neg_lo:[1,0,0] neg_hi:[1,0,0]
	ds_read2_b32 v[0:1], v255 offset0:20 offset1:21
	v_mov_b64_e32 v[30:31], v[42:43]
	v_mov_b64_e32 v[32:33], v[44:45]
	;; [unrolled: 1-line block ×4, first 2 shown]
	s_waitcnt lgkmcnt(3)
	v_pk_fma_f32 v[220:221], v[26:27], v[2:3], v[30:31] op_sel_hi:[0,1,1] neg_lo:[1,0,0] neg_hi:[1,0,0]
	s_waitcnt lgkmcnt(2)
	v_pk_fma_f32 v[16:17], v[26:27], v[4:5], v[32:33] op_sel_hi:[0,1,1] neg_lo:[1,0,0] neg_hi:[1,0,0]
	;; [unrolled: 2-line block ×3, first 2 shown]
	ds_read2_b32 v[2:3], v255 offset0:22 offset1:23
	ds_read2_b32 v[4:5], v255 offset0:24 offset1:25
	;; [unrolled: 1-line block ×3, first 2 shown]
	s_waitcnt lgkmcnt(3)
	v_pk_fma_f32 v[20:21], v[26:27], v[0:1], v[36:37] op_sel_hi:[0,1,1] neg_lo:[1,0,0] neg_hi:[1,0,0]
	ds_read2_b32 v[0:1], v255 offset0:28 offset1:29
	ds_read_b32 v27, v255 offset:120
	scratch_load_dwordx4 v[126:129], off, s2 ; 16-byte Folded Reload
	scratch_load_dwordx4 v[130:133], off, s2 offset:16 ; 16-byte Folded Reload
	scratch_load_dwordx4 v[134:137], off, s2 offset:32 ; 16-byte Folded Reload
	;; [unrolled: 1-line block ×7, first 2 shown]
	v_mov_b64_e32 v[38:39], v[50:51]
	v_mov_b64_e32 v[40:41], v[52:53]
	;; [unrolled: 1-line block ×3, first 2 shown]
	s_waitcnt vmcnt(8)
	v_mov_b64_e32 v[44:45], v[56:57]
	s_waitcnt lgkmcnt(0)
	v_pk_fma_f32 v[204:205], v[26:27], v[2:3], v[38:39] op_sel_hi:[0,1,1] neg_lo:[1,0,0] neg_hi:[1,0,0]
	v_pk_fma_f32 v[248:249], v[26:27], v[4:5], v[40:41] op_sel_hi:[0,1,1] neg_lo:[1,0,0] neg_hi:[1,0,0]
	;; [unrolled: 1-line block ×4, first 2 shown]
	s_movk_i32 s2, 0x111c
	s_waitcnt vmcnt(5)
	v_mov_b32_e32 v137, v26
	v_mov_b64_e32 v[62:63], v[12:13]
	v_mov_b32_e32 v218, v62
	v_mov_b32_e32 v219, v63
	;; [unrolled: 1-line block ×25, first 2 shown]
	scratch_store_dwordx4 off, v[0:3], s2   ; 16-byte Folded Spill
	s_nop 0
	scratch_store_dwordx4 off, v[4:7], s2 offset:16 ; 16-byte Folded Spill
	scratch_store_dwordx4 off, v[8:11], s2 offset:32 ; 16-byte Folded Spill
	;; [unrolled: 1-line block ×7, first 2 shown]
	v_mov_b32_e32 v14, v220
	v_mov_b32_e32 v15, v221
	;; [unrolled: 1-line block ×13, first 2 shown]
	s_movk_i32 s2, 0x129c
	v_mov_b32_e32 v206, v126
	v_mov_b32_e32 v207, v127
	;; [unrolled: 1-line block ×34, first 2 shown]
	scratch_store_dwordx4 off, v[0:3], off offset:3864 ; 16-byte Folded Spill
	s_nop 0
	scratch_store_dwordx4 off, v[4:7], off offset:3880 ; 16-byte Folded Spill
	scratch_store_dwordx4 off, v[8:11], off offset:3896 ; 16-byte Folded Spill
	;; [unrolled: 1-line block ×7, first 2 shown]
	v_mov_b64_e32 v[94:95], v[14:15]
	v_mov_b64_e32 v[92:93], v[12:13]
	;; [unrolled: 1-line block ×9, first 2 shown]
	scratch_store_dwordx4 off, v[0:3], off offset:3476 ; 16-byte Folded Spill
	s_nop 0
	scratch_store_dwordx4 off, v[4:7], off offset:3492 ; 16-byte Folded Spill
	scratch_store_dwordx4 off, v[8:11], off offset:3508 ; 16-byte Folded Spill
	;; [unrolled: 1-line block ×7, first 2 shown]
	v_mov_b32_e32 v66, v96
	v_mov_b32_e32 v67, v97
	;; [unrolled: 1-line block ×6, first 2 shown]
	v_mov_b64_e32 v[42:43], v[14:15]
	v_mov_b64_e32 v[30:31], v[2:3]
	;; [unrolled: 1-line block ×10, first 2 shown]
	scratch_store_dwordx4 off, v[0:3], off offset:2964 ; 16-byte Folded Spill
	s_nop 0
	scratch_store_dwordx4 off, v[4:7], off offset:2980 ; 16-byte Folded Spill
	scratch_store_dwordx4 off, v[8:11], off offset:2996 ; 16-byte Folded Spill
	;; [unrolled: 1-line block ×7, first 2 shown]
	v_mov_b32_e32 v68, v46
	v_mov_b32_e32 v69, v47
	;; [unrolled: 1-line block ×6, first 2 shown]
	s_waitcnt vmcnt(32)
	v_mov_b64_e32 v[158:159], v[20:21]
	v_mov_b64_e32 v[156:157], v[18:19]
	v_mov_b64_e32 v[154:155], v[16:17]
	scratch_store_dwordx4 off, v[0:3], off offset:2704 ; 16-byte Folded Spill
	s_nop 0
	scratch_store_dwordx4 off, v[4:7], off offset:2720 ; 16-byte Folded Spill
	scratch_store_dwordx4 off, v[8:11], off offset:2736 ; 16-byte Folded Spill
	;; [unrolled: 1-line block ×7, first 2 shown]
	v_mov_b32_e32 v22, v204
	v_mov_b32_e32 v23, v205
	;; [unrolled: 1-line block ×9, first 2 shown]
	v_mov_b64_e32 v[74:75], v[12:13]
	scratch_store_dwordx4 off, v[0:3], off offset:2576 ; 16-byte Folded Spill
	s_nop 0
	scratch_store_dwordx4 off, v[4:7], off offset:2592 ; 16-byte Folded Spill
	scratch_store_dwordx4 off, v[8:11], off offset:2608 ; 16-byte Folded Spill
	;; [unrolled: 1-line block ×7, first 2 shown]
	v_mov_b32_e32 v236, v74
	v_mov_b32_e32 v24, v248
	;; [unrolled: 1-line block ×7, first 2 shown]
	scratch_store_dwordx4 off, v[0:3], off offset:2320 ; 16-byte Folded Spill
	s_nop 0
	scratch_store_dwordx4 off, v[4:7], off offset:2336 ; 16-byte Folded Spill
	scratch_store_dwordx4 off, v[8:11], off offset:2352 ; 16-byte Folded Spill
	;; [unrolled: 1-line block ×7, first 2 shown]
	v_mov_b32_e32 v61, v26
	v_mov_b32_e32 v62, v12
	;; [unrolled: 1-line block ×3, first 2 shown]
	scratch_store_dwordx4 off, v[50:53], off offset:272 ; 16-byte Folded Spill
	s_nop 0
	scratch_store_dwordx4 off, v[54:57], off offset:288 ; 16-byte Folded Spill
	scratch_store_dwordx4 off, v[58:61], off offset:304 ; 16-byte Folded Spill
	;; [unrolled: 1-line block ×8, first 2 shown]
	s_nop 0
	scratch_store_dwordx4 off, v[54:57], off offset:1184 ; 16-byte Folded Spill
	scratch_store_dwordx4 off, v[58:61], off offset:1200 ; 16-byte Folded Spill
	;; [unrolled: 1-line block ×7, first 2 shown]
	v_mov_b64_e32 v[48:49], v[18:19]
	v_mov_b64_e32 v[44:45], v[14:15]
	;; [unrolled: 1-line block ×10, first 2 shown]
	scratch_load_dwordx2 v[28:29], off, off offset:136 ; 8-byte Folded Reload
	v_mov_b64_e32 v[110:111], v[10:11]
	v_mov_b32_e32 v99, v26
	v_mov_b64_e32 v[76:77], v[20:21]
	v_mov_b64_e32 v[108:109], v[8:9]
	;; [unrolled: 1-line block ×9, first 2 shown]
	scratch_store_dwordx4 off, v[30:33], off offset:1040 ; 16-byte Folded Spill
	s_nop 0
	scratch_store_dwordx4 off, v[34:37], off offset:1056 ; 16-byte Folded Spill
	scratch_store_dwordx4 off, v[38:41], off offset:1072 ; 16-byte Folded Spill
	;; [unrolled: 1-line block ×7, first 2 shown]
	scratch_load_dwordx4 v[138:141], off, off offset:272 ; 16-byte Folded Reload
	scratch_load_dwordx4 v[142:145], off, off offset:288 ; 16-byte Folded Reload
	;; [unrolled: 1-line block ×8, first 2 shown]
	v_mov_b64_e32 v[70:71], v[14:15]
	v_mov_b64_e32 v[62:63], v[6:7]
	;; [unrolled: 1-line block ×16, first 2 shown]
	s_waitcnt vmcnt(16)
	v_fma_f32 v118, -v26, v27, v29
	v_mov_b64_e32 v[64:65], v[72:73]
	v_mov_b64_e32 v[66:67], v[74:75]
	;; [unrolled: 1-line block ×3, first 2 shown]
	s_waitcnt vmcnt(1)
	v_mov_b32_e32 v26, v164
	v_mov_b32_e32 v27, v165
	scratch_store_dwordx4 off, v[0:3], off offset:2064 ; 16-byte Folded Spill
	s_nop 0
	scratch_store_dwordx4 off, v[4:7], off offset:2080 ; 16-byte Folded Spill
	scratch_store_dwordx4 off, v[8:11], off offset:2096 ; 16-byte Folded Spill
	;; [unrolled: 1-line block ×7, first 2 shown]
	scratch_load_dwordx4 v[138:141], off, off offset:1168 ; 16-byte Folded Reload
	scratch_load_dwordx4 v[142:145], off, off offset:1184 ; 16-byte Folded Reload
	;; [unrolled: 1-line block ×8, first 2 shown]
	s_waitcnt vmcnt(3)
	v_mov_b32_e32 v154, v96
	v_mov_b32_e32 v155, v97
	scratch_store_dwordx4 off, v[80:83], off offset:2192 ; 16-byte Folded Spill
	s_nop 0
	scratch_store_dwordx4 off, v[84:87], off offset:2208 ; 16-byte Folded Spill
	scratch_store_dwordx4 off, v[88:91], off offset:2224 ; 16-byte Folded Spill
	;; [unrolled: 1-line block ×7, first 2 shown]
	scratch_load_dwordx4 v[0:3], off, off offset:1040 ; 16-byte Folded Reload
	scratch_load_dwordx4 v[4:7], off, off offset:1056 ; 16-byte Folded Reload
	;; [unrolled: 1-line block ×8, first 2 shown]
	s_waitcnt vmcnt(18)
	v_mov_b32_e32 v158, v68
	v_mov_b32_e32 v159, v69
	scratch_store_dwordx4 off, v[48:51], off offset:912 ; 16-byte Folded Spill
	s_nop 0
	scratch_store_dwordx4 off, v[52:55], off offset:928 ; 16-byte Folded Spill
	scratch_store_dwordx4 off, v[56:59], off offset:944 ; 16-byte Folded Spill
	;; [unrolled: 1-line block ×7, first 2 shown]
	scratch_load_dwordx4 v[48:51], off, off offset:272 ; 16-byte Folded Reload
	s_nop 0
	scratch_load_dwordx4 v[52:55], off, off offset:288 ; 16-byte Folded Reload
	scratch_load_dwordx4 v[56:59], off, off offset:304 ; 16-byte Folded Reload
	;; [unrolled: 1-line block ×7, first 2 shown]
	v_mov_b32_e32 v88, v126
	v_mov_b32_e32 v89, v127
	;; [unrolled: 1-line block ×11, first 2 shown]
	v_mov_b64_e32 v[80:81], v[112:113]
	v_mov_b32_e32 v148, v136
	v_mov_b32_e32 v150, v112
	;; [unrolled: 1-line block ×7, first 2 shown]
	s_waitcnt vmcnt(33)
	v_mov_b32_e32 v162, v248
	v_mov_b32_e32 v163, v249
	;; [unrolled: 1-line block ×14, first 2 shown]
	s_waitcnt vmcnt(32)
	v_mov_b32_e32 v116, v166
	s_waitcnt vmcnt(19)
	v_mov_b32_e32 v156, v18
	v_mov_b32_e32 v157, v19
	v_mov_b32_e32 v117, v167
	v_mov_b64_e32 v[176:177], v[166:167]
	s_waitcnt vmcnt(0)
	v_mov_b64_e32 v[76:77], v[74:75]
	v_mov_b64_e32 v[74:75], v[72:73]
	;; [unrolled: 1-line block ×6, first 2 shown]
	v_mov_b32_e32 v164, v76
	v_mov_b32_e32 v165, v77
	v_mov_b64_e32 v[68:69], v[100:101]
	v_mov_b64_e32 v[64:65], v[62:63]
	;; [unrolled: 1-line block ×14, first 2 shown]
	v_mov_b32_e32 v100, v80
	v_mov_b32_e32 v101, v81
	scratch_store_dwordx4 off, v[68:71], off offset:3348 ; 16-byte Folded Spill
	s_nop 0
	scratch_store_dwordx4 off, v[72:75], off offset:3364 ; 16-byte Folded Spill
	scratch_store_dwordx4 off, v[76:79], off offset:3380 ; 16-byte Folded Spill
	;; [unrolled: 1-line block ×7, first 2 shown]
	scratch_load_dwordx4 v[20:23], off, off offset:2192 ; 16-byte Folded Reload
	scratch_load_dwordx4 v[24:27], off, off offset:2208 ; 16-byte Folded Reload
	;; [unrolled: 1-line block ×16, first 2 shown]
	v_mov_b32_e32 v106, v18
	v_mov_b32_e32 v107, v19
	v_mov_b64_e32 v[174:175], v[164:165]
	v_mov_b64_e32 v[172:173], v[162:163]
	;; [unrolled: 1-line block ×14, first 2 shown]
	v_mov_b32_e32 v102, v220
	v_mov_b32_e32 v103, v221
	;; [unrolled: 1-line block ×4, first 2 shown]
	s_waitcnt vmcnt(9)
	v_mov_b64_e32 v[46:47], v[36:37]
	v_mov_b64_e32 v[44:45], v[34:35]
	;; [unrolled: 1-line block ×9, first 2 shown]
	s_waitcnt vmcnt(2)
	v_mov_b64_e32 v[16:17], v[64:65]
	v_mov_b64_e32 v[18:19], v[66:67]
	;; [unrolled: 1-line block ×3, first 2 shown]
	scratch_load_dwordx4 v[48:51], off, off offset:272 ; 16-byte Folded Reload
	scratch_load_dwordx4 v[52:55], off, off offset:288 ; 16-byte Folded Reload
	scratch_load_dwordx4 v[56:59], off, off offset:304 ; 16-byte Folded Reload
	scratch_load_dwordx4 v[60:63], off, off offset:320 ; 16-byte Folded Reload
	scratch_load_dwordx4 v[64:67], off, off offset:336 ; 16-byte Folded Reload
	scratch_load_dwordx4 v[68:71], off, off offset:352 ; 16-byte Folded Reload
	scratch_load_dwordx4 v[72:75], off, off offset:368 ; 16-byte Folded Reload
	scratch_load_dwordx4 v[76:79], off, off offset:384 ; 16-byte Folded Reload
	v_mov_b32_e32 v108, v20
	v_mov_b32_e32 v109, v21
	scratch_store_dwordx4 off, v[126:129], s2 ; 16-byte Folded Spill
	s_nop 0
	scratch_store_dwordx4 off, v[130:133], s2 offset:16 ; 16-byte Folded Spill
	scratch_store_dwordx4 off, v[134:137], s2 offset:32 ; 16-byte Folded Spill
	;; [unrolled: 1-line block ×7, first 2 shown]
	v_mov_b64_e32 v[136:137], v[46:47]
	v_mov_b32_e32 v104, v46
	v_mov_b32_e32 v105, v47
	s_waitcnt vmcnt(12)
	v_mov_b64_e32 v[0:1], v[48:49]
	v_mov_b64_e32 v[2:3], v[50:51]
	;; [unrolled: 1-line block ×3, first 2 shown]
	s_waitcnt vmcnt(9)
	v_mov_b64_e32 v[16:17], v[64:65]
	v_mov_b64_e32 v[26:27], v[74:75]
	v_mov_b32_e32 v114, v26
	v_mov_b32_e32 v115, v27
	;; [unrolled: 1-line block ×4, first 2 shown]
	scratch_store_dwordx2 off, v[26:27], off offset:136 ; 8-byte Folded Spill
	v_mov_b64_e32 v[6:7], v[54:55]
	v_mov_b64_e32 v[8:9], v[56:57]
	;; [unrolled: 1-line block ×9, first 2 shown]
	scratch_load_dwordx4 v[48:51], off, off offset:3348 ; 16-byte Folded Reload
	scratch_load_dwordx4 v[52:55], off, off offset:3364 ; 16-byte Folded Reload
	scratch_load_dwordx4 v[56:59], off, off offset:3380 ; 16-byte Folded Reload
	scratch_load_dwordx4 v[60:63], off, off offset:3396 ; 16-byte Folded Reload
	scratch_load_dwordx4 v[64:67], off, off offset:3412 ; 16-byte Folded Reload
	scratch_load_dwordx4 v[68:71], off, off offset:3428 ; 16-byte Folded Reload
	scratch_load_dwordx4 v[72:75], off, off offset:3444 ; 16-byte Folded Reload
	scratch_load_dwordx4 v[76:79], off, off offset:3460 ; 16-byte Folded Reload
	s_waitcnt vmcnt(5)
	v_mov_b64_e32 v[0:1], v[48:49]
	s_waitcnt vmcnt(4)
	v_mov_b64_e32 v[12:13], v[60:61]
	v_mov_b64_e32 v[2:3], v[50:51]
	;; [unrolled: 1-line block ×6, first 2 shown]
	v_mov_b32_e32 v28, v12
	scratch_store_dwordx4 off, v[0:3], off offset:1552 ; 16-byte Folded Spill
	s_nop 0
	scratch_store_dwordx4 off, v[4:7], off offset:1568 ; 16-byte Folded Spill
	scratch_store_dwordx4 off, v[8:11], off offset:1584 ; 16-byte Folded Spill
	;; [unrolled: 1-line block ×7, first 2 shown]
	v_mov_b32_e32 v14, v220
	scratch_store_dwordx4 off, v[0:3], off offset:1296 ; 16-byte Folded Spill
	s_nop 0
	scratch_store_dwordx4 off, v[4:7], off offset:1312 ; 16-byte Folded Spill
	scratch_store_dwordx4 off, v[8:11], off offset:1328 ; 16-byte Folded Spill
	scratch_store_dwordx4 off, v[12:15], off offset:1344 ; 16-byte Folded Spill
	scratch_store_dwordx4 off, v[16:19], off offset:1360 ; 16-byte Folded Spill
	scratch_store_dwordx4 off, v[20:23], off offset:1376 ; 16-byte Folded Spill
	scratch_store_dwordx4 off, v[24:27], off offset:1392 ; 16-byte Folded Spill
	scratch_store_dwordx4 off, v[28:31], off offset:1408 ; 16-byte Folded Spill
	scratch_store_dwordx4 off, v[206:209], off offset:1936 ; 16-byte Folded Spill
	s_nop 0
	scratch_store_dwordx4 off, v[210:213], off offset:1952 ; 16-byte Folded Spill
	scratch_store_dwordx4 off, v[214:217], off offset:1968 ; 16-byte Folded Spill
	scratch_store_dwordx4 off, v[218:221], off offset:1984 ; 16-byte Folded Spill
	scratch_store_dwordx4 off, v[222:225], off offset:2000 ; 16-byte Folded Spill
	scratch_store_dwordx4 off, v[226:229], off offset:2016 ; 16-byte Folded Spill
	scratch_store_dwordx4 off, v[230:233], off offset:2032 ; 16-byte Folded Spill
	scratch_store_dwordx4 off, v[234:237], off offset:2048 ; 16-byte Folded Spill
	;; [unrolled: 9-line block ×3, first 2 shown]
	v_mov_b32_e32 v16, v136
	scratch_store_dwordx4 off, v[0:3], off offset:784 ; 16-byte Folded Spill
	s_nop 0
	scratch_store_dwordx4 off, v[4:7], off offset:800 ; 16-byte Folded Spill
	scratch_store_dwordx4 off, v[8:11], off offset:816 ; 16-byte Folded Spill
	scratch_store_dwordx4 off, v[12:15], off offset:832 ; 16-byte Folded Spill
	scratch_store_dwordx4 off, v[16:19], off offset:848 ; 16-byte Folded Spill
	scratch_store_dwordx4 off, v[20:23], off offset:864 ; 16-byte Folded Spill
	scratch_store_dwordx4 off, v[24:27], off offset:880 ; 16-byte Folded Spill
	scratch_store_dwordx4 off, v[28:31], off offset:896 ; 16-byte Folded Spill
                                        ; kill: def $vgpr0_vgpr1_vgpr2_vgpr3_vgpr4_vgpr5_vgpr6_vgpr7_vgpr8_vgpr9_vgpr10_vgpr11_vgpr12_vgpr13_vgpr14_vgpr15 killed $vgpr30_vgpr31_vgpr32_vgpr33_vgpr34_vgpr35_vgpr36_vgpr37_vgpr38_vgpr39_vgpr40_vgpr41_vgpr42_vgpr43_vgpr44_vgpr45 killed $exec
	scratch_load_dwordx4 v[30:33], off, off offset:1040 ; 16-byte Folded Reload
	s_nop 0
	scratch_load_dwordx4 v[34:37], off, off offset:1056 ; 16-byte Folded Reload
	scratch_load_dwordx4 v[38:41], off, off offset:1072 ; 16-byte Folded Reload
	;; [unrolled: 1-line block ×7, first 2 shown]
	v_mov_b32_e32 v17, v137
	v_mov_b32_e32 v22, v204
	;; [unrolled: 1-line block ×4, first 2 shown]
	s_waitcnt vmcnt(3)
	v_mov_b32_e32 v18, v48
	v_mov_b32_e32 v19, v49
	scratch_load_dwordx4 v[30:33], off, off offset:912 ; 16-byte Folded Reload
	scratch_load_dwordx4 v[34:37], off, off offset:928 ; 16-byte Folded Reload
	;; [unrolled: 1-line block ×8, first 2 shown]
	s_nop 0
	scratch_store_dwordx4 off, v[88:91], off offset:8 ; 16-byte Folded Spill
	s_nop 0
	scratch_store_dwordx4 off, v[92:95], off offset:24 ; 16-byte Folded Spill
	scratch_store_dwordx4 off, v[96:99], off offset:40 ; 16-byte Folded Spill
	;; [unrolled: 1-line block ×7, first 2 shown]
	v_mov_b64_e32 v[88:89], v[182:183]
	v_mov_b32_e32 v104, v198
	v_mov_b64_e32 v[90:91], v[184:185]
	v_mov_b64_e32 v[92:93], v[186:187]
	;; [unrolled: 1-line block ×7, first 2 shown]
	v_mov_b32_e32 v105, v199
	v_mov_b32_e32 v106, v200
	;; [unrolled: 1-line block ×6, first 2 shown]
	scratch_store_dwordx4 off, v[88:91], off offset:400 ; 16-byte Folded Spill
	s_nop 0
	scratch_store_dwordx4 off, v[92:95], off offset:416 ; 16-byte Folded Spill
	scratch_store_dwordx4 off, v[96:99], off offset:432 ; 16-byte Folded Spill
	;; [unrolled: 1-line block ×7, first 2 shown]
	s_waitcnt vmcnt(18)
	v_mov_b64_e32 v[146:147], v[50:51]
	v_mov_b32_e32 v20, v146
	v_mov_b32_e32 v21, v147
	scratch_store_dwordx4 off, v[0:3], off offset:656 ; 16-byte Folded Spill
	s_nop 0
	scratch_store_dwordx4 off, v[4:7], off offset:672 ; 16-byte Folded Spill
	scratch_store_dwordx4 off, v[8:11], off offset:688 ; 16-byte Folded Spill
	;; [unrolled: 1-line block ×8, first 2 shown]
	s_nop 0
	scratch_store_dwordx4 off, v[228:231], off offset:544 ; 16-byte Folded Spill
	scratch_store_dwordx4 off, v[232:235], off offset:560 ; 16-byte Folded Spill
	;; [unrolled: 1-line block ×7, first 2 shown]
	v_mov_b64_e32 v[144:145], v[48:49]
	v_mov_b64_e32 v[142:143], v[46:47]
	scratch_load_dwordx4 v[50:53], off, off offset:272 ; 16-byte Folded Reload
	scratch_load_dwordx4 v[54:57], off, off offset:288 ; 16-byte Folded Reload
	;; [unrolled: 1-line block ×8, first 2 shown]
	s_waitcnt vmcnt(7)
	v_mov_b64_e32 v[38:39], v[148:149]
	s_waitcnt vmcnt(4)
	v_mov_b64_e32 v[54:55], v[164:165]
	v_mov_b32_e32 v252, v176
	v_mov_b64_e32 v[40:41], v[150:151]
	v_mov_b64_e32 v[42:43], v[152:153]
	;; [unrolled: 1-line block ×12, first 2 shown]
	v_mov_b32_e32 v12, v28
	v_mov_b32_e32 v223, v249
	s_waitcnt vmcnt(1)
	v_mov_b64_e32 v[106:107], v[76:77]
	v_mov_b64_e32 v[104:105], v[74:75]
	;; [unrolled: 1-line block ×6, first 2 shown]
	v_mov_b32_e32 v207, v107
	v_mov_b32_e32 v32, v106
	;; [unrolled: 1-line block ×3, first 2 shown]
	scratch_store_dwordx4 off, v[38:41], off offset:1168 ; 16-byte Folded Spill
	s_nop 0
	scratch_store_dwordx4 off, v[42:45], off offset:1184 ; 16-byte Folded Spill
	scratch_store_dwordx4 off, v[46:49], off offset:1200 ; 16-byte Folded Spill
	;; [unrolled: 1-line block ×7, first 2 shown]
.LBB60_201:
	s_or_b64 exec, exec, s[0:1]
	s_barrier
	scratch_load_dword v0, off, off offset:4 ; 4-byte Folded Reload
	v_mov_b32_e32 v1, v255
	s_cmp_lt_i32 s22, 14
	s_waitcnt vmcnt(0)
	v_lshl_add_u32 v26, v0, 2, v1
	ds_write_b32 v26, v12
	s_waitcnt lgkmcnt(0)
	s_barrier
	ds_read_b32 v28, v255 offset:48
	v_mov_b32_e32 v26, 12
	s_cbranch_scc1 .LBB60_532
; %bb.202:
	s_movk_i32 s0, 0x1018
	scratch_load_dword v0, off, s0          ; 4-byte Folded Reload
	scratch_load_dwordx4 v[38:41], off, off offset:1552 ; 16-byte Folded Reload
	scratch_load_dwordx4 v[42:45], off, off offset:1568 ; 16-byte Folded Reload
	;; [unrolled: 1-line block ×8, first 2 shown]
	v_mov_b32_e32 v26, 12
	s_mov_b32 s0, 13
	s_waitcnt vmcnt(4)
	v_mov_b32_e32 v13, v51
	v_add3_u32 v27, v0, 0, 52
.LBB60_203:                             ; =>This Inner Loop Header: Depth=1
	ds_read_b32 v29, v27
	v_add_u32_e32 v27, 4, v27
	s_waitcnt lgkmcnt(0)
	v_cmp_lt_f32_e64 vcc, |v28|, |v29|
	s_nop 1
	v_cndmask_b32_e32 v28, v28, v29, vcc
	v_mov_b32_e32 v29, s0
	s_add_i32 s0, s0, 1
	v_cndmask_b32_e32 v26, v26, v29, vcc
	s_cmp_lg_u32 s22, s0
	s_cbranch_scc1 .LBB60_203
; %bb.204:
	v_cmp_eq_f32_e32 vcc, 0, v28
	s_and_saveexec_b64 s[0:1], vcc
	s_xor_b64 s[0:1], exec, s[0:1]
	s_cbranch_execz .LBB60_206
.LBB60_205:
	scratch_load_dword v0, off, off offset:144 ; 4-byte Folded Reload
	s_waitcnt vmcnt(0)
	v_cmp_ne_u32_e32 vcc, 0, v0
	s_nop 1
	v_cndmask_b32_e32 v0, 13, v0, vcc
	scratch_store_dword off, v0, off offset:144 ; 4-byte Folded Spill
.LBB60_206:
	s_andn2_saveexec_b64 s[0:1], s[0:1]
	s_cbranch_execz .LBB60_208
; %bb.207:
	v_div_scale_f32 v27, s[2:3], v28, v28, 1.0
	v_rcp_f32_e32 v29, v27
	v_div_scale_f32 v30, vcc, 1.0, v28, 1.0
	v_fma_f32 v31, -v27, v29, 1.0
	v_fmac_f32_e32 v29, v31, v29
	v_mul_f32_e32 v31, v30, v29
	s_waitcnt vmcnt(2)
	v_fma_f32 v60, -v27, v31, v30
	v_fmac_f32_e32 v31, v60, v29
	v_fma_f32 v27, -v27, v31, v30
	v_div_fmas_f32 v27, v27, v29, v31
	v_div_fixup_f32 v28, v27, v28, 1.0
.LBB60_208:
	s_or_b64 exec, exec, s[0:1]
	scratch_load_dword v0, off, off offset:4 ; 4-byte Folded Reload
	s_waitcnt vmcnt(0)
	v_cmp_ne_u32_e32 vcc, v0, v26
	s_and_saveexec_b64 s[0:1], vcc
	s_xor_b64 s[0:1], exec, s[0:1]
	s_cbranch_execz .LBB60_214
; %bb.209:
	scratch_load_dword v0, off, off offset:4 ; 4-byte Folded Reload
	s_waitcnt vmcnt(0)
	v_cmp_eq_u32_e32 vcc, 12, v0
	s_and_saveexec_b64 s[2:3], vcc
	s_cbranch_execz .LBB60_213
; %bb.210:
	v_cmp_ne_u32_e32 vcc, 12, v26
	s_xor_b64 s[12:13], s[20:21], -1
	s_and_b64 s[14:15], s[12:13], vcc
	s_and_saveexec_b64 s[12:13], s[14:15]
	s_cbranch_execz .LBB60_212
; %bb.211:
	s_movk_i32 s14, 0x159c
	scratch_load_dwordx2 v[60:61], off, s14 ; 8-byte Folded Reload
	v_ashrrev_i32_e32 v27, 31, v26
	s_waitcnt vmcnt(0)
	v_lshl_add_u64 v[30:31], v[26:27], 2, v[60:61]
	global_load_dword v27, v[30:31], off
	global_load_dword v29, v[60:61], off offset:48
	s_waitcnt vmcnt(1)
	global_store_dword v[60:61], v27, off offset:48
	s_waitcnt vmcnt(1)
	global_store_dword v[30:31], v29, off
.LBB60_212:
	s_or_b64 exec, exec, s[12:13]
	v_mov_b32_e32 v27, v26
	v_mov_b32_e32 v0, v26
	scratch_store_dword off, v27, off offset:3860 ; 4-byte Folded Spill
	scratch_store_dword off, v0, off offset:4 ; 4-byte Folded Spill
.LBB60_213:
	s_or_b64 exec, exec, s[2:3]
.LBB60_214:
	s_andn2_saveexec_b64 s[0:1], s[0:1]
	s_cbranch_execz .LBB60_216
; %bb.215:
	scratch_load_dwordx4 v[36:39], off, off offset:8 ; 16-byte Folded Reload
	scratch_load_dwordx4 v[40:43], off, off offset:24 ; 16-byte Folded Reload
	;; [unrolled: 1-line block ×8, first 2 shown]
	v_mov_b32_e32 v0, 12
	s_waitcnt vmcnt(4)
	ds_write2_b32 v255, v49, v50 offset0:13 offset1:14
	s_waitcnt vmcnt(3)
	ds_write2_b32 v255, v51, v52 offset0:15 offset1:16
	ds_write2_b32 v255, v53, v54 offset0:17 offset1:18
	s_waitcnt vmcnt(2)
	ds_write2_b32 v255, v55, v56 offset0:19 offset1:20
	;; [unrolled: 3-line block ×4, first 2 shown]
	ds_write2_b32 v255, v65, v66 offset0:29 offset1:30
	scratch_store_dword off, v0, off offset:4 ; 4-byte Folded Spill
.LBB60_216:
	s_or_b64 exec, exec, s[0:1]
	s_waitcnt lgkmcnt(0)
	s_barrier
	scratch_load_dword v0, off, off offset:4 ; 4-byte Folded Reload
	s_waitcnt vmcnt(0)
	v_cmp_lt_i32_e32 vcc, 12, v0
	s_and_saveexec_b64 s[0:1], vcc
	s_cbranch_execz .LBB60_218
; %bb.217:
	s_movk_i32 s2, 0x129c
	scratch_load_dwordx4 v[64:67], off, s2  ; 16-byte Folded Reload
	scratch_load_dwordx4 v[68:71], off, s2 offset:16 ; 16-byte Folded Reload
	scratch_load_dwordx4 v[72:75], off, s2 offset:32 ; 16-byte Folded Reload
	;; [unrolled: 1-line block ×7, first 2 shown]
	s_waitcnt vmcnt(4)
	v_mul_f32_e32 v76, v12, v28
	ds_read2_b32 v[0:1], v255 offset0:13 offset1:14
	scratch_load_dwordx4 v[14:17], off, off offset:8 ; 16-byte Folded Reload
	scratch_load_dwordx4 v[18:21], off, off offset:24 ; 16-byte Folded Reload
	;; [unrolled: 1-line block ×8, first 2 shown]
	ds_read2_b32 v[4:5], v255 offset0:15 offset1:16
	ds_read2_b32 v[6:7], v255 offset0:17 offset1:18
	;; [unrolled: 1-line block ×3, first 2 shown]
	v_mov_b32_e32 v12, v76
	v_mov_b32_e32 v236, v76
	;; [unrolled: 1-line block ×3, first 2 shown]
	s_movk_i32 s2, 0x111c
	v_mov_b32_e32 v224, v64
	v_mov_b32_e32 v225, v65
	;; [unrolled: 1-line block ×6, first 2 shown]
	s_waitcnt vmcnt(4)
	v_mov_b32_e32 v2, v27
	v_mov_b32_e32 v3, v28
	s_waitcnt lgkmcnt(3)
	v_pk_fma_f32 v[26:27], v[76:77], v[0:1], v[2:3] op_sel_hi:[0,1,1] neg_lo:[1,0,0] neg_hi:[1,0,0]
	v_mov_b32_e32 v0, v29
	s_waitcnt vmcnt(3)
	v_mov_b32_e32 v1, v30
	s_waitcnt lgkmcnt(2)
	v_pk_fma_f32 v[28:29], v[76:77], v[4:5], v[0:1] op_sel_hi:[0,1,1] neg_lo:[1,0,0] neg_hi:[1,0,0]
	v_mov_b32_e32 v0, v31
	v_mov_b32_e32 v1, v32
	s_waitcnt lgkmcnt(1)
	v_pk_fma_f32 v[30:31], v[76:77], v[6:7], v[0:1] op_sel_hi:[0,1,1] neg_lo:[1,0,0] neg_hi:[1,0,0]
	v_mov_b32_e32 v0, v33
	s_waitcnt vmcnt(2)
	v_mov_b32_e32 v1, v34
	s_waitcnt lgkmcnt(0)
	v_pk_fma_f32 v[60:61], v[76:77], v[8:9], v[0:1] op_sel_hi:[0,1,1] neg_lo:[1,0,0] neg_hi:[1,0,0]
	ds_read2_b32 v[0:1], v255 offset0:21 offset1:22
	v_mov_b32_e32 v2, v35
	v_mov_b32_e32 v3, v36
	ds_read2_b32 v[4:5], v255 offset0:23 offset1:24
	ds_read2_b32 v[6:7], v255 offset0:25 offset1:26
	;; [unrolled: 1-line block ×3, first 2 shown]
	v_mov_b32_e32 v13, v26
	s_waitcnt lgkmcnt(3)
	v_pk_fma_f32 v[62:63], v[76:77], v[0:1], v[2:3] op_sel_hi:[0,1,1] neg_lo:[1,0,0] neg_hi:[1,0,0]
	ds_read2_b32 v[2:3], v255 offset0:29 offset1:30
	v_mov_b32_e32 v0, v37
	s_waitcnt vmcnt(1)
	v_mov_b32_e32 v1, v38
	s_waitcnt lgkmcnt(3)
	v_pk_fma_f32 v[88:89], v[76:77], v[4:5], v[0:1] op_sel_hi:[0,1,1] neg_lo:[1,0,0] neg_hi:[1,0,0]
	v_mov_b32_e32 v0, v39
	v_mov_b32_e32 v1, v40
	s_waitcnt lgkmcnt(2)
	v_pk_fma_f32 v[90:91], v[76:77], v[6:7], v[0:1] op_sel_hi:[0,1,1] neg_lo:[1,0,0] neg_hi:[1,0,0]
	v_mov_b32_e32 v0, v41
	s_waitcnt vmcnt(0)
	v_mov_b32_e32 v1, v42
	s_waitcnt lgkmcnt(1)
	v_pk_fma_f32 v[92:93], v[76:77], v[8:9], v[0:1] op_sel_hi:[0,1,1] neg_lo:[1,0,0] neg_hi:[1,0,0]
	v_mov_b32_e32 v0, v43
	v_mov_b32_e32 v1, v44
	s_waitcnt lgkmcnt(0)
	v_pk_fma_f32 v[94:95], v[76:77], v[2:3], v[0:1] op_sel_hi:[0,1,1] neg_lo:[1,0,0] neg_hi:[1,0,0]
	v_mov_b32_e32 v0, v64
	v_mov_b32_e32 v1, v65
	;; [unrolled: 1-line block ×12, first 2 shown]
	scratch_store_dwordx4 off, v[0:3], off offset:1936 ; 16-byte Folded Spill
	s_nop 0
	scratch_store_dwordx4 off, v[4:7], off offset:1952 ; 16-byte Folded Spill
	scratch_store_dwordx4 off, v[8:11], off offset:1968 ; 16-byte Folded Spill
	;; [unrolled: 1-line block ×7, first 2 shown]
	v_mov_b32_e32 v228, v68
	v_mov_b32_e32 v229, v69
	;; [unrolled: 1-line block ×55, first 2 shown]
	scratch_store_dwordx4 off, v[0:3], off offset:3864 ; 16-byte Folded Spill
	s_nop 0
	scratch_store_dwordx4 off, v[4:7], off offset:3880 ; 16-byte Folded Spill
	scratch_store_dwordx4 off, v[8:11], off offset:3896 ; 16-byte Folded Spill
	scratch_store_dwordx4 off, v[12:15], off offset:3912 ; 16-byte Folded Spill
	scratch_store_dwordx4 off, v[16:19], off offset:3928 ; 16-byte Folded Spill
	scratch_store_dwordx4 off, v[20:23], off offset:3944 ; 16-byte Folded Spill
	scratch_store_dwordx4 off, v[24:27], off offset:3960 ; 16-byte Folded Spill
	scratch_store_dwordx4 off, v[28:31], off offset:3976 ; 16-byte Folded Spill
	v_mov_b32_e32 v16, v29
	scratch_store_dwordx4 off, v[0:3], off offset:2192 ; 16-byte Folded Spill
	s_nop 0
	scratch_store_dwordx4 off, v[4:7], off offset:2208 ; 16-byte Folded Spill
	scratch_store_dwordx4 off, v[8:11], off offset:2224 ; 16-byte Folded Spill
	scratch_store_dwordx4 off, v[12:15], off offset:2240 ; 16-byte Folded Spill
	scratch_store_dwordx4 off, v[16:19], off offset:2256 ; 16-byte Folded Spill
	scratch_store_dwordx4 off, v[20:23], off offset:2272 ; 16-byte Folded Spill
	scratch_store_dwordx4 off, v[24:27], off offset:2288 ; 16-byte Folded Spill
	scratch_store_dwordx4 off, v[28:31], off offset:2304 ; 16-byte Folded Spill
	v_mov_b32_e32 v17, v30
	;; [unrolled: 10-line block ×8, first 2 shown]
	scratch_store_dwordx4 off, v[0:3], off offset:2576 ; 16-byte Folded Spill
	s_nop 0
	scratch_store_dwordx4 off, v[4:7], off offset:2592 ; 16-byte Folded Spill
	scratch_store_dwordx4 off, v[8:11], off offset:2608 ; 16-byte Folded Spill
	;; [unrolled: 1-line block ×7, first 2 shown]
	s_nop 0
	v_mov_b32_e32 v24, v89
	v_mov_b32_e32 v25, v90
	;; [unrolled: 1-line block ×8, first 2 shown]
	scratch_store_dwordx4 off, v[224:227], off offset:528 ; 16-byte Folded Spill
	s_nop 0
	scratch_store_dwordx4 off, v[228:231], off offset:544 ; 16-byte Folded Spill
	scratch_store_dwordx4 off, v[232:235], off offset:560 ; 16-byte Folded Spill
	;; [unrolled: 1-line block ×8, first 2 shown]
	s_nop 0
	scratch_store_dwordx4 off, v[4:7], off offset:2336 ; 16-byte Folded Spill
	scratch_store_dwordx4 off, v[8:11], off offset:2352 ; 16-byte Folded Spill
	;; [unrolled: 1-line block ×7, first 2 shown]
	v_mov_b32_e32 v249, v90
	v_mov_b32_e32 v250, v91
	scratch_store_dwordx4 off, v[224:227], off offset:272 ; 16-byte Folded Spill
	s_nop 0
	scratch_store_dwordx4 off, v[228:231], off offset:288 ; 16-byte Folded Spill
	scratch_store_dwordx4 off, v[232:235], off offset:304 ; 16-byte Folded Spill
	;; [unrolled: 1-line block ×7, first 2 shown]
	v_mov_b32_e32 v45, v26
	v_mov_b32_e32 v46, v27
	;; [unrolled: 1-line block ×6, first 2 shown]
	scratch_store_dwordx4 off, v[32:35], off offset:2064 ; 16-byte Folded Spill
	s_nop 0
	scratch_store_dwordx4 off, v[36:39], off offset:2080 ; 16-byte Folded Spill
	scratch_store_dwordx4 off, v[40:43], off offset:2096 ; 16-byte Folded Spill
	scratch_store_dwordx4 off, v[44:47], off offset:2112 ; 16-byte Folded Spill
	scratch_store_dwordx4 off, v[48:51], off offset:2128 ; 16-byte Folded Spill
	scratch_store_dwordx4 off, v[52:55], off offset:2144 ; 16-byte Folded Spill
	scratch_store_dwordx4 off, v[56:59], off offset:2160 ; 16-byte Folded Spill
	scratch_store_dwordx4 off, v[60:63], off offset:2176 ; 16-byte Folded Spill
	v_mov_b32_e32 v109, v26
	v_mov_b32_e32 v110, v27
	;; [unrolled: 1-line block ×10, first 2 shown]
	scratch_store_dwordx4 off, v[96:99], off offset:1168 ; 16-byte Folded Spill
	s_nop 0
	scratch_store_dwordx4 off, v[100:103], off offset:1184 ; 16-byte Folded Spill
	scratch_store_dwordx4 off, v[104:107], off offset:1200 ; 16-byte Folded Spill
	;; [unrolled: 1-line block ×7, first 2 shown]
	scratch_store_dwordx2 off, v[94:95], off offset:136 ; 8-byte Folded Spill
	s_nop 0
	v_mov_b32_e32 v125, v94
	v_mov_b32_e32 v126, v95
	scratch_store_dwordx4 off, v[96:99], off offset:8 ; 16-byte Folded Spill
	s_nop 0
	scratch_store_dwordx4 off, v[100:103], off offset:24 ; 16-byte Folded Spill
	scratch_store_dwordx4 off, v[104:107], off offset:40 ; 16-byte Folded Spill
	scratch_store_dwordx4 off, v[108:111], off offset:56 ; 16-byte Folded Spill
	scratch_store_dwordx4 off, v[112:115], off offset:72 ; 16-byte Folded Spill
	scratch_store_dwordx4 off, v[116:119], off offset:88 ; 16-byte Folded Spill
	scratch_store_dwordx4 off, v[120:123], off offset:104 ; 16-byte Folded Spill
	scratch_store_dwordx4 off, v[124:127], off offset:120 ; 16-byte Folded Spill
	scratch_store_dwordx4 off, v[64:67], s2 ; 16-byte Folded Spill
	s_nop 0
	scratch_store_dwordx4 off, v[68:71], s2 offset:16 ; 16-byte Folded Spill
	scratch_store_dwordx4 off, v[72:75], s2 offset:32 ; 16-byte Folded Spill
	;; [unrolled: 1-line block ×7, first 2 shown]
	scratch_store_dwordx4 off, v[64:67], off offset:3348 ; 16-byte Folded Spill
	s_nop 0
	scratch_store_dwordx4 off, v[68:71], off offset:3364 ; 16-byte Folded Spill
	scratch_store_dwordx4 off, v[72:75], off offset:3380 ; 16-byte Folded Spill
	scratch_store_dwordx4 off, v[76:79], off offset:3396 ; 16-byte Folded Spill
	scratch_store_dwordx4 off, v[80:83], off offset:3412 ; 16-byte Folded Spill
	scratch_store_dwordx4 off, v[84:87], off offset:3428 ; 16-byte Folded Spill
	scratch_store_dwordx4 off, v[88:91], off offset:3444 ; 16-byte Folded Spill
	scratch_store_dwordx4 off, v[92:95], off offset:3460 ; 16-byte Folded Spill
	scratch_store_dwordx4 off, v[0:3], off offset:1296 ; 16-byte Folded Spill
	s_nop 0
	scratch_store_dwordx4 off, v[4:7], off offset:1312 ; 16-byte Folded Spill
	scratch_store_dwordx4 off, v[8:11], off offset:1328 ; 16-byte Folded Spill
	scratch_store_dwordx4 off, v[12:15], off offset:1344 ; 16-byte Folded Spill
	scratch_store_dwordx4 off, v[16:19], off offset:1360 ; 16-byte Folded Spill
	scratch_store_dwordx4 off, v[20:23], off offset:1376 ; 16-byte Folded Spill
	scratch_store_dwordx4 off, v[24:27], off offset:1392 ; 16-byte Folded Spill
	scratch_store_dwordx4 off, v[28:31], off offset:1408 ; 16-byte Folded Spill
	;; [unrolled: 9-line block ×5, first 2 shown]
	v_mov_b32_e32 v223, v90
	v_mov_b32_e32 v32, v91
	;; [unrolled: 1-line block ×4, first 2 shown]
.LBB60_218:
	s_or_b64 exec, exec, s[0:1]
	s_waitcnt vmcnt(63) expcnt(7) lgkmcnt(15)
	s_barrier
	scratch_load_dword v0, off, off offset:4 ; 4-byte Folded Reload
	v_mov_b32_e32 v1, v255
	s_cmp_lt_i32 s22, 15
	s_waitcnt vmcnt(0)
	v_lshl_add_u32 v26, v0, 2, v1
	ds_write_b32 v26, v13
	s_waitcnt lgkmcnt(0)
	s_barrier
	ds_read_b32 v28, v255 offset:52
	v_mov_b32_e32 v26, 13
	s_cbranch_scc1 .LBB60_533
; %bb.219:
	s_movk_i32 s0, 0x1018
	scratch_load_dword v0, off, s0          ; 4-byte Folded Reload
	scratch_load_dwordx4 v[38:41], off, off offset:1296 ; 16-byte Folded Reload
	scratch_load_dwordx4 v[42:45], off, off offset:1312 ; 16-byte Folded Reload
	scratch_load_dwordx4 v[46:49], off, off offset:1328 ; 16-byte Folded Reload
	scratch_load_dwordx4 v[50:53], off, off offset:1344 ; 16-byte Folded Reload
	scratch_load_dwordx4 v[54:57], off, off offset:1360 ; 16-byte Folded Reload
	scratch_load_dwordx4 v[58:61], off, off offset:1376 ; 16-byte Folded Reload
	scratch_load_dwordx4 v[62:65], off, off offset:1392 ; 16-byte Folded Reload
	scratch_load_dwordx4 v[66:69], off, off offset:1408 ; 16-byte Folded Reload
	v_mov_b32_e32 v26, 13
	s_mov_b32 s0, 14
	s_waitcnt vmcnt(4)
	v_mov_b32_e32 v14, v52
	v_add3_u32 v27, v0, 0, 56
.LBB60_220:                             ; =>This Inner Loop Header: Depth=1
	ds_read_b32 v29, v27
	v_add_u32_e32 v27, 4, v27
	s_waitcnt lgkmcnt(0)
	v_cmp_lt_f32_e64 vcc, |v28|, |v29|
	s_nop 1
	v_cndmask_b32_e32 v28, v28, v29, vcc
	v_mov_b32_e32 v29, s0
	s_add_i32 s0, s0, 1
	v_cndmask_b32_e32 v26, v26, v29, vcc
	s_cmp_lg_u32 s22, s0
	s_cbranch_scc1 .LBB60_220
; %bb.221:
	v_cmp_eq_f32_e32 vcc, 0, v28
	s_and_saveexec_b64 s[0:1], vcc
	s_xor_b64 s[0:1], exec, s[0:1]
	s_cbranch_execz .LBB60_223
.LBB60_222:
	scratch_load_dword v0, off, off offset:144 ; 4-byte Folded Reload
	s_waitcnt vmcnt(0)
	v_cmp_ne_u32_e32 vcc, 0, v0
	s_nop 1
	v_cndmask_b32_e32 v0, 14, v0, vcc
	scratch_store_dword off, v0, off offset:144 ; 4-byte Folded Spill
.LBB60_223:
	s_andn2_saveexec_b64 s[0:1], s[0:1]
	s_cbranch_execz .LBB60_225
; %bb.224:
	v_div_scale_f32 v27, s[2:3], v28, v28, 1.0
	v_rcp_f32_e32 v29, v27
	v_div_scale_f32 v30, vcc, 1.0, v28, 1.0
	v_fma_f32 v31, -v27, v29, 1.0
	v_fmac_f32_e32 v29, v31, v29
	v_mul_f32_e32 v31, v30, v29
	s_waitcnt vmcnt(2)
	v_fma_f32 v60, -v27, v31, v30
	v_fmac_f32_e32 v31, v60, v29
	v_fma_f32 v27, -v27, v31, v30
	v_div_fmas_f32 v27, v27, v29, v31
	v_div_fixup_f32 v28, v27, v28, 1.0
.LBB60_225:
	s_or_b64 exec, exec, s[0:1]
	scratch_load_dword v0, off, off offset:4 ; 4-byte Folded Reload
	s_waitcnt vmcnt(0)
	v_cmp_ne_u32_e32 vcc, v0, v26
	s_and_saveexec_b64 s[0:1], vcc
	s_xor_b64 s[0:1], exec, s[0:1]
	s_cbranch_execz .LBB60_231
; %bb.226:
	scratch_load_dword v0, off, off offset:4 ; 4-byte Folded Reload
	s_waitcnt vmcnt(0)
	v_cmp_eq_u32_e32 vcc, 13, v0
	s_and_saveexec_b64 s[2:3], vcc
	s_cbranch_execz .LBB60_230
; %bb.227:
	v_cmp_ne_u32_e32 vcc, 13, v26
	s_xor_b64 s[12:13], s[20:21], -1
	s_and_b64 s[14:15], s[12:13], vcc
	s_and_saveexec_b64 s[12:13], s[14:15]
	s_cbranch_execz .LBB60_229
; %bb.228:
	s_movk_i32 s14, 0x159c
	scratch_load_dwordx2 v[60:61], off, s14 ; 8-byte Folded Reload
	v_ashrrev_i32_e32 v27, 31, v26
	s_waitcnt vmcnt(0)
	v_lshl_add_u64 v[30:31], v[26:27], 2, v[60:61]
	global_load_dword v27, v[30:31], off
	global_load_dword v29, v[60:61], off offset:52
	s_waitcnt vmcnt(1)
	global_store_dword v[60:61], v27, off offset:52
	s_waitcnt vmcnt(1)
	global_store_dword v[30:31], v29, off
.LBB60_229:
	s_or_b64 exec, exec, s[12:13]
	v_mov_b32_e32 v27, v26
	v_mov_b32_e32 v0, v26
	scratch_store_dword off, v27, off offset:3860 ; 4-byte Folded Spill
	scratch_store_dword off, v0, off offset:4 ; 4-byte Folded Spill
.LBB60_230:
	s_or_b64 exec, exec, s[2:3]
.LBB60_231:
	s_andn2_saveexec_b64 s[0:1], s[0:1]
	s_cbranch_execz .LBB60_233
; %bb.232:
	scratch_load_dwordx4 v[36:39], off, off offset:8 ; 16-byte Folded Reload
	scratch_load_dwordx4 v[40:43], off, off offset:24 ; 16-byte Folded Reload
	;; [unrolled: 1-line block ×8, first 2 shown]
	v_mov_b32_e32 v0, 13
	s_waitcnt vmcnt(4)
	ds_write2_b32 v255, v50, v51 offset0:14 offset1:15
	s_waitcnt vmcnt(3)
	ds_write2_b32 v255, v52, v53 offset0:16 offset1:17
	ds_write2_b32 v255, v54, v55 offset0:18 offset1:19
	s_waitcnt vmcnt(2)
	ds_write2_b32 v255, v56, v57 offset0:20 offset1:21
	;; [unrolled: 3-line block ×4, first 2 shown]
	scratch_load_dwordx2 v[26:27], off, off offset:136 ; 8-byte Folded Reload
	s_waitcnt vmcnt(0)
	ds_write_b32 v255, v27 offset:120
	scratch_store_dword off, v0, off offset:4 ; 4-byte Folded Spill
.LBB60_233:
	s_or_b64 exec, exec, s[0:1]
	s_waitcnt lgkmcnt(0)
	s_barrier
	scratch_load_dword v0, off, off offset:4 ; 4-byte Folded Reload
	s_waitcnt vmcnt(0)
	v_cmp_lt_i32_e32 vcc, 13, v0
	s_and_saveexec_b64 s[0:1], vcc
	s_cbranch_execz .LBB60_235
; %bb.234:
	ds_read2_b32 v[0:1], v255 offset0:14 offset1:15
	ds_read2_b32 v[2:3], v255 offset0:16 offset1:17
	;; [unrolled: 1-line block ×3, first 2 shown]
	v_mul_f32_e32 v26, v13, v28
	ds_read2_b32 v[6:7], v255 offset0:20 offset1:21
	scratch_load_dwordx4 v[28:31], off, off offset:8 ; 16-byte Folded Reload
	scratch_load_dwordx4 v[32:35], off, off offset:24 ; 16-byte Folded Reload
	;; [unrolled: 1-line block ×8, first 2 shown]
	v_mov_b32_e32 v27, v255
	v_mov_b32_e32 v13, v26
	s_movk_i32 s2, 0x111c
	s_waitcnt vmcnt(0)
	v_mov_b64_e32 v[28:29], v[42:43]
	v_mov_b64_e32 v[30:31], v[44:45]
	;; [unrolled: 1-line block ×3, first 2 shown]
	s_waitcnt lgkmcnt(3)
	v_pk_fma_f32 v[14:15], v[26:27], v[0:1], v[28:29] op_sel_hi:[0,1,1] neg_lo:[1,0,0] neg_hi:[1,0,0]
	s_waitcnt lgkmcnt(2)
	v_pk_fma_f32 v[16:17], v[26:27], v[2:3], v[30:31] op_sel_hi:[0,1,1] neg_lo:[1,0,0] neg_hi:[1,0,0]
	;; [unrolled: 2-line block ×3, first 2 shown]
	ds_read2_b32 v[0:1], v255 offset0:22 offset1:23
	ds_read2_b32 v[2:3], v255 offset0:24 offset1:25
	;; [unrolled: 1-line block ×4, first 2 shown]
	scratch_load_dwordx4 v[126:129], off, off offset:3348 ; 16-byte Folded Reload
	scratch_load_dwordx4 v[130:133], off, off offset:3364 ; 16-byte Folded Reload
	;; [unrolled: 1-line block ×8, first 2 shown]
	v_mov_b64_e32 v[34:35], v[48:49]
	v_mov_b64_e32 v[36:37], v[50:51]
	;; [unrolled: 1-line block ×5, first 2 shown]
	s_waitcnt lgkmcnt(4)
	v_pk_fma_f32 v[172:173], v[26:27], v[6:7], v[34:35] op_sel_hi:[0,1,1] neg_lo:[1,0,0] neg_hi:[1,0,0]
	s_waitcnt lgkmcnt(3)
	v_pk_fma_f32 v[204:205], v[26:27], v[0:1], v[36:37] op_sel_hi:[0,1,1] neg_lo:[1,0,0] neg_hi:[1,0,0]
	s_waitcnt lgkmcnt(2)
	v_pk_fma_f32 v[24:25], v[26:27], v[2:3], v[38:39] op_sel_hi:[0,1,1] neg_lo:[1,0,0] neg_hi:[1,0,0]
	s_waitcnt lgkmcnt(1)
	v_pk_fma_f32 v[76:77], v[26:27], v[4:5], v[40:41] op_sel_hi:[0,1,1] neg_lo:[1,0,0] neg_hi:[1,0,0]
	s_waitcnt lgkmcnt(0)
	v_pk_fma_f32 v[78:79], v[26:27], v[8:9], v[42:43] op_sel_hi:[0,1,1] neg_lo:[1,0,0] neg_hi:[1,0,0]
	s_waitcnt vmcnt(4)
	v_mov_b32_e32 v139, v26
	v_mov_b32_e32 v70, v172
	;; [unrolled: 1-line block ×20, first 2 shown]
	v_mov_b64_e32 v[116:117], v[14:15]
	v_mov_b64_e32 v[114:115], v[12:13]
	;; [unrolled: 1-line block ×8, first 2 shown]
	scratch_store_dwordx4 off, v[0:3], off offset:3864 ; 16-byte Folded Spill
	s_nop 0
	scratch_store_dwordx4 off, v[4:7], off offset:3880 ; 16-byte Folded Spill
	scratch_store_dwordx4 off, v[8:11], off offset:3896 ; 16-byte Folded Spill
	scratch_store_dwordx4 off, v[12:15], off offset:3912 ; 16-byte Folded Spill
	scratch_store_dwordx4 off, v[16:19], off offset:3928 ; 16-byte Folded Spill
	scratch_store_dwordx4 off, v[20:23], off offset:3944 ; 16-byte Folded Spill
	scratch_store_dwordx4 off, v[24:27], off offset:3960 ; 16-byte Folded Spill
	scratch_store_dwordx4 off, v[28:31], off offset:3976 ; 16-byte Folded Spill
	v_mov_b32_e32 v50, v126
	v_mov_b32_e32 v51, v127
	;; [unrolled: 1-line block ×15, first 2 shown]
	s_waitcnt vmcnt(9)
	v_mov_b32_e32 v152, v126
	v_mov_b32_e32 v153, v127
	s_waitcnt vmcnt(8)
	v_mov_b32_e32 v154, v128
	v_mov_b32_e32 v155, v129
	;; [unrolled: 1-line block ×31, first 2 shown]
	v_mov_b64_e32 v[94:95], v[14:15]
	v_mov_b64_e32 v[92:93], v[12:13]
	;; [unrolled: 1-line block ×9, first 2 shown]
	scratch_store_dwordx4 off, v[0:3], off offset:3476 ; 16-byte Folded Spill
	s_nop 0
	scratch_store_dwordx4 off, v[4:7], off offset:3492 ; 16-byte Folded Spill
	scratch_store_dwordx4 off, v[8:11], off offset:3508 ; 16-byte Folded Spill
	scratch_store_dwordx4 off, v[12:15], off offset:3524 ; 16-byte Folded Spill
	scratch_store_dwordx4 off, v[16:19], off offset:3540 ; 16-byte Folded Spill
	scratch_store_dwordx4 off, v[20:23], off offset:3556 ; 16-byte Folded Spill
	scratch_store_dwordx4 off, v[24:27], off offset:3572 ; 16-byte Folded Spill
	scratch_store_dwordx4 off, v[28:31], off offset:3588 ; 16-byte Folded Spill
	v_mov_b32_e32 v66, v96
	v_mov_b32_e32 v67, v97
	;; [unrolled: 1-line block ×16, first 2 shown]
	v_mov_b64_e32 v[42:43], v[14:15]
	v_mov_b64_e32 v[30:31], v[2:3]
	;; [unrolled: 1-line block ×10, first 2 shown]
	scratch_store_dwordx4 off, v[0:3], off offset:2964 ; 16-byte Folded Spill
	s_nop 0
	scratch_store_dwordx4 off, v[4:7], off offset:2980 ; 16-byte Folded Spill
	scratch_store_dwordx4 off, v[8:11], off offset:2996 ; 16-byte Folded Spill
	;; [unrolled: 1-line block ×7, first 2 shown]
	v_mov_b32_e32 v20, v172
	v_mov_b32_e32 v21, v173
	;; [unrolled: 1-line block ×9, first 2 shown]
	scratch_store_dwordx4 off, v[0:3], off offset:2704 ; 16-byte Folded Spill
	s_nop 0
	scratch_store_dwordx4 off, v[4:7], off offset:2720 ; 16-byte Folded Spill
	scratch_store_dwordx4 off, v[8:11], off offset:2736 ; 16-byte Folded Spill
	;; [unrolled: 1-line block ×7, first 2 shown]
	v_mov_b32_e32 v22, v204
	v_mov_b32_e32 v23, v205
	;; [unrolled: 1-line block ×3, first 2 shown]
	scratch_store_dwordx4 off, v[0:3], off offset:2576 ; 16-byte Folded Spill
	s_nop 0
	scratch_store_dwordx4 off, v[4:7], off offset:2592 ; 16-byte Folded Spill
	scratch_store_dwordx4 off, v[8:11], off offset:2608 ; 16-byte Folded Spill
	;; [unrolled: 1-line block ×7, first 2 shown]
	v_mov_b64_e32 v[220:221], v[14:15]
	v_mov_b64_e32 v[230:231], v[24:25]
	;; [unrolled: 1-line block ×13, first 2 shown]
	scratch_store_dwordx4 off, v[0:3], off offset:2320 ; 16-byte Folded Spill
	s_nop 0
	scratch_store_dwordx4 off, v[4:7], off offset:2336 ; 16-byte Folded Spill
	scratch_store_dwordx4 off, v[8:11], off offset:2352 ; 16-byte Folded Spill
	;; [unrolled: 1-line block ×7, first 2 shown]
	v_mov_b32_e32 v74, v230
	v_mov_b32_e32 v75, v231
	;; [unrolled: 1-line block ×3, first 2 shown]
	scratch_store_dwordx4 off, v[50:53], off offset:272 ; 16-byte Folded Spill
	s_nop 0
	scratch_store_dwordx4 off, v[54:57], off offset:288 ; 16-byte Folded Spill
	scratch_store_dwordx4 off, v[58:61], off offset:304 ; 16-byte Folded Spill
	;; [unrolled: 1-line block ×7, first 2 shown]
	scratch_load_dwordx2 v[28:29], off, off offset:136 ; 8-byte Folded Reload
	ds_read_b32 v27, v255 offset:120
	v_mov_b64_e32 v[48:49], v[18:19]
	v_mov_b64_e32 v[44:45], v[14:15]
	;; [unrolled: 1-line block ×10, first 2 shown]
	v_mov_b32_e32 v101, v26
	scratch_store_dwordx4 off, v[30:33], off offset:1040 ; 16-byte Folded Spill
	s_nop 0
	scratch_store_dwordx4 off, v[34:37], off offset:1056 ; 16-byte Folded Spill
	scratch_store_dwordx4 off, v[38:41], off offset:1072 ; 16-byte Folded Spill
	;; [unrolled: 1-line block ×7, first 2 shown]
	v_mov_b32_e32 v252, v78
	s_waitcnt vmcnt(8) lgkmcnt(0)
	v_fma_f32 v118, -v26, v27, v29
	scratch_load_dwordx4 v[26:29], off, off offset:272 ; 16-byte Folded Reload
	scratch_load_dwordx4 v[30:33], off, off offset:288 ; 16-byte Folded Reload
	;; [unrolled: 1-line block ×8, first 2 shown]
	s_waitcnt vmcnt(0)
	v_mov_b32_e32 v56, v132
	v_mov_b32_e32 v57, v133
	v_mov_b64_e32 v[54:55], v[52:53]
	v_mov_b64_e32 v[52:53], v[50:51]
	;; [unrolled: 1-line block ×14, first 2 shown]
	v_mov_b32_e32 v26, v54
	v_mov_b32_e32 v27, v55
	scratch_store_dwordx4 off, v[0:3], off offset:2064 ; 16-byte Folded Spill
	s_nop 0
	scratch_store_dwordx4 off, v[4:7], off offset:2080 ; 16-byte Folded Spill
	scratch_store_dwordx4 off, v[8:11], off offset:2096 ; 16-byte Folded Spill
	scratch_store_dwordx4 off, v[12:15], off offset:2112 ; 16-byte Folded Spill
	scratch_store_dwordx4 off, v[16:19], off offset:2128 ; 16-byte Folded Spill
	scratch_store_dwordx4 off, v[20:23], off offset:2144 ; 16-byte Folded Spill
	scratch_store_dwordx4 off, v[24:27], off offset:2160 ; 16-byte Folded Spill
	scratch_store_dwordx4 off, v[28:31], off offset:2176 ; 16-byte Folded Spill
	scratch_load_dwordx4 v[18:21], off, off offset:1040 ; 16-byte Folded Reload
	s_nop 0
	scratch_load_dwordx4 v[22:25], off, off offset:1056 ; 16-byte Folded Reload
	scratch_load_dwordx4 v[26:29], off, off offset:1072 ; 16-byte Folded Reload
	;; [unrolled: 1-line block ×7, first 2 shown]
	v_mov_b32_e32 v50, v126
	v_mov_b32_e32 v51, v127
	;; [unrolled: 1-line block ×6, first 2 shown]
	s_waitcnt vmcnt(3)
	v_mov_b32_e32 v68, v36
	v_mov_b32_e32 v69, v37
	scratch_load_dwordx4 v[18:21], off, off offset:272 ; 16-byte Folded Reload
	scratch_load_dwordx4 v[22:25], off, off offset:288 ; 16-byte Folded Reload
	;; [unrolled: 1-line block ×8, first 2 shown]
	s_nop 0
	scratch_store_dwordx4 off, v[102:105], off offset:1936 ; 16-byte Folded Spill
	s_nop 0
	scratch_store_dwordx4 off, v[106:109], off offset:1952 ; 16-byte Folded Spill
	scratch_store_dwordx4 off, v[110:113], off offset:1968 ; 16-byte Folded Spill
	;; [unrolled: 1-line block ×7, first 2 shown]
	v_mov_b32_e32 v104, v16
	v_mov_b32_e32 v105, v17
	;; [unrolled: 1-line block ×3, first 2 shown]
	scratch_store_dwordx4 off, v[0:3], off offset:2192 ; 16-byte Folded Spill
	s_nop 0
	scratch_store_dwordx4 off, v[4:7], off offset:2208 ; 16-byte Folded Spill
	scratch_store_dwordx4 off, v[8:11], off offset:2224 ; 16-byte Folded Spill
	;; [unrolled: 1-line block ×3, first 2 shown]
	s_waitcnt vmcnt(19)
	scratch_store_dwordx4 off, v[16:19], off offset:2256 ; 16-byte Folded Spill
	s_waitcnt vmcnt(19)
	scratch_store_dwordx4 off, v[20:23], off offset:2272 ; 16-byte Folded Spill
	;; [unrolled: 2-line block ×4, first 2 shown]
	scratch_load_dwordx4 v[0:3], off, off offset:1040 ; 16-byte Folded Reload
	s_nop 0
	scratch_load_dwordx4 v[4:7], off, off offset:1056 ; 16-byte Folded Reload
	scratch_load_dwordx4 v[8:11], off, off offset:1072 ; 16-byte Folded Reload
	;; [unrolled: 1-line block ×7, first 2 shown]
	v_mov_b32_e32 v113, v231
	scratch_store_dwordx4 off, v[206:209], off offset:528 ; 16-byte Folded Spill
	s_nop 0
	scratch_store_dwordx4 off, v[210:213], off offset:544 ; 16-byte Folded Spill
	scratch_store_dwordx4 off, v[214:217], off offset:560 ; 16-byte Folded Spill
	;; [unrolled: 1-line block ×7, first 2 shown]
	scratch_load_dwordx4 v[206:209], off, off offset:272 ; 16-byte Folded Reload
	s_nop 0
	scratch_load_dwordx4 v[210:213], off, off offset:288 ; 16-byte Folded Reload
	scratch_load_dwordx4 v[214:217], off, off offset:304 ; 16-byte Folded Reload
	;; [unrolled: 1-line block ×7, first 2 shown]
	s_waitcnt vmcnt(17)
	v_mov_b32_e32 v26, v79
	v_mov_b32_e32 v27, v118
	scratch_store_dwordx4 off, v[126:129], s2 ; 16-byte Folded Spill
	s_nop 0
	scratch_store_dwordx4 off, v[130:133], s2 offset:16 ; 16-byte Folded Spill
	scratch_store_dwordx4 off, v[134:137], s2 offset:32 ; 16-byte Folded Spill
	;; [unrolled: 1-line block ×7, first 2 shown]
	scratch_store_dwordx2 off, v[26:27], off offset:136 ; 8-byte Folded Spill
	v_mov_b32_e32 v76, v44
	v_mov_b32_e32 v77, v45
	;; [unrolled: 1-line block ×10, first 2 shown]
	s_waitcnt vmcnt(25)
	v_mov_b64_e32 v[44:45], v[14:15]
	v_mov_b64_e32 v[48:49], v[18:19]
	;; [unrolled: 1-line block ×6, first 2 shown]
	s_waitcnt vmcnt(10)
	v_mov_b32_e32 v114, v232
	v_mov_b32_e32 v115, v233
	scratch_load_dwordx4 v[206:209], off, off offset:1936 ; 16-byte Folded Reload
	scratch_load_dwordx4 v[210:213], off, off offset:1952 ; 16-byte Folded Reload
	scratch_load_dwordx4 v[214:217], off, off offset:1968 ; 16-byte Folded Reload
	scratch_load_dwordx4 v[218:221], off, off offset:1984 ; 16-byte Folded Reload
	scratch_load_dwordx4 v[222:225], off, off offset:2000 ; 16-byte Folded Reload
	scratch_load_dwordx4 v[226:229], off, off offset:2016 ; 16-byte Folded Reload
	scratch_load_dwordx4 v[230:233], off, off offset:2032 ; 16-byte Folded Reload
	scratch_load_dwordx4 v[234:237], off, off offset:2048 ; 16-byte Folded Reload
	v_mov_b64_e32 v[38:39], v[8:9]
	v_mov_b64_e32 v[36:37], v[6:7]
	;; [unrolled: 1-line block ×4, first 2 shown]
	v_mov_b32_e32 v106, v48
	v_mov_b32_e32 v107, v49
	s_waitcnt vmcnt(4)
	v_mov_b32_e32 v26, v220
	scratch_store_dwordx4 off, v[206:209], off offset:1424 ; 16-byte Folded Spill
	s_nop 0
	scratch_store_dwordx4 off, v[210:213], off offset:1440 ; 16-byte Folded Spill
	scratch_store_dwordx4 off, v[214:217], off offset:1456 ; 16-byte Folded Spill
	;; [unrolled: 1-line block ×3, first 2 shown]
	s_waitcnt vmcnt(7)
	scratch_store_dwordx4 off, v[222:225], off offset:1488 ; 16-byte Folded Spill
	s_waitcnt vmcnt(7)
	scratch_store_dwordx4 off, v[226:229], off offset:1504 ; 16-byte Folded Spill
	;; [unrolled: 2-line block ×4, first 2 shown]
	scratch_load_dwordx4 v[120:123], off, off offset:2192 ; 16-byte Folded Reload
	scratch_load_dwordx4 v[124:127], off, off offset:2208 ; 16-byte Folded Reload
	;; [unrolled: 1-line block ×8, first 2 shown]
	s_waitcnt vmcnt(1)
	v_mov_b32_e32 v142, v168
	v_mov_b32_e32 v143, v169
	;; [unrolled: 1-line block ×6, first 2 shown]
	scratch_store_dwordx4 off, v[0:3], off offset:784 ; 16-byte Folded Spill
	s_nop 0
	scratch_store_dwordx4 off, v[4:7], off offset:800 ; 16-byte Folded Spill
	scratch_store_dwordx4 off, v[8:11], off offset:816 ; 16-byte Folded Spill
	;; [unrolled: 1-line block ×7, first 2 shown]
                                        ; kill: def $vgpr0_vgpr1_vgpr2_vgpr3_vgpr4_vgpr5_vgpr6_vgpr7_vgpr8_vgpr9_vgpr10_vgpr11_vgpr12_vgpr13_vgpr14_vgpr15 killed $vgpr120_vgpr121_vgpr122_vgpr123_vgpr124_vgpr125_vgpr126_vgpr127_vgpr128_vgpr129_vgpr130_vgpr131_vgpr132_vgpr133_vgpr134_vgpr135 killed $exec
	v_mov_b32_e32 v17, v137
	v_mov_b64_e32 v[126:127], v[152:153]
	v_mov_b64_e32 v[128:129], v[154:155]
	;; [unrolled: 1-line block ×8, first 2 shown]
	scratch_store_dwordx4 off, v[126:129], off offset:912 ; 16-byte Folded Spill
	s_nop 0
	scratch_store_dwordx4 off, v[130:133], off offset:928 ; 16-byte Folded Spill
	scratch_store_dwordx4 off, v[134:137], off offset:944 ; 16-byte Folded Spill
	;; [unrolled: 1-line block ×4, first 2 shown]
	s_waitcnt vmcnt(13)
	scratch_store_dwordx4 off, v[146:149], off offset:992 ; 16-byte Folded Spill
	scratch_store_dwordx4 off, v[150:153], off offset:1008 ; 16-byte Folded Spill
	;; [unrolled: 1-line block ×4, first 2 shown]
	s_nop 0
	scratch_store_dwordx4 off, v[92:95], off offset:24 ; 16-byte Folded Spill
	scratch_store_dwordx4 off, v[96:99], off offset:40 ; 16-byte Folded Spill
	;; [unrolled: 1-line block ×7, first 2 shown]
	v_mov_b64_e32 v[88:89], v[182:183]
	v_mov_b32_e32 v104, v198
	v_mov_b64_e32 v[90:91], v[184:185]
	v_mov_b64_e32 v[92:93], v[186:187]
	;; [unrolled: 1-line block ×7, first 2 shown]
	v_mov_b32_e32 v105, v199
	v_mov_b32_e32 v106, v200
	;; [unrolled: 1-line block ×6, first 2 shown]
	scratch_store_dwordx4 off, v[88:91], off offset:400 ; 16-byte Folded Spill
	s_nop 0
	scratch_store_dwordx4 off, v[92:95], off offset:416 ; 16-byte Folded Spill
	scratch_store_dwordx4 off, v[96:99], off offset:432 ; 16-byte Folded Spill
	;; [unrolled: 1-line block ×7, first 2 shown]
	scratch_load_dwordx4 v[80:83], off, off offset:528 ; 16-byte Folded Reload
	s_nop 0
	scratch_load_dwordx4 v[84:87], off, off offset:544 ; 16-byte Folded Reload
	scratch_load_dwordx4 v[88:91], off, off offset:560 ; 16-byte Folded Reload
	;; [unrolled: 1-line block ×7, first 2 shown]
	v_mov_b32_e32 v18, v48
	v_mov_b32_e32 v19, v49
	;; [unrolled: 1-line block ×6, first 2 shown]
	v_mov_b64_e32 v[38:39], v[50:51]
	v_mov_b64_e32 v[40:41], v[52:53]
	;; [unrolled: 1-line block ×14, first 2 shown]
	v_mov_b32_e32 v66, v78
	s_waitcnt vmcnt(1)
	v_mov_b64_e32 v[248:249], v[104:105]
	v_mov_b32_e32 v24, v248
	scratch_store_dwordx4 off, v[0:3], off offset:656 ; 16-byte Folded Spill
	s_nop 0
	scratch_store_dwordx4 off, v[4:7], off offset:672 ; 16-byte Folded Spill
	scratch_store_dwordx4 off, v[8:11], off offset:688 ; 16-byte Folded Spill
	;; [unrolled: 1-line block ×7, first 2 shown]
	v_mov_b64_e32 v[246:247], v[102:103]
	v_mov_b64_e32 v[244:245], v[100:101]
	;; [unrolled: 1-line block ×4, first 2 shown]
	scratch_load_dwordx4 v[80:83], off, off offset:272 ; 16-byte Folded Reload
	scratch_load_dwordx4 v[84:87], off, off offset:288 ; 16-byte Folded Reload
	;; [unrolled: 1-line block ×8, first 2 shown]
	v_mov_b32_e32 v223, v249
	v_mov_b32_e32 v14, v220
	scratch_store_dwordx4 off, v[38:41], off offset:1168 ; 16-byte Folded Spill
	s_nop 0
	scratch_store_dwordx4 off, v[42:45], off offset:1184 ; 16-byte Folded Spill
	scratch_store_dwordx4 off, v[46:49], off offset:1200 ; 16-byte Folded Spill
	;; [unrolled: 1-line block ×7, first 2 shown]
	s_waitcnt vmcnt(9)
	v_mov_b32_e32 v32, v106
	v_mov_b32_e32 v207, v107
.LBB60_235:
	s_or_b64 exec, exec, s[0:1]
	s_barrier
	scratch_load_dword v0, off, off offset:4 ; 4-byte Folded Reload
	v_mov_b32_e32 v1, v255
	s_cmp_lt_i32 s22, 16
	s_waitcnt vmcnt(0)
	v_lshl_add_u32 v26, v0, 2, v1
	ds_write_b32 v26, v14
	s_waitcnt lgkmcnt(0)
	s_barrier
	ds_read_b32 v28, v255 offset:56
	v_mov_b32_e32 v26, 14
	s_cbranch_scc1 .LBB60_534
; %bb.236:
	s_movk_i32 s0, 0x1018
	scratch_load_dword v0, off, s0          ; 4-byte Folded Reload
	scratch_load_dwordx4 v[38:41], off, off offset:1424 ; 16-byte Folded Reload
	scratch_load_dwordx4 v[42:45], off, off offset:1440 ; 16-byte Folded Reload
	;; [unrolled: 1-line block ×8, first 2 shown]
	v_mov_b32_e32 v26, 14
	s_mov_b32 s0, 15
	v_mov_b32_e32 v147, v21
	s_waitcnt vmcnt(4)
	v_mov_b32_e32 v15, v53
	v_add3_u32 v27, v0, 0, 60
.LBB60_237:                             ; =>This Inner Loop Header: Depth=1
	ds_read_b32 v29, v27
	v_add_u32_e32 v27, 4, v27
	s_waitcnt lgkmcnt(0)
	v_cmp_lt_f32_e64 vcc, |v28|, |v29|
	s_nop 1
	v_cndmask_b32_e32 v28, v28, v29, vcc
	v_mov_b32_e32 v29, s0
	s_add_i32 s0, s0, 1
	v_cndmask_b32_e32 v26, v26, v29, vcc
	s_cmp_lg_u32 s22, s0
	s_cbranch_scc1 .LBB60_237
; %bb.238:
	v_cmp_eq_f32_e32 vcc, 0, v28
	s_and_saveexec_b64 s[0:1], vcc
	s_xor_b64 s[0:1], exec, s[0:1]
	s_cbranch_execz .LBB60_240
.LBB60_239:
	scratch_load_dword v0, off, off offset:144 ; 4-byte Folded Reload
	s_waitcnt vmcnt(0)
	v_cmp_ne_u32_e32 vcc, 0, v0
	s_nop 1
	v_cndmask_b32_e32 v0, 15, v0, vcc
	scratch_store_dword off, v0, off offset:144 ; 4-byte Folded Spill
.LBB60_240:
	s_andn2_saveexec_b64 s[0:1], s[0:1]
	s_cbranch_execz .LBB60_242
; %bb.241:
	v_div_scale_f32 v27, s[2:3], v28, v28, 1.0
	v_rcp_f32_e32 v29, v27
	v_div_scale_f32 v30, vcc, 1.0, v28, 1.0
	v_fma_f32 v31, -v27, v29, 1.0
	v_fmac_f32_e32 v29, v31, v29
	v_mul_f32_e32 v31, v30, v29
	s_waitcnt vmcnt(2)
	v_fma_f32 v60, -v27, v31, v30
	v_fmac_f32_e32 v31, v60, v29
	v_fma_f32 v27, -v27, v31, v30
	v_div_fmas_f32 v27, v27, v29, v31
	v_div_fixup_f32 v28, v27, v28, 1.0
.LBB60_242:
	s_or_b64 exec, exec, s[0:1]
	scratch_load_dword v0, off, off offset:4 ; 4-byte Folded Reload
	s_waitcnt vmcnt(0)
	v_cmp_ne_u32_e32 vcc, v0, v26
	s_and_saveexec_b64 s[0:1], vcc
	s_xor_b64 s[0:1], exec, s[0:1]
	s_cbranch_execz .LBB60_248
; %bb.243:
	scratch_load_dword v0, off, off offset:4 ; 4-byte Folded Reload
	s_waitcnt vmcnt(0)
	v_cmp_eq_u32_e32 vcc, 14, v0
	s_and_saveexec_b64 s[2:3], vcc
	s_cbranch_execz .LBB60_247
; %bb.244:
	v_cmp_ne_u32_e32 vcc, 14, v26
	s_xor_b64 s[12:13], s[20:21], -1
	s_and_b64 s[14:15], s[12:13], vcc
	s_and_saveexec_b64 s[12:13], s[14:15]
	s_cbranch_execz .LBB60_246
; %bb.245:
	s_movk_i32 s14, 0x159c
	scratch_load_dwordx2 v[60:61], off, s14 ; 8-byte Folded Reload
	v_ashrrev_i32_e32 v27, 31, v26
	s_waitcnt vmcnt(0)
	v_lshl_add_u64 v[30:31], v[26:27], 2, v[60:61]
	global_load_dword v27, v[30:31], off
	global_load_dword v29, v[60:61], off offset:56
	s_waitcnt vmcnt(1)
	global_store_dword v[60:61], v27, off offset:56
	s_waitcnt vmcnt(1)
	global_store_dword v[30:31], v29, off
.LBB60_246:
	s_or_b64 exec, exec, s[12:13]
	v_mov_b32_e32 v27, v26
	v_mov_b32_e32 v0, v26
	scratch_store_dword off, v27, off offset:3860 ; 4-byte Folded Spill
	scratch_store_dword off, v0, off offset:4 ; 4-byte Folded Spill
.LBB60_247:
	s_or_b64 exec, exec, s[2:3]
.LBB60_248:
	s_andn2_saveexec_b64 s[0:1], s[0:1]
	s_cbranch_execz .LBB60_250
; %bb.249:
	scratch_load_dwordx4 v[36:39], off, off offset:8 ; 16-byte Folded Reload
	scratch_load_dwordx4 v[40:43], off, off offset:24 ; 16-byte Folded Reload
	scratch_load_dwordx4 v[44:47], off, off offset:40 ; 16-byte Folded Reload
	scratch_load_dwordx4 v[48:51], off, off offset:56 ; 16-byte Folded Reload
	scratch_load_dwordx4 v[52:55], off, off offset:72 ; 16-byte Folded Reload
	scratch_load_dwordx4 v[56:59], off, off offset:88 ; 16-byte Folded Reload
	scratch_load_dwordx4 v[60:63], off, off offset:104 ; 16-byte Folded Reload
	scratch_load_dwordx4 v[64:67], off, off offset:120 ; 16-byte Folded Reload
	v_mov_b32_e32 v0, 14
	s_waitcnt vmcnt(3)
	ds_write2_b32 v255, v51, v52 offset0:15 offset1:16
	ds_write2_b32 v255, v53, v54 offset0:17 offset1:18
	s_waitcnt vmcnt(2)
	ds_write2_b32 v255, v55, v56 offset0:19 offset1:20
	ds_write2_b32 v255, v57, v58 offset0:21 offset1:22
	;; [unrolled: 3-line block ×4, first 2 shown]
	scratch_store_dword off, v0, off offset:4 ; 4-byte Folded Spill
.LBB60_250:
	s_or_b64 exec, exec, s[0:1]
	s_waitcnt lgkmcnt(0)
	s_barrier
	scratch_load_dword v0, off, off offset:4 ; 4-byte Folded Reload
	s_waitcnt vmcnt(0)
	v_cmp_lt_i32_e32 vcc, 14, v0
	s_and_saveexec_b64 s[0:1], vcc
	s_cbranch_execz .LBB60_252
; %bb.251:
	s_movk_i32 s2, 0x111c
	scratch_load_dwordx4 v[64:67], off, s2  ; 16-byte Folded Reload
	scratch_load_dwordx4 v[68:71], off, s2 offset:16 ; 16-byte Folded Reload
	scratch_load_dwordx4 v[72:75], off, s2 offset:32 ; 16-byte Folded Reload
	;; [unrolled: 1-line block ×7, first 2 shown]
	s_waitcnt vmcnt(4)
	v_mul_f32_e32 v78, v14, v28
	ds_read2_b32 v[0:1], v255 offset0:15 offset1:16
	scratch_load_dwordx4 v[12:15], off, off offset:8 ; 16-byte Folded Reload
	scratch_load_dwordx4 v[16:19], off, off offset:24 ; 16-byte Folded Reload
	;; [unrolled: 1-line block ×8, first 2 shown]
	ds_read2_b32 v[4:5], v255 offset0:17 offset1:18
	ds_read2_b32 v[6:7], v255 offset0:19 offset1:20
	;; [unrolled: 1-line block ×3, first 2 shown]
	s_waitcnt vmcnt(7)
	v_mov_b32_e32 v14, v78
	v_mov_b32_e32 v254, v255
	v_mov_b32_e32 v238, v78
	v_mov_b32_e32 v46, v78
	v_mov_b32_e32 v108, v78
	v_mov_b32_e32 v206, v78
	v_mov_b32_e32 v224, v64
	v_mov_b32_e32 v225, v65
	v_mov_b32_e32 v10, v74
	v_mov_b32_e32 v11, v75
	v_mov_b32_e32 v12, v76
	v_mov_b32_e32 v13, v77
	s_waitcnt vmcnt(4)
	v_mov_b32_e32 v2, v27
	s_waitcnt vmcnt(3)
	v_mov_b32_e32 v3, v28
	s_waitcnt lgkmcnt(3)
	v_pk_fma_f32 v[26:27], v[78:79], v[0:1], v[2:3] op_sel_hi:[0,1,1] neg_lo:[1,0,0] neg_hi:[1,0,0]
	v_mov_b32_e32 v0, v29
	v_mov_b32_e32 v1, v30
	s_waitcnt lgkmcnt(2)
	v_pk_fma_f32 v[28:29], v[78:79], v[4:5], v[0:1] op_sel_hi:[0,1,1] neg_lo:[1,0,0] neg_hi:[1,0,0]
	v_mov_b32_e32 v0, v31
	s_waitcnt vmcnt(2)
	v_mov_b32_e32 v1, v32
	s_waitcnt lgkmcnt(1)
	v_pk_fma_f32 v[30:31], v[78:79], v[6:7], v[0:1] op_sel_hi:[0,1,1] neg_lo:[1,0,0] neg_hi:[1,0,0]
	v_mov_b32_e32 v0, v33
	v_mov_b32_e32 v1, v34
	s_waitcnt lgkmcnt(0)
	v_pk_fma_f32 v[60:61], v[78:79], v[8:9], v[0:1] op_sel_hi:[0,1,1] neg_lo:[1,0,0] neg_hi:[1,0,0]
	ds_read2_b32 v[0:1], v255 offset0:23 offset1:24
	ds_read2_b32 v[4:5], v255 offset0:25 offset1:26
	ds_read2_b32 v[6:7], v255 offset0:27 offset1:28
	ds_read2_b32 v[8:9], v255 offset0:29 offset1:30
	v_mov_b32_e32 v2, v35
	s_waitcnt vmcnt(1)
	v_mov_b32_e32 v3, v36
	v_mov_b32_e32 v15, v26
	s_waitcnt lgkmcnt(3)
	v_pk_fma_f32 v[62:63], v[78:79], v[0:1], v[2:3] op_sel_hi:[0,1,1] neg_lo:[1,0,0] neg_hi:[1,0,0]
	v_mov_b32_e32 v0, v37
	v_mov_b32_e32 v1, v38
	s_waitcnt lgkmcnt(2)
	v_pk_fma_f32 v[88:89], v[78:79], v[4:5], v[0:1] op_sel_hi:[0,1,1] neg_lo:[1,0,0] neg_hi:[1,0,0]
	v_mov_b32_e32 v0, v39
	s_waitcnt vmcnt(0)
	v_mov_b32_e32 v1, v40
	s_waitcnt lgkmcnt(1)
	v_pk_fma_f32 v[90:91], v[78:79], v[6:7], v[0:1] op_sel_hi:[0,1,1] neg_lo:[1,0,0] neg_hi:[1,0,0]
	v_mov_b32_e32 v1, v42
	v_mov_b32_e32 v0, v41
	s_waitcnt lgkmcnt(0)
	v_pk_fma_f32 v[92:93], v[78:79], v[8:9], v[0:1] op_sel_hi:[0,1,1] neg_lo:[1,0,0] neg_hi:[1,0,0]
	v_mov_b32_e32 v0, v64
	v_mov_b32_e32 v1, v65
	;; [unrolled: 1-line block ×12, first 2 shown]
	scratch_store_dwordx4 off, v[0:3], off offset:2192 ; 16-byte Folded Spill
	s_nop 0
	scratch_store_dwordx4 off, v[4:7], off offset:2208 ; 16-byte Folded Spill
	scratch_store_dwordx4 off, v[8:11], off offset:2224 ; 16-byte Folded Spill
	;; [unrolled: 1-line block ×7, first 2 shown]
	v_mov_b32_e32 v226, v66
	v_mov_b32_e32 v227, v67
	;; [unrolled: 1-line block ×73, first 2 shown]
	scratch_store_dwordx4 off, v[0:3], off offset:3476 ; 16-byte Folded Spill
	s_nop 0
	scratch_store_dwordx4 off, v[4:7], off offset:3492 ; 16-byte Folded Spill
	scratch_store_dwordx4 off, v[8:11], off offset:3508 ; 16-byte Folded Spill
	;; [unrolled: 1-line block ×7, first 2 shown]
	v_mov_b32_e32 v220, v91
	v_mov_b32_e32 v221, v92
	;; [unrolled: 1-line block ×4, first 2 shown]
	scratch_store_dwordx4 off, v[0:3], off offset:1040 ; 16-byte Folded Spill
	s_nop 0
	scratch_store_dwordx4 off, v[4:7], off offset:1056 ; 16-byte Folded Spill
	scratch_store_dwordx4 off, v[8:11], off offset:1072 ; 16-byte Folded Spill
	scratch_store_dwordx4 off, v[12:15], off offset:1088 ; 16-byte Folded Spill
	scratch_store_dwordx4 off, v[16:19], off offset:1104 ; 16-byte Folded Spill
	scratch_store_dwordx4 off, v[20:23], off offset:1120 ; 16-byte Folded Spill
	scratch_store_dwordx4 off, v[24:27], off offset:1136 ; 16-byte Folded Spill
	scratch_store_dwordx4 off, v[28:31], off offset:1152 ; 16-byte Folded Spill
	v_mov_b32_e32 v19, v30
	scratch_store_dwordx4 off, v[0:3], off offset:2964 ; 16-byte Folded Spill
	s_nop 0
	scratch_store_dwordx4 off, v[4:7], off offset:2980 ; 16-byte Folded Spill
	scratch_store_dwordx4 off, v[8:11], off offset:2996 ; 16-byte Folded Spill
	scratch_store_dwordx4 off, v[12:15], off offset:3012 ; 16-byte Folded Spill
	scratch_store_dwordx4 off, v[16:19], off offset:3028 ; 16-byte Folded Spill
	scratch_store_dwordx4 off, v[20:23], off offset:3044 ; 16-byte Folded Spill
	scratch_store_dwordx4 off, v[24:27], off offset:3060 ; 16-byte Folded Spill
	scratch_store_dwordx4 off, v[28:31], off offset:3076 ; 16-byte Folded Spill
	v_mov_b32_e32 v20, v31
	;; [unrolled: 10-line block ×5, first 2 shown]
	scratch_store_dwordx4 off, v[0:3], off offset:2576 ; 16-byte Folded Spill
	s_nop 0
	scratch_store_dwordx4 off, v[4:7], off offset:2592 ; 16-byte Folded Spill
	scratch_store_dwordx4 off, v[8:11], off offset:2608 ; 16-byte Folded Spill
	;; [unrolled: 1-line block ×7, first 2 shown]
	s_nop 0
	v_mov_b32_e32 v24, v63
	v_mov_b32_e32 v25, v88
	;; [unrolled: 1-line block ×8, first 2 shown]
	scratch_store_dwordx4 off, v[224:227], off offset:528 ; 16-byte Folded Spill
	s_nop 0
	scratch_store_dwordx4 off, v[228:231], off offset:544 ; 16-byte Folded Spill
	scratch_store_dwordx4 off, v[232:235], off offset:560 ; 16-byte Folded Spill
	scratch_store_dwordx4 off, v[236:239], off offset:576 ; 16-byte Folded Spill
	scratch_store_dwordx4 off, v[240:243], off offset:592 ; 16-byte Folded Spill
	scratch_store_dwordx4 off, v[244:247], off offset:608 ; 16-byte Folded Spill
	scratch_store_dwordx4 off, v[248:251], off offset:624 ; 16-byte Folded Spill
	scratch_store_dwordx4 off, v[252:255], off offset:640 ; 16-byte Folded Spill
	scratch_store_dwordx4 off, v[0:3], off offset:2320 ; 16-byte Folded Spill
	s_nop 0
	scratch_store_dwordx4 off, v[4:7], off offset:2336 ; 16-byte Folded Spill
	scratch_store_dwordx4 off, v[8:11], off offset:2352 ; 16-byte Folded Spill
	;; [unrolled: 1-line block ×7, first 2 shown]
	v_mov_b32_e32 v249, v88
	v_mov_b32_e32 v250, v89
	scratch_store_dwordx4 off, v[224:227], off offset:272 ; 16-byte Folded Spill
	s_nop 0
	scratch_store_dwordx4 off, v[228:231], off offset:288 ; 16-byte Folded Spill
	scratch_store_dwordx4 off, v[232:235], off offset:304 ; 16-byte Folded Spill
	;; [unrolled: 1-line block ×7, first 2 shown]
	v_mov_b32_e32 v47, v26
	v_mov_b32_e32 v48, v27
	;; [unrolled: 1-line block ×6, first 2 shown]
	scratch_store_dwordx4 off, v[32:35], off offset:2064 ; 16-byte Folded Spill
	s_nop 0
	scratch_store_dwordx4 off, v[36:39], off offset:2080 ; 16-byte Folded Spill
	scratch_store_dwordx4 off, v[40:43], off offset:2096 ; 16-byte Folded Spill
	;; [unrolled: 1-line block ×7, first 2 shown]
	v_mov_b32_e32 v109, v26
	v_mov_b32_e32 v110, v27
	;; [unrolled: 1-line block ×16, first 2 shown]
	scratch_store_dwordx4 off, v[94:97], off offset:1168 ; 16-byte Folded Spill
	s_nop 0
	scratch_store_dwordx4 off, v[98:101], off offset:1184 ; 16-byte Folded Spill
	scratch_store_dwordx4 off, v[102:105], off offset:1200 ; 16-byte Folded Spill
	;; [unrolled: 1-line block ×7, first 2 shown]
	scratch_store_dwordx2 off, v[92:93], off offset:136 ; 8-byte Folded Spill
	v_mov_b32_e32 v213, v60
	v_mov_b32_e32 v214, v61
	;; [unrolled: 1-line block ×4, first 2 shown]
	scratch_store_dwordx4 off, v[192:195], off offset:8 ; 16-byte Folded Spill
	s_nop 0
	scratch_store_dwordx4 off, v[196:199], off offset:24 ; 16-byte Folded Spill
	scratch_store_dwordx4 off, v[200:203], off offset:40 ; 16-byte Folded Spill
	;; [unrolled: 1-line block ×7, first 2 shown]
	scratch_load_dword v255, off, off offset:2960 ; 4-byte Folded Reload
	v_mov_b32_e32 v147, v60
	scratch_store_dwordx4 off, v[64:67], off offset:3864 ; 16-byte Folded Spill
	s_nop 0
	scratch_store_dwordx4 off, v[68:71], off offset:3880 ; 16-byte Folded Spill
	scratch_store_dwordx4 off, v[72:75], off offset:3896 ; 16-byte Folded Spill
	scratch_store_dwordx4 off, v[76:79], off offset:3912 ; 16-byte Folded Spill
	scratch_store_dwordx4 off, v[80:83], off offset:3928 ; 16-byte Folded Spill
	scratch_store_dwordx4 off, v[84:87], off offset:3944 ; 16-byte Folded Spill
	scratch_store_dwordx4 off, v[88:91], off offset:3960 ; 16-byte Folded Spill
	scratch_store_dwordx4 off, v[92:95], off offset:3976 ; 16-byte Folded Spill
	scratch_store_dwordx4 off, v[64:67], off offset:1936 ; 16-byte Folded Spill
	s_nop 0
	scratch_store_dwordx4 off, v[68:71], off offset:1952 ; 16-byte Folded Spill
	scratch_store_dwordx4 off, v[72:75], off offset:1968 ; 16-byte Folded Spill
	scratch_store_dwordx4 off, v[76:79], off offset:1984 ; 16-byte Folded Spill
	scratch_store_dwordx4 off, v[80:83], off offset:2000 ; 16-byte Folded Spill
	scratch_store_dwordx4 off, v[84:87], off offset:2016 ; 16-byte Folded Spill
	scratch_store_dwordx4 off, v[88:91], off offset:2032 ; 16-byte Folded Spill
	scratch_store_dwordx4 off, v[92:95], off offset:2048 ; 16-byte Folded Spill
	;; [unrolled: 9-line block ×4, first 2 shown]
	v_mov_b32_e32 v223, v88
	v_mov_b32_e32 v32, v89
	;; [unrolled: 1-line block ×4, first 2 shown]
.LBB60_252:
	s_or_b64 exec, exec, s[0:1]
	s_waitcnt vmcnt(63) expcnt(7) lgkmcnt(15)
	s_barrier
	scratch_load_dword v0, off, off offset:4 ; 4-byte Folded Reload
	s_waitcnt vmcnt(33)
	v_mov_b32_e32 v1, v255
	s_cmp_lt_i32 s22, 17
	s_waitcnt vmcnt(0)
	v_lshl_add_u32 v26, v0, 2, v1
	ds_write_b32 v26, v15
	s_waitcnt lgkmcnt(0)
	s_barrier
	ds_read_b32 v28, v255 offset:60
	v_mov_b32_e32 v26, 15
	s_cbranch_scc1 .LBB60_535
; %bb.253:
	s_movk_i32 s0, 0x1018
	scratch_load_dword v0, off, s0          ; 4-byte Folded Reload
	scratch_load_dwordx4 v[38:41], off, off offset:784 ; 16-byte Folded Reload
	scratch_load_dwordx4 v[42:45], off, off offset:800 ; 16-byte Folded Reload
	;; [unrolled: 1-line block ×8, first 2 shown]
	v_mov_b32_e32 v26, 15
	s_mov_b32 s0, 16
	s_waitcnt vmcnt(3)
	v_mov_b32_e32 v16, v54
	v_add3_u32 v27, v0, 0, 64
.LBB60_254:                             ; =>This Inner Loop Header: Depth=1
	ds_read_b32 v29, v27
	v_add_u32_e32 v27, 4, v27
	s_waitcnt lgkmcnt(0)
	v_cmp_lt_f32_e64 vcc, |v28|, |v29|
	s_nop 1
	v_cndmask_b32_e32 v28, v28, v29, vcc
	v_mov_b32_e32 v29, s0
	s_add_i32 s0, s0, 1
	v_cndmask_b32_e32 v26, v26, v29, vcc
	s_cmp_lg_u32 s22, s0
	s_cbranch_scc1 .LBB60_254
; %bb.255:
	v_cmp_eq_f32_e32 vcc, 0, v28
	s_and_saveexec_b64 s[0:1], vcc
	s_xor_b64 s[0:1], exec, s[0:1]
	s_cbranch_execz .LBB60_257
.LBB60_256:
	scratch_load_dword v0, off, off offset:144 ; 4-byte Folded Reload
	s_waitcnt vmcnt(0)
	v_cmp_ne_u32_e32 vcc, 0, v0
	s_nop 1
	v_cndmask_b32_e32 v0, 16, v0, vcc
	scratch_store_dword off, v0, off offset:144 ; 4-byte Folded Spill
.LBB60_257:
	s_andn2_saveexec_b64 s[0:1], s[0:1]
	s_cbranch_execz .LBB60_259
; %bb.258:
	v_div_scale_f32 v27, s[2:3], v28, v28, 1.0
	v_rcp_f32_e32 v29, v27
	v_div_scale_f32 v30, vcc, 1.0, v28, 1.0
	v_fma_f32 v31, -v27, v29, 1.0
	v_fmac_f32_e32 v29, v31, v29
	v_mul_f32_e32 v31, v30, v29
	s_waitcnt vmcnt(2)
	v_fma_f32 v60, -v27, v31, v30
	v_fmac_f32_e32 v31, v60, v29
	v_fma_f32 v27, -v27, v31, v30
	v_div_fmas_f32 v27, v27, v29, v31
	v_div_fixup_f32 v28, v27, v28, 1.0
.LBB60_259:
	s_or_b64 exec, exec, s[0:1]
	scratch_load_dword v0, off, off offset:4 ; 4-byte Folded Reload
	s_waitcnt vmcnt(0)
	v_cmp_ne_u32_e32 vcc, v0, v26
	s_and_saveexec_b64 s[0:1], vcc
	s_xor_b64 s[0:1], exec, s[0:1]
	s_cbranch_execz .LBB60_265
; %bb.260:
	scratch_load_dword v0, off, off offset:4 ; 4-byte Folded Reload
	s_waitcnt vmcnt(0)
	v_cmp_eq_u32_e32 vcc, 15, v0
	s_and_saveexec_b64 s[2:3], vcc
	s_cbranch_execz .LBB60_264
; %bb.261:
	v_cmp_ne_u32_e32 vcc, 15, v26
	s_xor_b64 s[12:13], s[20:21], -1
	s_and_b64 s[14:15], s[12:13], vcc
	s_and_saveexec_b64 s[12:13], s[14:15]
	s_cbranch_execz .LBB60_263
; %bb.262:
	s_movk_i32 s14, 0x159c
	scratch_load_dwordx2 v[60:61], off, s14 ; 8-byte Folded Reload
	v_ashrrev_i32_e32 v27, 31, v26
	s_waitcnt vmcnt(0)
	v_lshl_add_u64 v[30:31], v[26:27], 2, v[60:61]
	global_load_dword v27, v[30:31], off
	global_load_dword v29, v[60:61], off offset:60
	s_waitcnt vmcnt(1)
	global_store_dword v[60:61], v27, off offset:60
	s_waitcnt vmcnt(1)
	global_store_dword v[30:31], v29, off
.LBB60_263:
	s_or_b64 exec, exec, s[12:13]
	v_mov_b32_e32 v27, v26
	v_mov_b32_e32 v0, v26
	scratch_store_dword off, v27, off offset:3860 ; 4-byte Folded Spill
	scratch_store_dword off, v0, off offset:4 ; 4-byte Folded Spill
.LBB60_264:
	s_or_b64 exec, exec, s[2:3]
.LBB60_265:
	s_andn2_saveexec_b64 s[0:1], s[0:1]
	s_cbranch_execz .LBB60_267
; %bb.266:
	scratch_load_dwordx4 v[36:39], off, off offset:8 ; 16-byte Folded Reload
	scratch_load_dwordx4 v[40:43], off, off offset:24 ; 16-byte Folded Reload
	;; [unrolled: 1-line block ×8, first 2 shown]
	v_mov_b32_e32 v0, 15
	s_waitcnt vmcnt(3)
	ds_write2_b32 v255, v52, v53 offset0:16 offset1:17
	ds_write2_b32 v255, v54, v55 offset0:18 offset1:19
	s_waitcnt vmcnt(2)
	ds_write2_b32 v255, v56, v57 offset0:20 offset1:21
	ds_write2_b32 v255, v58, v59 offset0:22 offset1:23
	;; [unrolled: 3-line block ×3, first 2 shown]
	s_waitcnt vmcnt(0)
	ds_write2_b32 v255, v64, v65 offset0:28 offset1:29
	scratch_load_dwordx2 v[26:27], off, off offset:136 ; 8-byte Folded Reload
	s_waitcnt vmcnt(0)
	ds_write_b32 v255, v27 offset:120
	scratch_store_dword off, v0, off offset:4 ; 4-byte Folded Spill
.LBB60_267:
	s_or_b64 exec, exec, s[0:1]
	s_waitcnt lgkmcnt(0)
	s_barrier
	scratch_load_dword v0, off, off offset:4 ; 4-byte Folded Reload
	s_waitcnt vmcnt(0)
	v_cmp_lt_i32_e32 vcc, 15, v0
	s_and_saveexec_b64 s[0:1], vcc
	s_cbranch_execz .LBB60_269
; %bb.268:
	v_mul_f32_e32 v26, v15, v28
	ds_read2_b32 v[0:1], v255 offset0:16 offset1:17
	scratch_load_dwordx4 v[28:31], off, off offset:8 ; 16-byte Folded Reload
	scratch_load_dwordx4 v[32:35], off, off offset:24 ; 16-byte Folded Reload
	;; [unrolled: 1-line block ×8, first 2 shown]
	ds_read2_b32 v[4:5], v255 offset0:18 offset1:19
	ds_read2_b32 v[6:7], v255 offset0:20 offset1:21
	;; [unrolled: 1-line block ×3, first 2 shown]
	scratch_load_dwordx4 v[126:129], off, off offset:1936 ; 16-byte Folded Reload
	scratch_load_dwordx4 v[130:133], off, off offset:1952 ; 16-byte Folded Reload
	;; [unrolled: 1-line block ×8, first 2 shown]
	v_mov_b32_e32 v71, v26
	v_mov_b32_e32 v15, v26
	s_waitcnt vmcnt(4)
	v_mov_b32_e32 v141, v26
	v_mov_b32_e32 v103, v26
	;; [unrolled: 1-line block ×8, first 2 shown]
	v_mov_b64_e32 v[28:29], v[44:45]
	v_mov_b64_e32 v[30:31], v[46:47]
	v_mov_b32_e32 v2, v28
	v_mov_b32_e32 v3, v29
	v_mov_b64_e32 v[32:33], v[48:49]
	v_mov_b64_e32 v[34:35], v[50:51]
	;; [unrolled: 1-line block ×4, first 2 shown]
	s_waitcnt lgkmcnt(3)
	v_pk_fma_f32 v[48:49], v[26:27], v[0:1], v[2:3] op_sel_hi:[0,1,1] neg_lo:[1,0,0] neg_hi:[1,0,0]
	v_mov_b32_e32 v0, v30
	v_mov_b32_e32 v1, v31
	v_mov_b64_e32 v[40:41], v[56:57]
	s_waitcnt lgkmcnt(2)
	v_pk_fma_f32 v[50:51], v[26:27], v[4:5], v[0:1] op_sel_hi:[0,1,1] neg_lo:[1,0,0] neg_hi:[1,0,0]
	v_mov_b32_e32 v0, v32
	v_mov_b32_e32 v1, v33
	;; [unrolled: 1-line block ×4, first 2 shown]
	s_waitcnt lgkmcnt(1)
	v_pk_fma_f32 v[52:53], v[26:27], v[6:7], v[0:1] op_sel_hi:[0,1,1] neg_lo:[1,0,0] neg_hi:[1,0,0]
	v_mov_b32_e32 v0, v34
	v_mov_b32_e32 v1, v35
	;; [unrolled: 1-line block ×20, first 2 shown]
	v_mov_b64_e32 v[90:91], v[46:47]
	v_mov_b64_e32 v[88:89], v[44:45]
	;; [unrolled: 1-line block ×8, first 2 shown]
	v_mov_b32_e32 v32, v126
	v_mov_b32_e32 v33, v127
	;; [unrolled: 1-line block ×8, first 2 shown]
	v_mov_b64_e32 v[92:93], v[48:49]
	scratch_store_dwordx4 off, v[32:35], off offset:3476 ; 16-byte Folded Spill
	s_nop 0
	scratch_store_dwordx4 off, v[36:39], off offset:3492 ; 16-byte Folded Spill
	scratch_store_dwordx4 off, v[40:43], off offset:3508 ; 16-byte Folded Spill
	;; [unrolled: 1-line block ×7, first 2 shown]
	v_mov_b32_e32 v64, v134
	v_mov_b32_e32 v56, v126
	;; [unrolled: 1-line block ×50, first 2 shown]
	v_mov_b64_e32 v[112:113], v[50:51]
	v_mov_b32_e32 v74, v112
	v_mov_b32_e32 v75, v113
	scratch_store_dwordx4 off, v[56:59], off offset:2964 ; 16-byte Folded Spill
	s_nop 0
	scratch_store_dwordx4 off, v[60:63], off offset:2980 ; 16-byte Folded Spill
	scratch_store_dwordx4 off, v[64:67], off offset:2996 ; 16-byte Folded Spill
	;; [unrolled: 1-line block ×7, first 2 shown]
	v_mov_b64_e32 v[210:211], v[48:49]
	v_mov_b64_e32 v[192:193], v[50:51]
	;; [unrolled: 1-line block ×3, first 2 shown]
	v_mov_b32_e32 v72, v210
	v_mov_b32_e32 v73, v211
	;; [unrolled: 1-line block ×4, first 2 shown]
	v_mov_b64_e32 v[110:111], v[48:49]
	s_waitcnt lgkmcnt(0)
	v_pk_fma_f32 v[110:111], v[26:27], v[8:9], v[0:1] op_sel_hi:[0,1,1] neg_lo:[1,0,0] neg_hi:[1,0,0]
	v_mov_b64_e32 v[188:189], v[46:47]
	s_waitcnt vmcnt(16)
	v_mov_b64_e32 v[166:167], v[46:47]
	v_mov_b64_e32 v[186:187], v[44:45]
	;; [unrolled: 1-line block ×15, first 2 shown]
	v_mov_b32_e32 v8, v134
	v_mov_b32_e32 v9, v135
	;; [unrolled: 1-line block ×10, first 2 shown]
	v_mov_b64_e32 v[190:191], v[48:49]
	v_mov_b32_e32 v104, v210
	v_mov_b32_e32 v105, v211
	;; [unrolled: 1-line block ×8, first 2 shown]
	v_mov_b64_e32 v[142:143], v[152:153]
	v_mov_b64_e32 v[144:145], v[154:155]
	;; [unrolled: 1-line block ×13, first 2 shown]
	v_mov_b32_e32 v108, v172
	v_mov_b32_e32 v109, v173
	;; [unrolled: 1-line block ×12, first 2 shown]
	v_mov_b64_e32 v[208:209], v[90:91]
	v_mov_b64_e32 v[206:207], v[88:89]
	;; [unrolled: 1-line block ×8, first 2 shown]
	v_mov_b32_e32 v76, v172
	v_mov_b32_e32 v77, v173
	scratch_store_dwordx4 off, v[56:59], off offset:2704 ; 16-byte Folded Spill
	s_nop 0
	scratch_store_dwordx4 off, v[60:63], off offset:2720 ; 16-byte Folded Spill
	scratch_store_dwordx4 off, v[64:67], off offset:2736 ; 16-byte Folded Spill
	;; [unrolled: 1-line block ×7, first 2 shown]
	v_mov_b32_e32 v76, v172
	v_mov_b32_e32 v77, v173
	;; [unrolled: 1-line block ×8, first 2 shown]
	scratch_store_dwordx4 off, v[56:59], off offset:2576 ; 16-byte Folded Spill
	s_nop 0
	scratch_store_dwordx4 off, v[60:63], off offset:2592 ; 16-byte Folded Spill
	scratch_store_dwordx4 off, v[64:67], off offset:2608 ; 16-byte Folded Spill
	;; [unrolled: 1-line block ×7, first 2 shown]
	ds_read2_b32 v[0:1], v255 offset0:24 offset1:25
	ds_read2_b32 v[32:33], v255 offset0:26 offset1:27
	;; [unrolled: 1-line block ×3, first 2 shown]
	v_mov_b32_e32 v76, v172
	v_mov_b32_e32 v77, v173
	s_waitcnt lgkmcnt(2)
	v_pk_fma_f32 v[248:249], v[26:27], v[0:1], v[2:3] op_sel_hi:[0,1,1] neg_lo:[1,0,0] neg_hi:[1,0,0]
	v_mov_b32_e32 v0, v126
	v_mov_b32_e32 v1, v127
	;; [unrolled: 1-line block ×6, first 2 shown]
	scratch_store_dwordx4 off, v[0:3], off offset:2320 ; 16-byte Folded Spill
	s_nop 0
	scratch_store_dwordx4 off, v[4:7], off offset:2336 ; 16-byte Folded Spill
	scratch_store_dwordx4 off, v[8:11], off offset:2352 ; 16-byte Folded Spill
	;; [unrolled: 1-line block ×7, first 2 shown]
	v_mov_b32_e32 v78, v110
	v_mov_b32_e32 v79, v111
	;; [unrolled: 1-line block ×4, first 2 shown]
	scratch_store_dwordx4 off, v[194:197], off offset:2192 ; 16-byte Folded Spill
	s_nop 0
	scratch_store_dwordx4 off, v[198:201], off offset:2208 ; 16-byte Folded Spill
	scratch_store_dwordx4 off, v[202:205], off offset:2224 ; 16-byte Folded Spill
	;; [unrolled: 1-line block ×8, first 2 shown]
	s_nop 0
	scratch_store_dwordx4 off, v[178:181], off offset:1056 ; 16-byte Folded Spill
	scratch_store_dwordx4 off, v[182:185], off offset:1072 ; 16-byte Folded Spill
	scratch_store_dwordx4 off, v[186:189], off offset:1088 ; 16-byte Folded Spill
	scratch_store_dwordx4 off, v[190:193], off offset:1104 ; 16-byte Folded Spill
	scratch_store_dwordx4 off, v[194:197], off offset:1120 ; 16-byte Folded Spill
	scratch_store_dwordx4 off, v[198:201], off offset:1136 ; 16-byte Folded Spill
	scratch_store_dwordx4 off, v[202:205], off offset:1152 ; 16-byte Folded Spill
	v_mov_b32_e32 v192, v126
	v_mov_b32_e32 v193, v127
	;; [unrolled: 1-line block ×25, first 2 shown]
	s_waitcnt lgkmcnt(1)
	v_pk_fma_f32 v[82:83], v[26:27], v[32:33], v[30:31] op_sel_hi:[0,1,1] neg_lo:[1,0,0] neg_hi:[1,0,0]
	scratch_store_dwordx4 off, v[56:59], off offset:272 ; 16-byte Folded Spill
	s_nop 0
	scratch_store_dwordx4 off, v[60:63], off offset:288 ; 16-byte Folded Spill
	scratch_store_dwordx4 off, v[64:67], off offset:304 ; 16-byte Folded Spill
	;; [unrolled: 1-line block ×7, first 2 shown]
	s_waitcnt lgkmcnt(0)
	v_pk_fma_f32 v[180:181], v[26:27], v[34:35], v[28:29] op_sel_hi:[0,1,1] neg_lo:[1,0,0] neg_hi:[1,0,0]
	scratch_load_dwordx2 v[28:29], off, off offset:136 ; 8-byte Folded Reload
	ds_read_b32 v27, v255 offset:120
	v_mov_b32_e32 v167, v26
	v_mov_b32_e32 v43, v26
	;; [unrolled: 1-line block ×5, first 2 shown]
	s_waitcnt vmcnt(0) lgkmcnt(0)
	v_fma_f32 v58, -v26, v27, v29
	scratch_load_dwordx4 v[0:3], off, off offset:2192 ; 16-byte Folded Reload
	scratch_load_dwordx4 v[4:7], off, off offset:2208 ; 16-byte Folded Reload
	;; [unrolled: 1-line block ×8, first 2 shown]
	s_waitcnt vmcnt(3)
	v_mov_b32_e32 v208, v16
	v_mov_b32_e32 v209, v17
	scratch_load_dwordx4 v[0:3], off, off offset:1040 ; 16-byte Folded Reload
	scratch_load_dwordx4 v[4:7], off, off offset:1056 ; 16-byte Folded Reload
	;; [unrolled: 1-line block ×8, first 2 shown]
	s_waitcnt vmcnt(4)
	v_mov_b64_e32 v[74:75], v[14:15]
	s_waitcnt vmcnt(3)
	v_mov_b64_e32 v[78:79], v[18:19]
	v_mov_b32_e32 v210, v18
	v_mov_b32_e32 v211, v19
	v_mov_b64_e32 v[72:73], v[12:13]
	v_mov_b64_e32 v[70:71], v[10:11]
	;; [unrolled: 1-line block ×9, first 2 shown]
	s_waitcnt vmcnt(2)
	v_mov_b64_e32 v[16:17], v[158:159]
	v_mov_b64_e32 v[2:3], v[144:145]
	;; [unrolled: 1-line block ×10, first 2 shown]
	v_mov_b32_e32 v212, v20
	v_mov_b32_e32 v213, v21
	scratch_store_dwordx4 off, v[0:3], off offset:912 ; 16-byte Folded Spill
	s_nop 0
	scratch_store_dwordx4 off, v[4:7], off offset:928 ; 16-byte Folded Spill
	scratch_store_dwordx4 off, v[8:11], off offset:944 ; 16-byte Folded Spill
	;; [unrolled: 1-line block ×5, first 2 shown]
	s_waitcnt vmcnt(7)
	scratch_store_dwordx4 off, v[24:27], off offset:1008 ; 16-byte Folded Spill
	s_waitcnt vmcnt(7)
	scratch_store_dwordx4 off, v[28:31], off offset:1024 ; 16-byte Folded Spill
	scratch_load_dwordx4 v[0:3], off, off offset:272 ; 16-byte Folded Reload
	s_nop 0
	scratch_load_dwordx4 v[4:7], off, off offset:288 ; 16-byte Folded Reload
	scratch_load_dwordx4 v[8:11], off, off offset:304 ; 16-byte Folded Reload
	;; [unrolled: 1-line block ×7, first 2 shown]
	v_mov_b32_e32 v46, v78
	v_mov_b32_e32 v47, v79
	;; [unrolled: 1-line block ×17, first 2 shown]
	s_waitcnt vmcnt(1)
	v_mov_b32_e32 v218, v26
	v_mov_b32_e32 v219, v27
	scratch_store_dwordx4 off, v[192:195], off offset:2064 ; 16-byte Folded Spill
	s_nop 0
	scratch_store_dwordx4 off, v[196:199], off offset:2080 ; 16-byte Folded Spill
	scratch_store_dwordx4 off, v[200:203], off offset:2096 ; 16-byte Folded Spill
	;; [unrolled: 1-line block ×7, first 2 shown]
	scratch_load_dwordx4 v[0:3], off, off offset:2192 ; 16-byte Folded Reload
	scratch_load_dwordx4 v[4:7], off, off offset:2208 ; 16-byte Folded Reload
	;; [unrolled: 1-line block ×16, first 2 shown]
	s_waitcnt vmcnt(4)
	v_mov_b64_e32 v[20:21], v[182:183]
	v_mov_b64_e32 v[22:23], v[184:185]
	s_waitcnt vmcnt(2)
	v_mov_b64_e32 v[36:37], v[198:199]
	v_mov_b64_e32 v[24:25], v[186:187]
	;; [unrolled: 1-line block ×9, first 2 shown]
	v_mov_b32_e32 v48, v202
	v_mov_b32_e32 v49, v203
	scratch_load_dwordx4 v[182:185], off, off offset:272 ; 16-byte Folded Reload
	scratch_load_dwordx4 v[186:189], off, off offset:288 ; 16-byte Folded Reload
	;; [unrolled: 1-line block ×8, first 2 shown]
	v_mov_b64_e32 v[18:19], v[16:17]
	v_mov_b64_e32 v[16:17], v[14:15]
	v_mov_b32_e32 v172, v40
	v_mov_b32_e32 v173, v41
	;; [unrolled: 1-line block ×18, first 2 shown]
	v_mov_b64_e32 v[14:15], v[12:13]
	v_mov_b64_e32 v[12:13], v[10:11]
	;; [unrolled: 1-line block ×7, first 2 shown]
	v_mov_b32_e32 v1, v58
	v_mov_b32_e32 v0, v181
	scratch_load_dword v255, off, off offset:2960 ; 4-byte Folded Reload
	s_nop 0
	scratch_store_dwordx4 off, v[126:129], off offset:3864 ; 16-byte Folded Spill
	s_nop 0
	scratch_store_dwordx4 off, v[130:133], off offset:3880 ; 16-byte Folded Spill
	scratch_store_dwordx4 off, v[134:137], off offset:3896 ; 16-byte Folded Spill
	;; [unrolled: 1-line block ×7, first 2 shown]
	scratch_store_dwordx2 off, v[0:1], off offset:136 ; 8-byte Folded Spill
	v_mov_b64_e32 v[0:1], v[2:3]
	v_mov_b32_e32 v168, v18
	v_mov_b32_e32 v169, v19
	v_mov_b64_e32 v[2:3], v[4:5]
	v_mov_b64_e32 v[4:5], v[6:7]
	v_mov_b64_e32 v[6:7], v[8:9]
	v_mov_b64_e32 v[8:9], v[10:11]
	v_mov_b64_e32 v[10:11], v[12:13]
	v_mov_b64_e32 v[12:13], v[14:15]
	v_mov_b64_e32 v[14:15], v[16:17]
	v_mov_b64_e32 v[16:17], v[18:19]
	v_mov_b32_e32 v22, v110
	v_mov_b32_e32 v26, v16
	;; [unrolled: 1-line block ×3, first 2 shown]
	s_waitcnt vmcnt(10)
	v_mov_b64_e32 v[218:219], v[208:209]
	v_mov_b64_e32 v[216:217], v[206:207]
	;; [unrolled: 1-line block ×14, first 2 shown]
	v_mov_b32_e32 v54, v218
	v_mov_b32_e32 v55, v219
	v_mov_b64_e32 v[212:213], v[58:59]
	v_mov_b64_e32 v[210:211], v[56:57]
	;; [unrolled: 1-line block ×18, first 2 shown]
	v_mov_b32_e32 v18, v54
	v_mov_b32_e32 v19, v55
	scratch_load_dwordx4 v[28:31], off, off offset:912 ; 16-byte Folded Reload
	scratch_load_dwordx4 v[32:35], off, off offset:928 ; 16-byte Folded Reload
	;; [unrolled: 1-line block ×8, first 2 shown]
	s_nop 0
	scratch_store_dwordx4 off, v[182:185], off offset:8 ; 16-byte Folded Spill
	s_nop 0
	scratch_store_dwordx4 off, v[186:189], off offset:24 ; 16-byte Folded Spill
	scratch_store_dwordx4 off, v[190:193], off offset:40 ; 16-byte Folded Spill
	;; [unrolled: 1-line block ×8, first 2 shown]
	s_nop 0
	scratch_store_dwordx4 off, v[92:95], off offset:416 ; 16-byte Folded Spill
	scratch_store_dwordx4 off, v[96:99], off offset:432 ; 16-byte Folded Spill
	;; [unrolled: 1-line block ×7, first 2 shown]
	v_mov_b32_e32 v178, v218
	v_mov_b32_e32 v179, v219
	s_waitcnt vmcnt(16)
	v_mov_b64_e32 v[54:55], v[168:169]
	v_mov_b64_e32 v[56:57], v[170:171]
	;; [unrolled: 1-line block ×6, first 2 shown]
	v_mov_b32_e32 v23, v111
	v_mov_b64_e32 v[146:147], v[48:49]
	v_mov_b32_e32 v20, v146
	scratch_store_dwordx4 off, v[0:3], off offset:656 ; 16-byte Folded Spill
	s_nop 0
	scratch_store_dwordx4 off, v[4:7], off offset:672 ; 16-byte Folded Spill
	scratch_store_dwordx4 off, v[8:11], off offset:688 ; 16-byte Folded Spill
	;; [unrolled: 1-line block ×8, first 2 shown]
	s_nop 0
	scratch_store_dwordx4 off, v[228:231], off offset:544 ; 16-byte Folded Spill
	scratch_store_dwordx4 off, v[232:235], off offset:560 ; 16-byte Folded Spill
	;; [unrolled: 1-line block ×7, first 2 shown]
	scratch_load_dwordx4 v[86:89], off, off offset:272 ; 16-byte Folded Reload
	scratch_load_dwordx4 v[90:93], off, off offset:288 ; 16-byte Folded Reload
	;; [unrolled: 1-line block ×8, first 2 shown]
	v_mov_b64_e32 v[144:145], v[46:47]
	v_mov_b64_e32 v[142:143], v[44:45]
	;; [unrolled: 1-line block ×10, first 2 shown]
	v_mov_b32_e32 v252, v180
	scratch_store_dwordx4 off, v[38:41], off offset:1168 ; 16-byte Folded Spill
	s_nop 0
	scratch_store_dwordx4 off, v[42:45], off offset:1184 ; 16-byte Folded Spill
	scratch_store_dwordx4 off, v[46:49], off offset:1200 ; 16-byte Folded Spill
	;; [unrolled: 1-line block ×7, first 2 shown]
	v_mov_b32_e32 v16, v26
	v_mov_b32_e32 v223, v249
	s_waitcnt vmcnt(9)
	v_mov_b32_e32 v32, v112
	v_mov_b32_e32 v207, v113
.LBB60_269:
	s_or_b64 exec, exec, s[0:1]
	s_barrier
	scratch_load_dword v0, off, off offset:4 ; 4-byte Folded Reload
	v_mov_b32_e32 v1, v255
	s_cmp_lt_i32 s22, 18
	s_waitcnt vmcnt(0)
	v_lshl_add_u32 v26, v0, 2, v1
	ds_write_b32 v26, v16
	s_waitcnt lgkmcnt(0)
	s_barrier
	ds_read_b32 v28, v255 offset:64
	v_mov_b32_e32 v26, 16
	s_cbranch_scc1 .LBB60_272
; %bb.270:
	v_add_u32_e32 v27, 0x44, v255
	v_mov_b32_e32 v26, 16
	s_mov_b32 s0, 17
.LBB60_271:                             ; =>This Inner Loop Header: Depth=1
	ds_read_b32 v29, v27
	v_add_u32_e32 v27, 4, v27
	s_waitcnt lgkmcnt(0)
	v_cmp_lt_f32_e64 vcc, |v28|, |v29|
	s_nop 1
	v_cndmask_b32_e32 v28, v28, v29, vcc
	v_mov_b32_e32 v29, s0
	s_add_i32 s0, s0, 1
	v_cndmask_b32_e32 v26, v26, v29, vcc
	s_cmp_lg_u32 s22, s0
	s_cbranch_scc1 .LBB60_271
.LBB60_272:
	s_waitcnt lgkmcnt(0)
	v_cmp_eq_f32_e32 vcc, 0, v28
	s_and_saveexec_b64 s[0:1], vcc
	s_xor_b64 s[0:1], exec, s[0:1]
	s_cbranch_execz .LBB60_274
; %bb.273:
	scratch_load_dword v0, off, off offset:144 ; 4-byte Folded Reload
	s_waitcnt vmcnt(0)
	v_cmp_ne_u32_e32 vcc, 0, v0
	s_nop 1
	v_cndmask_b32_e32 v0, 17, v0, vcc
	scratch_store_dword off, v0, off offset:144 ; 4-byte Folded Spill
.LBB60_274:
	s_andn2_saveexec_b64 s[0:1], s[0:1]
	s_cbranch_execz .LBB60_276
; %bb.275:
	v_div_scale_f32 v27, s[2:3], v28, v28, 1.0
	v_rcp_f32_e32 v29, v27
	v_div_scale_f32 v30, vcc, 1.0, v28, 1.0
	v_fma_f32 v31, -v27, v29, 1.0
	v_fmac_f32_e32 v29, v31, v29
	v_mul_f32_e32 v31, v30, v29
	v_fma_f32 v60, -v27, v31, v30
	v_fmac_f32_e32 v31, v60, v29
	v_fma_f32 v27, -v27, v31, v30
	v_div_fmas_f32 v27, v27, v29, v31
	v_div_fixup_f32 v28, v27, v28, 1.0
.LBB60_276:
	s_or_b64 exec, exec, s[0:1]
	scratch_load_dword v0, off, off offset:4 ; 4-byte Folded Reload
	s_waitcnt vmcnt(0)
	v_cmp_ne_u32_e32 vcc, v0, v26
	s_and_saveexec_b64 s[0:1], vcc
	s_xor_b64 s[0:1], exec, s[0:1]
	s_cbranch_execz .LBB60_282
; %bb.277:
	scratch_load_dword v0, off, off offset:4 ; 4-byte Folded Reload
	s_waitcnt vmcnt(0)
	v_cmp_eq_u32_e32 vcc, 16, v0
	s_and_saveexec_b64 s[2:3], vcc
	s_cbranch_execz .LBB60_281
; %bb.278:
	v_cmp_ne_u32_e32 vcc, 16, v26
	s_xor_b64 s[12:13], s[20:21], -1
	s_and_b64 s[14:15], s[12:13], vcc
	s_and_saveexec_b64 s[12:13], s[14:15]
	s_cbranch_execz .LBB60_280
; %bb.279:
	s_movk_i32 s14, 0x159c
	scratch_load_dwordx2 v[60:61], off, s14 ; 8-byte Folded Reload
	v_ashrrev_i32_e32 v27, 31, v26
	s_waitcnt vmcnt(0)
	v_lshl_add_u64 v[30:31], v[26:27], 2, v[60:61]
	global_load_dword v27, v[30:31], off
	global_load_dword v29, v[60:61], off offset:64
	s_waitcnt vmcnt(1)
	global_store_dword v[60:61], v27, off offset:64
	s_waitcnt vmcnt(1)
	global_store_dword v[30:31], v29, off
.LBB60_280:
	s_or_b64 exec, exec, s[12:13]
	v_mov_b32_e32 v27, v26
	v_mov_b32_e32 v0, v26
	scratch_store_dword off, v27, off offset:3860 ; 4-byte Folded Spill
	scratch_store_dword off, v0, off offset:4 ; 4-byte Folded Spill
.LBB60_281:
	s_or_b64 exec, exec, s[2:3]
.LBB60_282:
	s_andn2_saveexec_b64 s[0:1], s[0:1]
	s_cbranch_execz .LBB60_284
; %bb.283:
	scratch_load_dwordx4 v[36:39], off, off offset:8 ; 16-byte Folded Reload
	scratch_load_dwordx4 v[40:43], off, off offset:24 ; 16-byte Folded Reload
	scratch_load_dwordx4 v[44:47], off, off offset:40 ; 16-byte Folded Reload
	scratch_load_dwordx4 v[48:51], off, off offset:56 ; 16-byte Folded Reload
	scratch_load_dwordx4 v[52:55], off, off offset:72 ; 16-byte Folded Reload
	scratch_load_dwordx4 v[56:59], off, off offset:88 ; 16-byte Folded Reload
	scratch_load_dwordx4 v[60:63], off, off offset:104 ; 16-byte Folded Reload
	scratch_load_dwordx4 v[64:67], off, off offset:120 ; 16-byte Folded Reload
	v_mov_b32_e32 v0, 16
	s_waitcnt vmcnt(3)
	ds_write2_b32 v255, v53, v54 offset0:17 offset1:18
	s_waitcnt vmcnt(2)
	ds_write2_b32 v255, v55, v56 offset0:19 offset1:20
	ds_write2_b32 v255, v57, v58 offset0:21 offset1:22
	s_waitcnt vmcnt(1)
	ds_write2_b32 v255, v59, v60 offset0:23 offset1:24
	;; [unrolled: 3-line block ×3, first 2 shown]
	ds_write2_b32 v255, v65, v66 offset0:29 offset1:30
	scratch_store_dword off, v0, off offset:4 ; 4-byte Folded Spill
.LBB60_284:
	s_or_b64 exec, exec, s[0:1]
	s_waitcnt lgkmcnt(0)
	s_barrier
	scratch_load_dword v0, off, off offset:4 ; 4-byte Folded Reload
	s_waitcnt vmcnt(0)
	v_cmp_lt_i32_e32 vcc, 16, v0
	s_and_saveexec_b64 s[0:1], vcc
	s_cbranch_execz .LBB60_286
; %bb.285:
	scratch_load_dwordx4 v[64:67], off, off offset:3864 ; 16-byte Folded Reload
	scratch_load_dwordx4 v[68:71], off, off offset:3880 ; 16-byte Folded Reload
	scratch_load_dwordx4 v[72:75], off, off offset:3896 ; 16-byte Folded Reload
	scratch_load_dwordx4 v[76:79], off, off offset:3912 ; 16-byte Folded Reload
	scratch_load_dwordx4 v[80:83], off, off offset:3928 ; 16-byte Folded Reload
	scratch_load_dwordx4 v[84:87], off, off offset:3944 ; 16-byte Folded Reload
	scratch_load_dwordx4 v[88:91], off, off offset:3960 ; 16-byte Folded Reload
	scratch_load_dwordx4 v[92:95], off, off offset:3976 ; 16-byte Folded Reload
	s_waitcnt vmcnt(3)
	v_mul_f32_e32 v80, v16, v28
	ds_read2_b32 v[0:1], v255 offset0:17 offset1:18
	scratch_load_dwordx4 v[10:13], off, off offset:8 ; 16-byte Folded Reload
	scratch_load_dwordx4 v[14:17], off, off offset:24 ; 16-byte Folded Reload
	;; [unrolled: 1-line block ×8, first 2 shown]
	ds_read2_b32 v[4:5], v255 offset0:19 offset1:20
	ds_read2_b32 v[6:7], v255 offset0:21 offset1:22
	;; [unrolled: 1-line block ×3, first 2 shown]
	s_waitcnt vmcnt(6)
	v_mov_b32_e32 v16, v80
	v_mov_b32_e32 v254, v255
	;; [unrolled: 1-line block ×13, first 2 shown]
	s_waitcnt vmcnt(3)
	v_mov_b32_e32 v3, v28
	v_mov_b32_e32 v2, v27
	s_waitcnt lgkmcnt(3)
	v_pk_fma_f32 v[26:27], v[80:81], v[0:1], v[2:3] op_sel_hi:[0,1,1] neg_lo:[1,0,0] neg_hi:[1,0,0]
	s_waitcnt vmcnt(2)
	v_mov_b32_e32 v1, v30
	v_mov_b32_e32 v0, v29
	s_waitcnt lgkmcnt(2)
	v_pk_fma_f32 v[28:29], v[80:81], v[4:5], v[0:1] op_sel_hi:[0,1,1] neg_lo:[1,0,0] neg_hi:[1,0,0]
	v_mov_b32_e32 v1, v32
	v_mov_b32_e32 v0, v31
	s_waitcnt lgkmcnt(1)
	v_pk_fma_f32 v[30:31], v[80:81], v[6:7], v[0:1] op_sel_hi:[0,1,1] neg_lo:[1,0,0] neg_hi:[1,0,0]
	s_waitcnt vmcnt(1)
	v_mov_b32_e32 v1, v34
	v_mov_b32_e32 v0, v33
	s_waitcnt lgkmcnt(0)
	v_pk_fma_f32 v[60:61], v[80:81], v[8:9], v[0:1] op_sel_hi:[0,1,1] neg_lo:[1,0,0] neg_hi:[1,0,0]
	ds_read2_b32 v[0:1], v255 offset0:25 offset1:26
	ds_read2_b32 v[4:5], v255 offset0:27 offset1:28
	;; [unrolled: 1-line block ×3, first 2 shown]
	v_mov_b32_e32 v3, v36
	v_mov_b32_e32 v2, v35
	;; [unrolled: 1-line block ×3, first 2 shown]
	s_waitcnt lgkmcnt(2)
	v_pk_fma_f32 v[62:63], v[80:81], v[0:1], v[2:3] op_sel_hi:[0,1,1] neg_lo:[1,0,0] neg_hi:[1,0,0]
	s_waitcnt vmcnt(0)
	v_mov_b32_e32 v1, v38
	v_mov_b32_e32 v0, v37
	s_waitcnt lgkmcnt(1)
	v_pk_fma_f32 v[88:89], v[80:81], v[4:5], v[0:1] op_sel_hi:[0,1,1] neg_lo:[1,0,0] neg_hi:[1,0,0]
	v_mov_b32_e32 v1, v40
	v_mov_b32_e32 v0, v39
	s_waitcnt lgkmcnt(0)
	v_pk_fma_f32 v[90:91], v[80:81], v[6:7], v[0:1] op_sel_hi:[0,1,1] neg_lo:[1,0,0] neg_hi:[1,0,0]
	v_mov_b32_e32 v0, v64
	v_mov_b32_e32 v1, v65
	v_mov_b32_e32 v2, v66
	v_mov_b32_e32 v3, v67
	v_mov_b32_e32 v4, v68
	v_mov_b32_e32 v5, v69
	v_mov_b32_e32 v6, v70
	v_mov_b32_e32 v7, v71
	v_mov_b32_e32 v9, v73
	v_mov_b32_e32 v15, v79
	v_mov_b32_e32 v17, v26
	v_mov_b32_e32 v18, v27
	v_mov_b32_e32 v81, v26
	scratch_store_dwordx4 off, v[0:3], off offset:1040 ; 16-byte Folded Spill
	s_nop 0
	scratch_store_dwordx4 off, v[4:7], off offset:1056 ; 16-byte Folded Spill
	scratch_store_dwordx4 off, v[8:11], off offset:1072 ; 16-byte Folded Spill
	;; [unrolled: 1-line block ×7, first 2 shown]
	v_mov_b32_e32 v226, v66
	v_mov_b32_e32 v227, v67
	;; [unrolled: 1-line block ×73, first 2 shown]
	scratch_store_dwordx4 off, v[0:3], off offset:2964 ; 16-byte Folded Spill
	s_nop 0
	scratch_store_dwordx4 off, v[4:7], off offset:2980 ; 16-byte Folded Spill
	scratch_store_dwordx4 off, v[8:11], off offset:2996 ; 16-byte Folded Spill
	;; [unrolled: 1-line block ×7, first 2 shown]
	v_mov_b32_e32 v220, v89
	v_mov_b32_e32 v221, v90
	;; [unrolled: 1-line block ×4, first 2 shown]
	scratch_store_dwordx4 off, v[0:3], off offset:912 ; 16-byte Folded Spill
	s_nop 0
	scratch_store_dwordx4 off, v[4:7], off offset:928 ; 16-byte Folded Spill
	scratch_store_dwordx4 off, v[8:11], off offset:944 ; 16-byte Folded Spill
	scratch_store_dwordx4 off, v[12:15], off offset:960 ; 16-byte Folded Spill
	scratch_store_dwordx4 off, v[16:19], off offset:976 ; 16-byte Folded Spill
	scratch_store_dwordx4 off, v[20:23], off offset:992 ; 16-byte Folded Spill
	scratch_store_dwordx4 off, v[24:27], off offset:1008 ; 16-byte Folded Spill
	scratch_store_dwordx4 off, v[28:31], off offset:1024 ; 16-byte Folded Spill
	v_mov_b32_e32 v21, v30
	scratch_store_dwordx4 off, v[0:3], off offset:2704 ; 16-byte Folded Spill
	s_nop 0
	scratch_store_dwordx4 off, v[4:7], off offset:2720 ; 16-byte Folded Spill
	scratch_store_dwordx4 off, v[8:11], off offset:2736 ; 16-byte Folded Spill
	scratch_store_dwordx4 off, v[12:15], off offset:2752 ; 16-byte Folded Spill
	scratch_store_dwordx4 off, v[16:19], off offset:2768 ; 16-byte Folded Spill
	scratch_store_dwordx4 off, v[20:23], off offset:2784 ; 16-byte Folded Spill
	scratch_store_dwordx4 off, v[24:27], off offset:2800 ; 16-byte Folded Spill
	scratch_store_dwordx4 off, v[28:31], off offset:2816 ; 16-byte Folded Spill
	v_mov_b32_e32 v22, v31
	;; [unrolled: 10-line block ×3, first 2 shown]
	scratch_store_dwordx4 off, v[0:3], off offset:2576 ; 16-byte Folded Spill
	s_nop 0
	scratch_store_dwordx4 off, v[4:7], off offset:2592 ; 16-byte Folded Spill
	scratch_store_dwordx4 off, v[8:11], off offset:2608 ; 16-byte Folded Spill
	scratch_store_dwordx4 off, v[12:15], off offset:2624 ; 16-byte Folded Spill
	scratch_store_dwordx4 off, v[16:19], off offset:2640 ; 16-byte Folded Spill
	scratch_store_dwordx4 off, v[20:23], off offset:2656 ; 16-byte Folded Spill
	scratch_store_dwordx4 off, v[24:27], off offset:2672 ; 16-byte Folded Spill
	scratch_store_dwordx4 off, v[28:31], off offset:2688 ; 16-byte Folded Spill
	s_nop 0
	v_mov_b32_e32 v24, v61
	v_mov_b32_e32 v25, v62
	v_mov_b32_e32 v241, v26
	v_mov_b32_e32 v242, v27
	v_mov_b32_e32 v243, v28
	v_mov_b32_e32 v244, v29
	v_mov_b32_e32 v245, v30
	v_mov_b32_e32 v246, v31
	scratch_store_dwordx4 off, v[224:227], off offset:528 ; 16-byte Folded Spill
	s_nop 0
	scratch_store_dwordx4 off, v[228:231], off offset:544 ; 16-byte Folded Spill
	scratch_store_dwordx4 off, v[232:235], off offset:560 ; 16-byte Folded Spill
	;; [unrolled: 1-line block ×8, first 2 shown]
	s_nop 0
	scratch_store_dwordx4 off, v[4:7], off offset:2336 ; 16-byte Folded Spill
	scratch_store_dwordx4 off, v[8:11], off offset:2352 ; 16-byte Folded Spill
	;; [unrolled: 1-line block ×7, first 2 shown]
	v_mov_b32_e32 v249, v62
	v_mov_b32_e32 v250, v63
	scratch_store_dwordx4 off, v[224:227], off offset:272 ; 16-byte Folded Spill
	s_nop 0
	scratch_store_dwordx4 off, v[228:231], off offset:288 ; 16-byte Folded Spill
	scratch_store_dwordx4 off, v[232:235], off offset:304 ; 16-byte Folded Spill
	;; [unrolled: 1-line block ×7, first 2 shown]
	v_mov_b32_e32 v49, v26
	v_mov_b32_e32 v50, v27
	v_mov_b32_e32 v51, v28
	v_mov_b32_e32 v52, v29
	v_mov_b32_e32 v53, v30
	v_mov_b32_e32 v54, v31
	scratch_store_dwordx4 off, v[32:35], off offset:2064 ; 16-byte Folded Spill
	s_nop 0
	scratch_store_dwordx4 off, v[36:39], off offset:2080 ; 16-byte Folded Spill
	scratch_store_dwordx4 off, v[40:43], off offset:2096 ; 16-byte Folded Spill
	;; [unrolled: 1-line block ×7, first 2 shown]
	v_mov_b32_e32 v109, v26
	v_mov_b32_e32 v110, v27
	;; [unrolled: 1-line block ×17, first 2 shown]
	scratch_store_dwordx4 off, v[92:95], off offset:1168 ; 16-byte Folded Spill
	s_nop 0
	scratch_store_dwordx4 off, v[96:99], off offset:1184 ; 16-byte Folded Spill
	scratch_store_dwordx4 off, v[100:103], off offset:1200 ; 16-byte Folded Spill
	;; [unrolled: 1-line block ×7, first 2 shown]
	scratch_store_dwordx2 off, v[90:91], off offset:136 ; 8-byte Folded Spill
	v_mov_b32_e32 v215, v60
	v_mov_b32_e32 v216, v61
	;; [unrolled: 1-line block ×4, first 2 shown]
	scratch_store_dwordx4 off, v[192:195], off offset:8 ; 16-byte Folded Spill
	s_nop 0
	scratch_store_dwordx4 off, v[196:199], off offset:24 ; 16-byte Folded Spill
	scratch_store_dwordx4 off, v[200:203], off offset:40 ; 16-byte Folded Spill
	;; [unrolled: 1-line block ×7, first 2 shown]
	scratch_load_dword v255, off, off offset:2960 ; 4-byte Folded Reload
	v_mov_b32_e32 v32, v63
	v_mov_b32_e32 v223, v62
	scratch_store_dwordx4 off, v[64:67], off offset:3476 ; 16-byte Folded Spill
	s_nop 0
	scratch_store_dwordx4 off, v[68:71], off offset:3492 ; 16-byte Folded Spill
	scratch_store_dwordx4 off, v[72:75], off offset:3508 ; 16-byte Folded Spill
	scratch_store_dwordx4 off, v[76:79], off offset:3524 ; 16-byte Folded Spill
	scratch_store_dwordx4 off, v[80:83], off offset:3540 ; 16-byte Folded Spill
	scratch_store_dwordx4 off, v[84:87], off offset:3556 ; 16-byte Folded Spill
	scratch_store_dwordx4 off, v[88:91], off offset:3572 ; 16-byte Folded Spill
	scratch_store_dwordx4 off, v[92:95], off offset:3588 ; 16-byte Folded Spill
	scratch_store_dwordx4 off, v[64:67], off offset:2192 ; 16-byte Folded Spill
	s_nop 0
	scratch_store_dwordx4 off, v[68:71], off offset:2208 ; 16-byte Folded Spill
	scratch_store_dwordx4 off, v[72:75], off offset:2224 ; 16-byte Folded Spill
	scratch_store_dwordx4 off, v[76:79], off offset:2240 ; 16-byte Folded Spill
	scratch_store_dwordx4 off, v[80:83], off offset:2256 ; 16-byte Folded Spill
	scratch_store_dwordx4 off, v[84:87], off offset:2272 ; 16-byte Folded Spill
	scratch_store_dwordx4 off, v[88:91], off offset:2288 ; 16-byte Folded Spill
	scratch_store_dwordx4 off, v[92:95], off offset:2304 ; 16-byte Folded Spill
	;; [unrolled: 9-line block ×3, first 2 shown]
	v_mov_b32_e32 v207, v88
	v_mov_b32_e32 v252, v89
.LBB60_286:
	s_or_b64 exec, exec, s[0:1]
	s_waitcnt vmcnt(63) expcnt(7) lgkmcnt(15)
	s_barrier
	scratch_load_dword v0, off, off offset:4 ; 4-byte Folded Reload
	s_waitcnt vmcnt(25)
	v_mov_b32_e32 v1, v255
	s_cmp_lt_i32 s22, 19
	s_waitcnt vmcnt(0)
	v_lshl_add_u32 v26, v0, 2, v1
	ds_write_b32 v26, v17
	s_waitcnt lgkmcnt(0)
	s_barrier
	ds_read_b32 v28, v255 offset:68
	v_mov_b32_e32 v26, 17
	s_cbranch_scc1 .LBB60_289
; %bb.287:
	v_add_u32_e32 v27, 0x48, v255
	v_mov_b32_e32 v26, 17
	s_mov_b32 s0, 18
.LBB60_288:                             ; =>This Inner Loop Header: Depth=1
	ds_read_b32 v29, v27
	v_add_u32_e32 v27, 4, v27
	s_waitcnt lgkmcnt(0)
	v_cmp_lt_f32_e64 vcc, |v28|, |v29|
	s_nop 1
	v_cndmask_b32_e32 v28, v28, v29, vcc
	v_mov_b32_e32 v29, s0
	s_add_i32 s0, s0, 1
	v_cndmask_b32_e32 v26, v26, v29, vcc
	s_cmp_lg_u32 s22, s0
	s_cbranch_scc1 .LBB60_288
.LBB60_289:
	s_waitcnt lgkmcnt(0)
	v_cmp_eq_f32_e32 vcc, 0, v28
	s_and_saveexec_b64 s[0:1], vcc
	s_xor_b64 s[0:1], exec, s[0:1]
	s_cbranch_execz .LBB60_291
; %bb.290:
	scratch_load_dword v0, off, off offset:144 ; 4-byte Folded Reload
	s_waitcnt vmcnt(0)
	v_cmp_ne_u32_e32 vcc, 0, v0
	s_nop 1
	v_cndmask_b32_e32 v0, 18, v0, vcc
	scratch_store_dword off, v0, off offset:144 ; 4-byte Folded Spill
.LBB60_291:
	s_andn2_saveexec_b64 s[0:1], s[0:1]
	s_cbranch_execz .LBB60_293
; %bb.292:
	v_div_scale_f32 v27, s[2:3], v28, v28, 1.0
	v_rcp_f32_e32 v29, v27
	v_div_scale_f32 v30, vcc, 1.0, v28, 1.0
	v_fma_f32 v31, -v27, v29, 1.0
	v_fmac_f32_e32 v29, v31, v29
	v_mul_f32_e32 v31, v30, v29
	v_fma_f32 v60, -v27, v31, v30
	v_fmac_f32_e32 v31, v60, v29
	v_fma_f32 v27, -v27, v31, v30
	v_div_fmas_f32 v27, v27, v29, v31
	v_div_fixup_f32 v28, v27, v28, 1.0
.LBB60_293:
	s_or_b64 exec, exec, s[0:1]
	scratch_load_dword v0, off, off offset:4 ; 4-byte Folded Reload
	s_waitcnt vmcnt(0)
	v_cmp_ne_u32_e32 vcc, v0, v26
	s_and_saveexec_b64 s[0:1], vcc
	s_xor_b64 s[0:1], exec, s[0:1]
	s_cbranch_execz .LBB60_299
; %bb.294:
	scratch_load_dword v0, off, off offset:4 ; 4-byte Folded Reload
	s_waitcnt vmcnt(0)
	v_cmp_eq_u32_e32 vcc, 17, v0
	s_and_saveexec_b64 s[2:3], vcc
	s_cbranch_execz .LBB60_298
; %bb.295:
	v_cmp_ne_u32_e32 vcc, 17, v26
	s_xor_b64 s[12:13], s[20:21], -1
	s_and_b64 s[14:15], s[12:13], vcc
	s_and_saveexec_b64 s[12:13], s[14:15]
	s_cbranch_execz .LBB60_297
; %bb.296:
	s_movk_i32 s14, 0x159c
	scratch_load_dwordx2 v[60:61], off, s14 ; 8-byte Folded Reload
	v_ashrrev_i32_e32 v27, 31, v26
	s_waitcnt vmcnt(0)
	v_lshl_add_u64 v[30:31], v[26:27], 2, v[60:61]
	global_load_dword v27, v[30:31], off
	global_load_dword v29, v[60:61], off offset:68
	s_waitcnt vmcnt(1)
	global_store_dword v[60:61], v27, off offset:68
	s_waitcnt vmcnt(1)
	global_store_dword v[30:31], v29, off
.LBB60_297:
	s_or_b64 exec, exec, s[12:13]
	v_mov_b32_e32 v27, v26
	v_mov_b32_e32 v0, v26
	scratch_store_dword off, v27, off offset:3860 ; 4-byte Folded Spill
	scratch_store_dword off, v0, off offset:4 ; 4-byte Folded Spill
.LBB60_298:
	s_or_b64 exec, exec, s[2:3]
.LBB60_299:
	s_andn2_saveexec_b64 s[0:1], s[0:1]
	s_cbranch_execz .LBB60_301
; %bb.300:
	scratch_load_dwordx4 v[36:39], off, off offset:8 ; 16-byte Folded Reload
	scratch_load_dwordx4 v[40:43], off, off offset:24 ; 16-byte Folded Reload
	;; [unrolled: 1-line block ×8, first 2 shown]
	v_mov_b32_e32 v0, 17
	s_waitcnt vmcnt(3)
	ds_write2_b32 v255, v54, v55 offset0:18 offset1:19
	s_waitcnt vmcnt(2)
	ds_write2_b32 v255, v56, v57 offset0:20 offset1:21
	ds_write2_b32 v255, v58, v59 offset0:22 offset1:23
	s_waitcnt vmcnt(1)
	ds_write2_b32 v255, v60, v61 offset0:24 offset1:25
	;; [unrolled: 3-line block ×3, first 2 shown]
	scratch_load_dwordx2 v[26:27], off, off offset:136 ; 8-byte Folded Reload
	s_waitcnt vmcnt(0)
	ds_write_b32 v255, v27 offset:120
	scratch_store_dword off, v0, off offset:4 ; 4-byte Folded Spill
.LBB60_301:
	s_or_b64 exec, exec, s[0:1]
	s_waitcnt lgkmcnt(0)
	s_barrier
	scratch_load_dword v0, off, off offset:4 ; 4-byte Folded Reload
	s_waitcnt vmcnt(0)
	v_cmp_lt_i32_e32 vcc, 17, v0
	s_and_saveexec_b64 s[0:1], vcc
	s_cbranch_execz .LBB60_303
; %bb.302:
	v_mul_f32_e32 v10, v17, v28
	ds_read2_b32 v[0:1], v255 offset0:18 offset1:19
	scratch_load_dwordx4 v[12:15], off, off offset:8 ; 16-byte Folded Reload
	scratch_load_dwordx4 v[16:19], off, off offset:24 ; 16-byte Folded Reload
	scratch_load_dwordx4 v[20:23], off, off offset:40 ; 16-byte Folded Reload
	scratch_load_dwordx4 v[24:27], off, off offset:56 ; 16-byte Folded Reload
	scratch_load_dwordx4 v[28:31], off, off offset:72 ; 16-byte Folded Reload
	scratch_load_dwordx4 v[32:35], off, off offset:88 ; 16-byte Folded Reload
	scratch_load_dwordx4 v[36:39], off, off offset:104 ; 16-byte Folded Reload
	scratch_load_dwordx4 v[40:43], off, off offset:120 ; 16-byte Folded Reload
	ds_read2_b32 v[4:5], v255 offset0:20 offset1:21
	ds_read2_b32 v[6:7], v255 offset0:22 offset1:23
	;; [unrolled: 1-line block ×3, first 2 shown]
	scratch_load_dwordx4 v[192:195], off, off offset:2192 ; 16-byte Folded Reload
	scratch_load_dwordx4 v[196:199], off, off offset:2208 ; 16-byte Folded Reload
	;; [unrolled: 1-line block ×8, first 2 shown]
	v_mov_b32_e32 v73, v10
	v_mov_b32_e32 v49, v10
	s_waitcnt vmcnt(3)
	v_mov_b32_e32 v209, v10
	v_mov_b32_e32 v143, v10
	;; [unrolled: 1-line block ×10, first 2 shown]
	v_mov_b64_e32 v[18:19], v[30:31]
	v_mov_b32_e32 v2, v18
	v_mov_b32_e32 v3, v19
	s_waitcnt lgkmcnt(3)
	v_pk_fma_f32 v[50:51], v[10:11], v[0:1], v[2:3] op_sel_hi:[0,1,1] neg_lo:[1,0,0] neg_hi:[1,0,0]
	v_mov_b32_e32 v61, v197
	v_mov_b32_e32 v62, v198
	;; [unrolled: 1-line block ×14, first 2 shown]
	scratch_store_dwordx4 off, v[56:59], off offset:2964 ; 16-byte Folded Spill
	s_nop 0
	scratch_store_dwordx4 off, v[60:63], off offset:2980 ; 16-byte Folded Spill
	scratch_store_dwordx4 off, v[64:67], off offset:2996 ; 16-byte Folded Spill
	scratch_store_dwordx4 off, v[68:71], off offset:3012 ; 16-byte Folded Spill
	scratch_store_dwordx4 off, v[72:75], off offset:3028 ; 16-byte Folded Spill
	scratch_store_dwordx4 off, v[76:79], off offset:3044 ; 16-byte Folded Spill
	scratch_store_dwordx4 off, v[80:83], off offset:3060 ; 16-byte Folded Spill
	scratch_store_dwordx4 off, v[84:87], off offset:3076 ; 16-byte Folded Spill
	v_mov_b64_e32 v[20:21], v[32:33]
	v_mov_b32_e32 v0, v20
	v_mov_b32_e32 v1, v21
	s_waitcnt lgkmcnt(2)
	v_pk_fma_f32 v[146:147], v[10:11], v[4:5], v[0:1] op_sel_hi:[0,1,1] neg_lo:[1,0,0] neg_hi:[1,0,0]
	v_mov_b32_e32 v76, v146
	v_mov_b32_e32 v77, v147
	v_mov_b64_e32 v[22:23], v[34:35]
	v_mov_b32_e32 v0, v22
	v_mov_b32_e32 v1, v23
	s_waitcnt lgkmcnt(1)
	v_pk_fma_f32 v[22:23], v[10:11], v[6:7], v[0:1] op_sel_hi:[0,1,1] neg_lo:[1,0,0] neg_hi:[1,0,0]
	v_mov_b64_e32 v[24:25], v[36:37]
	v_mov_b32_e32 v0, v24
	v_mov_b32_e32 v1, v25
	;; [unrolled: 1-line block ×3, first 2 shown]
	s_waitcnt lgkmcnt(0)
	v_pk_fma_f32 v[248:249], v[10:11], v[8:9], v[0:1] op_sel_hi:[0,1,1] neg_lo:[1,0,0] neg_hi:[1,0,0]
	v_mov_b64_e32 v[54:55], v[50:51]
	v_mov_b64_e32 v[26:27], v[38:39]
	;; [unrolled: 1-line block ×3, first 2 shown]
	v_mov_b32_e32 v36, v196
	v_mov_b32_e32 v37, v197
	;; [unrolled: 1-line block ×20, first 2 shown]
	v_mov_b64_e32 v[52:53], v[48:49]
	v_mov_b64_e32 v[50:51], v[46:47]
	v_mov_b64_e32 v[48:49], v[44:45]
	v_mov_b64_e32 v[46:47], v[42:43]
	v_mov_b64_e32 v[44:45], v[40:41]
	v_mov_b64_e32 v[42:43], v[38:39]
	v_mov_b64_e32 v[40:41], v[36:37]
	v_mov_b64_e32 v[38:39], v[34:35]
	v_mov_b64_e32 v[36:37], v[32:33]
	v_mov_b32_e32 v31, v27
	v_mov_b64_e32 v[162:163], v[50:51]
	v_mov_b64_e32 v[166:167], v[54:55]
	v_mov_b32_e32 v30, v26
	v_mov_b64_e32 v[148:149], v[36:37]
	v_mov_b64_e32 v[164:165], v[52:53]
	;; [unrolled: 1-line block ×5, first 2 shown]
	scratch_store_dwordx4 off, v[56:59], off offset:2704 ; 16-byte Folded Spill
	s_nop 0
	scratch_store_dwordx4 off, v[60:63], off offset:2720 ; 16-byte Folded Spill
	scratch_store_dwordx4 off, v[64:67], off offset:2736 ; 16-byte Folded Spill
	;; [unrolled: 1-line block ×7, first 2 shown]
	v_mov_b64_e32 v[78:79], v[22:23]
	v_mov_b64_e32 v[154:155], v[42:43]
	;; [unrolled: 1-line block ×4, first 2 shown]
	v_mov_b32_e32 v41, v10
	v_mov_b64_e32 v[16:17], v[164:165]
	v_mov_b64_e32 v[18:19], v[166:167]
	v_mov_b32_e32 v36, v204
	v_mov_b32_e32 v37, v205
	;; [unrolled: 1-line block ×54, first 2 shown]
	v_mov_b64_e32 v[94:95], v[70:71]
	v_mov_b64_e32 v[86:87], v[62:63]
	;; [unrolled: 1-line block ×12, first 2 shown]
	scratch_store_dwordx4 off, v[56:59], off offset:2576 ; 16-byte Folded Spill
	s_nop 0
	scratch_store_dwordx4 off, v[60:63], off offset:2592 ; 16-byte Folded Spill
	scratch_store_dwordx4 off, v[64:67], off offset:2608 ; 16-byte Folded Spill
	;; [unrolled: 1-line block ×7, first 2 shown]
	v_mov_b64_e32 v[110:111], v[102:103]
	v_mov_b32_e32 v246, v102
	v_mov_b32_e32 v247, v103
	;; [unrolled: 1-line block ×6, first 2 shown]
	v_mov_b64_e32 v[108:109], v[100:101]
	v_mov_b64_e32 v[106:107], v[98:99]
	;; [unrolled: 1-line block ×3, first 2 shown]
	v_mov_b32_e32 v80, v248
	v_mov_b32_e32 v81, v249
	v_mov_b64_e32 v[102:103], v[70:71]
	v_mov_b64_e32 v[100:101], v[68:69]
	;; [unrolled: 1-line block ×8, first 2 shown]
	scratch_store_dwordx4 off, v[56:59], off offset:2320 ; 16-byte Folded Spill
	s_nop 0
	scratch_store_dwordx4 off, v[60:63], off offset:2336 ; 16-byte Folded Spill
	scratch_store_dwordx4 off, v[64:67], off offset:2352 ; 16-byte Folded Spill
	;; [unrolled: 1-line block ×7, first 2 shown]
	ds_read2_b32 v[32:33], v255 offset0:26 offset1:27
	ds_read2_b32 v[34:35], v255 offset0:28 offset1:29
	v_mov_b32_e32 v82, v110
	v_mov_b32_e32 v83, v111
	scratch_store_dwordx4 off, v[88:91], off offset:400 ; 16-byte Folded Spill
	s_nop 0
	scratch_store_dwordx4 off, v[92:95], off offset:416 ; 16-byte Folded Spill
	scratch_store_dwordx4 off, v[96:99], off offset:432 ; 16-byte Folded Spill
	;; [unrolled: 1-line block ×7, first 2 shown]
	ds_read_b32 v27, v255 offset:120
	s_waitcnt lgkmcnt(1)
	v_pk_fma_f32 v[180:181], v[10:11], v[34:35], v[28:29] op_sel_hi:[0,1,1] neg_lo:[1,0,0] neg_hi:[1,0,0]
	scratch_load_dwordx2 v[28:29], off, off offset:136 ; 8-byte Folded Reload
	v_pk_fma_f32 v[86:87], v[10:11], v[32:33], v[30:31] op_sel_hi:[0,1,1] neg_lo:[1,0,0] neg_hi:[1,0,0]
	v_mov_b32_e32 v77, v10
	v_mov_b32_e32 v78, v54
	v_mov_b32_e32 v105, v10
	v_mov_b32_e32 v106, v18
	v_mov_b32_e32 v107, v19
	v_mov_b32_e32 v88, v192
	v_mov_b32_e32 v89, v193
	v_mov_b32_e32 v90, v194
	v_mov_b32_e32 v91, v195
	v_mov_b32_e32 v92, v196
	v_mov_b32_e32 v93, v197
	v_mov_b32_e32 v94, v198
	v_mov_b32_e32 v95, v199
	v_mov_b32_e32 v96, v200
	v_mov_b32_e32 v97, v201
	v_mov_b32_e32 v98, v202
	v_mov_b32_e32 v99, v203
	v_mov_b32_e32 v100, v204
	v_mov_b32_e32 v101, v205
	v_mov_b32_e32 v102, v206
	v_mov_b32_e32 v103, v207
	v_mov_b32_e32 v104, v208
	v_mov_b32_e32 v108, v146
	v_mov_b32_e32 v109, v147
	v_mov_b32_e32 v112, v248
	v_mov_b32_e32 v113, v249
	v_mov_b32_e32 v114, v86
	v_mov_b32_e32 v115, v87
	v_mov_b32_e32 v32, v200
	v_mov_b32_e32 v33, v201
	v_mov_b32_e32 v34, v202
	v_mov_b32_e32 v35, v203
	v_mov_b32_e32 v50, v86
	v_mov_b32_e32 v51, v87
	v_mov_b32_e32 v52, v180
	v_mov_b32_e32 v53, v181
	v_mov_b32_e32 v79, v55
	v_mov_b32_e32 v60, v192
	v_mov_b32_e32 v61, v193
	v_mov_b32_e32 v62, v194
	v_mov_b32_e32 v63, v195
	v_mov_b32_e32 v64, v196
	v_mov_b32_e32 v65, v197
	v_mov_b32_e32 v66, v198
	v_mov_b32_e32 v67, v199
	v_mov_b32_e32 v68, v200
	v_mov_b32_e32 v69, v201
	v_mov_b32_e32 v70, v202
	v_mov_b32_e32 v71, v203
	v_mov_b32_e32 v72, v204
	v_mov_b32_e32 v73, v205
	v_mov_b32_e32 v74, v206
	v_mov_b32_e32 v75, v207
	v_mov_b32_e32 v76, v208
	v_mov_b32_e32 v80, v146
	v_mov_b32_e32 v81, v147
	v_mov_b32_e32 v84, v248
	v_mov_b32_e32 v85, v249
	v_mov_b32_e32 v178, v86
	v_mov_b32_e32 v179, v87
	s_waitcnt vmcnt(0) lgkmcnt(0)
	v_fma_f32 v54, -v10, v27, v29
	v_mov_b64_e32 v[0:1], v[148:149]
	v_mov_b64_e32 v[2:3], v[150:151]
	;; [unrolled: 1-line block ×8, first 2 shown]
	scratch_store_dwordx4 off, v[0:3], off offset:1040 ; 16-byte Folded Spill
	s_nop 0
	scratch_store_dwordx4 off, v[4:7], off offset:1056 ; 16-byte Folded Spill
	scratch_store_dwordx4 off, v[8:11], off offset:1072 ; 16-byte Folded Spill
	;; [unrolled: 1-line block ×7, first 2 shown]
	scratch_load_dwordx4 v[0:3], off, off offset:400 ; 16-byte Folded Reload
	s_nop 0
	scratch_load_dwordx4 v[4:7], off, off offset:416 ; 16-byte Folded Reload
	scratch_load_dwordx4 v[8:11], off, off offset:432 ; 16-byte Folded Reload
	;; [unrolled: 1-line block ×7, first 2 shown]
	v_mov_b32_e32 v152, v192
	v_mov_b32_e32 v153, v193
	v_mov_b32_e32 v154, v194
	v_mov_b32_e32 v155, v195
	v_mov_b32_e32 v156, v196
	v_mov_b32_e32 v157, v197
	v_mov_b32_e32 v158, v198
	v_mov_b32_e32 v159, v199
	v_mov_b32_e32 v160, v200
	v_mov_b32_e32 v161, v201
	v_mov_b32_e32 v162, v202
	v_mov_b32_e32 v163, v203
	s_waitcnt vmcnt(2)
	v_mov_b32_e32 v110, v22
	v_mov_b32_e32 v111, v23
	scratch_store_dwordx4 off, v[88:91], off offset:2064 ; 16-byte Folded Spill
	s_nop 0
	scratch_store_dwordx4 off, v[92:95], off offset:2080 ; 16-byte Folded Spill
	scratch_store_dwordx4 off, v[96:99], off offset:2096 ; 16-byte Folded Spill
	;; [unrolled: 1-line block ×7, first 2 shown]
	scratch_load_dwordx4 v[0:3], off, off offset:1040 ; 16-byte Folded Reload
	scratch_load_dwordx4 v[4:7], off, off offset:1056 ; 16-byte Folded Reload
	;; [unrolled: 1-line block ×16, first 2 shown]
	s_waitcnt vmcnt(9)
	v_mov_b32_e32 v24, v192
	v_mov_b32_e32 v25, v193
	;; [unrolled: 1-line block ×4, first 2 shown]
	s_waitcnt vmcnt(8)
	v_mov_b32_e32 v28, v196
	v_mov_b32_e32 v29, v197
	;; [unrolled: 1-line block ×4, first 2 shown]
	scratch_load_dword v255, off, off offset:2960 ; 4-byte Folded Reload
	s_nop 0
	scratch_store_dwordx4 off, v[192:195], off offset:3476 ; 16-byte Folded Spill
	s_nop 0
	scratch_store_dwordx4 off, v[196:199], off offset:3492 ; 16-byte Folded Spill
	scratch_store_dwordx4 off, v[200:203], off offset:3508 ; 16-byte Folded Spill
	;; [unrolled: 1-line block ×7, first 2 shown]
	v_mov_b64_e32 v[20:21], v[18:19]
	v_mov_b64_e32 v[18:19], v[16:17]
	;; [unrolled: 1-line block ×3, first 2 shown]
	s_waitcnt vmcnt(11)
	v_mov_b32_e32 v174, v110
	v_mov_b32_e32 v175, v111
	;; [unrolled: 1-line block ×6, first 2 shown]
	s_waitcnt vmcnt(9)
	v_mov_b64_e32 v[118:119], v[54:55]
	v_mov_b64_e32 v[14:15], v[12:13]
	;; [unrolled: 1-line block ×8, first 2 shown]
	v_mov_b32_e32 v1, v54
	v_mov_b64_e32 v[116:117], v[52:53]
	v_mov_b64_e32 v[114:115], v[50:51]
	;; [unrolled: 1-line block ×15, first 2 shown]
	v_mov_b32_e32 v0, v181
	v_mov_b64_e32 v[54:55], v[20:21]
	v_mov_b32_e32 v170, v20
	scratch_store_dwordx2 off, v[0:1], off offset:136 ; 8-byte Folded Spill
	v_mov_b64_e32 v[52:53], v[18:19]
	v_mov_b32_e32 v20, v146
	scratch_store_dwordx4 off, v[126:129], off offset:912 ; 16-byte Folded Spill
	s_nop 0
	scratch_store_dwordx4 off, v[130:133], off offset:928 ; 16-byte Folded Spill
	scratch_store_dwordx4 off, v[134:137], off offset:944 ; 16-byte Folded Spill
	;; [unrolled: 1-line block ×8, first 2 shown]
	s_nop 0
	scratch_store_dwordx4 off, v[92:95], off offset:24 ; 16-byte Folded Spill
	scratch_store_dwordx4 off, v[96:99], off offset:40 ; 16-byte Folded Spill
	;; [unrolled: 1-line block ×7, first 2 shown]
	scratch_load_dwordx4 v[22:25], off, off offset:400 ; 16-byte Folded Reload
	scratch_load_dwordx4 v[26:29], off, off offset:416 ; 16-byte Folded Reload
	;; [unrolled: 1-line block ×8, first 2 shown]
	v_mov_b32_e32 v18, v54
	v_mov_b32_e32 v19, v55
	;; [unrolled: 1-line block ×3, first 2 shown]
	s_waitcnt vmcnt(4)
	v_mov_b64_e32 v[102:103], v[36:37]
	v_mov_b64_e32 v[100:101], v[34:35]
	s_waitcnt vmcnt(2)
	v_mov_b64_e32 v[110:111], v[44:45]
	v_mov_b64_e32 v[98:99], v[32:33]
	;; [unrolled: 1-line block ×7, first 2 shown]
	v_mov_b32_e32 v22, v110
	v_mov_b32_e32 v23, v111
	;; [unrolled: 1-line block ×3, first 2 shown]
	scratch_store_dwordx4 off, v[0:3], off offset:656 ; 16-byte Folded Spill
	s_nop 0
	scratch_store_dwordx4 off, v[4:7], off offset:672 ; 16-byte Folded Spill
	scratch_store_dwordx4 off, v[8:11], off offset:688 ; 16-byte Folded Spill
	scratch_store_dwordx4 off, v[12:15], off offset:704 ; 16-byte Folded Spill
	scratch_store_dwordx4 off, v[16:19], off offset:720 ; 16-byte Folded Spill
	scratch_store_dwordx4 off, v[20:23], off offset:736 ; 16-byte Folded Spill
	scratch_store_dwordx4 off, v[24:27], off offset:752 ; 16-byte Folded Spill
	scratch_store_dwordx4 off, v[28:31], off offset:768 ; 16-byte Folded Spill
	scratch_store_dwordx4 off, v[224:227], off offset:528 ; 16-byte Folded Spill
	s_nop 0
	scratch_store_dwordx4 off, v[228:231], off offset:544 ; 16-byte Folded Spill
	scratch_store_dwordx4 off, v[232:235], off offset:560 ; 16-byte Folded Spill
	scratch_store_dwordx4 off, v[236:239], off offset:576 ; 16-byte Folded Spill
	scratch_store_dwordx4 off, v[240:243], off offset:592 ; 16-byte Folded Spill
	scratch_store_dwordx4 off, v[244:247], off offset:608 ; 16-byte Folded Spill
	scratch_store_dwordx4 off, v[248:251], off offset:624 ; 16-byte Folded Spill
	scratch_store_dwordx4 off, v[252:255], off offset:640 ; 16-byte Folded Spill
	;; [unrolled: 9-line block ×3, first 2 shown]
	v_mov_b64_e32 v[108:109], v[42:43]
	v_mov_b64_e32 v[106:107], v[40:41]
	v_mov_b64_e32 v[104:105], v[38:39]
	s_waitcnt vmcnt(24)
	v_mov_b64_e32 v[38:39], v[152:153]
	v_mov_b64_e32 v[54:55], v[168:169]
	;; [unrolled: 1-line block ×14, first 2 shown]
	v_mov_b32_e32 v66, v180
	v_mov_b32_e32 v252, v180
	scratch_store_dwordx4 off, v[38:41], off offset:1168 ; 16-byte Folded Spill
	s_nop 0
	scratch_store_dwordx4 off, v[42:45], off offset:1184 ; 16-byte Folded Spill
	scratch_store_dwordx4 off, v[46:49], off offset:1200 ; 16-byte Folded Spill
	;; [unrolled: 1-line block ×7, first 2 shown]
	v_mov_b32_e32 v223, v249
	v_mov_b32_e32 v207, v87
	;; [unrolled: 1-line block ×3, first 2 shown]
.LBB60_303:
	s_or_b64 exec, exec, s[0:1]
	s_barrier
	scratch_load_dword v0, off, off offset:4 ; 4-byte Folded Reload
	v_mov_b32_e32 v1, v255
	s_cmp_lt_i32 s22, 20
	s_waitcnt vmcnt(0)
	v_lshl_add_u32 v26, v0, 2, v1
	ds_write_b32 v26, v18
	s_waitcnt lgkmcnt(0)
	s_barrier
	ds_read_b32 v28, v255 offset:72
	v_mov_b32_e32 v26, 18
	s_cbranch_scc1 .LBB60_306
; %bb.304:
	v_add_u32_e32 v27, 0x4c, v255
	v_mov_b32_e32 v26, 18
	s_mov_b32 s0, 19
.LBB60_305:                             ; =>This Inner Loop Header: Depth=1
	ds_read_b32 v29, v27
	v_add_u32_e32 v27, 4, v27
	s_waitcnt lgkmcnt(0)
	v_cmp_lt_f32_e64 vcc, |v28|, |v29|
	s_nop 1
	v_cndmask_b32_e32 v28, v28, v29, vcc
	v_mov_b32_e32 v29, s0
	s_add_i32 s0, s0, 1
	v_cndmask_b32_e32 v26, v26, v29, vcc
	s_cmp_lg_u32 s22, s0
	s_cbranch_scc1 .LBB60_305
.LBB60_306:
	s_waitcnt lgkmcnt(0)
	v_cmp_eq_f32_e32 vcc, 0, v28
	s_and_saveexec_b64 s[0:1], vcc
	s_xor_b64 s[0:1], exec, s[0:1]
	s_cbranch_execz .LBB60_308
; %bb.307:
	scratch_load_dword v0, off, off offset:144 ; 4-byte Folded Reload
	s_waitcnt vmcnt(0)
	v_cmp_ne_u32_e32 vcc, 0, v0
	s_nop 1
	v_cndmask_b32_e32 v0, 19, v0, vcc
	scratch_store_dword off, v0, off offset:144 ; 4-byte Folded Spill
.LBB60_308:
	s_andn2_saveexec_b64 s[0:1], s[0:1]
	s_cbranch_execz .LBB60_310
; %bb.309:
	v_div_scale_f32 v27, s[2:3], v28, v28, 1.0
	v_rcp_f32_e32 v29, v27
	v_div_scale_f32 v30, vcc, 1.0, v28, 1.0
	v_fma_f32 v31, -v27, v29, 1.0
	v_fmac_f32_e32 v29, v31, v29
	v_mul_f32_e32 v31, v30, v29
	v_fma_f32 v60, -v27, v31, v30
	v_fmac_f32_e32 v31, v60, v29
	v_fma_f32 v27, -v27, v31, v30
	v_div_fmas_f32 v27, v27, v29, v31
	v_div_fixup_f32 v28, v27, v28, 1.0
.LBB60_310:
	s_or_b64 exec, exec, s[0:1]
	scratch_load_dword v0, off, off offset:4 ; 4-byte Folded Reload
	s_waitcnt vmcnt(0)
	v_cmp_ne_u32_e32 vcc, v0, v26
	s_and_saveexec_b64 s[0:1], vcc
	s_xor_b64 s[0:1], exec, s[0:1]
	s_cbranch_execz .LBB60_316
; %bb.311:
	scratch_load_dword v0, off, off offset:4 ; 4-byte Folded Reload
	s_waitcnt vmcnt(0)
	v_cmp_eq_u32_e32 vcc, 18, v0
	s_and_saveexec_b64 s[2:3], vcc
	s_cbranch_execz .LBB60_315
; %bb.312:
	v_cmp_ne_u32_e32 vcc, 18, v26
	s_xor_b64 s[12:13], s[20:21], -1
	s_and_b64 s[14:15], s[12:13], vcc
	s_and_saveexec_b64 s[12:13], s[14:15]
	s_cbranch_execz .LBB60_314
; %bb.313:
	s_movk_i32 s14, 0x159c
	scratch_load_dwordx2 v[60:61], off, s14 ; 8-byte Folded Reload
	v_ashrrev_i32_e32 v27, 31, v26
	s_waitcnt vmcnt(0)
	v_lshl_add_u64 v[30:31], v[26:27], 2, v[60:61]
	global_load_dword v27, v[30:31], off
	global_load_dword v29, v[60:61], off offset:72
	s_waitcnt vmcnt(1)
	global_store_dword v[60:61], v27, off offset:72
	s_waitcnt vmcnt(1)
	global_store_dword v[30:31], v29, off
.LBB60_314:
	s_or_b64 exec, exec, s[12:13]
	v_mov_b32_e32 v27, v26
	v_mov_b32_e32 v0, v26
	scratch_store_dword off, v27, off offset:3860 ; 4-byte Folded Spill
	scratch_store_dword off, v0, off offset:4 ; 4-byte Folded Spill
.LBB60_315:
	s_or_b64 exec, exec, s[2:3]
.LBB60_316:
	s_andn2_saveexec_b64 s[0:1], s[0:1]
	s_cbranch_execz .LBB60_318
; %bb.317:
	scratch_load_dwordx4 v[36:39], off, off offset:8 ; 16-byte Folded Reload
	scratch_load_dwordx4 v[40:43], off, off offset:24 ; 16-byte Folded Reload
	;; [unrolled: 1-line block ×8, first 2 shown]
	v_mov_b32_e32 v0, 18
	s_waitcnt vmcnt(2)
	ds_write2_b32 v255, v55, v56 offset0:19 offset1:20
	ds_write2_b32 v255, v57, v58 offset0:21 offset1:22
	s_waitcnt vmcnt(1)
	ds_write2_b32 v255, v59, v60 offset0:23 offset1:24
	ds_write2_b32 v255, v61, v62 offset0:25 offset1:26
	;; [unrolled: 3-line block ×3, first 2 shown]
	scratch_store_dword off, v0, off offset:4 ; 4-byte Folded Spill
.LBB60_318:
	s_or_b64 exec, exec, s[0:1]
	s_waitcnt lgkmcnt(0)
	s_barrier
	scratch_load_dword v0, off, off offset:4 ; 4-byte Folded Reload
	s_waitcnt vmcnt(0)
	v_cmp_lt_i32_e32 vcc, 18, v0
	s_and_saveexec_b64 s[0:1], vcc
	s_cbranch_execz .LBB60_320
; %bb.319:
	scratch_load_dwordx4 v[32:35], off, off offset:3476 ; 16-byte Folded Reload
	scratch_load_dwordx4 v[36:39], off, off offset:3492 ; 16-byte Folded Reload
	;; [unrolled: 1-line block ×8, first 2 shown]
	ds_read2_b32 v[0:1], v255 offset0:19 offset1:20
	scratch_load_dwordx4 v[52:55], off, off offset:8 ; 16-byte Folded Reload
	scratch_load_dwordx4 v[56:59], off, off offset:24 ; 16-byte Folded Reload
	;; [unrolled: 1-line block ×8, first 2 shown]
	ds_read2_b32 v[4:5], v255 offset0:21 offset1:22
	ds_read2_b32 v[6:7], v255 offset0:23 offset1:24
	;; [unrolled: 1-line block ×3, first 2 shown]
	s_waitcnt vmcnt(11)
	v_mul_f32_e32 v50, v18, v28
	v_mov_b32_e32 v18, v50
	v_mov_b32_e32 v254, v255
	v_mov_b32_e32 v242, v50
	v_mov_b32_e32 v108, v50
	v_mov_b32_e32 v210, v50
	v_mov_b32_e32 v224, v32
	v_mov_b32_e32 v225, v33
	v_mov_b32_e32 v10, v42
	v_mov_b32_e32 v11, v43
	v_mov_b32_e32 v12, v44
	v_mov_b32_e32 v13, v45
	v_mov_b32_e32 v14, v46
	v_mov_b32_e32 v15, v47
	v_mov_b32_e32 v16, v48
	s_waitcnt vmcnt(0)
	v_mov_b32_e32 v55, v71
	v_mov_b32_e32 v56, v72
	;; [unrolled: 1-line block ×6, first 2 shown]
	s_waitcnt lgkmcnt(3)
	v_pk_fma_f32 v[26:27], v[50:51], v[0:1], v[2:3] op_sel_hi:[0,1,1] neg_lo:[1,0,0] neg_hi:[1,0,0]
	v_mov_b32_e32 v1, v58
	v_mov_b32_e32 v0, v57
	ds_read2_b32 v[2:3], v255 offset0:27 offset1:28
	v_mov_b32_e32 v59, v75
	v_mov_b32_e32 v60, v76
	s_waitcnt lgkmcnt(3)
	v_pk_fma_f32 v[28:29], v[50:51], v[4:5], v[0:1] op_sel_hi:[0,1,1] neg_lo:[1,0,0] neg_hi:[1,0,0]
	ds_read2_b32 v[4:5], v255 offset0:29 offset1:30
	v_mov_b32_e32 v61, v77
	v_mov_b32_e32 v62, v78
	;; [unrolled: 1-line block ×6, first 2 shown]
	s_waitcnt lgkmcnt(3)
	v_pk_fma_f32 v[30:31], v[50:51], v[6:7], v[0:1] op_sel_hi:[0,1,1] neg_lo:[1,0,0] neg_hi:[1,0,0]
	v_mov_b32_e32 v1, v62
	v_mov_b32_e32 v0, v61
	;; [unrolled: 1-line block ×4, first 2 shown]
	s_waitcnt lgkmcnt(2)
	v_pk_fma_f32 v[60:61], v[50:51], v[8:9], v[0:1] op_sel_hi:[0,1,1] neg_lo:[1,0,0] neg_hi:[1,0,0]
	v_mov_b32_e32 v1, v64
	v_mov_b32_e32 v0, v63
	s_waitcnt lgkmcnt(1)
	v_pk_fma_f32 v[62:63], v[50:51], v[2:3], v[0:1] op_sel_hi:[0,1,1] neg_lo:[1,0,0] neg_hi:[1,0,0]
	v_mov_b32_e32 v1, v66
	v_mov_b32_e32 v0, v65
	;; [unrolled: 4-line block ×3, first 2 shown]
	v_mov_b32_e32 v2, v34
	v_mov_b32_e32 v3, v35
	;; [unrolled: 1-line block ×12, first 2 shown]
	scratch_store_dwordx4 off, v[0:3], off offset:912 ; 16-byte Folded Spill
	s_nop 0
	scratch_store_dwordx4 off, v[4:7], off offset:928 ; 16-byte Folded Spill
	scratch_store_dwordx4 off, v[8:11], off offset:944 ; 16-byte Folded Spill
	;; [unrolled: 1-line block ×7, first 2 shown]
	v_mov_b32_e32 v226, v34
	v_mov_b32_e32 v227, v35
	;; [unrolled: 1-line block ×62, first 2 shown]
	scratch_store_dwordx4 off, v[0:3], off offset:2704 ; 16-byte Folded Spill
	s_nop 0
	scratch_store_dwordx4 off, v[4:7], off offset:2720 ; 16-byte Folded Spill
	scratch_store_dwordx4 off, v[8:11], off offset:2736 ; 16-byte Folded Spill
	scratch_store_dwordx4 off, v[12:15], off offset:2752 ; 16-byte Folded Spill
	scratch_store_dwordx4 off, v[16:19], off offset:2768 ; 16-byte Folded Spill
	scratch_store_dwordx4 off, v[20:23], off offset:2784 ; 16-byte Folded Spill
	scratch_store_dwordx4 off, v[24:27], off offset:2800 ; 16-byte Folded Spill
	scratch_store_dwordx4 off, v[28:31], off offset:2816 ; 16-byte Folded Spill
	v_mov_b32_e32 v22, v29
	scratch_store_dwordx4 off, v[0:3], off offset:400 ; 16-byte Folded Spill
	s_nop 0
	scratch_store_dwordx4 off, v[4:7], off offset:416 ; 16-byte Folded Spill
	scratch_store_dwordx4 off, v[8:11], off offset:432 ; 16-byte Folded Spill
	scratch_store_dwordx4 off, v[12:15], off offset:448 ; 16-byte Folded Spill
	scratch_store_dwordx4 off, v[16:19], off offset:464 ; 16-byte Folded Spill
	scratch_store_dwordx4 off, v[20:23], off offset:480 ; 16-byte Folded Spill
	scratch_store_dwordx4 off, v[24:27], off offset:496 ; 16-byte Folded Spill
	scratch_store_dwordx4 off, v[28:31], off offset:512 ; 16-byte Folded Spill
	v_mov_b32_e32 v23, v30
	;; [unrolled: 10-line block ×3, first 2 shown]
	v_mov_b32_e32 v244, v27
	v_mov_b32_e32 v245, v28
	;; [unrolled: 1-line block ×7, first 2 shown]
	scratch_store_dwordx4 off, v[224:227], off offset:528 ; 16-byte Folded Spill
	s_nop 0
	scratch_store_dwordx4 off, v[228:231], off offset:544 ; 16-byte Folded Spill
	scratch_store_dwordx4 off, v[232:235], off offset:560 ; 16-byte Folded Spill
	;; [unrolled: 1-line block ×8, first 2 shown]
	s_nop 0
	scratch_store_dwordx4 off, v[4:7], off offset:2336 ; 16-byte Folded Spill
	scratch_store_dwordx4 off, v[8:11], off offset:2352 ; 16-byte Folded Spill
	;; [unrolled: 1-line block ×7, first 2 shown]
	v_mov_b32_e32 v249, v60
	v_mov_b32_e32 v250, v61
	scratch_store_dwordx4 off, v[224:227], off offset:272 ; 16-byte Folded Spill
	s_nop 0
	scratch_store_dwordx4 off, v[228:231], off offset:288 ; 16-byte Folded Spill
	scratch_store_dwordx4 off, v[232:235], off offset:304 ; 16-byte Folded Spill
	;; [unrolled: 1-line block ×7, first 2 shown]
	v_mov_b32_e32 v109, v26
	v_mov_b32_e32 v110, v27
	;; [unrolled: 1-line block ×6, first 2 shown]
	scratch_store_dwordx4 off, v[90:93], off offset:2064 ; 16-byte Folded Spill
	s_nop 0
	scratch_store_dwordx4 off, v[94:97], off offset:2080 ; 16-byte Folded Spill
	scratch_store_dwordx4 off, v[98:101], off offset:2096 ; 16-byte Folded Spill
	;; [unrolled: 1-line block ×7, first 2 shown]
	v_mov_b32_e32 v211, v26
	v_mov_b32_e32 v212, v27
	;; [unrolled: 1-line block ×8, first 2 shown]
	scratch_store_dwordx4 off, v[90:93], off offset:1168 ; 16-byte Folded Spill
	s_nop 0
	scratch_store_dwordx4 off, v[94:97], off offset:1184 ; 16-byte Folded Spill
	scratch_store_dwordx4 off, v[98:101], off offset:1200 ; 16-byte Folded Spill
	;; [unrolled: 1-line block ×7, first 2 shown]
	scratch_store_dwordx2 off, v[88:89], off offset:136 ; 8-byte Folded Spill
	scratch_store_dwordx4 off, v[192:195], off offset:8 ; 16-byte Folded Spill
	s_nop 0
	scratch_store_dwordx4 off, v[196:199], off offset:24 ; 16-byte Folded Spill
	scratch_store_dwordx4 off, v[200:203], off offset:40 ; 16-byte Folded Spill
	;; [unrolled: 1-line block ×7, first 2 shown]
	scratch_load_dword v255, off, off offset:2960 ; 4-byte Folded Reload
	s_nop 0
	scratch_store_dwordx4 off, v[32:35], off offset:2964 ; 16-byte Folded Spill
	s_nop 0
	scratch_store_dwordx4 off, v[36:39], off offset:2980 ; 16-byte Folded Spill
	scratch_store_dwordx4 off, v[40:43], off offset:2996 ; 16-byte Folded Spill
	scratch_store_dwordx4 off, v[44:47], off offset:3012 ; 16-byte Folded Spill
	scratch_store_dwordx4 off, v[48:51], off offset:3028 ; 16-byte Folded Spill
	scratch_store_dwordx4 off, v[52:55], off offset:3044 ; 16-byte Folded Spill
	scratch_store_dwordx4 off, v[56:59], off offset:3060 ; 16-byte Folded Spill
	scratch_store_dwordx4 off, v[60:63], off offset:3076 ; 16-byte Folded Spill
	scratch_store_dwordx4 off, v[32:35], off offset:1040 ; 16-byte Folded Spill
	s_nop 0
	scratch_store_dwordx4 off, v[36:39], off offset:1056 ; 16-byte Folded Spill
	scratch_store_dwordx4 off, v[40:43], off offset:1072 ; 16-byte Folded Spill
	scratch_store_dwordx4 off, v[44:47], off offset:1088 ; 16-byte Folded Spill
	scratch_store_dwordx4 off, v[48:51], off offset:1104 ; 16-byte Folded Spill
	scratch_store_dwordx4 off, v[52:55], off offset:1120 ; 16-byte Folded Spill
	scratch_store_dwordx4 off, v[56:59], off offset:1136 ; 16-byte Folded Spill
	scratch_store_dwordx4 off, v[60:63], off offset:1152 ; 16-byte Folded Spill
	;; [unrolled: 9-line block ×3, first 2 shown]
	v_mov_b32_e32 v223, v60
	v_mov_b32_e32 v32, v61
	;; [unrolled: 1-line block ×4, first 2 shown]
.LBB60_320:
	s_or_b64 exec, exec, s[0:1]
	s_waitcnt vmcnt(63) expcnt(7) lgkmcnt(15)
	s_barrier
	scratch_load_dword v0, off, off offset:4 ; 4-byte Folded Reload
	s_waitcnt vmcnt(25)
	v_mov_b32_e32 v1, v255
	s_cmp_lt_i32 s22, 21
	s_waitcnt vmcnt(0)
	v_lshl_add_u32 v26, v0, 2, v1
	ds_write_b32 v26, v19
	s_waitcnt lgkmcnt(0)
	s_barrier
	ds_read_b32 v28, v255 offset:76
	v_mov_b32_e32 v26, 19
	s_cbranch_scc1 .LBB60_323
; %bb.321:
	v_add_u32_e32 v27, 0x50, v255
	v_mov_b32_e32 v26, 19
	s_mov_b32 s0, 20
.LBB60_322:                             ; =>This Inner Loop Header: Depth=1
	ds_read_b32 v29, v27
	v_add_u32_e32 v27, 4, v27
	s_waitcnt lgkmcnt(0)
	v_cmp_lt_f32_e64 vcc, |v28|, |v29|
	s_nop 1
	v_cndmask_b32_e32 v28, v28, v29, vcc
	v_mov_b32_e32 v29, s0
	s_add_i32 s0, s0, 1
	v_cndmask_b32_e32 v26, v26, v29, vcc
	s_cmp_lg_u32 s22, s0
	s_cbranch_scc1 .LBB60_322
.LBB60_323:
	s_waitcnt lgkmcnt(0)
	v_cmp_eq_f32_e32 vcc, 0, v28
	s_and_saveexec_b64 s[0:1], vcc
	s_xor_b64 s[0:1], exec, s[0:1]
	s_cbranch_execz .LBB60_325
; %bb.324:
	scratch_load_dword v0, off, off offset:144 ; 4-byte Folded Reload
	s_waitcnt vmcnt(0)
	v_cmp_ne_u32_e32 vcc, 0, v0
	s_nop 1
	v_cndmask_b32_e32 v0, 20, v0, vcc
	scratch_store_dword off, v0, off offset:144 ; 4-byte Folded Spill
.LBB60_325:
	s_andn2_saveexec_b64 s[0:1], s[0:1]
	s_cbranch_execz .LBB60_327
; %bb.326:
	v_div_scale_f32 v27, s[2:3], v28, v28, 1.0
	v_rcp_f32_e32 v29, v27
	v_div_scale_f32 v30, vcc, 1.0, v28, 1.0
	v_fma_f32 v31, -v27, v29, 1.0
	v_fmac_f32_e32 v29, v31, v29
	v_mul_f32_e32 v31, v30, v29
	v_fma_f32 v60, -v27, v31, v30
	v_fmac_f32_e32 v31, v60, v29
	v_fma_f32 v27, -v27, v31, v30
	v_div_fmas_f32 v27, v27, v29, v31
	v_div_fixup_f32 v28, v27, v28, 1.0
.LBB60_327:
	s_or_b64 exec, exec, s[0:1]
	scratch_load_dword v0, off, off offset:4 ; 4-byte Folded Reload
	s_waitcnt vmcnt(0)
	v_cmp_ne_u32_e32 vcc, v0, v26
	s_and_saveexec_b64 s[0:1], vcc
	s_xor_b64 s[0:1], exec, s[0:1]
	s_cbranch_execz .LBB60_333
; %bb.328:
	scratch_load_dword v0, off, off offset:4 ; 4-byte Folded Reload
	s_waitcnt vmcnt(0)
	v_cmp_eq_u32_e32 vcc, 19, v0
	s_and_saveexec_b64 s[2:3], vcc
	s_cbranch_execz .LBB60_332
; %bb.329:
	v_cmp_ne_u32_e32 vcc, 19, v26
	s_xor_b64 s[12:13], s[20:21], -1
	s_and_b64 s[14:15], s[12:13], vcc
	s_and_saveexec_b64 s[12:13], s[14:15]
	s_cbranch_execz .LBB60_331
; %bb.330:
	s_movk_i32 s14, 0x159c
	scratch_load_dwordx2 v[60:61], off, s14 ; 8-byte Folded Reload
	v_ashrrev_i32_e32 v27, 31, v26
	s_waitcnt vmcnt(0)
	v_lshl_add_u64 v[30:31], v[26:27], 2, v[60:61]
	global_load_dword v27, v[30:31], off
	global_load_dword v29, v[60:61], off offset:76
	s_waitcnt vmcnt(1)
	global_store_dword v[60:61], v27, off offset:76
	s_waitcnt vmcnt(1)
	global_store_dword v[30:31], v29, off
.LBB60_331:
	s_or_b64 exec, exec, s[12:13]
	v_mov_b32_e32 v27, v26
	v_mov_b32_e32 v0, v26
	scratch_store_dword off, v27, off offset:3860 ; 4-byte Folded Spill
	scratch_store_dword off, v0, off offset:4 ; 4-byte Folded Spill
.LBB60_332:
	s_or_b64 exec, exec, s[2:3]
.LBB60_333:
	s_andn2_saveexec_b64 s[0:1], s[0:1]
	s_cbranch_execz .LBB60_335
; %bb.334:
	scratch_load_dwordx4 v[36:39], off, off offset:8 ; 16-byte Folded Reload
	scratch_load_dwordx4 v[40:43], off, off offset:24 ; 16-byte Folded Reload
	;; [unrolled: 1-line block ×8, first 2 shown]
	v_mov_b32_e32 v0, 19
	s_waitcnt vmcnt(2)
	ds_write2_b32 v255, v56, v57 offset0:20 offset1:21
	ds_write2_b32 v255, v58, v59 offset0:22 offset1:23
	s_waitcnt vmcnt(1)
	ds_write2_b32 v255, v60, v61 offset0:24 offset1:25
	ds_write2_b32 v255, v62, v63 offset0:26 offset1:27
	s_waitcnt vmcnt(0)
	ds_write2_b32 v255, v64, v65 offset0:28 offset1:29
	scratch_load_dwordx2 v[26:27], off, off offset:136 ; 8-byte Folded Reload
	s_waitcnt vmcnt(0)
	ds_write_b32 v255, v27 offset:120
	scratch_store_dword off, v0, off offset:4 ; 4-byte Folded Spill
.LBB60_335:
	s_or_b64 exec, exec, s[0:1]
	s_waitcnt lgkmcnt(0)
	s_barrier
	scratch_load_dword v0, off, off offset:4 ; 4-byte Folded Reload
	s_waitcnt vmcnt(0)
	v_cmp_lt_i32_e32 vcc, 19, v0
	s_and_saveexec_b64 s[0:1], vcc
	s_cbranch_execz .LBB60_337
; %bb.336:
	v_mul_f32_e32 v26, v19, v28
	ds_read2_b32 v[0:1], v255 offset0:20 offset1:21
	scratch_load_dwordx4 v[28:31], off, off offset:8 ; 16-byte Folded Reload
	scratch_load_dwordx4 v[32:35], off, off offset:24 ; 16-byte Folded Reload
	;; [unrolled: 1-line block ×8, first 2 shown]
	v_mov_b32_e32 v19, v26
	v_mov_b32_e32 v145, v26
	v_mov_b32_e32 v254, v255
	s_waitcnt vmcnt(0)
	v_mov_b64_e32 v[28:29], v[48:49]
	v_mov_b32_e32 v2, v28
	v_mov_b32_e32 v3, v29
	ds_read2_b32 v[4:5], v255 offset0:22 offset1:23
	ds_read2_b32 v[6:7], v255 offset0:24 offset1:25
	;; [unrolled: 1-line block ×3, first 2 shown]
	v_mov_b64_e32 v[30:31], v[50:51]
	v_mov_b64_e32 v[32:33], v[52:53]
	;; [unrolled: 1-line block ×4, first 2 shown]
	s_waitcnt lgkmcnt(3)
	v_pk_fma_f32 v[146:147], v[26:27], v[0:1], v[2:3] op_sel_hi:[0,1,1] neg_lo:[1,0,0] neg_hi:[1,0,0]
	v_mov_b32_e32 v0, v30
	v_mov_b32_e32 v1, v31
	s_waitcnt lgkmcnt(2)
	v_pk_fma_f32 v[110:111], v[26:27], v[4:5], v[0:1] op_sel_hi:[0,1,1] neg_lo:[1,0,0] neg_hi:[1,0,0]
	v_mov_b32_e32 v0, v32
	v_mov_b32_e32 v1, v33
	;; [unrolled: 1-line block ×6, first 2 shown]
	scratch_load_dwordx4 v[32:35], off, off offset:1040 ; 16-byte Folded Reload
	scratch_load_dwordx4 v[36:39], off, off offset:1056 ; 16-byte Folded Reload
	;; [unrolled: 1-line block ×8, first 2 shown]
	s_waitcnt lgkmcnt(1)
	v_pk_fma_f32 v[248:249], v[26:27], v[6:7], v[0:1] op_sel_hi:[0,1,1] neg_lo:[1,0,0] neg_hi:[1,0,0]
	v_mov_b32_e32 v20, v146
	v_mov_b32_e32 v21, v147
	s_waitcnt vmcnt(3)
	v_mov_b32_e32 v51, v26
	v_mov_b32_e32 v108, v146
	;; [unrolled: 1-line block ×44, first 2 shown]
	scratch_store_dwordx4 off, v[0:3], off offset:2704 ; 16-byte Folded Spill
	s_nop 0
	scratch_store_dwordx4 off, v[4:7], off offset:2720 ; 16-byte Folded Spill
	scratch_store_dwordx4 off, v[8:11], off offset:2736 ; 16-byte Folded Spill
	;; [unrolled: 1-line block ×6, first 2 shown]
	s_waitcnt lgkmcnt(0)
	scratch_store_dwordx4 off, v[28:31], off offset:2816 ; 16-byte Folded Spill
	v_mov_b32_e32 v22, v110
	v_mov_b32_e32 v23, v111
	s_waitcnt vmcnt(10)
	v_mov_b32_e32 v52, v32
	v_mov_b32_e32 v53, v33
	v_mov_b32_e32 v54, v34
	v_mov_b32_e32 v55, v35
	s_waitcnt vmcnt(9)
	v_mov_b32_e32 v56, v36
	v_mov_b32_e32 v57, v37
	;; [unrolled: 5-line block ×3, first 2 shown]
	v_mov_b32_e32 v62, v42
	v_mov_b32_e32 v63, v43
	;; [unrolled: 1-line block ×61, first 2 shown]
	scratch_store_dwordx4 off, v[0:3], off offset:2576 ; 16-byte Folded Spill
	s_nop 0
	scratch_store_dwordx4 off, v[4:7], off offset:2592 ; 16-byte Folded Spill
	scratch_store_dwordx4 off, v[8:11], off offset:2608 ; 16-byte Folded Spill
	;; [unrolled: 1-line block ×7, first 2 shown]
	v_mov_b32_e32 v65, v45
	v_mov_b32_e32 v24, v248
	;; [unrolled: 1-line block ×47, first 2 shown]
	scratch_store_dwordx4 off, v[0:3], off offset:2320 ; 16-byte Folded Spill
	s_nop 0
	scratch_store_dwordx4 off, v[4:7], off offset:2336 ; 16-byte Folded Spill
	scratch_store_dwordx4 off, v[8:11], off offset:2352 ; 16-byte Folded Spill
	;; [unrolled: 1-line block ×7, first 2 shown]
	v_pk_fma_f32 v[78:79], v[26:27], v[28:29], v[30:31] op_sel_hi:[0,1,1] neg_lo:[1,0,0] neg_hi:[1,0,0]
	ds_read2_b32 v[28:29], v255 offset0:28 offset1:29
	v_mov_b32_e32 v71, v26
	v_mov_b32_e32 v171, v26
	;; [unrolled: 1-line block ×4, first 2 shown]
	s_waitcnt lgkmcnt(0)
	v_pk_fma_f32 v[180:181], v[26:27], v[28:29], v[80:81] op_sel_hi:[0,1,1] neg_lo:[1,0,0] neg_hi:[1,0,0]
	scratch_load_dwordx2 v[28:29], off, off offset:136 ; 8-byte Folded Reload
	ds_read_b32 v27, v255 offset:120
	v_mov_b32_e32 v219, v79
	v_mov_b32_e32 v220, v180
	;; [unrolled: 1-line block ×5, first 2 shown]
	s_waitcnt vmcnt(0) lgkmcnt(0)
	v_fma_f32 v222, -v26, v27, v29
	v_mov_b32_e32 v26, v78
	v_mov_b32_e32 v27, v79
	scratch_store_dwordx4 off, v[0:3], off offset:2064 ; 16-byte Folded Spill
	s_nop 0
	scratch_store_dwordx4 off, v[4:7], off offset:2080 ; 16-byte Folded Spill
	scratch_store_dwordx4 off, v[8:11], off offset:2096 ; 16-byte Folded Spill
	;; [unrolled: 1-line block ×7, first 2 shown]
	scratch_load_dword v255, off, off offset:2960 ; 4-byte Folded Reload
	s_nop 0
	scratch_store_dwordx4 off, v[32:35], off offset:2964 ; 16-byte Folded Spill
	s_nop 0
	scratch_store_dwordx4 off, v[36:39], off offset:2980 ; 16-byte Folded Spill
	scratch_store_dwordx4 off, v[40:43], off offset:2996 ; 16-byte Folded Spill
	;; [unrolled: 1-line block ×7, first 2 shown]
	v_mov_b32_e32 v27, v222
	v_mov_b32_e32 v26, v181
	;; [unrolled: 1-line block ×3, first 2 shown]
	scratch_store_dwordx2 off, v[26:27], off offset:136 ; 8-byte Folded Spill
	scratch_store_dwordx4 off, v[126:129], off offset:912 ; 16-byte Folded Spill
	s_nop 0
	scratch_store_dwordx4 off, v[130:133], off offset:928 ; 16-byte Folded Spill
	scratch_store_dwordx4 off, v[134:137], off offset:944 ; 16-byte Folded Spill
	scratch_store_dwordx4 off, v[138:141], off offset:960 ; 16-byte Folded Spill
	scratch_store_dwordx4 off, v[142:145], off offset:976 ; 16-byte Folded Spill
	scratch_store_dwordx4 off, v[146:149], off offset:992 ; 16-byte Folded Spill
	scratch_store_dwordx4 off, v[150:153], off offset:1008 ; 16-byte Folded Spill
	scratch_store_dwordx4 off, v[154:157], off offset:1024 ; 16-byte Folded Spill
	scratch_store_dwordx4 off, v[192:195], off offset:8 ; 16-byte Folded Spill
	s_nop 0
	scratch_store_dwordx4 off, v[196:199], off offset:24 ; 16-byte Folded Spill
	scratch_store_dwordx4 off, v[200:203], off offset:40 ; 16-byte Folded Spill
	scratch_store_dwordx4 off, v[204:207], off offset:56 ; 16-byte Folded Spill
	scratch_store_dwordx4 off, v[208:211], off offset:72 ; 16-byte Folded Spill
	scratch_store_dwordx4 off, v[212:215], off offset:88 ; 16-byte Folded Spill
	scratch_store_dwordx4 off, v[216:219], off offset:104 ; 16-byte Folded Spill
	scratch_store_dwordx4 off, v[220:223], off offset:120 ; 16-byte Folded Spill
	;; [unrolled: 9-line block ×4, first 2 shown]
	scratch_store_dwordx4 off, v[224:227], off offset:528 ; 16-byte Folded Spill
	s_nop 0
	scratch_store_dwordx4 off, v[228:231], off offset:544 ; 16-byte Folded Spill
	scratch_store_dwordx4 off, v[232:235], off offset:560 ; 16-byte Folded Spill
	;; [unrolled: 1-line block ×6, first 2 shown]
	s_waitcnt vmcnt(48)
	scratch_store_dwordx4 off, v[252:255], off offset:640 ; 16-byte Folded Spill
	scratch_store_dwordx4 off, v[52:55], off offset:272 ; 16-byte Folded Spill
	s_nop 0
	scratch_store_dwordx4 off, v[56:59], off offset:288 ; 16-byte Folded Spill
	scratch_store_dwordx4 off, v[60:63], off offset:304 ; 16-byte Folded Spill
	;; [unrolled: 1-line block ×7, first 2 shown]
	v_mov_b64_e32 v[54:55], v[168:169]
	v_mov_b64_e32 v[56:57], v[170:171]
	v_mov_b64_e32 v[58:59], v[172:173]
	v_mov_b64_e32 v[60:61], v[174:175]
	v_mov_b64_e32 v[62:63], v[176:177]
	v_mov_b64_e32 v[64:65], v[178:179]
	v_mov_b32_e32 v66, v180
	v_mov_b32_e32 v252, v180
	v_mov_b64_e32 v[38:39], v[152:153]
	v_mov_b64_e32 v[40:41], v[154:155]
	;; [unrolled: 1-line block ×8, first 2 shown]
	scratch_store_dwordx4 off, v[38:41], off offset:1168 ; 16-byte Folded Spill
	s_nop 0
	scratch_store_dwordx4 off, v[42:45], off offset:1184 ; 16-byte Folded Spill
	scratch_store_dwordx4 off, v[46:49], off offset:1200 ; 16-byte Folded Spill
	scratch_store_dwordx4 off, v[50:53], off offset:1216 ; 16-byte Folded Spill
	scratch_store_dwordx4 off, v[54:57], off offset:1232 ; 16-byte Folded Spill
	scratch_store_dwordx4 off, v[58:61], off offset:1248 ; 16-byte Folded Spill
	scratch_store_dwordx4 off, v[62:65], off offset:1264 ; 16-byte Folded Spill
	scratch_store_dwordx4 off, v[66:69], off offset:1280 ; 16-byte Folded Spill
	v_mov_b32_e32 v223, v249
	v_mov_b32_e32 v207, v79
.LBB60_337:
	s_or_b64 exec, exec, s[0:1]
	s_waitcnt vmcnt(63) expcnt(7) lgkmcnt(15)
	s_barrier
	scratch_load_dword v0, off, off offset:4 ; 4-byte Folded Reload
	v_mov_b32_e32 v1, v255
	s_cmp_lt_i32 s22, 22
	s_waitcnt vmcnt(0)
	v_lshl_add_u32 v26, v0, 2, v1
	ds_write_b32 v26, v20
	s_waitcnt lgkmcnt(0)
	s_barrier
	ds_read_b32 v28, v255 offset:80
	v_mov_b32_e32 v26, 20
	s_cbranch_scc1 .LBB60_340
; %bb.338:
	v_add_u32_e32 v27, 0x54, v255
	v_mov_b32_e32 v26, 20
	s_mov_b32 s0, 21
.LBB60_339:                             ; =>This Inner Loop Header: Depth=1
	ds_read_b32 v29, v27
	v_add_u32_e32 v27, 4, v27
	s_waitcnt lgkmcnt(0)
	v_cmp_lt_f32_e64 vcc, |v28|, |v29|
	s_nop 1
	v_cndmask_b32_e32 v28, v28, v29, vcc
	v_mov_b32_e32 v29, s0
	s_add_i32 s0, s0, 1
	v_cndmask_b32_e32 v26, v26, v29, vcc
	s_cmp_lg_u32 s22, s0
	s_cbranch_scc1 .LBB60_339
.LBB60_340:
	s_waitcnt lgkmcnt(0)
	v_cmp_eq_f32_e32 vcc, 0, v28
	s_and_saveexec_b64 s[0:1], vcc
	s_xor_b64 s[0:1], exec, s[0:1]
	s_cbranch_execz .LBB60_342
; %bb.341:
	scratch_load_dword v0, off, off offset:144 ; 4-byte Folded Reload
	s_waitcnt vmcnt(0)
	v_cmp_ne_u32_e32 vcc, 0, v0
	s_nop 1
	v_cndmask_b32_e32 v0, 21, v0, vcc
	scratch_store_dword off, v0, off offset:144 ; 4-byte Folded Spill
.LBB60_342:
	s_andn2_saveexec_b64 s[0:1], s[0:1]
	s_cbranch_execz .LBB60_344
; %bb.343:
	v_div_scale_f32 v27, s[2:3], v28, v28, 1.0
	v_rcp_f32_e32 v29, v27
	v_div_scale_f32 v30, vcc, 1.0, v28, 1.0
	v_fma_f32 v31, -v27, v29, 1.0
	v_fmac_f32_e32 v29, v31, v29
	v_mul_f32_e32 v31, v30, v29
	v_fma_f32 v60, -v27, v31, v30
	v_fmac_f32_e32 v31, v60, v29
	v_fma_f32 v27, -v27, v31, v30
	v_div_fmas_f32 v27, v27, v29, v31
	v_div_fixup_f32 v28, v27, v28, 1.0
.LBB60_344:
	s_or_b64 exec, exec, s[0:1]
	scratch_load_dword v0, off, off offset:4 ; 4-byte Folded Reload
	s_waitcnt vmcnt(0)
	v_cmp_ne_u32_e32 vcc, v0, v26
	s_and_saveexec_b64 s[0:1], vcc
	s_xor_b64 s[0:1], exec, s[0:1]
	s_cbranch_execz .LBB60_350
; %bb.345:
	scratch_load_dword v0, off, off offset:4 ; 4-byte Folded Reload
	s_waitcnt vmcnt(0)
	v_cmp_eq_u32_e32 vcc, 20, v0
	s_and_saveexec_b64 s[2:3], vcc
	s_cbranch_execz .LBB60_349
; %bb.346:
	v_cmp_ne_u32_e32 vcc, 20, v26
	s_xor_b64 s[12:13], s[20:21], -1
	s_and_b64 s[14:15], s[12:13], vcc
	s_and_saveexec_b64 s[12:13], s[14:15]
	s_cbranch_execz .LBB60_348
; %bb.347:
	s_movk_i32 s14, 0x159c
	scratch_load_dwordx2 v[60:61], off, s14 ; 8-byte Folded Reload
	v_ashrrev_i32_e32 v27, 31, v26
	s_waitcnt vmcnt(0)
	v_lshl_add_u64 v[30:31], v[26:27], 2, v[60:61]
	global_load_dword v27, v[30:31], off
	global_load_dword v29, v[60:61], off offset:80
	s_waitcnt vmcnt(1)
	global_store_dword v[60:61], v27, off offset:80
	s_waitcnt vmcnt(1)
	global_store_dword v[30:31], v29, off
.LBB60_348:
	s_or_b64 exec, exec, s[12:13]
	v_mov_b32_e32 v27, v26
	v_mov_b32_e32 v0, v26
	scratch_store_dword off, v27, off offset:3860 ; 4-byte Folded Spill
	scratch_store_dword off, v0, off offset:4 ; 4-byte Folded Spill
.LBB60_349:
	s_or_b64 exec, exec, s[2:3]
.LBB60_350:
	s_andn2_saveexec_b64 s[0:1], s[0:1]
	s_cbranch_execz .LBB60_352
; %bb.351:
	scratch_load_dwordx4 v[36:39], off, off offset:8 ; 16-byte Folded Reload
	scratch_load_dwordx4 v[40:43], off, off offset:24 ; 16-byte Folded Reload
	;; [unrolled: 1-line block ×8, first 2 shown]
	v_mov_b32_e32 v0, 20
	s_waitcnt vmcnt(2)
	ds_write2_b32 v255, v57, v58 offset0:21 offset1:22
	s_waitcnt vmcnt(1)
	ds_write2_b32 v255, v59, v60 offset0:23 offset1:24
	ds_write2_b32 v255, v61, v62 offset0:25 offset1:26
	s_waitcnt vmcnt(0)
	ds_write2_b32 v255, v63, v64 offset0:27 offset1:28
	ds_write2_b32 v255, v65, v66 offset0:29 offset1:30
	scratch_store_dword off, v0, off offset:4 ; 4-byte Folded Spill
.LBB60_352:
	s_or_b64 exec, exec, s[0:1]
	s_waitcnt lgkmcnt(0)
	s_barrier
	scratch_load_dword v0, off, off offset:4 ; 4-byte Folded Reload
	s_waitcnt vmcnt(0)
	v_cmp_lt_i32_e32 vcc, 20, v0
	s_and_saveexec_b64 s[0:1], vcc
	s_cbranch_execz .LBB60_354
; %bb.353:
	scratch_load_dwordx4 v[32:35], off, off offset:2964 ; 16-byte Folded Reload
	scratch_load_dwordx4 v[36:39], off, off offset:2980 ; 16-byte Folded Reload
	;; [unrolled: 1-line block ×8, first 2 shown]
	ds_read2_b32 v[0:1], v255 offset0:21 offset1:22
	scratch_load_dwordx4 v[54:57], off, off offset:8 ; 16-byte Folded Reload
	scratch_load_dwordx4 v[58:61], off, off offset:24 ; 16-byte Folded Reload
	scratch_load_dwordx4 v[62:65], off, off offset:40 ; 16-byte Folded Reload
	scratch_load_dwordx4 v[66:69], off, off offset:56 ; 16-byte Folded Reload
	scratch_load_dwordx4 v[70:73], off, off offset:72 ; 16-byte Folded Reload
	scratch_load_dwordx4 v[74:77], off, off offset:88 ; 16-byte Folded Reload
	scratch_load_dwordx4 v[78:81], off, off offset:104 ; 16-byte Folded Reload
	scratch_load_dwordx4 v[82:85], off, off offset:120 ; 16-byte Folded Reload
	s_waitcnt vmcnt(10)
	v_mul_f32_e32 v52, v20, v28
	ds_read2_b32 v[4:5], v255 offset0:23 offset1:24
	ds_read2_b32 v[6:7], v255 offset0:25 offset1:26
	;; [unrolled: 1-line block ×3, first 2 shown]
	v_mov_b32_e32 v20, v52
	v_mov_b32_e32 v254, v255
	;; [unrolled: 1-line block ×13, first 2 shown]
	s_waitcnt vmcnt(0)
	v_mov_b32_e32 v55, v75
	v_mov_b32_e32 v56, v76
	;; [unrolled: 1-line block ×6, first 2 shown]
	s_waitcnt lgkmcnt(3)
	v_pk_fma_f32 v[26:27], v[52:53], v[0:1], v[2:3] op_sel_hi:[0,1,1] neg_lo:[1,0,0] neg_hi:[1,0,0]
	ds_read2_b32 v[2:3], v255 offset0:29 offset1:30
	v_mov_b32_e32 v59, v79
	v_mov_b32_e32 v60, v80
	;; [unrolled: 1-line block ×6, first 2 shown]
	s_waitcnt lgkmcnt(3)
	v_pk_fma_f32 v[28:29], v[52:53], v[4:5], v[0:1] op_sel_hi:[0,1,1] neg_lo:[1,0,0] neg_hi:[1,0,0]
	v_mov_b32_e32 v1, v60
	v_mov_b32_e32 v0, v59
	;; [unrolled: 1-line block ×4, first 2 shown]
	s_waitcnt lgkmcnt(2)
	v_pk_fma_f32 v[30:31], v[52:53], v[6:7], v[0:1] op_sel_hi:[0,1,1] neg_lo:[1,0,0] neg_hi:[1,0,0]
	v_mov_b32_e32 v1, v62
	v_mov_b32_e32 v0, v61
	s_waitcnt lgkmcnt(1)
	v_pk_fma_f32 v[60:61], v[52:53], v[8:9], v[0:1] op_sel_hi:[0,1,1] neg_lo:[1,0,0] neg_hi:[1,0,0]
	v_mov_b32_e32 v1, v64
	v_mov_b32_e32 v0, v63
	;; [unrolled: 4-line block ×3, first 2 shown]
	v_mov_b32_e32 v2, v34
	v_mov_b32_e32 v3, v35
	;; [unrolled: 1-line block ×14, first 2 shown]
	scratch_store_dwordx4 off, v[0:3], off offset:400 ; 16-byte Folded Spill
	s_nop 0
	scratch_store_dwordx4 off, v[4:7], off offset:416 ; 16-byte Folded Spill
	scratch_store_dwordx4 off, v[8:11], off offset:432 ; 16-byte Folded Spill
	;; [unrolled: 1-line block ×7, first 2 shown]
	v_mov_b32_e32 v226, v34
	v_mov_b32_e32 v227, v35
	;; [unrolled: 1-line block ×65, first 2 shown]
	scratch_store_dwordx4 off, v[0:3], off offset:2576 ; 16-byte Folded Spill
	s_nop 0
	scratch_store_dwordx4 off, v[4:7], off offset:2592 ; 16-byte Folded Spill
	scratch_store_dwordx4 off, v[8:11], off offset:2608 ; 16-byte Folded Spill
	;; [unrolled: 1-line block ×7, first 2 shown]
	v_mov_b32_e32 v245, v26
	v_mov_b32_e32 v246, v27
	;; [unrolled: 1-line block ×6, first 2 shown]
	scratch_store_dwordx4 off, v[224:227], off offset:528 ; 16-byte Folded Spill
	s_nop 0
	scratch_store_dwordx4 off, v[228:231], off offset:544 ; 16-byte Folded Spill
	scratch_store_dwordx4 off, v[232:235], off offset:560 ; 16-byte Folded Spill
	;; [unrolled: 1-line block ×8, first 2 shown]
	s_nop 0
	scratch_store_dwordx4 off, v[4:7], off offset:2336 ; 16-byte Folded Spill
	scratch_store_dwordx4 off, v[8:11], off offset:2352 ; 16-byte Folded Spill
	;; [unrolled: 1-line block ×7, first 2 shown]
	v_mov_b32_e32 v249, v30
	v_mov_b32_e32 v250, v31
	;; [unrolled: 1-line block ×8, first 2 shown]
	scratch_store_dwordx4 off, v[224:227], off offset:272 ; 16-byte Folded Spill
	s_nop 0
	scratch_store_dwordx4 off, v[228:231], off offset:288 ; 16-byte Folded Spill
	scratch_store_dwordx4 off, v[232:235], off offset:304 ; 16-byte Folded Spill
	;; [unrolled: 1-line block ×8, first 2 shown]
	s_nop 0
	scratch_store_dwordx4 off, v[68:71], off offset:2080 ; 16-byte Folded Spill
	scratch_store_dwordx4 off, v[72:75], off offset:2096 ; 16-byte Folded Spill
	;; [unrolled: 1-line block ×7, first 2 shown]
	v_mov_b32_e32 v213, v26
	v_mov_b32_e32 v214, v27
	;; [unrolled: 1-line block ×8, first 2 shown]
	scratch_store_dwordx4 off, v[64:67], off offset:1168 ; 16-byte Folded Spill
	s_nop 0
	scratch_store_dwordx4 off, v[68:71], off offset:1184 ; 16-byte Folded Spill
	scratch_store_dwordx4 off, v[72:75], off offset:1200 ; 16-byte Folded Spill
	;; [unrolled: 1-line block ×7, first 2 shown]
	scratch_store_dwordx2 off, v[62:63], off offset:136 ; 8-byte Folded Spill
	scratch_store_dwordx4 off, v[192:195], off offset:8 ; 16-byte Folded Spill
	s_nop 0
	scratch_store_dwordx4 off, v[196:199], off offset:24 ; 16-byte Folded Spill
	scratch_store_dwordx4 off, v[200:203], off offset:40 ; 16-byte Folded Spill
	;; [unrolled: 1-line block ×7, first 2 shown]
	scratch_load_dword v255, off, off offset:2960 ; 4-byte Folded Reload
	s_nop 0
	scratch_store_dwordx4 off, v[32:35], off offset:2704 ; 16-byte Folded Spill
	s_nop 0
	scratch_store_dwordx4 off, v[36:39], off offset:2720 ; 16-byte Folded Spill
	scratch_store_dwordx4 off, v[40:43], off offset:2736 ; 16-byte Folded Spill
	scratch_store_dwordx4 off, v[44:47], off offset:2752 ; 16-byte Folded Spill
	scratch_store_dwordx4 off, v[48:51], off offset:2768 ; 16-byte Folded Spill
	scratch_store_dwordx4 off, v[52:55], off offset:2784 ; 16-byte Folded Spill
	scratch_store_dwordx4 off, v[56:59], off offset:2800 ; 16-byte Folded Spill
	scratch_store_dwordx4 off, v[60:63], off offset:2816 ; 16-byte Folded Spill
	scratch_store_dwordx4 off, v[32:35], off offset:912 ; 16-byte Folded Spill
	s_nop 0
	scratch_store_dwordx4 off, v[36:39], off offset:928 ; 16-byte Folded Spill
	scratch_store_dwordx4 off, v[40:43], off offset:944 ; 16-byte Folded Spill
	scratch_store_dwordx4 off, v[44:47], off offset:960 ; 16-byte Folded Spill
	scratch_store_dwordx4 off, v[48:51], off offset:976 ; 16-byte Folded Spill
	scratch_store_dwordx4 off, v[52:55], off offset:992 ; 16-byte Folded Spill
	scratch_store_dwordx4 off, v[56:59], off offset:1008 ; 16-byte Folded Spill
	scratch_store_dwordx4 off, v[60:63], off offset:1024 ; 16-byte Folded Spill
	scratch_store_dwordx4 off, v[0:3], off offset:656 ; 16-byte Folded Spill
	s_nop 0
	scratch_store_dwordx4 off, v[4:7], off offset:672 ; 16-byte Folded Spill
	scratch_store_dwordx4 off, v[8:11], off offset:688 ; 16-byte Folded Spill
	scratch_store_dwordx4 off, v[12:15], off offset:704 ; 16-byte Folded Spill
	scratch_store_dwordx4 off, v[16:19], off offset:720 ; 16-byte Folded Spill
	scratch_store_dwordx4 off, v[20:23], off offset:736 ; 16-byte Folded Spill
	scratch_store_dwordx4 off, v[24:27], off offset:752 ; 16-byte Folded Spill
	scratch_store_dwordx4 off, v[28:31], off offset:768 ; 16-byte Folded Spill
	v_mov_b32_e32 v207, v60
	v_mov_b32_e32 v223, v30
	;; [unrolled: 1-line block ×4, first 2 shown]
.LBB60_354:
	s_or_b64 exec, exec, s[0:1]
	s_waitcnt vmcnt(63) expcnt(7) lgkmcnt(15)
	s_barrier
	scratch_load_dword v0, off, off offset:4 ; 4-byte Folded Reload
	s_waitcnt vmcnt(25)
	v_mov_b32_e32 v1, v255
	s_cmp_lt_i32 s22, 23
	s_waitcnt vmcnt(0)
	v_lshl_add_u32 v26, v0, 2, v1
	ds_write_b32 v26, v147
	s_waitcnt lgkmcnt(0)
	s_barrier
	ds_read_b32 v28, v255 offset:84
	v_mov_b32_e32 v26, 21
	s_cbranch_scc1 .LBB60_357
; %bb.355:
	v_add_u32_e32 v27, 0x58, v255
	v_mov_b32_e32 v26, 21
	s_mov_b32 s0, 22
.LBB60_356:                             ; =>This Inner Loop Header: Depth=1
	ds_read_b32 v29, v27
	v_add_u32_e32 v27, 4, v27
	s_waitcnt lgkmcnt(0)
	v_cmp_lt_f32_e64 vcc, |v28|, |v29|
	s_nop 1
	v_cndmask_b32_e32 v28, v28, v29, vcc
	v_mov_b32_e32 v29, s0
	s_add_i32 s0, s0, 1
	v_cndmask_b32_e32 v26, v26, v29, vcc
	s_cmp_lg_u32 s22, s0
	s_cbranch_scc1 .LBB60_356
.LBB60_357:
	s_waitcnt lgkmcnt(0)
	v_cmp_eq_f32_e32 vcc, 0, v28
	s_and_saveexec_b64 s[0:1], vcc
	s_xor_b64 s[0:1], exec, s[0:1]
	s_cbranch_execz .LBB60_359
; %bb.358:
	scratch_load_dword v0, off, off offset:144 ; 4-byte Folded Reload
	s_waitcnt vmcnt(0)
	v_cmp_ne_u32_e32 vcc, 0, v0
	s_nop 1
	v_cndmask_b32_e32 v0, 22, v0, vcc
	scratch_store_dword off, v0, off offset:144 ; 4-byte Folded Spill
.LBB60_359:
	s_andn2_saveexec_b64 s[0:1], s[0:1]
	s_cbranch_execz .LBB60_361
; %bb.360:
	v_div_scale_f32 v27, s[2:3], v28, v28, 1.0
	v_rcp_f32_e32 v29, v27
	v_div_scale_f32 v30, vcc, 1.0, v28, 1.0
	v_fma_f32 v31, -v27, v29, 1.0
	v_fmac_f32_e32 v29, v31, v29
	v_mul_f32_e32 v31, v30, v29
	v_fma_f32 v60, -v27, v31, v30
	v_fmac_f32_e32 v31, v60, v29
	v_fma_f32 v27, -v27, v31, v30
	v_div_fmas_f32 v27, v27, v29, v31
	v_div_fixup_f32 v28, v27, v28, 1.0
.LBB60_361:
	s_or_b64 exec, exec, s[0:1]
	scratch_load_dword v0, off, off offset:4 ; 4-byte Folded Reload
	s_waitcnt vmcnt(0)
	v_cmp_ne_u32_e32 vcc, v0, v26
	s_and_saveexec_b64 s[0:1], vcc
	s_xor_b64 s[0:1], exec, s[0:1]
	s_cbranch_execz .LBB60_367
; %bb.362:
	scratch_load_dword v0, off, off offset:4 ; 4-byte Folded Reload
	s_waitcnt vmcnt(0)
	v_cmp_eq_u32_e32 vcc, 21, v0
	s_and_saveexec_b64 s[2:3], vcc
	s_cbranch_execz .LBB60_366
; %bb.363:
	v_cmp_ne_u32_e32 vcc, 21, v26
	s_xor_b64 s[12:13], s[20:21], -1
	s_and_b64 s[14:15], s[12:13], vcc
	s_and_saveexec_b64 s[12:13], s[14:15]
	s_cbranch_execz .LBB60_365
; %bb.364:
	s_movk_i32 s14, 0x159c
	scratch_load_dwordx2 v[60:61], off, s14 ; 8-byte Folded Reload
	v_ashrrev_i32_e32 v27, 31, v26
	s_waitcnt vmcnt(0)
	v_lshl_add_u64 v[30:31], v[26:27], 2, v[60:61]
	global_load_dword v27, v[30:31], off
	global_load_dword v29, v[60:61], off offset:84
	s_waitcnt vmcnt(1)
	global_store_dword v[60:61], v27, off offset:84
	s_waitcnt vmcnt(1)
	global_store_dword v[30:31], v29, off
.LBB60_365:
	s_or_b64 exec, exec, s[12:13]
	v_mov_b32_e32 v27, v26
	v_mov_b32_e32 v0, v26
	scratch_store_dword off, v27, off offset:3860 ; 4-byte Folded Spill
	scratch_store_dword off, v0, off offset:4 ; 4-byte Folded Spill
.LBB60_366:
	s_or_b64 exec, exec, s[2:3]
.LBB60_367:
	s_andn2_saveexec_b64 s[0:1], s[0:1]
	s_cbranch_execz .LBB60_369
; %bb.368:
	scratch_load_dwordx4 v[36:39], off, off offset:8 ; 16-byte Folded Reload
	scratch_load_dwordx4 v[40:43], off, off offset:24 ; 16-byte Folded Reload
	scratch_load_dwordx4 v[44:47], off, off offset:40 ; 16-byte Folded Reload
	scratch_load_dwordx4 v[48:51], off, off offset:56 ; 16-byte Folded Reload
	scratch_load_dwordx4 v[52:55], off, off offset:72 ; 16-byte Folded Reload
	scratch_load_dwordx4 v[56:59], off, off offset:88 ; 16-byte Folded Reload
	scratch_load_dwordx4 v[60:63], off, off offset:104 ; 16-byte Folded Reload
	scratch_load_dwordx4 v[64:67], off, off offset:120 ; 16-byte Folded Reload
	v_mov_b32_e32 v0, 21
	s_waitcnt vmcnt(2)
	ds_write2_b32 v255, v58, v59 offset0:22 offset1:23
	s_waitcnt vmcnt(1)
	ds_write2_b32 v255, v60, v61 offset0:24 offset1:25
	ds_write2_b32 v255, v62, v63 offset0:26 offset1:27
	s_waitcnt vmcnt(0)
	ds_write2_b32 v255, v64, v65 offset0:28 offset1:29
	scratch_load_dwordx2 v[26:27], off, off offset:136 ; 8-byte Folded Reload
	s_waitcnt vmcnt(0)
	ds_write_b32 v255, v27 offset:120
	scratch_store_dword off, v0, off offset:4 ; 4-byte Folded Spill
.LBB60_369:
	s_or_b64 exec, exec, s[0:1]
	s_waitcnt lgkmcnt(0)
	s_barrier
	scratch_load_dword v0, off, off offset:4 ; 4-byte Folded Reload
	s_waitcnt vmcnt(0)
	v_cmp_lt_i32_e32 vcc, 21, v0
	s_and_saveexec_b64 s[0:1], vcc
	s_cbranch_execz .LBB60_371
; %bb.370:
	ds_read2_b32 v[0:1], v255 offset0:22 offset1:23
	scratch_load_dwordx4 v[114:117], off, off offset:8 ; 16-byte Folded Reload
	scratch_load_dwordx4 v[118:121], off, off offset:24 ; 16-byte Folded Reload
	;; [unrolled: 1-line block ×8, first 2 shown]
	ds_read2_b32 v[4:5], v255 offset0:24 offset1:25
	ds_read2_b32 v[6:7], v255 offset0:26 offset1:27
	;; [unrolled: 1-line block ×3, first 2 shown]
	v_mul_f32_e32 v26, v147, v28
	v_mov_b32_e32 v21, v26
	s_waitcnt vmcnt(7)
	v_mov_b32_e32 v117, v26
	s_waitcnt vmcnt(2)
	v_mov_b32_e32 v2, v136
	v_mov_b32_e32 v3, v137
	s_waitcnt lgkmcnt(3)
	v_pk_fma_f32 v[118:119], v[26:27], v[0:1], v[2:3] op_sel_hi:[0,1,1] neg_lo:[1,0,0] neg_hi:[1,0,0]
	s_waitcnt vmcnt(1)
	v_mov_b32_e32 v0, v138
	v_mov_b32_e32 v1, v139
	s_waitcnt lgkmcnt(2)
	v_pk_fma_f32 v[184:185], v[26:27], v[4:5], v[0:1] op_sel_hi:[0,1,1] neg_lo:[1,0,0] neg_hi:[1,0,0]
	v_mov_b32_e32 v0, v140
	v_mov_b32_e32 v1, v141
	s_waitcnt lgkmcnt(1)
	v_pk_fma_f32 v[86:87], v[26:27], v[6:7], v[0:1] op_sel_hi:[0,1,1] neg_lo:[1,0,0] neg_hi:[1,0,0]
	s_waitcnt vmcnt(0)
	v_mov_b32_e32 v0, v142
	v_mov_b32_e32 v1, v143
	s_waitcnt lgkmcnt(0)
	v_pk_fma_f32 v[252:253], v[26:27], v[8:9], v[0:1] op_sel_hi:[0,1,1] neg_lo:[1,0,0] neg_hi:[1,0,0]
	ds_read_b32 v27, v255 offset:120
	scratch_load_dwordx4 v[128:131], off, off offset:912 ; 16-byte Folded Reload
	scratch_load_dwordx4 v[132:135], off, off offset:928 ; 16-byte Folded Reload
	;; [unrolled: 1-line block ×8, first 2 shown]
	v_mov_b32_e32 v22, v118
	v_mov_b32_e32 v23, v119
	s_waitcnt vmcnt(2)
	v_mov_b32_e32 v149, v26
	v_mov_b32_e32 v182, v118
	;; [unrolled: 1-line block ×43, first 2 shown]
	scratch_store_dwordx4 off, v[0:3], off offset:2576 ; 16-byte Folded Spill
	s_nop 0
	scratch_store_dwordx4 off, v[4:7], off offset:2592 ; 16-byte Folded Spill
	scratch_store_dwordx4 off, v[8:11], off offset:2608 ; 16-byte Folded Spill
	;; [unrolled: 1-line block ×5, first 2 shown]
	s_waitcnt lgkmcnt(0)
	scratch_store_dwordx4 off, v[24:27], off offset:2672 ; 16-byte Folded Spill
	scratch_store_dwordx4 off, v[28:31], off offset:2688 ; 16-byte Folded Spill
	v_mov_b32_e32 v96, v128
	v_mov_b32_e32 v24, v184
	;; [unrolled: 1-line block ×73, first 2 shown]
	scratch_store_dwordx4 off, v[0:3], off offset:2320 ; 16-byte Folded Spill
	s_nop 0
	scratch_store_dwordx4 off, v[4:7], off offset:2336 ; 16-byte Folded Spill
	scratch_store_dwordx4 off, v[8:11], off offset:2352 ; 16-byte Folded Spill
	;; [unrolled: 1-line block ×7, first 2 shown]
	scratch_load_dwordx2 v[28:29], off, off offset:136 ; 8-byte Folded Reload
	v_mov_b32_e32 v199, v135
	v_mov_b32_e32 v200, v136
	;; [unrolled: 1-line block ×35, first 2 shown]
	v_mov_b64_e32 v[38:39], v[224:225]
	v_mov_b64_e32 v[40:41], v[226:227]
	;; [unrolled: 1-line block ×8, first 2 shown]
	v_mov_b32_e32 v81, v26
	v_mov_b32_e32 v245, v26
	;; [unrolled: 1-line block ×3, first 2 shown]
	s_waitcnt vmcnt(0)
	v_fma_f32 v222, -v26, v27, v29
	v_mov_b32_e32 v26, v86
	v_mov_b32_e32 v27, v87
	scratch_store_dwordx4 off, v[0:3], off offset:2064 ; 16-byte Folded Spill
	s_nop 0
	scratch_store_dwordx4 off, v[4:7], off offset:2080 ; 16-byte Folded Spill
	scratch_store_dwordx4 off, v[8:11], off offset:2096 ; 16-byte Folded Spill
	;; [unrolled: 1-line block ×7, first 2 shown]
	scratch_load_dword v255, off, off offset:2960 ; 4-byte Folded Reload
	v_mov_b32_e32 v27, v222
	v_mov_b32_e32 v26, v253
	scratch_store_dwordx4 off, v[128:131], off offset:2704 ; 16-byte Folded Spill
	s_nop 0
	scratch_store_dwordx4 off, v[132:135], off offset:2720 ; 16-byte Folded Spill
	scratch_store_dwordx4 off, v[136:139], off offset:2736 ; 16-byte Folded Spill
	;; [unrolled: 1-line block ×7, first 2 shown]
	scratch_store_dwordx2 off, v[26:27], off offset:136 ; 8-byte Folded Spill
	scratch_store_dwordx4 off, v[96:99], off offset:400 ; 16-byte Folded Spill
	s_nop 0
	scratch_store_dwordx4 off, v[100:103], off offset:416 ; 16-byte Folded Spill
	scratch_store_dwordx4 off, v[104:107], off offset:432 ; 16-byte Folded Spill
	scratch_store_dwordx4 off, v[108:111], off offset:448 ; 16-byte Folded Spill
	scratch_store_dwordx4 off, v[112:115], off offset:464 ; 16-byte Folded Spill
	scratch_store_dwordx4 off, v[116:119], off offset:480 ; 16-byte Folded Spill
	scratch_store_dwordx4 off, v[120:123], off offset:496 ; 16-byte Folded Spill
	scratch_store_dwordx4 off, v[124:127], off offset:512 ; 16-byte Folded Spill
	scratch_store_dwordx4 off, v[192:195], off offset:8 ; 16-byte Folded Spill
	s_nop 0
	scratch_store_dwordx4 off, v[196:199], off offset:24 ; 16-byte Folded Spill
	scratch_store_dwordx4 off, v[200:203], off offset:40 ; 16-byte Folded Spill
	scratch_store_dwordx4 off, v[204:207], off offset:56 ; 16-byte Folded Spill
	scratch_store_dwordx4 off, v[208:211], off offset:72 ; 16-byte Folded Spill
	scratch_store_dwordx4 off, v[212:215], off offset:88 ; 16-byte Folded Spill
	scratch_store_dwordx4 off, v[216:219], off offset:104 ; 16-byte Folded Spill
	scratch_store_dwordx4 off, v[220:223], off offset:120 ; 16-byte Folded Spill
	;; [unrolled: 9-line block ×5, first 2 shown]
	v_mov_b64_e32 v[54:55], v[240:241]
	v_mov_b64_e32 v[56:57], v[242:243]
	;; [unrolled: 1-line block ×6, first 2 shown]
	v_mov_b32_e32 v66, v252
	scratch_store_dwordx4 off, v[38:41], off offset:1168 ; 16-byte Folded Spill
	s_nop 0
	scratch_store_dwordx4 off, v[42:45], off offset:1184 ; 16-byte Folded Spill
	scratch_store_dwordx4 off, v[46:49], off offset:1200 ; 16-byte Folded Spill
	;; [unrolled: 1-line block ×7, first 2 shown]
	v_mov_b32_e32 v223, v185
	v_mov_b32_e32 v207, v87
.LBB60_371:
	s_or_b64 exec, exec, s[0:1]
	s_waitcnt vmcnt(63) expcnt(7) lgkmcnt(15)
	s_barrier
	scratch_load_dword v0, off, off offset:4 ; 4-byte Folded Reload
	s_waitcnt vmcnt(58)
	v_mov_b32_e32 v1, v255
	s_cmp_lt_i32 s22, 24
	s_waitcnt vmcnt(0)
	v_lshl_add_u32 v26, v0, 2, v1
	ds_write_b32 v26, v22
	s_waitcnt lgkmcnt(0)
	s_barrier
	ds_read_b32 v28, v255 offset:88
	v_mov_b32_e32 v26, 22
	s_cbranch_scc1 .LBB60_536
; %bb.372:
	v_add_u32_e32 v27, 0x5c, v255
	v_mov_b32_e32 v26, 22
	s_mov_b32 s0, 23
	v_mov_b32_e32 v64, v32
.LBB60_373:                             ; =>This Inner Loop Header: Depth=1
	ds_read_b32 v29, v27
	v_add_u32_e32 v27, 4, v27
	s_waitcnt lgkmcnt(0)
	v_cmp_lt_f32_e64 vcc, |v28|, |v29|
	s_nop 1
	v_cndmask_b32_e32 v28, v28, v29, vcc
	v_mov_b32_e32 v29, s0
	s_add_i32 s0, s0, 1
	v_cndmask_b32_e32 v26, v26, v29, vcc
	s_cmp_lg_u32 s22, s0
	s_cbranch_scc1 .LBB60_373
; %bb.374:
	v_cmp_eq_f32_e32 vcc, 0, v28
	s_and_saveexec_b64 s[0:1], vcc
	s_xor_b64 s[0:1], exec, s[0:1]
	s_cbranch_execz .LBB60_376
.LBB60_375:
	scratch_load_dword v0, off, off offset:144 ; 4-byte Folded Reload
	s_waitcnt vmcnt(0)
	v_cmp_ne_u32_e32 vcc, 0, v0
	s_nop 1
	v_cndmask_b32_e32 v0, 23, v0, vcc
	scratch_store_dword off, v0, off offset:144 ; 4-byte Folded Spill
.LBB60_376:
	s_andn2_saveexec_b64 s[0:1], s[0:1]
	s_cbranch_execz .LBB60_378
; %bb.377:
	v_div_scale_f32 v27, s[2:3], v28, v28, 1.0
	v_rcp_f32_e32 v29, v27
	v_div_scale_f32 v30, vcc, 1.0, v28, 1.0
	v_fma_f32 v31, -v27, v29, 1.0
	v_fmac_f32_e32 v29, v31, v29
	v_mul_f32_e32 v31, v30, v29
	v_fma_f32 v60, -v27, v31, v30
	v_fmac_f32_e32 v31, v60, v29
	v_fma_f32 v27, -v27, v31, v30
	v_div_fmas_f32 v27, v27, v29, v31
	v_div_fixup_f32 v28, v27, v28, 1.0
.LBB60_378:
	s_or_b64 exec, exec, s[0:1]
	scratch_load_dword v0, off, off offset:4 ; 4-byte Folded Reload
	s_waitcnt vmcnt(0)
	v_cmp_ne_u32_e32 vcc, v0, v26
	s_and_saveexec_b64 s[0:1], vcc
	s_xor_b64 s[0:1], exec, s[0:1]
	s_cbranch_execz .LBB60_384
; %bb.379:
	scratch_load_dword v0, off, off offset:4 ; 4-byte Folded Reload
	s_waitcnt vmcnt(0)
	v_cmp_eq_u32_e32 vcc, 22, v0
	s_and_saveexec_b64 s[2:3], vcc
	s_cbranch_execz .LBB60_383
; %bb.380:
	v_cmp_ne_u32_e32 vcc, 22, v26
	s_xor_b64 s[12:13], s[20:21], -1
	s_and_b64 s[14:15], s[12:13], vcc
	s_and_saveexec_b64 s[12:13], s[14:15]
	s_cbranch_execz .LBB60_382
; %bb.381:
	s_movk_i32 s14, 0x159c
	scratch_load_dwordx2 v[60:61], off, s14 ; 8-byte Folded Reload
	v_ashrrev_i32_e32 v27, 31, v26
	s_waitcnt vmcnt(0)
	v_lshl_add_u64 v[30:31], v[26:27], 2, v[60:61]
	global_load_dword v27, v[30:31], off
	global_load_dword v29, v[60:61], off offset:88
	s_waitcnt vmcnt(1)
	global_store_dword v[60:61], v27, off offset:88
	s_waitcnt vmcnt(1)
	global_store_dword v[30:31], v29, off
.LBB60_382:
	s_or_b64 exec, exec, s[12:13]
	v_mov_b32_e32 v27, v26
	v_mov_b32_e32 v0, v26
	scratch_store_dword off, v27, off offset:3860 ; 4-byte Folded Spill
	scratch_store_dword off, v0, off offset:4 ; 4-byte Folded Spill
.LBB60_383:
	s_or_b64 exec, exec, s[2:3]
.LBB60_384:
	s_andn2_saveexec_b64 s[0:1], s[0:1]
	s_cbranch_execz .LBB60_386
; %bb.385:
	scratch_load_dwordx4 v[66:69], off, off offset:8 ; 16-byte Folded Reload
	scratch_load_dwordx4 v[70:73], off, off offset:24 ; 16-byte Folded Reload
	;; [unrolled: 1-line block ×8, first 2 shown]
	v_mov_b32_e32 v0, 22
	s_waitcnt vmcnt(1)
	ds_write2_b32 v255, v89, v90 offset0:23 offset1:24
	ds_write2_b32 v255, v91, v92 offset0:25 offset1:26
	s_waitcnt vmcnt(0)
	ds_write2_b32 v255, v93, v94 offset0:27 offset1:28
	ds_write2_b32 v255, v95, v96 offset0:29 offset1:30
	scratch_store_dword off, v0, off offset:4 ; 4-byte Folded Spill
.LBB60_386:
	s_or_b64 exec, exec, s[0:1]
	s_waitcnt lgkmcnt(0)
	s_barrier
	scratch_load_dword v0, off, off offset:4 ; 4-byte Folded Reload
	s_waitcnt vmcnt(0)
	v_cmp_lt_i32_e32 vcc, 22, v0
	s_and_saveexec_b64 s[0:1], vcc
	s_cbranch_execz .LBB60_388
; %bb.387:
	scratch_load_dwordx4 v[32:35], off, off offset:2704 ; 16-byte Folded Reload
	scratch_load_dwordx4 v[36:39], off, off offset:2720 ; 16-byte Folded Reload
	;; [unrolled: 1-line block ×8, first 2 shown]
	ds_read2_b32 v[0:1], v255 offset0:23 offset1:24
	scratch_load_dwordx4 v[56:59], off, off offset:8 ; 16-byte Folded Reload
	scratch_load_dwordx4 v[60:63], off, off offset:24 ; 16-byte Folded Reload
	;; [unrolled: 1-line block ×8, first 2 shown]
	ds_read2_b32 v[4:5], v255 offset0:25 offset1:26
	ds_read2_b32 v[6:7], v255 offset0:27 offset1:28
	;; [unrolled: 1-line block ×3, first 2 shown]
	s_waitcnt vmcnt(10)
	v_mul_f32_e32 v54, v22, v28
	v_mov_b32_e32 v254, v255
	v_mov_b32_e32 v246, v54
	;; [unrolled: 1-line block ×13, first 2 shown]
	s_waitcnt vmcnt(0)
	v_mov_b32_e32 v55, v79
	v_mov_b32_e32 v56, v80
	;; [unrolled: 1-line block ×8, first 2 shown]
	s_waitcnt lgkmcnt(3)
	v_pk_fma_f32 v[26:27], v[54:55], v[0:1], v[2:3] op_sel_hi:[0,1,1] neg_lo:[1,0,0] neg_hi:[1,0,0]
	v_mov_b32_e32 v1, v58
	v_mov_b32_e32 v0, v57
	;; [unrolled: 1-line block ×4, first 2 shown]
	s_waitcnt lgkmcnt(2)
	v_pk_fma_f32 v[28:29], v[54:55], v[4:5], v[0:1] op_sel_hi:[0,1,1] neg_lo:[1,0,0] neg_hi:[1,0,0]
	v_mov_b32_e32 v1, v60
	v_mov_b32_e32 v0, v59
	s_waitcnt lgkmcnt(1)
	v_pk_fma_f32 v[30:31], v[54:55], v[6:7], v[0:1] op_sel_hi:[0,1,1] neg_lo:[1,0,0] neg_hi:[1,0,0]
	v_mov_b32_e32 v1, v62
	v_mov_b32_e32 v0, v61
	;; [unrolled: 4-line block ×3, first 2 shown]
	v_mov_b32_e32 v235, v43
	v_mov_b32_e32 v236, v44
	;; [unrolled: 1-line block ×39, first 2 shown]
	scratch_store_dwordx4 off, v[224:227], off offset:528 ; 16-byte Folded Spill
	s_nop 0
	scratch_store_dwordx4 off, v[228:231], off offset:544 ; 16-byte Folded Spill
	scratch_store_dwordx4 off, v[232:235], off offset:560 ; 16-byte Folded Spill
	;; [unrolled: 1-line block ×8, first 2 shown]
	s_nop 0
	scratch_store_dwordx4 off, v[4:7], off offset:2336 ; 16-byte Folded Spill
	scratch_store_dwordx4 off, v[8:11], off offset:2352 ; 16-byte Folded Spill
	;; [unrolled: 1-line block ×7, first 2 shown]
	v_mov_b32_e32 v62, v32
	v_mov_b32_e32 v63, v33
	;; [unrolled: 1-line block ×54, first 2 shown]
	scratch_store_dwordx4 off, v[224:227], off offset:272 ; 16-byte Folded Spill
	s_nop 0
	scratch_store_dwordx4 off, v[228:231], off offset:288 ; 16-byte Folded Spill
	scratch_store_dwordx4 off, v[232:235], off offset:304 ; 16-byte Folded Spill
	;; [unrolled: 1-line block ×8, first 2 shown]
	s_nop 0
	scratch_store_dwordx4 off, v[66:69], off offset:2080 ; 16-byte Folded Spill
	scratch_store_dwordx4 off, v[70:73], off offset:2096 ; 16-byte Folded Spill
	;; [unrolled: 1-line block ×7, first 2 shown]
	v_mov_b32_e32 v215, v26
	v_mov_b32_e32 v216, v27
	;; [unrolled: 1-line block ×7, first 2 shown]
	scratch_store_dwordx4 off, v[62:65], off offset:1168 ; 16-byte Folded Spill
	s_nop 0
	scratch_store_dwordx4 off, v[66:69], off offset:1184 ; 16-byte Folded Spill
	scratch_store_dwordx4 off, v[70:73], off offset:1200 ; 16-byte Folded Spill
	;; [unrolled: 1-line block ×7, first 2 shown]
	scratch_store_dwordx2 off, v[60:61], off offset:136 ; 8-byte Folded Spill
	scratch_store_dwordx4 off, v[192:195], off offset:8 ; 16-byte Folded Spill
	s_nop 0
	scratch_store_dwordx4 off, v[196:199], off offset:24 ; 16-byte Folded Spill
	scratch_store_dwordx4 off, v[200:203], off offset:40 ; 16-byte Folded Spill
	;; [unrolled: 1-line block ×7, first 2 shown]
	scratch_load_dword v255, off, off offset:2960 ; 4-byte Folded Reload
	s_nop 0
	scratch_store_dwordx4 off, v[32:35], off offset:2576 ; 16-byte Folded Spill
	s_nop 0
	scratch_store_dwordx4 off, v[36:39], off offset:2592 ; 16-byte Folded Spill
	scratch_store_dwordx4 off, v[40:43], off offset:2608 ; 16-byte Folded Spill
	scratch_store_dwordx4 off, v[44:47], off offset:2624 ; 16-byte Folded Spill
	scratch_store_dwordx4 off, v[48:51], off offset:2640 ; 16-byte Folded Spill
	scratch_store_dwordx4 off, v[52:55], off offset:2656 ; 16-byte Folded Spill
	scratch_store_dwordx4 off, v[56:59], off offset:2672 ; 16-byte Folded Spill
	scratch_store_dwordx4 off, v[60:63], off offset:2688 ; 16-byte Folded Spill
	scratch_store_dwordx4 off, v[32:35], off offset:400 ; 16-byte Folded Spill
	s_nop 0
	scratch_store_dwordx4 off, v[36:39], off offset:416 ; 16-byte Folded Spill
	scratch_store_dwordx4 off, v[40:43], off offset:432 ; 16-byte Folded Spill
	scratch_store_dwordx4 off, v[44:47], off offset:448 ; 16-byte Folded Spill
	scratch_store_dwordx4 off, v[48:51], off offset:464 ; 16-byte Folded Spill
	scratch_store_dwordx4 off, v[52:55], off offset:480 ; 16-byte Folded Spill
	scratch_store_dwordx4 off, v[56:59], off offset:496 ; 16-byte Folded Spill
	scratch_store_dwordx4 off, v[60:63], off offset:512 ; 16-byte Folded Spill
	;; [unrolled: 9-line block ×3, first 2 shown]
	v_mov_b32_e32 v223, v28
	v_mov_b32_e32 v64, v29
	;; [unrolled: 1-line block ×4, first 2 shown]
.LBB60_388:
	s_or_b64 exec, exec, s[0:1]
	s_waitcnt vmcnt(63) expcnt(7) lgkmcnt(15)
	s_barrier
	scratch_load_dword v0, off, off offset:4 ; 4-byte Folded Reload
	s_waitcnt vmcnt(25)
	v_mov_b32_e32 v1, v255
	s_cmp_lt_i32 s22, 25
	s_waitcnt vmcnt(0)
	v_lshl_add_u32 v26, v0, 2, v1
	ds_write_b32 v26, v23
	s_waitcnt lgkmcnt(0)
	s_barrier
	ds_read_b32 v28, v255 offset:92
	v_mov_b32_e32 v26, 23
	s_cbranch_scc1 .LBB60_391
; %bb.389:
	v_add_u32_e32 v27, 0x60, v255
	v_mov_b32_e32 v26, 23
	s_mov_b32 s0, 24
.LBB60_390:                             ; =>This Inner Loop Header: Depth=1
	ds_read_b32 v29, v27
	v_mov_b32_e32 v30, s0
	s_add_i32 s0, s0, 1
	v_add_u32_e32 v27, 4, v27
	s_cmp_lg_u32 s22, s0
	s_waitcnt lgkmcnt(0)
	v_cmp_lt_f32_e64 vcc, |v28|, |v29|
	s_nop 1
	v_cndmask_b32_e32 v28, v28, v29, vcc
	v_cndmask_b32_e32 v26, v26, v30, vcc
	s_cbranch_scc1 .LBB60_390
.LBB60_391:
	s_waitcnt lgkmcnt(0)
	v_cmp_eq_f32_e32 vcc, 0, v28
	s_and_saveexec_b64 s[0:1], vcc
	s_xor_b64 s[0:1], exec, s[0:1]
	s_cbranch_execz .LBB60_393
; %bb.392:
	scratch_load_dword v0, off, off offset:144 ; 4-byte Folded Reload
	s_waitcnt vmcnt(0)
	v_cmp_ne_u32_e32 vcc, 0, v0
	s_nop 1
	v_cndmask_b32_e32 v0, 24, v0, vcc
	scratch_store_dword off, v0, off offset:144 ; 4-byte Folded Spill
.LBB60_393:
	s_andn2_saveexec_b64 s[0:1], s[0:1]
	s_cbranch_execz .LBB60_395
; %bb.394:
	v_div_scale_f32 v27, s[2:3], v28, v28, 1.0
	v_rcp_f32_e32 v29, v27
	v_div_scale_f32 v30, vcc, 1.0, v28, 1.0
	v_fma_f32 v31, -v27, v29, 1.0
	v_fmac_f32_e32 v29, v31, v29
	v_mul_f32_e32 v31, v30, v29
	v_fma_f32 v60, -v27, v31, v30
	v_fmac_f32_e32 v31, v60, v29
	v_fma_f32 v27, -v27, v31, v30
	v_div_fmas_f32 v27, v27, v29, v31
	v_div_fixup_f32 v28, v27, v28, 1.0
.LBB60_395:
	s_or_b64 exec, exec, s[0:1]
	scratch_load_dword v0, off, off offset:4 ; 4-byte Folded Reload
	s_waitcnt vmcnt(0)
	v_cmp_ne_u32_e32 vcc, v0, v26
	s_and_saveexec_b64 s[0:1], vcc
	s_xor_b64 s[0:1], exec, s[0:1]
	s_cbranch_execz .LBB60_401
; %bb.396:
	scratch_load_dword v0, off, off offset:4 ; 4-byte Folded Reload
	s_waitcnt vmcnt(0)
	v_cmp_eq_u32_e32 vcc, 23, v0
	s_and_saveexec_b64 s[2:3], vcc
	s_cbranch_execz .LBB60_400
; %bb.397:
	v_cmp_ne_u32_e32 vcc, 23, v26
	s_xor_b64 s[12:13], s[20:21], -1
	s_and_b64 s[14:15], s[12:13], vcc
	s_and_saveexec_b64 s[12:13], s[14:15]
	s_cbranch_execz .LBB60_399
; %bb.398:
	s_movk_i32 s14, 0x159c
	scratch_load_dwordx2 v[60:61], off, s14 ; 8-byte Folded Reload
	v_ashrrev_i32_e32 v27, 31, v26
	s_waitcnt vmcnt(0)
	v_lshl_add_u64 v[30:31], v[26:27], 2, v[60:61]
	global_load_dword v27, v[30:31], off
	global_load_dword v29, v[60:61], off offset:92
	s_waitcnt vmcnt(1)
	global_store_dword v[60:61], v27, off offset:92
	s_waitcnt vmcnt(1)
	global_store_dword v[30:31], v29, off
.LBB60_399:
	s_or_b64 exec, exec, s[12:13]
	v_mov_b32_e32 v27, v26
	v_mov_b32_e32 v0, v26
	scratch_store_dword off, v27, off offset:3860 ; 4-byte Folded Spill
	scratch_store_dword off, v0, off offset:4 ; 4-byte Folded Spill
.LBB60_400:
	s_or_b64 exec, exec, s[2:3]
.LBB60_401:
	s_andn2_saveexec_b64 s[0:1], s[0:1]
	s_cbranch_execz .LBB60_403
; %bb.402:
	scratch_load_dwordx4 v[66:69], off, off offset:8 ; 16-byte Folded Reload
	scratch_load_dwordx4 v[70:73], off, off offset:24 ; 16-byte Folded Reload
	scratch_load_dwordx4 v[74:77], off, off offset:40 ; 16-byte Folded Reload
	scratch_load_dwordx4 v[78:81], off, off offset:56 ; 16-byte Folded Reload
	scratch_load_dwordx4 v[82:85], off, off offset:72 ; 16-byte Folded Reload
	scratch_load_dwordx4 v[86:89], off, off offset:88 ; 16-byte Folded Reload
	scratch_load_dwordx4 v[90:93], off, off offset:104 ; 16-byte Folded Reload
	scratch_load_dwordx4 v[94:97], off, off offset:120 ; 16-byte Folded Reload
	v_mov_b32_e32 v0, 23
	s_waitcnt vmcnt(1)
	ds_write2_b32 v255, v90, v91 offset0:24 offset1:25
	ds_write2_b32 v255, v92, v93 offset0:26 offset1:27
	s_waitcnt vmcnt(0)
	ds_write2_b32 v255, v94, v95 offset0:28 offset1:29
	scratch_load_dwordx2 v[26:27], off, off offset:136 ; 8-byte Folded Reload
	s_waitcnt vmcnt(0)
	ds_write_b32 v255, v27 offset:120
	scratch_store_dword off, v0, off offset:4 ; 4-byte Folded Spill
.LBB60_403:
	s_or_b64 exec, exec, s[0:1]
	s_waitcnt lgkmcnt(0)
	s_barrier
	scratch_load_dword v0, off, off offset:4 ; 4-byte Folded Reload
	s_waitcnt vmcnt(0)
	v_cmp_lt_i32_e32 vcc, 23, v0
	s_and_saveexec_b64 s[0:1], vcc
	s_cbranch_execz .LBB60_405
; %bb.404:
	ds_read2_b32 v[0:1], v255 offset0:24 offset1:25
	scratch_load_dwordx4 v[114:117], off, off offset:8 ; 16-byte Folded Reload
	scratch_load_dwordx4 v[118:121], off, off offset:24 ; 16-byte Folded Reload
	;; [unrolled: 1-line block ×8, first 2 shown]
	ds_read2_b32 v[4:5], v255 offset0:26 offset1:27
	ds_read2_b32 v[6:7], v255 offset0:28 offset1:29
	ds_read_b32 v8, v255 offset:120
	v_mul_f32_e32 v26, v23, v28
	v_mov_b32_e32 v23, v26
	s_waitcnt vmcnt(6)
	v_mov_b32_e32 v119, v26
	s_waitcnt vmcnt(1)
	v_mov_b32_e32 v2, v138
	v_mov_b32_e32 v3, v139
	s_waitcnt lgkmcnt(3)
	v_pk_fma_f32 v[120:121], v[26:27], v[0:1], v[2:3] op_sel_hi:[0,1,1] neg_lo:[1,0,0] neg_hi:[1,0,0]
	v_mov_b32_e32 v0, v140
	v_mov_b32_e32 v1, v141
	s_waitcnt lgkmcnt(2)
	v_pk_fma_f32 v[148:149], v[26:27], v[4:5], v[0:1] op_sel_hi:[0,1,1] neg_lo:[1,0,0] neg_hi:[1,0,0]
	s_waitcnt vmcnt(0)
	v_mov_b32_e32 v0, v142
	v_mov_b32_e32 v1, v143
	s_waitcnt lgkmcnt(1)
	v_pk_fma_f32 v[252:253], v[26:27], v[6:7], v[0:1] op_sel_hi:[0,1,1] neg_lo:[1,0,0] neg_hi:[1,0,0]
	scratch_load_dwordx2 v[0:1], off, off offset:136 ; 8-byte Folded Reload
	scratch_load_dwordx4 v[64:67], off, off offset:400 ; 16-byte Folded Reload
	scratch_load_dwordx4 v[68:71], off, off offset:416 ; 16-byte Folded Reload
	;; [unrolled: 1-line block ×8, first 2 shown]
	v_mov_b32_e32 v24, v120
	v_mov_b32_e32 v25, v121
	s_waitcnt vmcnt(2)
	v_mov_b32_e32 v87, v26
	v_mov_b32_e32 v52, v120
	;; [unrolled: 1-line block ×23, first 2 shown]
	s_waitcnt lgkmcnt(0)
	v_fma_f32 v222, -v26, v8, v1
	v_mov_b32_e32 v1, v65
	v_mov_b32_e32 v7, v71
	;; [unrolled: 1-line block ×17, first 2 shown]
	scratch_store_dwordx4 off, v[0:3], off offset:2320 ; 16-byte Folded Spill
	s_nop 0
	scratch_store_dwordx4 off, v[4:7], off offset:2336 ; 16-byte Folded Spill
	scratch_store_dwordx4 off, v[8:11], off offset:2352 ; 16-byte Folded Spill
	scratch_store_dwordx4 off, v[12:15], off offset:2368 ; 16-byte Folded Spill
	scratch_store_dwordx4 off, v[16:19], off offset:2384 ; 16-byte Folded Spill
	scratch_store_dwordx4 off, v[20:23], off offset:2400 ; 16-byte Folded Spill
	scratch_store_dwordx4 off, v[24:27], off offset:2416 ; 16-byte Folded Spill
	scratch_store_dwordx4 off, v[28:31], off offset:2432 ; 16-byte Folded Spill
	v_mov_b32_e32 v32, v68
	v_mov_b32_e32 v33, v69
	;; [unrolled: 1-line block ×73, first 2 shown]
	scratch_store_dwordx4 off, v[28:31], off offset:2064 ; 16-byte Folded Spill
	s_nop 0
	scratch_store_dwordx4 off, v[32:35], off offset:2080 ; 16-byte Folded Spill
	scratch_store_dwordx4 off, v[36:39], off offset:2096 ; 16-byte Folded Spill
	;; [unrolled: 1-line block ×7, first 2 shown]
	v_mov_b32_e32 v145, v26
	v_mov_b32_e32 v247, v26
	v_mov_b32_e32 v215, v26
	v_mov_b32_e32 v26, v253
	v_mov_b32_e32 v226, v66
	v_mov_b32_e32 v227, v67
	v_mov_b32_e32 v228, v68
	v_mov_b32_e32 v229, v69
	v_mov_b32_e32 v230, v70
	v_mov_b32_e32 v231, v71
	v_mov_b32_e32 v232, v72
	v_mov_b32_e32 v233, v73
	v_mov_b32_e32 v234, v74
	v_mov_b32_e32 v235, v75
	v_mov_b32_e32 v236, v76
	v_mov_b32_e32 v237, v77
	v_mov_b32_e32 v238, v78
	v_mov_b32_e32 v239, v79
	v_mov_b32_e32 v240, v80
	v_mov_b32_e32 v241, v81
	v_mov_b32_e32 v242, v82
	v_mov_b32_e32 v243, v83
	v_mov_b32_e32 v244, v84
	v_mov_b32_e32 v245, v85
	v_mov_b32_e32 v246, v86
	v_mov_b32_e32 v192, v64
	v_mov_b32_e32 v193, v65
	v_mov_b32_e32 v194, v66
	v_mov_b32_e32 v195, v67
	v_mov_b32_e32 v196, v68
	v_mov_b32_e32 v197, v69
	v_mov_b32_e32 v198, v70
	v_mov_b32_e32 v199, v71
	v_mov_b32_e32 v200, v72
	v_mov_b32_e32 v201, v73
	v_mov_b32_e32 v202, v74
	v_mov_b32_e32 v203, v75
	v_mov_b32_e32 v204, v76
	v_mov_b32_e32 v205, v77
	v_mov_b32_e32 v206, v78
	v_mov_b32_e32 v207, v79
	v_mov_b32_e32 v208, v80
	v_mov_b32_e32 v209, v81
	v_mov_b32_e32 v210, v82
	v_mov_b32_e32 v211, v83
	v_mov_b32_e32 v212, v84
	v_mov_b32_e32 v213, v85
	v_mov_b32_e32 v214, v86
	scratch_load_dword v255, off, off offset:2960 ; 4-byte Folded Reload
	s_nop 0
	scratch_store_dwordx4 off, v[64:67], off offset:2576 ; 16-byte Folded Spill
	s_nop 0
	scratch_store_dwordx4 off, v[68:71], off offset:2592 ; 16-byte Folded Spill
	scratch_store_dwordx4 off, v[72:75], off offset:2608 ; 16-byte Folded Spill
	;; [unrolled: 1-line block ×5, first 2 shown]
	s_waitcnt vmcnt(24)
	scratch_store_dwordx4 off, v[88:91], off offset:2672 ; 16-byte Folded Spill
	s_waitcnt vmcnt(24)
	scratch_store_dwordx4 off, v[92:95], off offset:2688 ; 16-byte Folded Spill
	scratch_store_dwordx2 off, v[26:27], off offset:136 ; 8-byte Folded Spill
	scratch_store_dwordx4 off, v[0:3], off offset:656 ; 16-byte Folded Spill
	s_nop 0
	scratch_store_dwordx4 off, v[4:7], off offset:672 ; 16-byte Folded Spill
	scratch_store_dwordx4 off, v[8:11], off offset:688 ; 16-byte Folded Spill
	;; [unrolled: 1-line block ×8, first 2 shown]
	s_nop 0
	scratch_store_dwordx4 off, v[100:103], off offset:544 ; 16-byte Folded Spill
	scratch_store_dwordx4 off, v[104:107], off offset:560 ; 16-byte Folded Spill
	;; [unrolled: 1-line block ×7, first 2 shown]
	v_mov_b32_e32 v64, v148
	v_mov_b64_e32 v[0:1], v[224:225]
	v_mov_b64_e32 v[16:17], v[240:241]
	;; [unrolled: 1-line block ×14, first 2 shown]
	v_mov_b32_e32 v28, v252
	v_mov_b32_e32 v223, v121
	scratch_store_dwordx4 off, v[122:125], off offset:272 ; 16-byte Folded Spill
	s_nop 0
	scratch_store_dwordx4 off, v[126:129], off offset:288 ; 16-byte Folded Spill
	scratch_store_dwordx4 off, v[130:133], off offset:304 ; 16-byte Folded Spill
	scratch_store_dwordx4 off, v[134:137], off offset:320 ; 16-byte Folded Spill
	scratch_store_dwordx4 off, v[138:141], off offset:336 ; 16-byte Folded Spill
	scratch_store_dwordx4 off, v[142:145], off offset:352 ; 16-byte Folded Spill
	scratch_store_dwordx4 off, v[146:149], off offset:368 ; 16-byte Folded Spill
	scratch_store_dwordx4 off, v[150:153], off offset:384 ; 16-byte Folded Spill
	scratch_store_dwordx4 off, v[192:195], off offset:8 ; 16-byte Folded Spill
	s_nop 0
	scratch_store_dwordx4 off, v[196:199], off offset:24 ; 16-byte Folded Spill
	scratch_store_dwordx4 off, v[200:203], off offset:40 ; 16-byte Folded Spill
	scratch_store_dwordx4 off, v[204:207], off offset:56 ; 16-byte Folded Spill
	scratch_store_dwordx4 off, v[208:211], off offset:72 ; 16-byte Folded Spill
	scratch_store_dwordx4 off, v[212:215], off offset:88 ; 16-byte Folded Spill
	scratch_store_dwordx4 off, v[216:219], off offset:104 ; 16-byte Folded Spill
	scratch_store_dwordx4 off, v[220:223], off offset:120 ; 16-byte Folded Spill
	scratch_store_dwordx4 off, v[0:3], off offset:1168 ; 16-byte Folded Spill
	s_nop 0
	scratch_store_dwordx4 off, v[4:7], off offset:1184 ; 16-byte Folded Spill
	scratch_store_dwordx4 off, v[8:11], off offset:1200 ; 16-byte Folded Spill
	scratch_store_dwordx4 off, v[12:15], off offset:1216 ; 16-byte Folded Spill
	scratch_store_dwordx4 off, v[16:19], off offset:1232 ; 16-byte Folded Spill
	scratch_store_dwordx4 off, v[20:23], off offset:1248 ; 16-byte Folded Spill
	scratch_store_dwordx4 off, v[24:27], off offset:1264 ; 16-byte Folded Spill
	scratch_store_dwordx4 off, v[28:31], off offset:1280 ; 16-byte Folded Spill
	v_mov_b32_e32 v207, v149
.LBB60_405:
	s_or_b64 exec, exec, s[0:1]
	s_waitcnt vmcnt(63) expcnt(7) lgkmcnt(15)
	s_barrier
	scratch_load_dword v0, off, off offset:4 ; 4-byte Folded Reload
	scratch_load_dwordx4 v[66:69], off, off offset:656 ; 16-byte Folded Reload
	scratch_load_dwordx4 v[70:73], off, off offset:672 ; 16-byte Folded Reload
	;; [unrolled: 1-line block ×8, first 2 shown]
	s_waitcnt vmcnt(58)
	v_mov_b32_e32 v1, v255
	s_cmp_lt_i32 s22, 26
	s_waitcnt vmcnt(8)
	v_lshl_add_u32 v26, v0, 2, v1
	s_waitcnt vmcnt(1)
	ds_write_b32 v26, v90
	s_waitcnt lgkmcnt(0)
	s_barrier
	ds_read_b32 v28, v255 offset:96
	v_mov_b32_e32 v26, 24
	s_cbranch_scc1 .LBB60_408
; %bb.406:
	v_add_u32_e32 v27, 0x64, v255
	v_mov_b32_e32 v26, 24
	s_mov_b32 s0, 25
.LBB60_407:                             ; =>This Inner Loop Header: Depth=1
	ds_read_b32 v29, v27
	v_mov_b32_e32 v30, s0
	s_add_i32 s0, s0, 1
	v_add_u32_e32 v27, 4, v27
	s_cmp_lg_u32 s22, s0
	s_waitcnt lgkmcnt(0)
	v_cmp_lt_f32_e64 vcc, |v28|, |v29|
	s_nop 1
	v_cndmask_b32_e32 v28, v28, v29, vcc
	v_cndmask_b32_e32 v26, v26, v30, vcc
	s_cbranch_scc1 .LBB60_407
.LBB60_408:
	s_waitcnt lgkmcnt(0)
	v_cmp_eq_f32_e32 vcc, 0, v28
	s_and_saveexec_b64 s[0:1], vcc
	s_xor_b64 s[0:1], exec, s[0:1]
	s_cbranch_execz .LBB60_410
; %bb.409:
	scratch_load_dword v0, off, off offset:144 ; 4-byte Folded Reload
	s_waitcnt vmcnt(0)
	v_cmp_ne_u32_e32 vcc, 0, v0
	s_nop 1
	v_cndmask_b32_e32 v0, 25, v0, vcc
	scratch_store_dword off, v0, off offset:144 ; 4-byte Folded Spill
.LBB60_410:
	s_andn2_saveexec_b64 s[0:1], s[0:1]
	s_cbranch_execz .LBB60_412
; %bb.411:
	v_div_scale_f32 v27, s[2:3], v28, v28, 1.0
	v_rcp_f32_e32 v29, v27
	v_div_scale_f32 v30, vcc, 1.0, v28, 1.0
	v_fma_f32 v31, -v27, v29, 1.0
	v_fmac_f32_e32 v29, v31, v29
	v_mul_f32_e32 v31, v30, v29
	v_fma_f32 v60, -v27, v31, v30
	v_fmac_f32_e32 v31, v60, v29
	v_fma_f32 v27, -v27, v31, v30
	v_div_fmas_f32 v27, v27, v29, v31
	v_div_fixup_f32 v28, v27, v28, 1.0
.LBB60_412:
	s_or_b64 exec, exec, s[0:1]
	scratch_load_dword v0, off, off offset:4 ; 4-byte Folded Reload
	s_waitcnt vmcnt(0)
	v_cmp_ne_u32_e32 vcc, v0, v26
	s_and_saveexec_b64 s[0:1], vcc
	s_xor_b64 s[0:1], exec, s[0:1]
	s_cbranch_execz .LBB60_418
; %bb.413:
	scratch_load_dword v0, off, off offset:4 ; 4-byte Folded Reload
	s_waitcnt vmcnt(0)
	v_cmp_eq_u32_e32 vcc, 24, v0
	s_and_saveexec_b64 s[2:3], vcc
	s_cbranch_execz .LBB60_417
; %bb.414:
	v_cmp_ne_u32_e32 vcc, 24, v26
	s_xor_b64 s[12:13], s[20:21], -1
	s_and_b64 s[14:15], s[12:13], vcc
	s_and_saveexec_b64 s[12:13], s[14:15]
	s_cbranch_execz .LBB60_416
; %bb.415:
	s_movk_i32 s14, 0x159c
	scratch_load_dwordx2 v[60:61], off, s14 ; 8-byte Folded Reload
	v_ashrrev_i32_e32 v27, 31, v26
	s_waitcnt vmcnt(0)
	v_lshl_add_u64 v[30:31], v[26:27], 2, v[60:61]
	global_load_dword v27, v[30:31], off
	global_load_dword v29, v[60:61], off offset:96
	s_waitcnt vmcnt(1)
	global_store_dword v[60:61], v27, off offset:96
	s_waitcnt vmcnt(1)
	global_store_dword v[30:31], v29, off
.LBB60_416:
	s_or_b64 exec, exec, s[12:13]
	v_mov_b32_e32 v27, v26
	v_mov_b32_e32 v0, v26
	scratch_store_dword off, v27, off offset:3860 ; 4-byte Folded Spill
	scratch_store_dword off, v0, off offset:4 ; 4-byte Folded Spill
.LBB60_417:
	s_or_b64 exec, exec, s[2:3]
.LBB60_418:
	s_andn2_saveexec_b64 s[0:1], s[0:1]
	s_cbranch_execz .LBB60_420
; %bb.419:
	scratch_load_dwordx4 v[66:69], off, off offset:8 ; 16-byte Folded Reload
	scratch_load_dwordx4 v[70:73], off, off offset:24 ; 16-byte Folded Reload
	scratch_load_dwordx4 v[74:77], off, off offset:40 ; 16-byte Folded Reload
	scratch_load_dwordx4 v[78:81], off, off offset:56 ; 16-byte Folded Reload
	scratch_load_dwordx4 v[82:85], off, off offset:72 ; 16-byte Folded Reload
	scratch_load_dwordx4 v[86:89], off, off offset:88 ; 16-byte Folded Reload
	scratch_load_dwordx4 v[90:93], off, off offset:104 ; 16-byte Folded Reload
	scratch_load_dwordx4 v[94:97], off, off offset:120 ; 16-byte Folded Reload
	v_mov_b32_e32 v0, 24
	s_waitcnt vmcnt(1)
	ds_write2_b32 v255, v91, v92 offset0:25 offset1:26
	s_waitcnt vmcnt(0)
	ds_write2_b32 v255, v93, v94 offset0:27 offset1:28
	ds_write2_b32 v255, v95, v96 offset0:29 offset1:30
	scratch_store_dword off, v0, off offset:4 ; 4-byte Folded Spill
.LBB60_420:
	s_or_b64 exec, exec, s[0:1]
	s_waitcnt lgkmcnt(0)
	s_barrier
	scratch_load_dword v0, off, off offset:4 ; 4-byte Folded Reload
	s_waitcnt vmcnt(0)
	v_cmp_lt_i32_e32 vcc, 24, v0
	s_and_saveexec_b64 s[0:1], vcc
	s_cbranch_execz .LBB60_422
; %bb.421:
	scratch_load_dwordx4 v[30:33], off, off offset:2576 ; 16-byte Folded Reload
	scratch_load_dwordx4 v[34:37], off, off offset:2592 ; 16-byte Folded Reload
	scratch_load_dwordx4 v[38:41], off, off offset:2608 ; 16-byte Folded Reload
	scratch_load_dwordx4 v[42:45], off, off offset:2624 ; 16-byte Folded Reload
	scratch_load_dwordx4 v[46:49], off, off offset:2640 ; 16-byte Folded Reload
	scratch_load_dwordx4 v[50:53], off, off offset:2656 ; 16-byte Folded Reload
	scratch_load_dwordx4 v[54:57], off, off offset:2672 ; 16-byte Folded Reload
	scratch_load_dwordx4 v[58:61], off, off offset:2688 ; 16-byte Folded Reload
	scratch_load_dwordx4 v[54:57], off, off offset:656 ; 16-byte Folded Reload
	scratch_load_dwordx4 v[58:61], off, off offset:672 ; 16-byte Folded Reload
	scratch_load_dwordx4 v[62:65], off, off offset:688 ; 16-byte Folded Reload
	scratch_load_dwordx4 v[66:69], off, off offset:704 ; 16-byte Folded Reload
	scratch_load_dwordx4 v[70:73], off, off offset:720 ; 16-byte Folded Reload
	scratch_load_dwordx4 v[74:77], off, off offset:736 ; 16-byte Folded Reload
	scratch_load_dwordx4 v[78:81], off, off offset:752 ; 16-byte Folded Reload
	scratch_load_dwordx4 v[82:85], off, off offset:768 ; 16-byte Folded Reload
	ds_read2_b32 v[0:1], v255 offset0:25 offset1:26
	s_waitcnt vmcnt(14)
	v_mov_b32_e32 v8, v36
	v_mov_b32_e32 v9, v37
	s_waitcnt vmcnt(13)
	v_mov_b32_e32 v10, v38
	v_mov_b32_e32 v11, v39
	;; [unrolled: 1-line block ×4, first 2 shown]
	s_waitcnt vmcnt(1)
	v_mul_f32_e32 v54, v78, v28
	scratch_load_dwordx4 v[56:59], off, off offset:8 ; 16-byte Folded Reload
	scratch_load_dwordx4 v[60:63], off, off offset:24 ; 16-byte Folded Reload
	scratch_load_dwordx4 v[64:67], off, off offset:40 ; 16-byte Folded Reload
	scratch_load_dwordx4 v[68:71], off, off offset:56 ; 16-byte Folded Reload
	scratch_load_dwordx4 v[72:75], off, off offset:72 ; 16-byte Folded Reload
	scratch_load_dwordx4 v[76:79], off, off offset:88 ; 16-byte Folded Reload
	scratch_load_dwordx4 v[80:83], off, off offset:104 ; 16-byte Folded Reload
	scratch_load_dwordx4 v[84:87], off, off offset:120 ; 16-byte Folded Reload
	ds_read2_b32 v[4:5], v255 offset0:27 offset1:28
	ds_read2_b32 v[6:7], v255 offset0:29 offset1:30
	v_mov_b32_e32 v14, v42
	v_mov_b32_e32 v15, v43
	;; [unrolled: 1-line block ×13, first 2 shown]
	s_waitcnt vmcnt(4)
	v_mov_b32_e32 v68, v34
	v_mov_b32_e32 v69, v35
	v_mov_b32_e32 v70, v36
	v_mov_b32_e32 v71, v37
	s_waitcnt vmcnt(3)
	v_mov_b32_e32 v72, v38
	v_mov_b32_e32 v73, v39
	v_mov_b32_e32 v74, v40
	v_mov_b32_e32 v75, v41
	;; [unrolled: 5-line block ×3, first 2 shown]
	s_waitcnt vmcnt(1)
	v_mov_b32_e32 v80, v46
	s_waitcnt vmcnt(0)
	v_mov_b32_e32 v87, v53
	v_mov_b32_e32 v88, v54
	;; [unrolled: 1-line block ×31, first 2 shown]
	s_waitcnt lgkmcnt(2)
	v_pk_fma_f32 v[60:61], v[54:55], v[0:1], v[2:3] op_sel_hi:[0,1,1] neg_lo:[1,0,0] neg_hi:[1,0,0]
	v_mov_b32_e32 v1, v64
	v_mov_b32_e32 v0, v63
	s_waitcnt lgkmcnt(1)
	v_pk_fma_f32 v[62:63], v[54:55], v[4:5], v[0:1] op_sel_hi:[0,1,1] neg_lo:[1,0,0] neg_hi:[1,0,0]
	v_mov_b32_e32 v1, v66
	v_mov_b32_e32 v0, v65
	;; [unrolled: 4-line block ×3, first 2 shown]
	v_mov_b32_e32 v4, v32
	v_mov_b32_e32 v5, v33
	;; [unrolled: 1-line block ×6, first 2 shown]
	scratch_store_dwordx4 off, v[2:5], off offset:272 ; 16-byte Folded Spill
	s_nop 0
	scratch_store_dwordx4 off, v[6:9], off offset:288 ; 16-byte Folded Spill
	scratch_store_dwordx4 off, v[10:13], off offset:304 ; 16-byte Folded Spill
	;; [unrolled: 1-line block ×7, first 2 shown]
	v_mov_b32_e32 v81, v47
	v_mov_b32_e32 v29, v62
	;; [unrolled: 1-line block ×19, first 2 shown]
	scratch_store_dwordx4 off, v[2:5], off offset:2064 ; 16-byte Folded Spill
	s_nop 0
	scratch_store_dwordx4 off, v[6:9], off offset:2080 ; 16-byte Folded Spill
	scratch_store_dwordx4 off, v[10:13], off offset:2096 ; 16-byte Folded Spill
	;; [unrolled: 1-line block ×7, first 2 shown]
	v_mov_b32_e32 v64, v30
	v_mov_b32_e32 v65, v31
	;; [unrolled: 1-line block ×8, first 2 shown]
	scratch_store_dwordx4 off, v[64:67], off offset:1168 ; 16-byte Folded Spill
	s_nop 0
	scratch_store_dwordx4 off, v[68:71], off offset:1184 ; 16-byte Folded Spill
	scratch_store_dwordx4 off, v[72:75], off offset:1200 ; 16-byte Folded Spill
	;; [unrolled: 1-line block ×7, first 2 shown]
	scratch_store_dwordx2 off, v[0:1], off offset:136 ; 8-byte Folded Spill
	scratch_store_dwordx4 off, v[192:195], off offset:8 ; 16-byte Folded Spill
	s_nop 0
	scratch_store_dwordx4 off, v[196:199], off offset:24 ; 16-byte Folded Spill
	scratch_store_dwordx4 off, v[200:203], off offset:40 ; 16-byte Folded Spill
	;; [unrolled: 1-line block ×7, first 2 shown]
	scratch_load_dword v255, off, off offset:2960 ; 4-byte Folded Reload
	s_nop 0
	scratch_store_dwordx4 off, v[30:33], off offset:2320 ; 16-byte Folded Spill
	s_nop 0
	scratch_store_dwordx4 off, v[34:37], off offset:2336 ; 16-byte Folded Spill
	scratch_store_dwordx4 off, v[38:41], off offset:2352 ; 16-byte Folded Spill
	;; [unrolled: 1-line block ×8, first 2 shown]
	s_nop 0
	scratch_store_dwordx4 off, v[34:37], off offset:544 ; 16-byte Folded Spill
	scratch_store_dwordx4 off, v[38:41], off offset:560 ; 16-byte Folded Spill
	;; [unrolled: 1-line block ×7, first 2 shown]
	v_mov_b32_e32 v207, v62
	v_mov_b32_e32 v223, v60
	;; [unrolled: 1-line block ×3, first 2 shown]
.LBB60_422:
	s_or_b64 exec, exec, s[0:1]
	s_barrier
	scratch_load_dword v0, off, off offset:4 ; 4-byte Folded Reload
	s_waitcnt vmcnt(17)
	v_mov_b32_e32 v1, v255
	s_cmp_lt_i32 s22, 27
	s_waitcnt vmcnt(0)
	v_lshl_add_u32 v26, v0, 2, v1
	ds_write_b32 v26, v223
	s_waitcnt lgkmcnt(0)
	s_barrier
	ds_read_b32 v28, v255 offset:100
	v_mov_b32_e32 v26, 25
	s_cbranch_scc1 .LBB60_425
; %bb.423:
	v_add_u32_e32 v27, 0x68, v255
	v_mov_b32_e32 v26, 25
	s_mov_b32 s0, 26
.LBB60_424:                             ; =>This Inner Loop Header: Depth=1
	ds_read_b32 v29, v27
	v_mov_b32_e32 v30, s0
	s_add_i32 s0, s0, 1
	v_add_u32_e32 v27, 4, v27
	s_cmp_lg_u32 s22, s0
	s_waitcnt lgkmcnt(0)
	v_cmp_lt_f32_e64 vcc, |v28|, |v29|
	s_nop 1
	v_cndmask_b32_e32 v28, v28, v29, vcc
	v_cndmask_b32_e32 v26, v26, v30, vcc
	s_cbranch_scc1 .LBB60_424
.LBB60_425:
	s_waitcnt lgkmcnt(0)
	v_cmp_eq_f32_e32 vcc, 0, v28
	s_and_saveexec_b64 s[0:1], vcc
	s_xor_b64 s[0:1], exec, s[0:1]
	s_cbranch_execz .LBB60_427
; %bb.426:
	scratch_load_dword v0, off, off offset:144 ; 4-byte Folded Reload
	s_waitcnt vmcnt(0)
	v_cmp_ne_u32_e32 vcc, 0, v0
	s_nop 1
	v_cndmask_b32_e32 v0, 26, v0, vcc
	scratch_store_dword off, v0, off offset:144 ; 4-byte Folded Spill
.LBB60_427:
	s_andn2_saveexec_b64 s[0:1], s[0:1]
	s_cbranch_execz .LBB60_429
; %bb.428:
	v_div_scale_f32 v27, s[2:3], v28, v28, 1.0
	v_rcp_f32_e32 v29, v27
	v_div_scale_f32 v30, vcc, 1.0, v28, 1.0
	v_fma_f32 v31, -v27, v29, 1.0
	v_fmac_f32_e32 v29, v31, v29
	v_mul_f32_e32 v31, v30, v29
	v_fma_f32 v60, -v27, v31, v30
	v_fmac_f32_e32 v31, v60, v29
	v_fma_f32 v27, -v27, v31, v30
	v_div_fmas_f32 v27, v27, v29, v31
	v_div_fixup_f32 v28, v27, v28, 1.0
.LBB60_429:
	s_or_b64 exec, exec, s[0:1]
	scratch_load_dword v0, off, off offset:4 ; 4-byte Folded Reload
	s_waitcnt vmcnt(0)
	v_cmp_ne_u32_e32 vcc, v0, v26
	s_and_saveexec_b64 s[0:1], vcc
	s_xor_b64 s[0:1], exec, s[0:1]
	s_cbranch_execz .LBB60_435
; %bb.430:
	scratch_load_dword v0, off, off offset:4 ; 4-byte Folded Reload
	s_waitcnt vmcnt(0)
	v_cmp_eq_u32_e32 vcc, 25, v0
	s_and_saveexec_b64 s[2:3], vcc
	s_cbranch_execz .LBB60_434
; %bb.431:
	v_cmp_ne_u32_e32 vcc, 25, v26
	s_xor_b64 s[12:13], s[20:21], -1
	s_and_b64 s[14:15], s[12:13], vcc
	s_and_saveexec_b64 s[12:13], s[14:15]
	s_cbranch_execz .LBB60_433
; %bb.432:
	s_movk_i32 s14, 0x159c
	scratch_load_dwordx2 v[60:61], off, s14 ; 8-byte Folded Reload
	v_ashrrev_i32_e32 v27, 31, v26
	s_waitcnt vmcnt(0)
	v_lshl_add_u64 v[30:31], v[26:27], 2, v[60:61]
	global_load_dword v27, v[30:31], off
	global_load_dword v29, v[60:61], off offset:100
	s_waitcnt vmcnt(1)
	global_store_dword v[60:61], v27, off offset:100
	s_waitcnt vmcnt(1)
	global_store_dword v[30:31], v29, off
.LBB60_433:
	s_or_b64 exec, exec, s[12:13]
	v_mov_b32_e32 v27, v26
	v_mov_b32_e32 v0, v26
	scratch_store_dword off, v27, off offset:3860 ; 4-byte Folded Spill
	scratch_store_dword off, v0, off offset:4 ; 4-byte Folded Spill
.LBB60_434:
	s_or_b64 exec, exec, s[2:3]
.LBB60_435:
	s_andn2_saveexec_b64 s[0:1], s[0:1]
	s_cbranch_execz .LBB60_437
; %bb.436:
	scratch_load_dwordx4 v[66:69], off, off offset:8 ; 16-byte Folded Reload
	scratch_load_dwordx4 v[70:73], off, off offset:24 ; 16-byte Folded Reload
	;; [unrolled: 1-line block ×8, first 2 shown]
	v_mov_b32_e32 v0, 25
	s_waitcnt vmcnt(1)
	ds_write2_b32 v255, v92, v93 offset0:26 offset1:27
	s_waitcnt vmcnt(0)
	ds_write2_b32 v255, v94, v95 offset0:28 offset1:29
	scratch_load_dwordx2 v[26:27], off, off offset:136 ; 8-byte Folded Reload
	s_waitcnt vmcnt(0)
	ds_write_b32 v255, v27 offset:120
	scratch_store_dword off, v0, off offset:4 ; 4-byte Folded Spill
.LBB60_437:
	s_or_b64 exec, exec, s[0:1]
	s_waitcnt lgkmcnt(0)
	s_barrier
	scratch_load_dword v0, off, off offset:4 ; 4-byte Folded Reload
	s_waitcnt vmcnt(0)
	v_cmp_lt_i32_e32 vcc, 25, v0
	s_and_saveexec_b64 s[0:1], vcc
	s_cbranch_execz .LBB60_439
; %bb.438:
	ds_read2_b32 v[2:3], v255 offset0:26 offset1:27
	scratch_load_dwordx4 v[114:117], off, off offset:8 ; 16-byte Folded Reload
	scratch_load_dwordx4 v[118:121], off, off offset:24 ; 16-byte Folded Reload
	;; [unrolled: 1-line block ×8, first 2 shown]
	ds_read2_b32 v[6:7], v255 offset0:28 offset1:29
	ds_read_b32 v1, v255 offset:120
	v_mul_f32_e32 v0, v223, v28
	v_mov_b32_e32 v53, v0
	v_mov_b32_e32 v85, v0
	s_waitcnt vmcnt(7)
	v_mov_b32_e32 v117, v0
	v_mov_b32_e32 v249, v0
	s_waitcnt vmcnt(1)
	v_mov_b32_e32 v4, v140
	v_mov_b32_e32 v5, v141
	s_waitcnt lgkmcnt(0)
	v_pk_fma_f32 v[118:119], v[0:1], v[2:3], v[4:5] op_sel_hi:[0,1,1] neg_lo:[1,0,0] neg_hi:[1,0,0]
	s_waitcnt vmcnt(0)
	v_mov_b32_e32 v2, v142
	v_mov_b32_e32 v3, v143
	v_pk_fma_f32 v[252:253], v[0:1], v[6:7], v[2:3] op_sel_hi:[0,1,1] neg_lo:[1,0,0] neg_hi:[1,0,0]
	scratch_load_dwordx2 v[2:3], off, off offset:136 ; 8-byte Folded Reload
	v_mov_b32_e32 v54, v118
	v_mov_b32_e32 v55, v119
	;; [unrolled: 1-line block ×8, first 2 shown]
	s_waitcnt vmcnt(0)
	v_fma_f32 v90, -v0, v1, v3
	scratch_load_dwordx4 v[2:5], off, off offset:528 ; 16-byte Folded Reload
	scratch_load_dwordx4 v[6:9], off, off offset:544 ; 16-byte Folded Reload
	;; [unrolled: 1-line block ×8, first 2 shown]
	s_waitcnt vmcnt(1)
	v_mov_b32_e32 v27, v0
	v_mov_b32_e32 v28, v2
	;; [unrolled: 1-line block ×3, first 2 shown]
	s_waitcnt vmcnt(0)
	v_mov_b32_e32 v30, v4
	v_mov_b32_e32 v31, v5
	;; [unrolled: 1-line block ×23, first 2 shown]
	scratch_store_dwordx4 off, v[28:31], off offset:2064 ; 16-byte Folded Spill
	s_nop 0
	scratch_store_dwordx4 off, v[32:35], off offset:2080 ; 16-byte Folded Spill
	scratch_store_dwordx4 off, v[36:39], off offset:2096 ; 16-byte Folded Spill
	;; [unrolled: 1-line block ×7, first 2 shown]
	v_mov_b32_e32 v60, v2
	v_mov_b32_e32 v61, v3
	v_mov_b32_e32 v62, v4
	v_mov_b32_e32 v63, v5
	v_mov_b32_e32 v64, v6
	v_mov_b32_e32 v65, v7
	v_mov_b32_e32 v66, v8
	v_mov_b32_e32 v67, v9
	v_mov_b32_e32 v68, v10
	v_mov_b32_e32 v69, v11
	v_mov_b32_e32 v70, v12
	v_mov_b32_e32 v71, v13
	v_mov_b32_e32 v72, v14
	v_mov_b32_e32 v73, v15
	v_mov_b32_e32 v74, v16
	v_mov_b32_e32 v75, v17
	v_mov_b32_e32 v76, v18
	v_mov_b32_e32 v77, v19
	v_mov_b32_e32 v78, v20
	v_mov_b32_e32 v79, v21
	v_mov_b32_e32 v80, v22
	v_mov_b32_e32 v81, v23
	v_mov_b32_e32 v82, v24
	v_mov_b32_e32 v83, v25
	v_mov_b32_e32 v84, v26
	v_mov_b64_e32 v[28:29], v[60:61]
	v_mov_b64_e32 v[30:31], v[62:63]
	v_mov_b64_e32 v[32:33], v[64:65]
	v_mov_b32_e32 v92, v2
	v_mov_b32_e32 v93, v3
	;; [unrolled: 1-line block ×50, first 2 shown]
	scratch_load_dword v255, off, off offset:2960 ; 4-byte Folded Reload
	s_nop 0
	scratch_store_dwordx4 off, v[2:5], off offset:2320 ; 16-byte Folded Spill
	s_nop 0
	scratch_store_dwordx4 off, v[6:9], off offset:2336 ; 16-byte Folded Spill
	scratch_store_dwordx4 off, v[10:13], off offset:2352 ; 16-byte Folded Spill
	;; [unrolled: 1-line block ×7, first 2 shown]
	v_mov_b64_e32 v[34:35], v[66:67]
	v_mov_b64_e32 v[36:37], v[68:69]
	;; [unrolled: 1-line block ×13, first 2 shown]
	scratch_store_dwordx4 off, v[92:95], off offset:272 ; 16-byte Folded Spill
	s_nop 0
	scratch_store_dwordx4 off, v[96:99], off offset:288 ; 16-byte Folded Spill
	scratch_store_dwordx4 off, v[100:103], off offset:304 ; 16-byte Folded Spill
	;; [unrolled: 1-line block ×8, first 2 shown]
	s_nop 0
	scratch_store_dwordx4 off, v[32:35], off offset:24 ; 16-byte Folded Spill
	scratch_store_dwordx4 off, v[36:39], off offset:40 ; 16-byte Folded Spill
	;; [unrolled: 1-line block ×7, first 2 shown]
	v_mov_b32_e32 v27, v90
	v_mov_b32_e32 v26, v253
	scratch_store_dwordx2 off, v[26:27], off offset:136 ; 8-byte Folded Spill
	v_mov_b64_e32 v[0:1], v[224:225]
	v_mov_b64_e32 v[16:17], v[240:241]
	;; [unrolled: 1-line block ×10, first 2 shown]
	v_mov_b32_e32 v64, v118
	v_mov_b32_e32 v207, v119
	v_mov_b64_e32 v[20:21], v[244:245]
	v_mov_b64_e32 v[22:23], v[246:247]
	;; [unrolled: 1-line block ×4, first 2 shown]
	v_mov_b32_e32 v28, v252
	scratch_store_dwordx4 off, v[0:3], off offset:1168 ; 16-byte Folded Spill
	s_nop 0
	scratch_store_dwordx4 off, v[4:7], off offset:1184 ; 16-byte Folded Spill
	scratch_store_dwordx4 off, v[8:11], off offset:1200 ; 16-byte Folded Spill
	;; [unrolled: 1-line block ×7, first 2 shown]
.LBB60_439:
	s_or_b64 exec, exec, s[0:1]
	s_barrier
	scratch_load_dword v0, off, off offset:4 ; 4-byte Folded Reload
	s_waitcnt vmcnt(34)
	v_mov_b32_e32 v1, v255
	s_cmp_lt_i32 s22, 28
	s_waitcnt vmcnt(0)
	v_lshl_add_u32 v26, v0, 2, v1
	ds_write_b32 v26, v64
	s_waitcnt lgkmcnt(0)
	s_barrier
	ds_read_b32 v28, v255 offset:104
	v_mov_b32_e32 v26, 26
	s_cbranch_scc1 .LBB60_442
; %bb.440:
	v_add_u32_e32 v27, 0x6c, v255
	v_mov_b32_e32 v26, 26
	s_mov_b32 s0, 27
.LBB60_441:                             ; =>This Inner Loop Header: Depth=1
	ds_read_b32 v29, v27
	v_mov_b32_e32 v30, s0
	s_add_i32 s0, s0, 1
	v_add_u32_e32 v27, 4, v27
	s_cmp_lg_u32 s22, s0
	s_waitcnt lgkmcnt(0)
	v_cmp_lt_f32_e64 vcc, |v28|, |v29|
	s_nop 1
	v_cndmask_b32_e32 v28, v28, v29, vcc
	v_cndmask_b32_e32 v26, v26, v30, vcc
	s_cbranch_scc1 .LBB60_441
.LBB60_442:
	s_waitcnt lgkmcnt(0)
	v_cmp_eq_f32_e32 vcc, 0, v28
	s_and_saveexec_b64 s[0:1], vcc
	s_xor_b64 s[0:1], exec, s[0:1]
	s_cbranch_execz .LBB60_444
; %bb.443:
	scratch_load_dword v0, off, off offset:144 ; 4-byte Folded Reload
	s_waitcnt vmcnt(0)
	v_cmp_ne_u32_e32 vcc, 0, v0
	s_nop 1
	v_cndmask_b32_e32 v0, 27, v0, vcc
	scratch_store_dword off, v0, off offset:144 ; 4-byte Folded Spill
.LBB60_444:
	s_andn2_saveexec_b64 s[0:1], s[0:1]
	s_cbranch_execz .LBB60_446
; %bb.445:
	v_div_scale_f32 v27, s[2:3], v28, v28, 1.0
	v_rcp_f32_e32 v29, v27
	v_div_scale_f32 v30, vcc, 1.0, v28, 1.0
	v_fma_f32 v31, -v27, v29, 1.0
	v_fmac_f32_e32 v29, v31, v29
	v_mul_f32_e32 v31, v30, v29
	v_fma_f32 v60, -v27, v31, v30
	v_fmac_f32_e32 v31, v60, v29
	v_fma_f32 v27, -v27, v31, v30
	v_div_fmas_f32 v27, v27, v29, v31
	v_div_fixup_f32 v28, v27, v28, 1.0
.LBB60_446:
	s_or_b64 exec, exec, s[0:1]
	scratch_load_dword v0, off, off offset:4 ; 4-byte Folded Reload
	s_waitcnt vmcnt(0)
	v_cmp_ne_u32_e32 vcc, v0, v26
	s_and_saveexec_b64 s[0:1], vcc
	s_xor_b64 s[0:1], exec, s[0:1]
	s_cbranch_execz .LBB60_452
; %bb.447:
	scratch_load_dword v0, off, off offset:4 ; 4-byte Folded Reload
	s_waitcnt vmcnt(0)
	v_cmp_eq_u32_e32 vcc, 26, v0
	s_and_saveexec_b64 s[2:3], vcc
	s_cbranch_execz .LBB60_451
; %bb.448:
	v_cmp_ne_u32_e32 vcc, 26, v26
	s_xor_b64 s[12:13], s[20:21], -1
	s_and_b64 s[14:15], s[12:13], vcc
	s_and_saveexec_b64 s[12:13], s[14:15]
	s_cbranch_execz .LBB60_450
; %bb.449:
	s_movk_i32 s14, 0x159c
	scratch_load_dwordx2 v[60:61], off, s14 ; 8-byte Folded Reload
	v_ashrrev_i32_e32 v27, 31, v26
	s_waitcnt vmcnt(0)
	v_lshl_add_u64 v[30:31], v[26:27], 2, v[60:61]
	global_load_dword v27, v[30:31], off
	global_load_dword v29, v[60:61], off offset:104
	s_waitcnt vmcnt(1)
	global_store_dword v[60:61], v27, off offset:104
	s_waitcnt vmcnt(1)
	global_store_dword v[30:31], v29, off
.LBB60_450:
	s_or_b64 exec, exec, s[12:13]
	v_mov_b32_e32 v27, v26
	v_mov_b32_e32 v0, v26
	scratch_store_dword off, v27, off offset:3860 ; 4-byte Folded Spill
	scratch_store_dword off, v0, off offset:4 ; 4-byte Folded Spill
.LBB60_451:
	s_or_b64 exec, exec, s[2:3]
.LBB60_452:
	s_andn2_saveexec_b64 s[0:1], s[0:1]
	s_cbranch_execz .LBB60_454
; %bb.453:
	scratch_load_dwordx4 v[66:69], off, off offset:8 ; 16-byte Folded Reload
	scratch_load_dwordx4 v[70:73], off, off offset:24 ; 16-byte Folded Reload
	;; [unrolled: 1-line block ×8, first 2 shown]
	v_mov_b32_e32 v0, 26
	s_waitcnt vmcnt(0)
	ds_write2_b32 v255, v93, v94 offset0:27 offset1:28
	ds_write2_b32 v255, v95, v96 offset0:29 offset1:30
	scratch_store_dword off, v0, off offset:4 ; 4-byte Folded Spill
.LBB60_454:
	s_or_b64 exec, exec, s[0:1]
	s_waitcnt lgkmcnt(0)
	s_barrier
	scratch_load_dword v0, off, off offset:4 ; 4-byte Folded Reload
	s_waitcnt vmcnt(0)
	v_cmp_lt_i32_e32 vcc, 26, v0
	s_and_saveexec_b64 s[0:1], vcc
	s_cbranch_execz .LBB60_456
; %bb.455:
	v_mov_b32_e32 v0, v255
	ds_read2_b32 v[30:31], v255 offset0:27 offset1:28
	scratch_load_dwordx4 v[224:227], off, off offset:2320 ; 16-byte Folded Reload
	scratch_load_dwordx4 v[228:231], off, off offset:2336 ; 16-byte Folded Reload
	;; [unrolled: 1-line block ×16, first 2 shown]
	s_waitcnt vmcnt(7)
	ds_read2_b32 v[32:33], v0 offset0:29 offset1:30
	v_mul_f32_e32 v250, v64, v28
	s_waitcnt vmcnt(1)
	v_mov_b32_e32 v58, v250
	v_mov_b32_e32 v218, v250
	;; [unrolled: 1-line block ×10, first 2 shown]
	s_waitcnt vmcnt(0)
	v_mov_b32_e32 v35, v59
	v_mov_b32_e32 v36, v60
	;; [unrolled: 1-line block ×6, first 2 shown]
	s_waitcnt lgkmcnt(1)
	v_pk_fma_f32 v[28:29], v[250:251], v[30:31], v[28:29] op_sel_hi:[0,1,1] neg_lo:[1,0,0] neg_hi:[1,0,0]
	v_mov_b32_e32 v31, v38
	v_mov_b32_e32 v30, v37
	s_waitcnt lgkmcnt(0)
	v_pk_fma_f32 v[30:31], v[250:251], v[32:33], v[30:31] op_sel_hi:[0,1,1] neg_lo:[1,0,0] neg_hi:[1,0,0]
	v_mov_b32_e32 v32, v224
	v_mov_b32_e32 v33, v225
	v_mov_b32_e32 v35, v227
	v_mov_b32_e32 v36, v228
	v_mov_b32_e32 v37, v229
	v_mov_b32_e32 v38, v230
	v_mov_b32_e32 v46, v238
	v_mov_b32_e32 v47, v239
	v_mov_b32_e32 v48, v240
	v_mov_b32_e32 v49, v241
	v_mov_b32_e32 v50, v242
	v_mov_b32_e32 v51, v243
	v_mov_b32_e32 v52, v244
	v_mov_b32_e32 v53, v245
	v_mov_b32_e32 v54, v246
	v_mov_b32_e32 v55, v247
	v_mov_b32_e32 v56, v248
	v_mov_b32_e32 v57, v249
	v_mov_b32_e32 v59, v28
	v_mov_b32_e32 v60, v29
	v_mov_b32_e32 v192, v224
	v_mov_b32_e32 v193, v225
	v_mov_b32_e32 v194, v226
	v_mov_b32_e32 v195, v227
	v_mov_b32_e32 v196, v228
	v_mov_b32_e32 v197, v229
	v_mov_b32_e32 v198, v230
	v_mov_b32_e32 v199, v231
	v_mov_b32_e32 v200, v232
	v_mov_b32_e32 v201, v233
	v_mov_b32_e32 v202, v234
	v_mov_b32_e32 v203, v235
	v_mov_b32_e32 v204, v236
	v_mov_b32_e32 v205, v237
	v_mov_b32_e32 v206, v238
	v_mov_b32_e32 v207, v239
	v_mov_b32_e32 v208, v240
	v_mov_b32_e32 v209, v241
	v_mov_b32_e32 v210, v242
	v_mov_b32_e32 v211, v243
	v_mov_b32_e32 v212, v244
	v_mov_b32_e32 v213, v245
	v_mov_b32_e32 v214, v246
	v_mov_b32_e32 v215, v247
	v_mov_b32_e32 v216, v248
	v_mov_b32_e32 v217, v249
	v_mov_b32_e32 v219, v28
	v_mov_b32_e32 v220, v29
	v_mov_b32_e32 v221, v30
	v_mov_b32_e32 v222, v31
	scratch_store_dwordx4 off, v[32:35], off offset:1168 ; 16-byte Folded Spill
	s_nop 0
	scratch_store_dwordx4 off, v[36:39], off offset:1184 ; 16-byte Folded Spill
	scratch_store_dwordx4 off, v[40:43], off offset:1200 ; 16-byte Folded Spill
	;; [unrolled: 1-line block ×7, first 2 shown]
	scratch_store_dwordx2 off, v[30:31], off offset:136 ; 8-byte Folded Spill
	scratch_store_dwordx4 off, v[192:195], off offset:8 ; 16-byte Folded Spill
	s_nop 0
	scratch_store_dwordx4 off, v[196:199], off offset:24 ; 16-byte Folded Spill
	scratch_store_dwordx4 off, v[200:203], off offset:40 ; 16-byte Folded Spill
	;; [unrolled: 1-line block ×7, first 2 shown]
	scratch_load_dword v255, off, off offset:2960 ; 4-byte Folded Reload
	v_mov_b32_e32 v251, v28
	v_mov_b32_e32 v207, v28
	scratch_store_dwordx4 off, v[224:227], off offset:2064 ; 16-byte Folded Spill
	s_nop 0
	scratch_store_dwordx4 off, v[228:231], off offset:2080 ; 16-byte Folded Spill
	scratch_store_dwordx4 off, v[232:235], off offset:2096 ; 16-byte Folded Spill
	;; [unrolled: 1-line block ×6, first 2 shown]
	s_waitcnt vmcnt(7)
	scratch_store_dwordx4 off, v[252:255], off offset:2176 ; 16-byte Folded Spill
	scratch_store_dwordx4 off, v[224:227], off offset:272 ; 16-byte Folded Spill
	s_nop 0
	scratch_store_dwordx4 off, v[228:231], off offset:288 ; 16-byte Folded Spill
	scratch_store_dwordx4 off, v[232:235], off offset:304 ; 16-byte Folded Spill
	;; [unrolled: 1-line block ×7, first 2 shown]
	s_nop 1
	v_mov_b32_e32 v252, v29
.LBB60_456:
	s_or_b64 exec, exec, s[0:1]
	s_barrier
	scratch_load_dword v0, off, off offset:4 ; 4-byte Folded Reload
	v_mov_b32_e32 v1, v255
	s_cmp_lt_i32 s22, 29
	s_waitcnt vmcnt(0)
	v_lshl_add_u32 v0, v0, 2, v1
	ds_write_b32 v0, v207
	s_waitcnt lgkmcnt(0)
	s_barrier
	ds_read_b32 v2, v255 offset:108
	v_mov_b32_e32 v0, 27
	s_cbranch_scc1 .LBB60_459
; %bb.457:
	v_add_u32_e32 v1, 0x70, v255
	v_mov_b32_e32 v0, 27
	s_mov_b32 s0, 28
.LBB60_458:                             ; =>This Inner Loop Header: Depth=1
	ds_read_b32 v3, v1
	v_mov_b32_e32 v4, s0
	s_add_i32 s0, s0, 1
	v_add_u32_e32 v1, 4, v1
	s_cmp_lg_u32 s22, s0
	s_waitcnt lgkmcnt(0)
	v_cmp_lt_f32_e64 vcc, |v2|, |v3|
	s_nop 1
	v_cndmask_b32_e32 v2, v2, v3, vcc
	v_cndmask_b32_e32 v0, v0, v4, vcc
	s_cbranch_scc1 .LBB60_458
.LBB60_459:
	s_waitcnt lgkmcnt(0)
	v_cmp_eq_f32_e32 vcc, 0, v2
	s_and_saveexec_b64 s[0:1], vcc
	s_xor_b64 s[0:1], exec, s[0:1]
	s_cbranch_execz .LBB60_461
; %bb.460:
	scratch_load_dword v1, off, off offset:144 ; 4-byte Folded Reload
	s_waitcnt vmcnt(0)
	v_cmp_ne_u32_e32 vcc, 0, v1
	s_nop 1
	v_cndmask_b32_e32 v1, 28, v1, vcc
	scratch_store_dword off, v1, off offset:144 ; 4-byte Folded Spill
.LBB60_461:
	s_andn2_saveexec_b64 s[0:1], s[0:1]
	s_cbranch_execz .LBB60_463
; %bb.462:
	v_div_scale_f32 v1, s[2:3], v2, v2, 1.0
	v_rcp_f32_e32 v3, v1
	v_div_scale_f32 v4, vcc, 1.0, v2, 1.0
	v_fma_f32 v5, -v1, v3, 1.0
	v_fmac_f32_e32 v3, v5, v3
	v_mul_f32_e32 v5, v4, v3
	v_fma_f32 v6, -v1, v5, v4
	v_fmac_f32_e32 v5, v6, v3
	v_fma_f32 v1, -v1, v5, v4
	v_div_fmas_f32 v1, v1, v3, v5
	v_div_fixup_f32 v2, v1, v2, 1.0
.LBB60_463:
	s_or_b64 exec, exec, s[0:1]
	scratch_load_dword v1, off, off offset:4 ; 4-byte Folded Reload
	s_waitcnt vmcnt(0)
	v_cmp_ne_u32_e32 vcc, v1, v0
	s_and_saveexec_b64 s[0:1], vcc
	s_xor_b64 s[0:1], exec, s[0:1]
	s_cbranch_execz .LBB60_469
; %bb.464:
	scratch_load_dword v1, off, off offset:4 ; 4-byte Folded Reload
	s_waitcnt vmcnt(0)
	v_cmp_eq_u32_e32 vcc, 27, v1
	s_and_saveexec_b64 s[2:3], vcc
	s_cbranch_execz .LBB60_468
; %bb.465:
	v_cmp_ne_u32_e32 vcc, 27, v0
	s_xor_b64 s[12:13], s[20:21], -1
	s_and_b64 s[14:15], s[12:13], vcc
	s_and_saveexec_b64 s[12:13], s[14:15]
	s_cbranch_execz .LBB60_467
; %bb.466:
	s_movk_i32 s14, 0x159c
	scratch_load_dwordx2 v[6:7], off, s14   ; 8-byte Folded Reload
	v_ashrrev_i32_e32 v1, 31, v0
	s_waitcnt vmcnt(0)
	v_lshl_add_u64 v[4:5], v[0:1], 2, v[6:7]
	global_load_dword v1, v[4:5], off
	global_load_dword v3, v[6:7], off offset:108
	s_waitcnt vmcnt(1)
	global_store_dword v[6:7], v1, off offset:108
	s_waitcnt vmcnt(1)
	global_store_dword v[4:5], v3, off
.LBB60_467:
	s_or_b64 exec, exec, s[12:13]
	v_mov_b32_e32 v1, v0
	scratch_store_dword off, v1, off offset:3860 ; 4-byte Folded Spill
	scratch_store_dword off, v0, off offset:4 ; 4-byte Folded Spill
.LBB60_468:
	s_or_b64 exec, exec, s[2:3]
.LBB60_469:
	s_andn2_saveexec_b64 s[0:1], s[0:1]
	s_cbranch_execz .LBB60_471
; %bb.470:
	scratch_load_dwordx4 v[36:39], off, off offset:8 ; 16-byte Folded Reload
	scratch_load_dwordx4 v[40:43], off, off offset:24 ; 16-byte Folded Reload
	;; [unrolled: 1-line block ×8, first 2 shown]
	scratch_load_dwordx2 v[0:1], off, off offset:136 ; 8-byte Folded Reload
	s_waitcnt vmcnt(0)
	v_mov_b32_e32 v0, 27
	scratch_store_dword off, v0, off offset:4 ; 4-byte Folded Spill
	ds_write2_b32 v255, v64, v65 offset0:28 offset1:29
	ds_write_b32 v255, v1 offset:120
.LBB60_471:
	s_or_b64 exec, exec, s[0:1]
	s_waitcnt lgkmcnt(0)
	s_barrier
	scratch_load_dword v0, off, off offset:4 ; 4-byte Folded Reload
	s_waitcnt vmcnt(0)
	v_cmp_lt_i32_e32 vcc, 27, v0
	s_and_saveexec_b64 s[0:1], vcc
	s_cbranch_execz .LBB60_473
; %bb.472:
	ds_read2_b32 v[0:1], v255 offset0:28 offset1:29
	ds_read_b32 v4, v255 offset:120
	scratch_load_dwordx4 v[30:33], off, off offset:8 ; 16-byte Folded Reload
	scratch_load_dwordx4 v[34:37], off, off offset:24 ; 16-byte Folded Reload
	;; [unrolled: 1-line block ×8, first 2 shown]
	v_mul_f32_e32 v28, v207, v2
	v_mov_b32_e32 v87, v28
	v_mov_b32_e32 v27, v28
	s_waitcnt vmcnt(0)
	v_mov_b64_e32 v[30:31], v[58:59]
	v_mov_b32_e32 v2, v30
	v_mov_b32_e32 v3, v31
	s_waitcnt lgkmcnt(1)
	v_pk_fma_f32 v[88:89], v[28:29], v[0:1], v[2:3] op_sel_hi:[0,1,1] neg_lo:[1,0,0] neg_hi:[1,0,0]
	scratch_load_dwordx2 v[0:1], off, off offset:136 ; 8-byte Folded Reload
	scratch_load_dwordx4 v[32:35], off, off offset:272 ; 16-byte Folded Reload
	scratch_load_dwordx4 v[36:39], off, off offset:288 ; 16-byte Folded Reload
	;; [unrolled: 1-line block ×8, first 2 shown]
	s_waitcnt vmcnt(1)
	v_mov_b32_e32 v59, v28
	v_mov_b32_e32 v29, v89
	;; [unrolled: 1-line block ×9, first 2 shown]
	s_waitcnt lgkmcnt(0)
	v_fma_f32 v30, -v28, v4, v1
	v_mov_b32_e32 v1, v33
	v_mov_b32_e32 v4, v36
	;; [unrolled: 1-line block ×22, first 2 shown]
	s_waitcnt vmcnt(0)
	v_mov_b32_e32 v60, v32
	v_mov_b32_e32 v61, v33
	;; [unrolled: 1-line block ×4, first 2 shown]
	scratch_store_dwordx4 off, v[0:3], off offset:8 ; 16-byte Folded Spill
	s_nop 0
	scratch_store_dwordx4 off, v[4:7], off offset:24 ; 16-byte Folded Spill
	scratch_store_dwordx4 off, v[8:11], off offset:40 ; 16-byte Folded Spill
	;; [unrolled: 1-line block ×7, first 2 shown]
	v_mov_b32_e32 v64, v36
	v_mov_b32_e32 v65, v37
	;; [unrolled: 1-line block ×23, first 2 shown]
	scratch_load_dword v255, off, off offset:2960 ; 4-byte Folded Reload
	s_nop 0
	scratch_store_dwordx4 off, v[32:35], off offset:2064 ; 16-byte Folded Spill
	s_nop 0
	scratch_store_dwordx4 off, v[36:39], off offset:2080 ; 16-byte Folded Spill
	scratch_store_dwordx4 off, v[40:43], off offset:2096 ; 16-byte Folded Spill
	;; [unrolled: 1-line block ×8, first 2 shown]
	s_nop 0
	scratch_store_dwordx4 off, v[64:67], off offset:1184 ; 16-byte Folded Spill
	scratch_store_dwordx4 off, v[68:71], off offset:1200 ; 16-byte Folded Spill
	scratch_store_dwordx4 off, v[72:75], off offset:1216 ; 16-byte Folded Spill
	scratch_store_dwordx4 off, v[76:79], off offset:1232 ; 16-byte Folded Spill
	scratch_store_dwordx4 off, v[80:83], off offset:1248 ; 16-byte Folded Spill
	scratch_store_dwordx4 off, v[84:87], off offset:1264 ; 16-byte Folded Spill
	scratch_store_dwordx4 off, v[88:91], off offset:1280 ; 16-byte Folded Spill
	v_mov_b32_e32 v1, v30
	v_mov_b32_e32 v0, v89
	scratch_store_dwordx2 off, v[0:1], off offset:136 ; 8-byte Folded Spill
.LBB60_473:
	s_or_b64 exec, exec, s[0:1]
	s_barrier
	scratch_load_dword v0, off, off offset:4 ; 4-byte Folded Reload
	s_waitcnt vmcnt(18)
	v_mov_b32_e32 v1, v255
	s_cmp_lt_i32 s22, 30
	s_waitcnt vmcnt(0)
	v_lshl_add_u32 v0, v0, 2, v1
	ds_write_b32 v0, v252
	s_waitcnt lgkmcnt(0)
	s_barrier
	ds_read_b32 v2, v255 offset:112
	v_mov_b32_e32 v0, 28
	s_cbranch_scc1 .LBB60_476
; %bb.474:
	v_add_u32_e32 v1, 0x74, v255
	v_mov_b32_e32 v0, 28
	s_mov_b32 s0, 29
.LBB60_475:                             ; =>This Inner Loop Header: Depth=1
	ds_read_b32 v3, v1
	v_mov_b32_e32 v4, s0
	s_add_i32 s0, s0, 1
	v_add_u32_e32 v1, 4, v1
	s_cmp_lg_u32 s22, s0
	s_waitcnt lgkmcnt(0)
	v_cmp_lt_f32_e64 vcc, |v2|, |v3|
	s_nop 1
	v_cndmask_b32_e32 v2, v2, v3, vcc
	v_cndmask_b32_e32 v0, v0, v4, vcc
	s_cbranch_scc1 .LBB60_475
.LBB60_476:
	s_waitcnt lgkmcnt(0)
	v_cmp_eq_f32_e32 vcc, 0, v2
	s_and_saveexec_b64 s[0:1], vcc
	s_xor_b64 s[0:1], exec, s[0:1]
	s_cbranch_execz .LBB60_478
; %bb.477:
	scratch_load_dword v1, off, off offset:144 ; 4-byte Folded Reload
	s_waitcnt vmcnt(0)
	v_cmp_ne_u32_e32 vcc, 0, v1
	s_nop 1
	v_cndmask_b32_e32 v1, 29, v1, vcc
	scratch_store_dword off, v1, off offset:144 ; 4-byte Folded Spill
.LBB60_478:
	s_andn2_saveexec_b64 s[0:1], s[0:1]
	s_cbranch_execz .LBB60_480
; %bb.479:
	v_div_scale_f32 v1, s[2:3], v2, v2, 1.0
	v_rcp_f32_e32 v3, v1
	v_div_scale_f32 v4, vcc, 1.0, v2, 1.0
	v_fma_f32 v5, -v1, v3, 1.0
	v_fmac_f32_e32 v3, v5, v3
	v_mul_f32_e32 v5, v4, v3
	v_fma_f32 v6, -v1, v5, v4
	v_fmac_f32_e32 v5, v6, v3
	v_fma_f32 v1, -v1, v5, v4
	v_div_fmas_f32 v1, v1, v3, v5
	v_div_fixup_f32 v2, v1, v2, 1.0
.LBB60_480:
	s_or_b64 exec, exec, s[0:1]
	scratch_load_dword v1, off, off offset:4 ; 4-byte Folded Reload
	s_waitcnt vmcnt(0)
	v_cmp_ne_u32_e32 vcc, v1, v0
	s_and_saveexec_b64 s[0:1], vcc
	s_xor_b64 s[0:1], exec, s[0:1]
	s_cbranch_execz .LBB60_486
; %bb.481:
	scratch_load_dword v1, off, off offset:4 ; 4-byte Folded Reload
	s_waitcnt vmcnt(0)
	v_cmp_eq_u32_e32 vcc, 28, v1
	s_and_saveexec_b64 s[2:3], vcc
	s_cbranch_execz .LBB60_485
; %bb.482:
	v_cmp_ne_u32_e32 vcc, 28, v0
	s_xor_b64 s[12:13], s[20:21], -1
	s_and_b64 s[14:15], s[12:13], vcc
	s_and_saveexec_b64 s[12:13], s[14:15]
	s_cbranch_execz .LBB60_484
; %bb.483:
	s_movk_i32 s14, 0x159c
	scratch_load_dwordx2 v[6:7], off, s14   ; 8-byte Folded Reload
	v_ashrrev_i32_e32 v1, 31, v0
	s_waitcnt vmcnt(0)
	v_lshl_add_u64 v[4:5], v[0:1], 2, v[6:7]
	global_load_dword v1, v[4:5], off
	global_load_dword v3, v[6:7], off offset:112
	s_waitcnt vmcnt(1)
	global_store_dword v[6:7], v1, off offset:112
	s_waitcnt vmcnt(1)
	global_store_dword v[4:5], v3, off
.LBB60_484:
	s_or_b64 exec, exec, s[12:13]
	v_mov_b32_e32 v1, v0
	scratch_store_dword off, v1, off offset:3860 ; 4-byte Folded Spill
	scratch_store_dword off, v0, off offset:4 ; 4-byte Folded Spill
.LBB60_485:
	s_or_b64 exec, exec, s[2:3]
.LBB60_486:
	s_andn2_saveexec_b64 s[0:1], s[0:1]
	s_cbranch_execz .LBB60_488
; %bb.487:
	scratch_load_dwordx4 v[36:39], off, off offset:8 ; 16-byte Folded Reload
	scratch_load_dwordx4 v[40:43], off, off offset:24 ; 16-byte Folded Reload
	;; [unrolled: 1-line block ×8, first 2 shown]
	v_mov_b32_e32 v0, 28
	scratch_store_dword off, v0, off offset:4 ; 4-byte Folded Spill
	s_waitcnt vmcnt(1)
	ds_write2_b32 v255, v65, v66 offset0:29 offset1:30
.LBB60_488:
	s_or_b64 exec, exec, s[0:1]
	s_waitcnt lgkmcnt(0)
	s_barrier
	scratch_load_dword v0, off, off offset:4 ; 4-byte Folded Reload
	s_waitcnt vmcnt(0)
	v_cmp_lt_i32_e32 vcc, 28, v0
	s_and_saveexec_b64 s[0:1], vcc
	s_cbranch_execz .LBB60_490
; %bb.489:
	ds_read2_b32 v[0:1], v255 offset0:29 offset1:30
	scratch_load_dwordx4 v[160:163], off, off offset:2064 ; 16-byte Folded Reload
	scratch_load_dwordx4 v[164:167], off, off offset:2080 ; 16-byte Folded Reload
	;; [unrolled: 1-line block ×8, first 2 shown]
	s_waitcnt vmcnt(0)
	v_mul_f32_e32 v188, v252, v2
	scratch_load_dwordx4 v[2:5], off, off offset:8 ; 16-byte Folded Reload
	scratch_load_dwordx4 v[6:9], off, off offset:24 ; 16-byte Folded Reload
	;; [unrolled: 1-line block ×8, first 2 shown]
	s_waitcnt vmcnt(0)
	v_mov_b32_e32 v29, v31
	v_mov_b32_e32 v30, v32
	;; [unrolled: 1-line block ×4, first 2 shown]
	s_waitcnt lgkmcnt(0)
	v_pk_fma_f32 v[0:1], v[188:189], v[0:1], v[2:3] op_sel_hi:[0,1,1] neg_lo:[1,0,0] neg_hi:[1,0,0]
	v_mov_b32_e32 v189, v0
	v_mov_b32_e32 v190, v1
	scratch_store_dwordx2 off, v[0:1], off offset:136 ; 8-byte Folded Spill
	scratch_store_dwordx4 off, v[160:163], off offset:8 ; 16-byte Folded Spill
	s_nop 0
	scratch_store_dwordx4 off, v[164:167], off offset:24 ; 16-byte Folded Spill
	scratch_store_dwordx4 off, v[168:171], off offset:40 ; 16-byte Folded Spill
	;; [unrolled: 1-line block ×7, first 2 shown]
	scratch_load_dword v255, off, off offset:2960 ; 4-byte Folded Reload
	s_nop 0
	scratch_store_dwordx4 off, v[160:163], off offset:1168 ; 16-byte Folded Spill
	s_nop 0
	scratch_store_dwordx4 off, v[164:167], off offset:1184 ; 16-byte Folded Spill
	scratch_store_dwordx4 off, v[168:171], off offset:1200 ; 16-byte Folded Spill
	;; [unrolled: 1-line block ×7, first 2 shown]
.LBB60_490:
	s_or_b64 exec, exec, s[0:1]
	s_barrier
	scratch_load_dword v0, off, off offset:4 ; 4-byte Folded Reload
	scratch_load_dwordx2 v[2:3], off, off offset:136 ; 8-byte Folded Reload
	s_waitcnt vmcnt(10)
	v_mov_b32_e32 v1, v255
	s_cmp_lt_i32 s22, 31
	s_waitcnt vmcnt(1)
	v_lshl_add_u32 v0, v0, 2, v1
	s_waitcnt vmcnt(0)
	ds_write_b32 v0, v2
	s_waitcnt lgkmcnt(0)
	s_barrier
	ds_read_b32 v2, v255 offset:116
	v_mov_b32_e32 v0, 29
	s_cbranch_scc1 .LBB60_493
; %bb.491:
	v_add_u32_e32 v1, 0x78, v255
	v_mov_b32_e32 v0, 29
	s_mov_b32 s0, 30
.LBB60_492:                             ; =>This Inner Loop Header: Depth=1
	ds_read_b32 v3, v1
	v_mov_b32_e32 v4, s0
	s_add_i32 s0, s0, 1
	v_add_u32_e32 v1, 4, v1
	s_cmp_lg_u32 s22, s0
	s_waitcnt lgkmcnt(0)
	v_cmp_lt_f32_e64 vcc, |v2|, |v3|
	s_nop 1
	v_cndmask_b32_e32 v2, v2, v3, vcc
	v_cndmask_b32_e32 v0, v0, v4, vcc
	s_cbranch_scc1 .LBB60_492
.LBB60_493:
	s_waitcnt lgkmcnt(0)
	v_cmp_eq_f32_e32 vcc, 0, v2
	s_and_saveexec_b64 s[0:1], vcc
	s_xor_b64 s[0:1], exec, s[0:1]
	s_cbranch_execz .LBB60_495
; %bb.494:
	scratch_load_dword v1, off, off offset:144 ; 4-byte Folded Reload
	s_waitcnt vmcnt(0)
	v_cmp_ne_u32_e32 vcc, 0, v1
	s_nop 1
	v_cndmask_b32_e32 v1, 30, v1, vcc
	scratch_store_dword off, v1, off offset:144 ; 4-byte Folded Spill
.LBB60_495:
	s_andn2_saveexec_b64 s[0:1], s[0:1]
	s_cbranch_execz .LBB60_497
; %bb.496:
	v_div_scale_f32 v1, s[2:3], v2, v2, 1.0
	v_rcp_f32_e32 v3, v1
	v_div_scale_f32 v4, vcc, 1.0, v2, 1.0
	v_fma_f32 v5, -v1, v3, 1.0
	v_fmac_f32_e32 v3, v5, v3
	v_mul_f32_e32 v5, v4, v3
	v_fma_f32 v6, -v1, v5, v4
	v_fmac_f32_e32 v5, v6, v3
	v_fma_f32 v1, -v1, v5, v4
	v_div_fmas_f32 v1, v1, v3, v5
	v_div_fixup_f32 v2, v1, v2, 1.0
.LBB60_497:
	s_or_b64 exec, exec, s[0:1]
	scratch_load_dword v1, off, off offset:4 ; 4-byte Folded Reload
	s_waitcnt vmcnt(0)
	v_cmp_ne_u32_e32 vcc, v1, v0
	s_and_saveexec_b64 s[0:1], vcc
	s_xor_b64 s[0:1], exec, s[0:1]
	s_cbranch_execz .LBB60_503
; %bb.498:
	scratch_load_dword v1, off, off offset:4 ; 4-byte Folded Reload
	s_waitcnt vmcnt(0)
	v_cmp_eq_u32_e32 vcc, 29, v1
	s_and_saveexec_b64 s[2:3], vcc
	s_cbranch_execz .LBB60_502
; %bb.499:
	v_cmp_ne_u32_e32 vcc, 29, v0
	s_xor_b64 s[12:13], s[20:21], -1
	s_and_b64 s[14:15], s[12:13], vcc
	s_and_saveexec_b64 s[12:13], s[14:15]
	s_cbranch_execz .LBB60_501
; %bb.500:
	s_movk_i32 s14, 0x159c
	scratch_load_dwordx2 v[6:7], off, s14   ; 8-byte Folded Reload
	v_ashrrev_i32_e32 v1, 31, v0
	s_waitcnt vmcnt(0)
	v_lshl_add_u64 v[4:5], v[0:1], 2, v[6:7]
	global_load_dword v1, v[4:5], off
	global_load_dword v3, v[6:7], off offset:116
	s_waitcnt vmcnt(1)
	global_store_dword v[6:7], v1, off offset:116
	s_waitcnt vmcnt(1)
	global_store_dword v[4:5], v3, off
.LBB60_501:
	s_or_b64 exec, exec, s[12:13]
	v_mov_b32_e32 v1, v0
	scratch_store_dword off, v1, off offset:3860 ; 4-byte Folded Spill
	scratch_store_dword off, v0, off offset:4 ; 4-byte Folded Spill
.LBB60_502:
	s_or_b64 exec, exec, s[2:3]
.LBB60_503:
	s_andn2_saveexec_b64 s[0:1], s[0:1]
	s_cbranch_execz .LBB60_505
; %bb.504:
	scratch_load_dwordx2 v[0:1], off, off offset:136 ; 8-byte Folded Reload
	s_waitcnt vmcnt(0)
	v_mov_b32_e32 v0, 29
	scratch_store_dword off, v0, off offset:4 ; 4-byte Folded Spill
	ds_write_b32 v255, v1 offset:120
.LBB60_505:
	s_or_b64 exec, exec, s[0:1]
	s_waitcnt lgkmcnt(0)
	s_barrier
	scratch_load_dword v0, off, off offset:4 ; 4-byte Folded Reload
	s_waitcnt vmcnt(0)
	v_cmp_lt_i32_e32 vcc, 29, v0
	s_and_saveexec_b64 s[0:1], vcc
	s_cbranch_execz .LBB60_507
; %bb.506:
	ds_read_b32 v0, v255 offset:120
	scratch_load_dwordx2 v[4:5], off, off offset:136 ; 8-byte Folded Reload
	scratch_load_dwordx4 v[6:9], off, off offset:1168 ; 16-byte Folded Reload
	scratch_load_dwordx4 v[10:13], off, off offset:1184 ; 16-byte Folded Reload
	;; [unrolled: 1-line block ×8, first 2 shown]
	s_waitcnt vmcnt(0)
	v_mul_f32_e32 v35, v4, v2
	s_waitcnt lgkmcnt(0)
	v_fma_f32 v36, -v35, v0, v5
	scratch_store_dwordx4 off, v[6:9], off offset:8 ; 16-byte Folded Spill
	s_nop 0
	scratch_store_dwordx4 off, v[10:13], off offset:24 ; 16-byte Folded Spill
	scratch_store_dwordx4 off, v[14:17], off offset:40 ; 16-byte Folded Spill
	;; [unrolled: 1-line block ×7, first 2 shown]
	scratch_load_dword v255, off, off offset:2960 ; 4-byte Folded Reload
	v_mov_b32_e32 v1, v36
	scratch_store_dwordx2 off, v[0:1], off offset:136 ; 8-byte Folded Spill
.LBB60_507:
	s_or_b64 exec, exec, s[0:1]
	s_barrier
	scratch_load_dword v0, off, off offset:4 ; 4-byte Folded Reload
	scratch_load_dwordx2 v[2:3], off, off offset:136 ; 8-byte Folded Reload
	s_waitcnt vmcnt(3)
	v_mov_b32_e32 v1, v255
	s_cmp_lt_i32 s22, 32
	s_waitcnt vmcnt(1)
	v_lshl_add_u32 v0, v0, 2, v1
	s_waitcnt vmcnt(0)
	ds_write_b32 v0, v3
	s_waitcnt lgkmcnt(0)
	s_barrier
	ds_read_b32 v4, v255 offset:120
	v_mov_b32_e32 v0, 30
	s_cbranch_scc1 .LBB60_510
; %bb.508:
	v_add_u32_e32 v1, 0x7c, v255
	v_mov_b32_e32 v0, 30
	s_mov_b32 s0, 31
.LBB60_509:                             ; =>This Inner Loop Header: Depth=1
	ds_read_b32 v2, v1
	v_mov_b32_e32 v3, s0
	s_add_i32 s0, s0, 1
	v_add_u32_e32 v1, 4, v1
	s_cmp_lg_u32 s22, s0
	s_waitcnt lgkmcnt(0)
	v_cmp_lt_f32_e64 vcc, |v4|, |v2|
	s_nop 1
	v_cndmask_b32_e32 v4, v4, v2, vcc
	v_cndmask_b32_e32 v0, v0, v3, vcc
	s_cbranch_scc1 .LBB60_509
.LBB60_510:
	s_waitcnt lgkmcnt(0)
	v_cmp_eq_f32_e32 vcc, 0, v4
	s_and_saveexec_b64 s[0:1], vcc
	s_xor_b64 s[0:1], exec, s[0:1]
	s_cbranch_execz .LBB60_512
; %bb.511:
	scratch_load_dword v1, off, off offset:144 ; 4-byte Folded Reload
	s_waitcnt vmcnt(0)
	v_cmp_ne_u32_e32 vcc, 0, v1
	s_nop 1
	v_cndmask_b32_e32 v1, 31, v1, vcc
	scratch_store_dword off, v1, off offset:144 ; 4-byte Folded Spill
.LBB60_512:
	s_andn2_saveexec_b64 s[0:1], s[0:1]
	s_cbranch_execz .LBB60_514
; %bb.513:
	v_div_scale_f32 v1, s[2:3], v4, v4, 1.0
	v_rcp_f32_e32 v2, v1
	v_div_scale_f32 v3, vcc, 1.0, v4, 1.0
	v_fma_f32 v5, -v1, v2, 1.0
	v_fmac_f32_e32 v2, v5, v2
	v_mul_f32_e32 v5, v3, v2
	v_fma_f32 v6, -v1, v5, v3
	v_fmac_f32_e32 v5, v6, v2
	v_fma_f32 v1, -v1, v5, v3
	v_div_fmas_f32 v1, v1, v2, v5
	v_div_fixup_f32 v4, v1, v4, 1.0
.LBB60_514:
	s_or_b64 exec, exec, s[0:1]
	scratch_load_dword v1, off, off offset:4 ; 4-byte Folded Reload
	v_mov_b32_e32 v2, 30
	s_waitcnt vmcnt(0)
	v_cmp_ne_u32_e32 vcc, v1, v0
	s_and_saveexec_b64 s[0:1], vcc
	s_cbranch_execz .LBB60_520
; %bb.515:
	scratch_load_dword v1, off, off offset:4 ; 4-byte Folded Reload
	s_waitcnt vmcnt(0)
	v_cmp_eq_u32_e32 vcc, 30, v1
	s_and_saveexec_b64 s[2:3], vcc
	s_cbranch_execz .LBB60_519
; %bb.516:
	v_cmp_ne_u32_e32 vcc, 30, v0
	s_xor_b64 s[12:13], s[20:21], -1
	s_and_b64 s[14:15], s[12:13], vcc
	s_and_saveexec_b64 s[12:13], s[14:15]
	s_cbranch_execz .LBB60_518
; %bb.517:
	s_movk_i32 s14, 0x159c
	scratch_load_dwordx2 v[6:7], off, s14   ; 8-byte Folded Reload
	v_ashrrev_i32_e32 v1, 31, v0
	s_waitcnt vmcnt(0)
	v_lshl_add_u64 v[2:3], v[0:1], 2, v[6:7]
	global_load_dword v1, v[2:3], off
	global_load_dword v5, v[6:7], off offset:120
	s_waitcnt vmcnt(1)
	global_store_dword v[6:7], v1, off offset:120
	s_waitcnt vmcnt(1)
	global_store_dword v[2:3], v5, off
.LBB60_518:
	s_or_b64 exec, exec, s[12:13]
	v_mov_b32_e32 v1, v0
	scratch_store_dword off, v1, off offset:3860 ; 4-byte Folded Spill
	scratch_store_dword off, v0, off offset:4 ; 4-byte Folded Spill
.LBB60_519:
	s_or_b64 exec, exec, s[2:3]
	scratch_load_dword v2, off, off offset:4 ; 4-byte Folded Reload
.LBB60_520:
	s_or_b64 exec, exec, s[0:1]
	s_waitcnt vmcnt(0)
	v_cmp_gt_i32_e32 vcc, 31, v2
	v_ashrrev_i32_e32 v3, 31, v2
	s_barrier
	s_barrier
	s_and_saveexec_b64 s[0:1], vcc
	s_cbranch_execz .LBB60_522
; %bb.521:
	s_movk_i32 s2, 0x1924
	scratch_load_dwordx2 v[6:7], off, s2    ; 8-byte Folded Reload
	v_mov_b32_e32 v0, s6
	v_mov_b32_e32 v1, s7
	s_waitcnt vmcnt(0)
	v_mul_lo_u32 v5, s11, v6
	v_mul_lo_u32 v8, s10, v7
	v_mad_u64_u32 v[6:7], s[2:3], s10, v6, 0
	v_add3_u32 v7, v7, v8, v5
	scratch_load_dword v5, off, off offset:3860 ; 4-byte Folded Reload
	v_lshl_add_u64 v[0:1], v[6:7], 2, v[0:1]
	v_lshl_add_u64 v[0:1], s[8:9], 2, v[0:1]
	;; [unrolled: 1-line block ×3, first 2 shown]
	s_waitcnt vmcnt(0)
	v_add3_u32 v5, v5, s19, 1
	global_store_dword v[0:1], v5, off
.LBB60_522:
	s_or_b64 exec, exec, s[0:1]
	v_cmp_eq_u32_e32 vcc, 0, v2
	s_and_saveexec_b64 s[2:3], vcc
	s_cbranch_execz .LBB60_525
; %bb.523:
	s_movk_i32 s0, 0x1924
	scratch_load_dwordx2 v[6:7], off, s0    ; 8-byte Folded Reload
	v_mov_b32_e32 v0, s4
	v_mov_b32_e32 v1, s5
	s_waitcnt vmcnt(0)
	v_lshl_add_u64 v[0:1], v[6:7], 2, v[0:1]
	global_load_dword v5, v[0:1], off
	s_waitcnt vmcnt(0)
	v_cmp_eq_u32_e32 vcc, 0, v5
	scratch_load_dword v5, off, off offset:144 ; 4-byte Folded Reload
	s_waitcnt vmcnt(0)
	v_cmp_ne_u32_e64 s[0:1], 0, v5
	s_and_b64 s[0:1], vcc, s[0:1]
	s_and_b64 exec, exec, s[0:1]
	s_cbranch_execz .LBB60_525
; %bb.524:
	scratch_load_dword v5, off, off offset:144 ; 4-byte Folded Reload
	s_waitcnt vmcnt(0)
	v_add_u32_e32 v5, s19, v5
	global_store_dword v[0:1], v5, off
.LBB60_525:
	s_or_b64 exec, exec, s[2:3]
	scratch_load_dwordx2 v[0:1], off, off offset:136 ; 8-byte Folded Reload
	s_movk_i32 s0, 0x192c
	scratch_load_dwordx4 v[8:11], off, off offset:8 ; 16-byte Folded Reload
	scratch_load_dwordx4 v[12:15], off, off offset:24 ; 16-byte Folded Reload
	;; [unrolled: 1-line block ×8, first 2 shown]
	scratch_load_dwordx2 v[6:7], off, s0    ; 8-byte Folded Reload
	v_cmp_lt_i32_e32 vcc, 30, v2
	s_waitcnt vmcnt(9)
	v_mul_f32_e32 v0, v1, v4
	s_waitcnt vmcnt(1)
	v_cndmask_b32_e32 v4, v38, v0, vcc
	s_waitcnt vmcnt(0)
	v_lshl_add_u64 v[0:1], v[2:3], 2, v[6:7]
	global_store_dword v[0:1], v8, off
	v_lshl_add_u64 v[0:1], s[16:17], 2, v[0:1]
	global_store_dword v[0:1], v9, off
	v_add_u32_e32 v0, s18, v2
	v_ashrrev_i32_e32 v1, 31, v0
	v_lshl_add_u64 v[2:3], v[0:1], 2, v[6:7]
	v_add_u32_e32 v0, s16, v0
	v_ashrrev_i32_e32 v1, 31, v0
	global_store_dword v[2:3], v10, off
	v_lshl_add_u64 v[2:3], v[0:1], 2, v[6:7]
	v_add_u32_e32 v0, s16, v0
	v_ashrrev_i32_e32 v1, 31, v0
	global_store_dword v[2:3], v11, off
	;; [unrolled: 4-line block ×27, first 2 shown]
	v_lshl_add_u64 v[2:3], v[0:1], 2, v[6:7]
	v_add_u32_e32 v0, s16, v0
	v_ashrrev_i32_e32 v1, 31, v0
	v_lshl_add_u64 v[0:1], v[0:1], 2, v[6:7]
	global_store_dword v[2:3], v37, off
	global_store_dword v[0:1], v4, off
.LBB60_526:
	s_endpgm
.LBB60_527:
	v_mov_b32_e32 v8, v152
	v_mov_b32_e32 v7, v159
	s_waitcnt lgkmcnt(0)
	v_cmp_eq_f32_e32 vcc, 0, v28
	s_and_saveexec_b64 s[0:1], vcc
	s_xor_b64 s[0:1], exec, s[0:1]
	s_cbranch_execnz .LBB60_103
	s_branch .LBB60_104
.LBB60_528:
	v_mov_b32_e32 v32, v206
	s_waitcnt lgkmcnt(0)
	v_cmp_eq_f32_e32 vcc, 0, v28
	s_and_saveexec_b64 s[0:1], vcc
	s_xor_b64 s[0:1], exec, s[0:1]
	s_cbranch_execnz .LBB60_137
	s_branch .LBB60_138
.LBB60_529:
	scratch_load_dwordx4 v[38:41], off, off offset:2448 ; 16-byte Folded Reload
	scratch_load_dwordx4 v[42:45], off, off offset:2464 ; 16-byte Folded Reload
	;; [unrolled: 1-line block ×8, first 2 shown]
	s_waitcnt vmcnt(5)
	v_mov_b32_e32 v10, v48
	s_waitcnt lgkmcnt(0)
	v_cmp_eq_f32_e32 vcc, 0, v28
	s_and_saveexec_b64 s[0:1], vcc
	s_xor_b64 s[0:1], exec, s[0:1]
	s_cbranch_execnz .LBB60_154
	s_branch .LBB60_155
.LBB60_530:
	scratch_load_dwordx4 v[38:41], off, off offset:1808 ; 16-byte Folded Reload
	scratch_load_dwordx4 v[42:45], off, off offset:1824 ; 16-byte Folded Reload
	;; [unrolled: 1-line block ×8, first 2 shown]
	s_waitcnt vmcnt(5)
	v_mov_b32_e32 v11, v49
	s_waitcnt lgkmcnt(0)
	v_cmp_eq_f32_e32 vcc, 0, v28
	s_and_saveexec_b64 s[0:1], vcc
	s_xor_b64 s[0:1], exec, s[0:1]
	s_cbranch_execnz .LBB60_171
	s_branch .LBB60_172
.LBB60_531:
	scratch_load_dwordx4 v[38:41], off, off offset:1680 ; 16-byte Folded Reload
	scratch_load_dwordx4 v[42:45], off, off offset:1696 ; 16-byte Folded Reload
	;; [unrolled: 1-line block ×8, first 2 shown]
	s_waitcnt vmcnt(4)
	v_mov_b32_e32 v12, v50
	s_waitcnt lgkmcnt(0)
	v_cmp_eq_f32_e32 vcc, 0, v28
	s_and_saveexec_b64 s[0:1], vcc
	s_xor_b64 s[0:1], exec, s[0:1]
	s_cbranch_execnz .LBB60_188
	s_branch .LBB60_189
.LBB60_532:
	scratch_load_dwordx4 v[38:41], off, off offset:1552 ; 16-byte Folded Reload
	scratch_load_dwordx4 v[42:45], off, off offset:1568 ; 16-byte Folded Reload
	;; [unrolled: 1-line block ×8, first 2 shown]
	s_waitcnt vmcnt(4)
	v_mov_b32_e32 v13, v51
	s_waitcnt lgkmcnt(0)
	v_cmp_eq_f32_e32 vcc, 0, v28
	s_and_saveexec_b64 s[0:1], vcc
	s_xor_b64 s[0:1], exec, s[0:1]
	s_cbranch_execnz .LBB60_205
	s_branch .LBB60_206
.LBB60_533:
	scratch_load_dwordx4 v[38:41], off, off offset:1296 ; 16-byte Folded Reload
	scratch_load_dwordx4 v[42:45], off, off offset:1312 ; 16-byte Folded Reload
	;; [unrolled: 1-line block ×8, first 2 shown]
	s_waitcnt vmcnt(4)
	v_mov_b32_e32 v14, v52
	s_waitcnt lgkmcnt(0)
	v_cmp_eq_f32_e32 vcc, 0, v28
	s_and_saveexec_b64 s[0:1], vcc
	s_xor_b64 s[0:1], exec, s[0:1]
	s_cbranch_execnz .LBB60_222
	s_branch .LBB60_223
.LBB60_534:
	scratch_load_dwordx4 v[38:41], off, off offset:1424 ; 16-byte Folded Reload
	scratch_load_dwordx4 v[42:45], off, off offset:1440 ; 16-byte Folded Reload
	;; [unrolled: 1-line block ×8, first 2 shown]
	v_mov_b32_e32 v147, v21
	s_waitcnt vmcnt(4)
	v_mov_b32_e32 v15, v53
	s_waitcnt lgkmcnt(0)
	v_cmp_eq_f32_e32 vcc, 0, v28
	s_and_saveexec_b64 s[0:1], vcc
	s_xor_b64 s[0:1], exec, s[0:1]
	s_cbranch_execnz .LBB60_239
	s_branch .LBB60_240
.LBB60_535:
	scratch_load_dwordx4 v[38:41], off, off offset:784 ; 16-byte Folded Reload
	scratch_load_dwordx4 v[42:45], off, off offset:800 ; 16-byte Folded Reload
	;; [unrolled: 1-line block ×8, first 2 shown]
	s_waitcnt vmcnt(3)
	v_mov_b32_e32 v16, v54
	s_waitcnt lgkmcnt(0)
	v_cmp_eq_f32_e32 vcc, 0, v28
	s_and_saveexec_b64 s[0:1], vcc
	s_xor_b64 s[0:1], exec, s[0:1]
	s_cbranch_execnz .LBB60_256
	s_branch .LBB60_257
.LBB60_536:
	v_mov_b32_e32 v64, v32
	s_waitcnt lgkmcnt(0)
	v_cmp_eq_f32_e32 vcc, 0, v28
	s_and_saveexec_b64 s[0:1], vcc
	s_xor_b64 s[0:1], exec, s[0:1]
	s_cbranch_execnz .LBB60_375
	s_branch .LBB60_376
	.section	.rodata,"a",@progbits
	.p2align	6, 0x0
	.amdhsa_kernel _ZN9rocsolver6v33100L18getf2_small_kernelILi31EfiiPfEEvT1_T3_lS3_lPS3_llPT2_S3_S3_S5_l
		.amdhsa_group_segment_fixed_size 0
		.amdhsa_private_segment_fixed_size 6452
		.amdhsa_kernarg_size 352
		.amdhsa_user_sgpr_count 2
		.amdhsa_user_sgpr_dispatch_ptr 0
		.amdhsa_user_sgpr_queue_ptr 0
		.amdhsa_user_sgpr_kernarg_segment_ptr 1
		.amdhsa_user_sgpr_dispatch_id 0
		.amdhsa_user_sgpr_kernarg_preload_length 0
		.amdhsa_user_sgpr_kernarg_preload_offset 0
		.amdhsa_user_sgpr_private_segment_size 0
		.amdhsa_uses_dynamic_stack 0
		.amdhsa_enable_private_segment 1
		.amdhsa_system_sgpr_workgroup_id_x 1
		.amdhsa_system_sgpr_workgroup_id_y 1
		.amdhsa_system_sgpr_workgroup_id_z 0
		.amdhsa_system_sgpr_workgroup_info 0
		.amdhsa_system_vgpr_workitem_id 1
		.amdhsa_next_free_vgpr 256
		.amdhsa_next_free_sgpr 26
		.amdhsa_accum_offset 256
		.amdhsa_reserve_vcc 1
		.amdhsa_float_round_mode_32 0
		.amdhsa_float_round_mode_16_64 0
		.amdhsa_float_denorm_mode_32 3
		.amdhsa_float_denorm_mode_16_64 3
		.amdhsa_dx10_clamp 1
		.amdhsa_ieee_mode 1
		.amdhsa_fp16_overflow 0
		.amdhsa_tg_split 0
		.amdhsa_exception_fp_ieee_invalid_op 0
		.amdhsa_exception_fp_denorm_src 0
		.amdhsa_exception_fp_ieee_div_zero 0
		.amdhsa_exception_fp_ieee_overflow 0
		.amdhsa_exception_fp_ieee_underflow 0
		.amdhsa_exception_fp_ieee_inexact 0
		.amdhsa_exception_int_div_zero 0
	.end_amdhsa_kernel
	.section	.text._ZN9rocsolver6v33100L18getf2_small_kernelILi31EfiiPfEEvT1_T3_lS3_lPS3_llPT2_S3_S3_S5_l,"axG",@progbits,_ZN9rocsolver6v33100L18getf2_small_kernelILi31EfiiPfEEvT1_T3_lS3_lPS3_llPT2_S3_S3_S5_l,comdat
.Lfunc_end60:
	.size	_ZN9rocsolver6v33100L18getf2_small_kernelILi31EfiiPfEEvT1_T3_lS3_lPS3_llPT2_S3_S3_S5_l, .Lfunc_end60-_ZN9rocsolver6v33100L18getf2_small_kernelILi31EfiiPfEEvT1_T3_lS3_lPS3_llPT2_S3_S3_S5_l
                                        ; -- End function
	.set _ZN9rocsolver6v33100L18getf2_small_kernelILi31EfiiPfEEvT1_T3_lS3_lPS3_llPT2_S3_S3_S5_l.num_vgpr, 256
	.set _ZN9rocsolver6v33100L18getf2_small_kernelILi31EfiiPfEEvT1_T3_lS3_lPS3_llPT2_S3_S3_S5_l.num_agpr, 0
	.set _ZN9rocsolver6v33100L18getf2_small_kernelILi31EfiiPfEEvT1_T3_lS3_lPS3_llPT2_S3_S3_S5_l.numbered_sgpr, 26
	.set _ZN9rocsolver6v33100L18getf2_small_kernelILi31EfiiPfEEvT1_T3_lS3_lPS3_llPT2_S3_S3_S5_l.num_named_barrier, 0
	.set _ZN9rocsolver6v33100L18getf2_small_kernelILi31EfiiPfEEvT1_T3_lS3_lPS3_llPT2_S3_S3_S5_l.private_seg_size, 6452
	.set _ZN9rocsolver6v33100L18getf2_small_kernelILi31EfiiPfEEvT1_T3_lS3_lPS3_llPT2_S3_S3_S5_l.uses_vcc, 1
	.set _ZN9rocsolver6v33100L18getf2_small_kernelILi31EfiiPfEEvT1_T3_lS3_lPS3_llPT2_S3_S3_S5_l.uses_flat_scratch, 0
	.set _ZN9rocsolver6v33100L18getf2_small_kernelILi31EfiiPfEEvT1_T3_lS3_lPS3_llPT2_S3_S3_S5_l.has_dyn_sized_stack, 0
	.set _ZN9rocsolver6v33100L18getf2_small_kernelILi31EfiiPfEEvT1_T3_lS3_lPS3_llPT2_S3_S3_S5_l.has_recursion, 0
	.set _ZN9rocsolver6v33100L18getf2_small_kernelILi31EfiiPfEEvT1_T3_lS3_lPS3_llPT2_S3_S3_S5_l.has_indirect_call, 0
	.section	.AMDGPU.csdata,"",@progbits
; Kernel info:
; codeLenInByte = 124820
; TotalNumSgprs: 32
; NumVgprs: 256
; NumAgprs: 0
; TotalNumVgprs: 256
; ScratchSize: 6452
; MemoryBound: 0
; FloatMode: 240
; IeeeMode: 1
; LDSByteSize: 0 bytes/workgroup (compile time only)
; SGPRBlocks: 3
; VGPRBlocks: 31
; NumSGPRsForWavesPerEU: 32
; NumVGPRsForWavesPerEU: 256
; AccumOffset: 256
; Occupancy: 2
; WaveLimiterHint : 0
; COMPUTE_PGM_RSRC2:SCRATCH_EN: 1
; COMPUTE_PGM_RSRC2:USER_SGPR: 2
; COMPUTE_PGM_RSRC2:TRAP_HANDLER: 0
; COMPUTE_PGM_RSRC2:TGID_X_EN: 1
; COMPUTE_PGM_RSRC2:TGID_Y_EN: 1
; COMPUTE_PGM_RSRC2:TGID_Z_EN: 0
; COMPUTE_PGM_RSRC2:TIDIG_COMP_CNT: 1
; COMPUTE_PGM_RSRC3_GFX90A:ACCUM_OFFSET: 63
; COMPUTE_PGM_RSRC3_GFX90A:TG_SPLIT: 0
	.section	.text._ZN9rocsolver6v33100L23getf2_npvt_small_kernelILi31EfiiPfEEvT1_T3_lS3_lPT2_S3_S3_,"axG",@progbits,_ZN9rocsolver6v33100L23getf2_npvt_small_kernelILi31EfiiPfEEvT1_T3_lS3_lPT2_S3_S3_,comdat
	.globl	_ZN9rocsolver6v33100L23getf2_npvt_small_kernelILi31EfiiPfEEvT1_T3_lS3_lPT2_S3_S3_ ; -- Begin function _ZN9rocsolver6v33100L23getf2_npvt_small_kernelILi31EfiiPfEEvT1_T3_lS3_lPT2_S3_S3_
	.p2align	8
	.type	_ZN9rocsolver6v33100L23getf2_npvt_small_kernelILi31EfiiPfEEvT1_T3_lS3_lPT2_S3_S3_,@function
_ZN9rocsolver6v33100L23getf2_npvt_small_kernelILi31EfiiPfEEvT1_T3_lS3_lPT2_S3_S3_: ; @_ZN9rocsolver6v33100L23getf2_npvt_small_kernelILi31EfiiPfEEvT1_T3_lS3_lPT2_S3_S3_
; %bb.0:
	s_load_dword s2, s[0:1], 0x44
	s_load_dwordx2 s[8:9], s[0:1], 0x30
	v_bfe_u32 v28, v0, 10, 10
	s_waitcnt lgkmcnt(0)
	s_lshr_b32 s10, s2, 16
	s_mul_i32 s3, s3, s10
	v_add_u32_e32 v2, s3, v28
	v_cmp_gt_i32_e32 vcc, s8, v2
	s_and_saveexec_b64 s[2:3], vcc
	s_cbranch_execz .LBB61_160
; %bb.1:
	s_load_dwordx4 s[12:15], s[0:1], 0x8
	s_load_dword s2, s[0:1], 0x18
	s_load_dwordx4 s[4:7], s[0:1], 0x20
	v_ashrrev_i32_e32 v3, 31, v2
	s_movk_i32 s0, 0x1a98
	scratch_store_dwordx2 off, v[2:3], s0   ; 8-byte Folded Spill
	v_and_b32_e32 v56, 0x3ff, v0
	s_waitcnt lgkmcnt(0)
	v_mul_lo_u32 v4, s5, v2
	v_mul_lo_u32 v5, s4, v3
	v_mad_u64_u32 v[2:3], s[0:1], s4, v2, 0
	v_mov_b32_e32 v0, s12
	v_mov_b32_e32 v1, s13
	v_add3_u32 v3, v3, v5, v4
	v_lshl_add_u64 v[0:1], v[2:3], 2, v[0:1]
	v_lshl_add_u64 v[0:1], s[14:15], 2, v[0:1]
	v_lshlrev_b32_e32 v2, 2, v56
	v_mov_b32_e32 v3, 0
	s_add_i32 s0, s2, s2
	v_lshl_add_u64 v[30:31], v[0:1], 0, v[2:3]
	v_add_u32_e32 v2, s0, v56
	v_ashrrev_i32_e32 v3, 31, v2
	v_lshl_add_u64 v[24:25], v[2:3], 2, v[0:1]
	v_add_u32_e32 v2, s2, v2
	v_ashrrev_i32_e32 v3, 31, v2
	;; [unrolled: 3-line block ×27, first 2 shown]
	s_movk_i32 s0, 0x1a58
	v_lshl_add_u64 v[62:63], v[2:3], 2, v[0:1]
	v_add_u32_e32 v2, s2, v2
	scratch_store_dwordx2 off, v[8:9], s0   ; 8-byte Folded Spill
	s_movk_i32 s0, 0x1a60
	v_ashrrev_i32_e32 v3, 31, v2
	scratch_store_dwordx2 off, v[58:59], s0 ; 8-byte Folded Spill
	s_movk_i32 s0, 0x1a68
	v_lshl_add_u64 v[64:65], v[2:3], 2, v[0:1]
	v_add_u32_e32 v2, s2, v2
	scratch_store_dwordx2 off, v[60:61], s0 ; 8-byte Folded Spill
	s_movk_i32 s0, 0x1a70
	v_ashrrev_i32_e32 v3, 31, v2
	scratch_store_dwordx2 off, v[62:63], s0 ; 8-byte Folded Spill
	s_movk_i32 s0, 0x1a78
	v_lshl_add_u64 v[66:67], v[2:3], 2, v[0:1]
	scratch_store_dwordx2 off, v[64:65], s0 ; 8-byte Folded Spill
	s_movk_i32 s0, 0x1a80
	scratch_store_dwordx2 off, v[66:67], s0 ; 8-byte Folded Spill
	s_movk_i32 s0, 0x1a50
	scratch_store_dwordx2 off, v[4:5], s0   ; 8-byte Folded Spill
	s_movk_i32 s0, 0x1a18
	scratch_store_dwordx2 off, v[6:7], s0   ; 8-byte Folded Spill
	s_movk_i32 s0, 0x1a20
	scratch_store_dwordx2 off, v[10:11], s0 ; 8-byte Folded Spill
	s_movk_i32 s0, 0x1a28
	scratch_store_dwordx2 off, v[46:47], s0 ; 8-byte Folded Spill
	;; [unrolled: 2-line block ×14, first 2 shown]
	s_movk_i32 s0, 0x19d0
	global_load_dword v0, v[8:9], off
	global_load_dword v1, v[58:59], off
	;; [unrolled: 1-line block ×4, first 2 shown]
	s_ashr_i32 s3, s2, 31
	global_load_dword v13, v[12:13], off
	v_lshl_add_u64 v[68:69], s[2:3], 2, v[30:31]
	scratch_store_dwordx2 off, v[20:21], s0 ; 8-byte Folded Spill
	global_load_dword v21, v[20:21], off
	s_movk_i32 s0, 0x1a88
	global_load_dword v8, v[64:65], off
	global_load_dword v82, v[30:31], off
	;; [unrolled: 1-line block ×5, first 2 shown]
	s_mulk_i32 s10, 0x7c
	scratch_store_dwordx2 off, v[68:69], s0 ; 8-byte Folded Spill
	s_movk_i32 s0, 0x19a0
	scratch_store_dwordx2 off, v[24:25], s0 ; 8-byte Folded Spill
	s_movk_i32 s0, 0x19a8
	global_load_dword v5, v[4:5], off
	s_add_i32 s1, s10, 0
	global_load_dword v14, v[14:15], off
	v_cmp_ne_u32_e64 s[2:3], 0, v56
	global_load_dword v15, v[16:17], off
	s_nop 0
	global_load_dword v16, v[18:19], off
	global_load_dword v17, v[22:23], off
	s_nop 0
	global_load_dword v19, v[42:43], off
	global_load_dword v22, v[68:69], off
	;; [unrolled: 1-line block ×4, first 2 shown]
	s_nop 0
	scratch_store_dwordx2 off, v[26:27], s0 ; 8-byte Folded Spill
	global_load_dword v24, v[26:27], off
	global_load_dword v25, v[32:33], off
	s_movk_i32 s0, 0x19b0
	global_load_dword v26, v[34:35], off
	global_load_dword v27, v[36:37], off
	s_nop 0
	scratch_store_dwordx2 off, v[32:33], s0 ; 8-byte Folded Spill
	s_movk_i32 s0, 0x19b8
	scratch_store_dwordx2 off, v[34:35], s0 ; 8-byte Folded Spill
	s_movk_i32 s0, 0x19c0
	;; [unrolled: 2-line block ×5, first 2 shown]
	v_mad_u32_u24 v29, v28, s0, 0
	v_lshl_add_u32 v28, v28, 2, s1
	s_movk_i32 s0, 0x1290
	scratch_store_dword off, v28, s0        ; 4-byte Folded Spill
	v_cmp_eq_u32_e64 s[0:1], 0, v56
	scratch_store_dword off, v29, off offset:140 ; 4-byte Folded Spill
	s_waitcnt vmcnt(25)
	scratch_store_dwordx2 off, v[8:9], off offset:132 ; 8-byte Folded Spill
	global_load_dword v8, v[6:7], off
	s_nop 0
	global_load_dword v9, v[10:11], off
	global_load_dword v4, v[54:55], off
	s_nop 0
	global_load_dword v10, v[46:47], off
	global_load_dword v11, v[48:49], off
	;; [unrolled: 1-line block ×4, first 2 shown]
	s_and_saveexec_b64 s[4:5], s[0:1]
	s_cbranch_execz .LBB61_4
; %bb.2:
	s_movk_i32 s8, 0x1290
	scratch_load_dword v31, off, s8         ; 4-byte Folded Reload
	scratch_load_dword v30, off, off offset:140 ; 4-byte Folded Reload
	s_waitcnt vmcnt(1)
	ds_write_b32 v31, v82
	s_waitcnt vmcnt(0)
	ds_write2_b32 v30, v22, v23 offset0:1 offset1:2
	ds_write2_b32 v30, v24, v25 offset0:3 offset1:4
	;; [unrolled: 1-line block ×14, first 2 shown]
	scratch_load_dwordx2 v[28:29], off, off offset:132 ; 8-byte Folded Reload
	s_waitcnt vmcnt(0)
	ds_write2_b32 v30, v28, v29 offset0:29 offset1:30
	ds_read_b32 v28, v31
	s_waitcnt lgkmcnt(0)
	v_cmp_neq_f32_e32 vcc, 0, v28
	s_and_b64 exec, exec, vcc
	s_cbranch_execz .LBB61_4
; %bb.3:
	v_div_scale_f32 v29, s[10:11], v28, v28, 1.0
	v_rcp_f32_e32 v30, v29
	v_div_scale_f32 v31, vcc, 1.0, v28, 1.0
	v_fma_f32 v32, -v29, v30, 1.0
	v_fmac_f32_e32 v30, v32, v30
	v_mul_f32_e32 v32, v31, v30
	v_fma_f32 v33, -v29, v32, v31
	v_fmac_f32_e32 v32, v33, v30
	v_fma_f32 v29, -v29, v32, v31
	v_div_fmas_f32 v29, v29, v30, v32
	v_div_fixup_f32 v28, v29, v28, 1.0
	scratch_load_dword v29, off, s8         ; 4-byte Folded Reload
	s_waitcnt vmcnt(0)
	ds_write_b32 v29, v28
.LBB61_4:
	s_or_b64 exec, exec, s[4:5]
	s_movk_i32 s4, 0x1290
	s_waitcnt lgkmcnt(0)
	s_barrier
	scratch_load_dword v28, off, s4         ; 4-byte Folded Reload
	s_movk_i32 s4, 0x1a90
                                        ; implicit-def: $vgpr58
                                        ; implicit-def: $vgpr55
                                        ; implicit-def: $vgpr54
                                        ; implicit-def: $vgpr249
                                        ; implicit-def: $vgpr52
                                        ; implicit-def: $vgpr51
                                        ; implicit-def: $vgpr124
                                        ; implicit-def: $vgpr49
                                        ; implicit-def: $vgpr50
                                        ; implicit-def: $vgpr47
                                        ; implicit-def: $vgpr242
                                        ; implicit-def: $vgpr45
                                        ; implicit-def: $vgpr44
                                        ; implicit-def: $vgpr43
                                        ; implicit-def: $vgpr42
                                        ; implicit-def: $vgpr41
                                        ; implicit-def: $vgpr40
                                        ; implicit-def: $vgpr39
                                        ; implicit-def: $vgpr38
                                        ; implicit-def: $vgpr37
                                        ; implicit-def: $vgpr36
                                        ; implicit-def: $vgpr35
                                        ; implicit-def: $vgpr34
                                        ; implicit-def: $vgpr33
                                        ; implicit-def: $vgpr32
                                        ; implicit-def: $vgpr31
                                        ; implicit-def: $vgpr30
	s_waitcnt vmcnt(0)
	ds_read_b32 v28, v28
	s_waitcnt lgkmcnt(0)
	scratch_store_dword off, v28, s4        ; 4-byte Folded Spill
                                        ; implicit-def: $vgpr28
	s_and_saveexec_b64 s[4:5], s[2:3]
	s_xor_b64 s[2:3], exec, s[4:5]
	s_cbranch_execz .LBB61_6
; %bb.5:
	scratch_load_dword v48, off, off offset:140 ; 4-byte Folded Reload
	s_movk_i32 s4, 0x1a90
	v_mov_b32_e32 v58, v82
	s_waitcnt vmcnt(0)
	ds_read2_b32 v[28:29], v48 offset0:1 offset1:2
	ds_read2_b32 v[30:31], v48 offset0:3 offset1:4
	;; [unrolled: 1-line block ×3, first 2 shown]
	scratch_load_dword v34, off, s4         ; 4-byte Folded Reload
	s_waitcnt vmcnt(0)
	v_mul_f32_e32 v58, v58, v34
	ds_read2_b32 v[34:35], v48 offset0:7 offset1:8
	s_waitcnt lgkmcnt(3)
	v_pk_fma_f32 v[28:29], v[58:59], v[28:29], v[22:23] op_sel_hi:[0,1,1] neg_lo:[1,0,0] neg_hi:[1,0,0]
	s_waitcnt lgkmcnt(2)
	v_pk_fma_f32 v[30:31], v[58:59], v[30:31], v[24:25] op_sel_hi:[0,1,1] neg_lo:[1,0,0] neg_hi:[1,0,0]
	;; [unrolled: 2-line block ×3, first 2 shown]
	ds_read2_b32 v[22:23], v48 offset0:9 offset1:10
	ds_read2_b32 v[24:25], v48 offset0:11 offset1:12
	;; [unrolled: 1-line block ×3, first 2 shown]
	s_waitcnt lgkmcnt(3)
	v_pk_fma_f32 v[34:35], v[58:59], v[34:35], v[20:21] op_sel_hi:[0,1,1] neg_lo:[1,0,0] neg_hi:[1,0,0]
	ds_read2_b32 v[20:21], v48 offset0:15 offset1:16
	s_waitcnt lgkmcnt(3)
	v_pk_fma_f32 v[36:37], v[58:59], v[22:23], v[14:15] op_sel_hi:[0,1,1] neg_lo:[1,0,0] neg_hi:[1,0,0]
	s_waitcnt lgkmcnt(2)
	v_pk_fma_f32 v[38:39], v[58:59], v[24:25], v[16:17] op_sel_hi:[0,1,1] neg_lo:[1,0,0] neg_hi:[1,0,0]
	ds_read2_b32 v[14:15], v48 offset0:17 offset1:18
	ds_read2_b32 v[16:17], v48 offset0:19 offset1:20
	s_waitcnt lgkmcnt(3)
	v_pk_fma_f32 v[40:41], v[58:59], v[26:27], v[18:19] op_sel_hi:[0,1,1] neg_lo:[1,0,0] neg_hi:[1,0,0]
	s_waitcnt lgkmcnt(2)
	v_pk_fma_f32 v[42:43], v[58:59], v[20:21], v[12:13] op_sel_hi:[0,1,1] neg_lo:[1,0,0] neg_hi:[1,0,0]
	ds_read2_b32 v[12:13], v48 offset0:21 offset1:22
	;; [unrolled: 6-line block ×3, first 2 shown]
	ds_read2_b32 v[10:11], v48 offset0:27 offset1:28
	ds_read2_b32 v[14:15], v48 offset0:29 offset1:30
	s_waitcnt lgkmcnt(4)
	v_pk_fma_f32 v[48:49], v[58:59], v[12:13], v[6:7] op_sel_hi:[0,1,1] neg_lo:[1,0,0] neg_hi:[1,0,0]
	s_waitcnt lgkmcnt(3)
	v_pk_fma_f32 v[50:51], v[58:59], v[18:19], v[4:5] op_sel_hi:[0,1,1] neg_lo:[1,0,0] neg_hi:[1,0,0]
	;; [unrolled: 2-line block ×3, first 2 shown]
	scratch_load_dwordx2 v[0:1], off, off offset:132 ; 8-byte Folded Reload
	s_waitcnt lgkmcnt(1)
	v_pk_fma_f32 v[54:55], v[58:59], v[10:11], v[2:3] op_sel_hi:[0,1,1] neg_lo:[1,0,0] neg_hi:[1,0,0]
	v_mov_b32_e32 v82, v58
                                        ; implicit-def: $vgpr22
                                        ; implicit-def: $vgpr24
                                        ; implicit-def: $vgpr26
                                        ; implicit-def: $vgpr20
                                        ; implicit-def: $vgpr16
                                        ; implicit-def: $vgpr18
                                        ; implicit-def: $vgpr12
                                        ; implicit-def: $vgpr8
                                        ; implicit-def: $vgpr10
                                        ; implicit-def: $vgpr6
                                        ; implicit-def: $vgpr4
                                        ; implicit-def: $vgpr2
	v_mov_b32_e32 v249, v52
	v_mov_b32_e32 v52, v51
	;; [unrolled: 1-line block ×24, first 2 shown]
	s_waitcnt vmcnt(0) lgkmcnt(0)
	v_pk_fma_f32 v[0:1], v[58:59], v[14:15], v[0:1] op_sel_hi:[0,1,1] neg_lo:[1,0,0] neg_hi:[1,0,0]
	scratch_store_dwordx2 off, v[0:1], off offset:132 ; 8-byte Folded Spill
	v_mov_b32_e32 v58, v55
                                        ; implicit-def: $vgpr14
                                        ; implicit-def: $vgpr0
	v_mov_b32_e32 v55, v54
	v_mov_b32_e32 v54, v53
.LBB61_6:
	s_or_saveexec_b64 s[2:3], s[2:3]
	v_mov_b32_e32 v83, v28
	s_xor_b64 exec, exec, s[2:3]
	s_cbranch_execz .LBB61_8
; %bb.7:
	v_mov_b32_e32 v83, v22
	v_mov_b32_e32 v30, v23
	;; [unrolled: 1-line block ×28, first 2 shown]
.LBB61_8:
	s_or_b64 exec, exec, s[2:3]
	v_mov_b32_e32 v6, v30
	v_mov_b32_e32 v84, v30
	;; [unrolled: 1-line block ×19, first 2 shown]
	scratch_store_dwordx4 off, v[4:7], off offset:144 ; 16-byte Folded Spill
	s_nop 0
	scratch_store_dwordx4 off, v[8:11], off offset:160 ; 16-byte Folded Spill
	scratch_store_dwordx4 off, v[12:15], off offset:176 ; 16-byte Folded Spill
	;; [unrolled: 1-line block ×7, first 2 shown]
	scratch_load_dwordx2 v[0:1], off, off offset:132 ; 8-byte Folded Reload
	v_mov_b32_e32 v90, v36
	v_mov_b32_e32 v123, v37
	v_mov_b32_e32 v91, v37
	v_mov_b32_e32 v92, v38
	v_mov_b32_e32 v93, v39
	v_mov_b32_e32 v236, v40
	v_mov_b32_e32 v94, v40
	v_mov_b32_e32 v95, v41
	v_mov_b32_e32 v96, v42
	v_mov_b32_e32 v97, v43
	v_mov_b32_e32 v78, v44
	v_mov_b32_e32 v98, v44
	v_mov_b32_e32 v79, v45
	v_mov_b32_e32 v99, v45
	v_mov_b32_e32 v80, v242
	v_mov_b32_e32 v100, v242
	v_mov_b32_e32 v81, v47
	v_mov_b32_e32 v101, v47
	v_mov_b32_e32 v102, v50
	v_mov_b32_e32 v175, v49
	v_mov_b32_e32 v103, v49
	v_mov_b32_e32 v104, v124
	v_mov_b32_e32 v223, v51
	v_mov_b32_e32 v105, v51
	v_mov_b32_e32 v106, v52
	v_mov_b32_e32 v211, v249
	v_mov_b32_e32 v107, v249
	v_mov_b32_e32 v108, v54
	v_mov_b32_e32 v109, v55
	v_mov_b32_e32 v32, v58
	v_mov_b32_e32 v110, v58
	s_movk_i32 s2, 0x1894
	v_cmp_eq_u32_e32 vcc, 1, v56
	s_barrier
	scratch_store_dword off, v56, s2        ; 4-byte Folded Spill
	s_waitcnt vmcnt(1)
	v_mov_b32_e32 v111, v0
	v_mov_b32_e32 v112, v1
	s_and_saveexec_b64 s[2:3], vcc
	s_cbranch_execz .LBB61_11
; %bb.9:
	s_movk_i32 s4, 0x1290
	scratch_load_dword v3, off, s4          ; 4-byte Folded Reload
	scratch_load_dword v2, off, off offset:140 ; 4-byte Folded Reload
	s_waitcnt vmcnt(1)
	ds_write_b32 v3, v83
	s_waitcnt vmcnt(0)
	ds_write2_b32 v2, v6, v7 offset0:2 offset1:3
	ds_write2_b32 v2, v10, v9 offset0:4 offset1:5
	;; [unrolled: 1-line block ×12, first 2 shown]
	scratch_load_dwordx4 v[126:129], off, off offset:144 ; 16-byte Folded Reload
	scratch_load_dwordx4 v[130:133], off, off offset:160 ; 16-byte Folded Reload
	;; [unrolled: 1-line block ×8, first 2 shown]
	scratch_load_dwordx2 v[0:1], off, off offset:132 ; 8-byte Folded Reload
	s_waitcnt vmcnt(2)
	ds_write2_b32 v2, v152, v55 offset0:26 offset1:27
	s_waitcnt vmcnt(0)
	ds_write2_b32 v2, v32, v0 offset0:28 offset1:29
	ds_write_b32 v2, v1 offset:120
	ds_read_b32 v0, v3
	s_waitcnt lgkmcnt(0)
	v_cmp_neq_f32_e32 vcc, 0, v0
	s_and_b64 exec, exec, vcc
	s_cbranch_execz .LBB61_11
; %bb.10:
	v_div_scale_f32 v1, s[4:5], v0, v0, 1.0
	v_rcp_f32_e32 v2, v1
	v_div_scale_f32 v3, vcc, 1.0, v0, 1.0
	s_movk_i32 s4, 0x1290
	v_fma_f32 v4, -v1, v2, 1.0
	v_fmac_f32_e32 v2, v4, v2
	v_mul_f32_e32 v4, v3, v2
	v_fma_f32 v5, -v1, v4, v3
	v_fmac_f32_e32 v4, v5, v2
	v_fma_f32 v1, -v1, v4, v3
	v_div_fmas_f32 v1, v1, v2, v4
	v_div_fixup_f32 v0, v1, v0, 1.0
	scratch_load_dword v1, off, s4          ; 4-byte Folded Reload
	s_waitcnt vmcnt(0)
	ds_write_b32 v1, v0
.LBB61_11:
	s_or_b64 exec, exec, s[2:3]
	scratch_store_dwordx4 off, v[4:7], off offset:272 ; 16-byte Folded Spill
	s_nop 0
	scratch_store_dwordx4 off, v[8:11], off offset:288 ; 16-byte Folded Spill
	scratch_store_dwordx4 off, v[12:15], off offset:304 ; 16-byte Folded Spill
	;; [unrolled: 1-line block ×7, first 2 shown]
	v_mov_b32_e32 v4, v82
	v_mov_b32_e32 v5, v83
	;; [unrolled: 1-line block ×14, first 2 shown]
	s_movk_i32 s2, 0x1514
	v_mov_b32_e32 v20, v10
	v_mov_b32_e32 v21, v9
	v_mov_b64_e32 v[48:49], v[6:7]
	v_mov_b32_e32 v2, v6
	v_mov_b32_e32 v18, v6
	;; [unrolled: 1-line block ×4, first 2 shown]
	v_mov_b64_e32 v[44:45], v[20:21]
	v_mov_b32_e32 v194, v6
	v_mov_b32_e32 v195, v7
	v_mov_b64_e32 v[46:47], v[4:5]
	v_mov_b32_e32 v7, v11
	v_mov_b32_e32 v6, v12
	;; [unrolled: 1-line block ×6, first 2 shown]
	v_mov_b64_e32 v[76:77], v[6:7]
	v_mov_b32_e32 v116, v60
	v_mov_b32_e32 v117, v49
	;; [unrolled: 1-line block ×7, first 2 shown]
	scratch_store_dwordx4 off, v[102:105], off offset:2832 ; 16-byte Folded Spill
	s_nop 0
	scratch_store_dwordx4 off, v[106:109], off offset:2848 ; 16-byte Folded Spill
	scratch_store_dwordx4 off, v[110:113], off offset:2864 ; 16-byte Folded Spill
	;; [unrolled: 1-line block ×7, first 2 shown]
	v_mov_b32_e32 v37, v19
	v_mov_b32_e32 v36, v18
	v_mov_b32_e32 v35, v17
	v_mov_b32_e32 v34, v16
	v_mov_b64_e32 v[42:43], v[18:19]
	v_mov_b64_e32 v[40:41], v[16:17]
	v_mov_b32_e32 v59, v1
	v_mov_b32_e32 v58, v0
	;; [unrolled: 1-line block ×11, first 2 shown]
	scratch_store_dwordx4 off, v[28:31], off offset:528 ; 16-byte Folded Spill
	s_nop 0
	scratch_store_dwordx4 off, v[32:35], off offset:544 ; 16-byte Folded Spill
	scratch_store_dwordx4 off, v[36:39], off offset:560 ; 16-byte Folded Spill
	;; [unrolled: 1-line block ×7, first 2 shown]
	v_mov_b32_e32 v18, v60
	v_mov_b32_e32 v216, v20
	v_mov_b32_e32 v215, v19
	v_mov_b32_e32 v214, v18
	v_mov_b32_e32 v213, v17
	v_mov_b32_e32 v212, v16
	v_mov_b32_e32 v222, v26
	v_mov_b32_e32 v218, v12
	v_mov_b32_e32 v219, v77
	v_mov_b32_e32 v220, v8
	v_mov_b64_e32 v[72:73], v[2:3]
	v_mov_b32_e32 v34, v82
	v_mov_b32_e32 v35, v83
	;; [unrolled: 1-line block ×4, first 2 shown]
	v_mov_b64_e32 v[70:71], v[0:1]
	v_mov_b32_e32 v72, v26
	v_mov_b32_e32 v198, v12
	;; [unrolled: 1-line block ×6, first 2 shown]
	v_mov_b64_e32 v[74:75], v[4:5]
	v_mov_b32_e32 v75, v27
	v_mov_b32_e32 v221, v123
	scratch_store_dwordx4 off, v[212:215], off offset:1424 ; 16-byte Folded Spill
	s_nop 0
	scratch_store_dwordx4 off, v[216:219], off offset:1440 ; 16-byte Folded Spill
	scratch_store_dwordx4 off, v[220:223], off offset:1456 ; 16-byte Folded Spill
	;; [unrolled: 1-line block ×7, first 2 shown]
	v_mov_b64_e32 v[218:219], v[6:7]
	v_mov_b64_e32 v[216:217], v[4:5]
	;; [unrolled: 1-line block ×4, first 2 shown]
	v_mov_b32_e32 v69, v219
	v_mov_b32_e32 v71, v123
	;; [unrolled: 1-line block ×12, first 2 shown]
	v_mov_b64_e32 v[180:181], v[44:45]
	v_mov_b64_e32 v[178:179], v[42:43]
	;; [unrolled: 1-line block ×3, first 2 shown]
	v_mov_b32_e32 v45, v15
	v_mov_b32_e32 v44, v26
	;; [unrolled: 1-line block ×8, first 2 shown]
	v_mov_b64_e32 v[138:139], v[44:45]
	v_mov_b64_e32 v[126:127], v[48:49]
	;; [unrolled: 1-line block ×7, first 2 shown]
	v_mov_b32_e32 v42, v8
	v_mov_b32_e32 v73, v139
	;; [unrolled: 1-line block ×5, first 2 shown]
	v_mov_b64_e32 v[168:169], v[72:73]
	v_mov_b64_e32 v[124:125], v[46:47]
	;; [unrolled: 1-line block ×7, first 2 shown]
	v_mov_b32_e32 v44, v152
	v_mov_b64_e32 v[58:59], v[176:177]
	v_mov_b32_e32 v41, v7
	v_mov_b32_e32 v40, v6
	;; [unrolled: 1-line block ×3, first 2 shown]
	scratch_store_dwordx4 off, v[192:195], s2 ; 16-byte Folded Spill
	s_nop 0
	scratch_store_dwordx4 off, v[196:199], s2 offset:16 ; 16-byte Folded Spill
	scratch_store_dwordx4 off, v[200:203], s2 offset:32 ; 16-byte Folded Spill
	;; [unrolled: 1-line block ×7, first 2 shown]
	v_mov_b32_e32 v38, v4
	v_mov_b32_e32 v37, v3
	;; [unrolled: 1-line block ×9, first 2 shown]
	v_mov_b64_e32 v[60:61], v[178:179]
	v_mov_b64_e32 v[62:63], v[180:181]
	v_mov_b32_e32 v207, v29
	v_mov_b32_e32 v22, v152
	v_mov_b64_e32 v[28:29], v[58:59]
	s_movk_i32 s2, 0x1110
	v_mov_b32_e32 v235, v139
	v_mov_b32_e32 v4, v48
	;; [unrolled: 1-line block ×11, first 2 shown]
	v_mov_b64_e32 v[30:31], v[60:61]
	v_mov_b64_e32 v[32:33], v[62:63]
	scratch_store_dwordx4 off, v[34:37], s2 ; 16-byte Folded Spill
	s_nop 0
	scratch_store_dwordx4 off, v[38:41], s2 offset:16 ; 16-byte Folded Spill
	scratch_store_dwordx4 off, v[42:45], s2 offset:32 ; 16-byte Folded Spill
	;; [unrolled: 1-line block ×7, first 2 shown]
	scratch_store_dwordx4 off, v[128:131], off offset:3344 ; 16-byte Folded Spill
	s_nop 0
	scratch_store_dwordx4 off, v[132:135], off offset:3360 ; 16-byte Folded Spill
	scratch_store_dwordx4 off, v[136:139], off offset:3376 ; 16-byte Folded Spill
	;; [unrolled: 1-line block ×7, first 2 shown]
	v_mov_b32_e32 v227, v127
	v_mov_b64_e32 v[154:155], v[108:109]
	v_mov_b64_e32 v[152:153], v[106:107]
	;; [unrolled: 1-line block ×6, first 2 shown]
	v_mov_b32_e32 v3, v127
	v_mov_b32_e32 v195, v127
	s_movk_i32 s2, 0x1514
	v_mov_b32_e32 v201, v123
	v_mov_b32_e32 v74, v236
	v_mov_b64_e32 v[170:171], v[74:75]
	v_mov_b32_e32 v229, v181
	v_mov_b32_e32 v76, v2
	;; [unrolled: 1-line block ×10, first 2 shown]
	v_mov_b64_e32 v[64:65], v[170:171]
	v_mov_b32_e32 v206, v190
	v_mov_b32_e32 v36, v76
	;; [unrolled: 1-line block ×10, first 2 shown]
	v_mov_b64_e32 v[186:187], v[10:11]
	v_mov_b64_e32 v[184:185], v[8:9]
	;; [unrolled: 1-line block ×6, first 2 shown]
	v_mov_b32_e32 v199, v219
	v_mov_b32_e32 v202, v222
	;; [unrolled: 1-line block ×6, first 2 shown]
	v_mov_b64_e32 v[142:143], v[96:97]
	v_mov_b64_e32 v[52:53], v[158:159]
	;; [unrolled: 1-line block ×14, first 2 shown]
	v_mov_b32_e32 v158, v112
	v_mov_b32_e32 v34, v128
	;; [unrolled: 1-line block ×3, first 2 shown]
	scratch_store_dwordx4 off, v[124:127], off offset:3856 ; 16-byte Folded Spill
	s_nop 0
	scratch_store_dwordx4 off, v[128:131], off offset:3872 ; 16-byte Folded Spill
	scratch_store_dwordx4 off, v[132:135], off offset:3888 ; 16-byte Folded Spill
	;; [unrolled: 1-line block ×7, first 2 shown]
	v_mov_b32_e32 v157, v111
	v_mov_b32_e32 v156, v110
	scratch_load_dwordx4 v[82:85], off, s2  ; 16-byte Folded Reload
	scratch_load_dwordx4 v[86:89], off, s2 offset:16 ; 16-byte Folded Reload
	scratch_load_dwordx4 v[90:93], off, s2 offset:32 ; 16-byte Folded Reload
	;; [unrolled: 1-line block ×7, first 2 shown]
	v_mov_b32_e32 v37, v127
	scratch_store_dwordx4 off, v[114:117], off offset:3728 ; 16-byte Folded Spill
	s_nop 0
	scratch_store_dwordx4 off, v[118:121], off offset:3744 ; 16-byte Folded Spill
	scratch_store_dwordx4 off, v[122:125], off offset:3760 ; 16-byte Folded Spill
	;; [unrolled: 1-line block ×7, first 2 shown]
	s_waitcnt vmcnt(14)
	v_mov_b32_e32 v40, v88
	scratch_load_dwordx4 v[82:85], off, off offset:3344 ; 16-byte Folded Reload
	scratch_load_dwordx4 v[86:89], off, off offset:3360 ; 16-byte Folded Reload
	;; [unrolled: 1-line block ×8, first 2 shown]
	s_nop 0
	scratch_store_dwordx4 off, v[224:227], off offset:2064 ; 16-byte Folded Spill
	s_nop 0
	scratch_store_dwordx4 off, v[228:231], off offset:2080 ; 16-byte Folded Spill
	scratch_store_dwordx4 off, v[232:235], off offset:2096 ; 16-byte Folded Spill
	;; [unrolled: 1-line block ×7, first 2 shown]
	v_mov_b32_e32 v43, v123
	v_mov_b32_e32 v27, v123
	;; [unrolled: 1-line block ×5, first 2 shown]
	s_waitcnt vmcnt(13)
	v_mov_b64_e32 v[0:1], v[82:83]
	s_waitcnt vmcnt(10)
	v_mov_b64_e32 v[104:105], v[92:93]
	v_mov_b64_e32 v[2:3], v[84:85]
	;; [unrolled: 1-line block ×11, first 2 shown]
	scratch_store_dwordx4 off, v[52:55], off offset:2192 ; 16-byte Folded Spill
	s_nop 0
	scratch_store_dwordx4 off, v[56:59], off offset:2208 ; 16-byte Folded Spill
	scratch_store_dwordx4 off, v[60:63], off offset:2224 ; 16-byte Folded Spill
	;; [unrolled: 1-line block ×8, first 2 shown]
	s_nop 0
	scratch_store_dwordx4 off, v[196:199], off offset:2720 ; 16-byte Folded Spill
	scratch_store_dwordx4 off, v[200:203], off offset:2736 ; 16-byte Folded Spill
	;; [unrolled: 1-line block ×7, first 2 shown]
	scratch_load_dwordx4 v[224:227], off, s2 ; 16-byte Folded Reload
	scratch_load_dwordx4 v[228:231], off, s2 offset:16 ; 16-byte Folded Reload
	scratch_load_dwordx4 v[232:235], off, s2 offset:32 ; 16-byte Folded Reload
	;; [unrolled: 1-line block ×7, first 2 shown]
	v_mov_b32_e32 v45, v11
	s_movk_i32 s2, 0x1110
	v_mov_b32_e32 v92, v26
	v_mov_b32_e32 v91, v25
	;; [unrolled: 1-line block ×5, first 2 shown]
	v_mov_b64_e32 v[86:87], v[32:33]
	v_mov_b64_e32 v[84:85], v[30:31]
	;; [unrolled: 1-line block ×3, first 2 shown]
	v_mov_b32_e32 v32, v190
	v_mov_b32_e32 v22, v92
	;; [unrolled: 1-line block ×8, first 2 shown]
	v_mov_b64_e32 v[0:1], v[34:35]
	v_mov_b64_e32 v[2:3], v[36:37]
	;; [unrolled: 1-line block ×8, first 2 shown]
	scratch_load_dwordx4 v[36:39], off, s2  ; 16-byte Folded Reload
	scratch_load_dwordx4 v[40:43], off, s2 offset:16 ; 16-byte Folded Reload
	scratch_load_dwordx4 v[44:47], off, s2 offset:32 ; 16-byte Folded Reload
	;; [unrolled: 1-line block ×7, first 2 shown]
	s_waitcnt vmcnt(14)
	v_mov_b32_e32 v168, v224
	v_mov_b32_e32 v169, v225
	;; [unrolled: 1-line block ×7, first 2 shown]
	s_waitcnt vmcnt(13)
	v_mov_b64_e32 v[234:235], v[104:105]
	v_mov_b64_e32 v[232:233], v[102:103]
	;; [unrolled: 1-line block ×6, first 2 shown]
	scratch_load_dwordx4 v[94:97], off, off offset:2064 ; 16-byte Folded Reload
	scratch_load_dwordx4 v[98:101], off, off offset:2080 ; 16-byte Folded Reload
	;; [unrolled: 1-line block ×8, first 2 shown]
	v_mov_b64_e32 v[160:161], v[212:213]
	v_mov_b64_e32 v[166:167], v[218:219]
	v_mov_b32_e32 v35, v79
	v_mov_b32_e32 v24, v174
	;; [unrolled: 1-line block ×6, first 2 shown]
	s_waitcnt vmcnt(3)
	v_mov_b64_e32 v[110:111], v[34:35]
	v_mov_b32_e32 v228, v92
	v_mov_b32_e32 v229, v87
	v_mov_b64_e32 v[162:163], v[214:215]
	v_mov_b64_e32 v[164:165], v[216:217]
	v_mov_b32_e32 v218, v174
	v_mov_b32_e32 v230, v174
	v_mov_b32_e32 v217, v173
	v_mov_b32_e32 v216, v172
	v_mov_b32_e32 v215, v171
	v_mov_b32_e32 v214, v170
	v_mov_b32_e32 v213, v169
	v_mov_b32_e32 v212, v168
	v_mov_b32_e32 v242, v80
	v_mov_b32_e32 v226, v76
	v_mov_b32_e32 v240, v78
	v_mov_b32_e32 v231, v167
	v_mov_b32_e32 v234, v222
	v_mov_b32_e32 v26, v44
	scratch_load_dwordx4 v[36:39], off, off offset:2192 ; 16-byte Folded Reload
	scratch_load_dwordx4 v[40:43], off, off offset:2208 ; 16-byte Folded Reload
	;; [unrolled: 1-line block ×8, first 2 shown]
	s_nop 0
	scratch_store_dwordx4 off, v[176:179], off offset:1808 ; 16-byte Folded Spill
	s_nop 0
	scratch_store_dwordx4 off, v[180:183], off offset:1824 ; 16-byte Folded Spill
	scratch_store_dwordx4 off, v[184:187], off offset:1840 ; 16-byte Folded Spill
	;; [unrolled: 1-line block ×7, first 2 shown]
	v_mov_b64_e32 v[190:191], v[14:15]
	s_waitcnt vmcnt(8)
	v_mov_b64_e32 v[58:59], v[144:145]
	v_mov_b32_e32 v200, v92
	v_mov_b64_e32 v[188:189], v[12:13]
	v_mov_b64_e32 v[186:187], v[10:11]
	;; [unrolled: 1-line block ×9, first 2 shown]
	v_mov_b32_e32 v30, v106
	v_mov_b64_e32 v[64:65], v[150:151]
	v_mov_b64_e32 v[66:67], v[152:153]
	;; [unrolled: 1-line block ×3, first 2 shown]
	v_mov_b32_e32 v199, v91
	v_mov_b32_e32 v198, v90
	;; [unrolled: 1-line block ×6, first 2 shown]
	v_mov_b64_e32 v[206:207], v[86:87]
	v_mov_b32_e32 v31, v49
	v_mov_b64_e32 v[108:109], v[32:33]
	v_mov_b64_e32 v[106:107], v[30:31]
	;; [unrolled: 1-line block ×8, first 2 shown]
	scratch_store_dwordx4 off, v[94:97], off offset:2320 ; 16-byte Folded Spill
	s_nop 0
	scratch_store_dwordx4 off, v[98:101], off offset:2336 ; 16-byte Folded Spill
	scratch_store_dwordx4 off, v[102:105], off offset:2352 ; 16-byte Folded Spill
	;; [unrolled: 1-line block ×7, first 2 shown]
	v_mov_b64_e32 v[42:43], v[128:129]
	v_mov_b64_e32 v[44:45], v[130:131]
	v_mov_b64_e32 v[46:47], v[132:133]
	v_mov_b64_e32 v[48:49], v[134:135]
	v_mov_b64_e32 v[50:51], v[136:137]
	v_mov_b64_e32 v[52:53], v[138:139]
	v_mov_b64_e32 v[54:55], v[140:141]
	v_mov_b64_e32 v[56:57], v[142:143]
	scratch_load_dwordx4 v[10:13], off, off offset:3856 ; 16-byte Folded Reload
	scratch_load_dwordx4 v[14:17], off, off offset:3872 ; 16-byte Folded Reload
	;; [unrolled: 1-line block ×8, first 2 shown]
	v_mov_b64_e32 v[204:205], v[84:85]
	v_mov_b64_e32 v[202:203], v[82:83]
	scratch_load_dwordx4 v[118:121], off, s2 ; 16-byte Folded Reload
	scratch_load_dwordx4 v[122:125], off, s2 offset:16 ; 16-byte Folded Reload
	scratch_load_dwordx4 v[126:129], off, s2 offset:32 ; 16-byte Folded Reload
	;; [unrolled: 1-line block ×7, first 2 shown]
	scratch_load_dwordx4 v[82:85], off, off offset:3728 ; 16-byte Folded Reload
	scratch_load_dwordx4 v[86:89], off, off offset:3744 ; 16-byte Folded Reload
	;; [unrolled: 1-line block ×8, first 2 shown]
	v_mov_b32_e32 v224, v42
	v_mov_b32_e32 v225, v43
	;; [unrolled: 1-line block ×5, first 2 shown]
	s_movk_i32 s2, 0x1314
	s_waitcnt vmcnt(23)
	v_mov_b32_e32 v227, v13
	s_waitcnt vmcnt(22)
	v_mov_b64_e32 v[10:11], v[160:161]
	v_mov_b64_e32 v[12:13], v[162:163]
	v_mov_b64_e32 v[14:15], v[164:165]
	v_mov_b64_e32 v[16:17], v[166:167]
	s_waitcnt vmcnt(13)
	v_mov_b32_e32 v232, v126
	s_waitcnt vmcnt(5)
	v_mov_b64_e32 v[0:1], v[82:83]
	v_mov_b64_e32 v[2:3], v[84:85]
	;; [unrolled: 1-line block ×5, first 2 shown]
	scratch_load_dwordx4 v[82:85], off, off offset:2064 ; 16-byte Folded Reload
	scratch_load_dwordx4 v[86:89], off, off offset:2080 ; 16-byte Folded Reload
	;; [unrolled: 1-line block ×8, first 2 shown]
	v_mov_b32_e32 v233, v9
	s_waitcnt vmcnt(4)
	v_mov_b32_e32 v174, v94
	v_mov_b32_e32 v236, v94
	scratch_load_dwordx4 v[82:85], off, off offset:2192 ; 16-byte Folded Reload
	scratch_load_dwordx4 v[86:89], off, off offset:2208 ; 16-byte Folded Reload
	;; [unrolled: 1-line block ×16, first 2 shown]
	s_waitcnt vmcnt(12)
	v_mov_b64_e32 v[30:31], v[94:95]
	scratch_load_dwordx4 v[82:85], off, off offset:2704 ; 16-byte Folded Reload
	scratch_load_dwordx4 v[86:89], off, off offset:2720 ; 16-byte Folded Reload
	;; [unrolled: 1-line block ×8, first 2 shown]
	v_mov_b32_e32 v237, v31
	v_mov_b64_e32 v[20:21], v[42:43]
	v_mov_b64_e32 v[22:23], v[44:45]
	;; [unrolled: 1-line block ×14, first 2 shown]
	v_mov_b32_e32 v60, v70
	s_waitcnt vmcnt(12)
	v_mov_b32_e32 v238, v144
	s_waitcnt vmcnt(0)
	v_mov_b32_e32 v112, v78
	scratch_load_dwordx4 v[128:131], off, off offset:2320 ; 16-byte Folded Reload
	scratch_load_dwordx4 v[132:135], off, off offset:2336 ; 16-byte Folded Reload
	scratch_load_dwordx4 v[136:139], off, off offset:2352 ; 16-byte Folded Reload
	scratch_load_dwordx4 v[140:143], off, off offset:2368 ; 16-byte Folded Reload
	scratch_load_dwordx4 v[144:147], off, off offset:2384 ; 16-byte Folded Reload
	scratch_load_dwordx4 v[148:151], off, off offset:2400 ; 16-byte Folded Reload
	scratch_load_dwordx4 v[152:155], off, off offset:2416 ; 16-byte Folded Reload
	scratch_load_dwordx4 v[156:159], off, off offset:2432 ; 16-byte Folded Reload
	v_mov_b32_e32 v61, v71
	v_mov_b32_e32 v62, v72
	v_mov_b64_e32 v[58:59], v[46:47]
	v_mov_b64_e32 v[56:57], v[44:45]
	;; [unrolled: 1-line block ×7, first 2 shown]
	s_waitcnt vmcnt(0)
	v_mov_b64_e32 v[156:157], v[16:17]
	v_mov_b64_e32 v[44:45], v[32:33]
	v_mov_b64_e32 v[42:43], v[30:31]
	v_mov_b64_e32 v[40:41], v[28:29]
	v_mov_b64_e32 v[38:39], v[26:27]
	v_mov_b64_e32 v[36:37], v[24:25]
	v_mov_b64_e32 v[34:35], v[22:23]
	v_mov_b64_e32 v[32:33], v[20:21]
	v_mov_b64_e32 v[154:155], v[14:15]
	v_mov_b64_e32 v[152:153], v[12:13]
	v_mov_b64_e32 v[150:151], v[10:11]
	v_mov_b32_e32 v192, v112
	v_mov_b32_e32 v113, v33
	;; [unrolled: 1-line block ×3, first 2 shown]
	v_mov_b64_e32 v[96:97], v[176:177]
	v_mov_b64_e32 v[98:99], v[178:179]
	;; [unrolled: 1-line block ×8, first 2 shown]
	v_mov_b32_e32 v178, v76
	scratch_load_dwordx4 v[64:67], off, off offset:3856 ; 16-byte Folded Reload
	scratch_load_dwordx4 v[68:71], off, off offset:3872 ; 16-byte Folded Reload
	;; [unrolled: 1-line block ×8, first 2 shown]
	s_waitcnt vmcnt(3)
	v_mov_b64_e32 v[78:79], v[202:203]
	v_mov_b64_e32 v[80:81], v[204:205]
	;; [unrolled: 1-line block ×3, first 2 shown]
	scratch_store_dwordx4 off, v[78:81], s2 ; 16-byte Folded Spill
	s_waitcnt vmcnt(3)
	scratch_store_dwordx4 off, v[82:85], s2 offset:16 ; 16-byte Folded Spill
	s_waitcnt vmcnt(3)
	scratch_store_dwordx4 off, v[86:89], s2 offset:32 ; 16-byte Folded Spill
	;; [unrolled: 2-line block ×3, first 2 shown]
	scratch_store_dwordx4 off, v[94:97], s2 offset:64 ; 16-byte Folded Spill
	scratch_store_dwordx4 off, v[98:101], s2 offset:80 ; 16-byte Folded Spill
	;; [unrolled: 1-line block ×4, first 2 shown]
	v_mov_b32_e32 v176, v20
	v_mov_b32_e32 v177, v21
	;; [unrolled: 1-line block ×3, first 2 shown]
	scratch_load_dwordx4 v[0:3], off, off offset:3344 ; 16-byte Folded Reload
	scratch_load_dwordx4 v[4:7], off, off offset:3360 ; 16-byte Folded Reload
	;; [unrolled: 1-line block ×8, first 2 shown]
	v_mov_b32_e32 v241, v145
	v_mov_b64_e32 v[130:131], v[224:225]
	v_mov_b32_e32 v146, v240
	v_mov_b64_e32 v[132:133], v[226:227]
	v_mov_b64_e32 v[134:135], v[228:229]
	v_mov_b64_e32 v[136:137], v[230:231]
	v_mov_b64_e32 v[138:139], v[232:233]
	v_mov_b64_e32 v[140:141], v[234:235]
	v_mov_b64_e32 v[142:143], v[236:237]
	v_mov_b64_e32 v[144:145], v[238:239]
	v_mov_b32_e32 v147, v241
	v_mov_b32_e32 v148, v242
	;; [unrolled: 1-line block ×11, first 2 shown]
	s_movk_i32 s2, 0x1414
	v_mov_b32_e32 v69, v197
	v_mov_b32_e32 v70, v198
	;; [unrolled: 1-line block ×21, first 2 shown]
	v_mov_b64_e32 v[82:83], v[150:151]
	v_mov_b64_e32 v[84:85], v[152:153]
	;; [unrolled: 1-line block ×4, first 2 shown]
	s_waitcnt vmcnt(5)
	v_mov_b32_e32 v187, v11
	scratch_load_dwordx4 v[0:3], off, off offset:2192 ; 16-byte Folded Reload
	scratch_load_dwordx4 v[4:7], off, off offset:2208 ; 16-byte Folded Reload
	scratch_load_dwordx4 v[8:11], off, off offset:2224 ; 16-byte Folded Reload
	scratch_load_dwordx4 v[12:15], off, off offset:2240 ; 16-byte Folded Reload
	scratch_load_dwordx4 v[16:19], off, off offset:2256 ; 16-byte Folded Reload
	scratch_load_dwordx4 v[20:23], off, off offset:2272 ; 16-byte Folded Reload
	scratch_load_dwordx4 v[24:27], off, off offset:2288 ; 16-byte Folded Reload
	scratch_load_dwordx4 v[28:31], off, off offset:2304 ; 16-byte Folded Reload
	s_waitcnt vmcnt(4)
	v_mov_b32_e32 v189, v13
	scratch_load_dwordx4 v[0:3], off, off offset:1808 ; 16-byte Folded Reload
	scratch_load_dwordx4 v[4:7], off, off offset:1824 ; 16-byte Folded Reload
	scratch_load_dwordx4 v[8:11], off, off offset:1840 ; 16-byte Folded Reload
	scratch_load_dwordx4 v[12:15], off, off offset:1856 ; 16-byte Folded Reload
	scratch_load_dwordx4 v[16:19], off, off offset:1872 ; 16-byte Folded Reload
	scratch_load_dwordx4 v[20:23], off, off offset:1888 ; 16-byte Folded Reload
	scratch_load_dwordx4 v[24:27], off, off offset:1904 ; 16-byte Folded Reload
	scratch_load_dwordx4 v[28:31], off, off offset:1920 ; 16-byte Folded Reload
	;; [unrolled: 10-line block ×3, first 2 shown]
	scratch_load_dwordx4 v[224:227], off, off offset:2320 ; 16-byte Folded Reload
	scratch_load_dwordx4 v[228:231], off, off offset:2336 ; 16-byte Folded Reload
	;; [unrolled: 1-line block ×8, first 2 shown]
	s_waitcnt vmcnt(4)
	v_mov_b64_e32 v[238:239], v[144:145]
	v_mov_b64_e32 v[236:237], v[142:143]
	;; [unrolled: 1-line block ×8, first 2 shown]
	v_mov_b32_e32 v132, v208
	v_mov_b64_e32 v[16:17], v[14:15]
	v_mov_b64_e32 v[14:15], v[12:13]
	;; [unrolled: 1-line block ×16, first 2 shown]
	s_waitcnt vmcnt(3)
	v_mov_b64_e32 v[110:111], v[240:241]
	v_mov_b32_e32 v242, v148
	v_mov_b32_e32 v191, v17
	;; [unrolled: 1-line block ×4, first 2 shown]
	scratch_store_dwordx4 off, v[176:179], s2 ; 16-byte Folded Spill
	s_nop 0
	scratch_store_dwordx4 off, v[180:183], s2 offset:16 ; 16-byte Folded Spill
	scratch_store_dwordx4 off, v[184:187], s2 offset:32 ; 16-byte Folded Spill
	;; [unrolled: 1-line block ×7, first 2 shown]
	v_mov_b32_e32 v241, v147
	v_mov_b32_e32 v240, v146
	scratch_load_dwordx4 v[176:179], off, off offset:3856 ; 16-byte Folded Reload
	scratch_load_dwordx4 v[180:183], off, off offset:3872 ; 16-byte Folded Reload
	;; [unrolled: 1-line block ×16, first 2 shown]
	s_waitcnt vmcnt(8)
	v_mov_b32_e32 v204, v72
	v_mov_b32_e32 v203, v71
	;; [unrolled: 1-line block ×22, first 2 shown]
	v_mov_b64_e32 v[104:105], v[46:47]
	v_mov_b64_e32 v[102:103], v[44:45]
	;; [unrolled: 1-line block ×8, first 2 shown]
	v_mov_b32_e32 v198, v66
	v_mov_b32_e32 v197, v65
	;; [unrolled: 1-line block ×3, first 2 shown]
	v_mov_b64_e32 v[78:79], v[176:177]
	v_mov_b64_e32 v[80:81], v[178:179]
	v_mov_b32_e32 v115, v81
	s_waitcnt vmcnt(5)
	v_mov_b32_e32 v121, v143
	scratch_load_dwordx4 v[134:137], off, off offset:3344 ; 16-byte Folded Reload
	scratch_load_dwordx4 v[138:141], off, off offset:3360 ; 16-byte Folded Reload
	scratch_load_dwordx4 v[142:145], off, off offset:3376 ; 16-byte Folded Reload
	scratch_load_dwordx4 v[146:149], off, off offset:3392 ; 16-byte Folded Reload
	scratch_load_dwordx4 v[150:153], off, off offset:3408 ; 16-byte Folded Reload
	scratch_load_dwordx4 v[154:157], off, off offset:3424 ; 16-byte Folded Reload
	scratch_load_dwordx4 v[158:161], off, off offset:3440 ; 16-byte Folded Reload
	scratch_load_dwordx4 v[162:165], off, off offset:3456 ; 16-byte Folded Reload
	v_mov_b64_e32 v[216:217], v[178:179]
	v_mov_b64_e32 v[214:215], v[176:177]
	s_waitcnt vmcnt(5)
	v_mov_b32_e32 v123, v145
	scratch_load_dwordx4 v[134:137], off, off offset:2064 ; 16-byte Folded Reload
	scratch_load_dwordx4 v[138:141], off, off offset:2080 ; 16-byte Folded Reload
	scratch_load_dwordx4 v[142:145], off, off offset:2096 ; 16-byte Folded Reload
	scratch_load_dwordx4 v[146:149], off, off offset:2112 ; 16-byte Folded Reload
	scratch_load_dwordx4 v[150:153], off, off offset:2128 ; 16-byte Folded Reload
	scratch_load_dwordx4 v[154:157], off, off offset:2144 ; 16-byte Folded Reload
	scratch_load_dwordx4 v[158:161], off, off offset:2160 ; 16-byte Folded Reload
	scratch_load_dwordx4 v[162:165], off, off offset:2176 ; 16-byte Folded Reload
	s_waitcnt vmcnt(4)
	v_mov_b32_e32 v124, v146
	scratch_load_dwordx4 v[134:137], off, off offset:2192 ; 16-byte Folded Reload
	scratch_load_dwordx4 v[138:141], off, off offset:2208 ; 16-byte Folded Reload
	scratch_load_dwordx4 v[142:145], off, off offset:2224 ; 16-byte Folded Reload
	scratch_load_dwordx4 v[146:149], off, off offset:2240 ; 16-byte Folded Reload
	scratch_load_dwordx4 v[150:153], off, off offset:2256 ; 16-byte Folded Reload
	scratch_load_dwordx4 v[154:157], off, off offset:2272 ; 16-byte Folded Reload
	scratch_load_dwordx4 v[158:161], off, off offset:2288 ; 16-byte Folded Reload
	scratch_load_dwordx4 v[162:165], off, off offset:2304 ; 16-byte Folded Reload
	;; [unrolled: 10-line block ×3, first 2 shown]
	s_nop 0
	scratch_store_dwordx4 off, v[0:3], off offset:3216 ; 16-byte Folded Spill
	s_nop 0
	scratch_store_dwordx4 off, v[4:7], off offset:3232 ; 16-byte Folded Spill
	scratch_store_dwordx4 off, v[8:11], off offset:3248 ; 16-byte Folded Spill
	;; [unrolled: 1-line block ×7, first 2 shown]
	scratch_load_dwordx4 v[0:3], off, s2    ; 16-byte Folded Reload
	s_nop 0
	scratch_load_dwordx4 v[4:7], off, s2 offset:16 ; 16-byte Folded Reload
	scratch_load_dwordx4 v[8:11], off, s2 offset:32 ; 16-byte Folded Reload
	;; [unrolled: 1-line block ×7, first 2 shown]
	s_movk_i32 s2, 0x1494
	s_waitcnt vmcnt(6)
	v_mov_b32_e32 v0, v200
	v_mov_b32_e32 v1, v201
	;; [unrolled: 1-line block ×5, first 2 shown]
	v_mov_b64_e32 v[208:209], v[88:89]
	v_mov_b64_e32 v[206:207], v[86:87]
	;; [unrolled: 1-line block ×4, first 2 shown]
	v_mov_b32_e32 v146, v222
	v_mov_b32_e32 v126, v154
	v_mov_b32_e32 v154, v242
	s_waitcnt vmcnt(3)
	v_mov_b64_e32 v[194:195], v[18:19]
	v_mov_b32_e32 v131, v195
	scratch_store_dwordx4 off, v[112:115], s2 ; 16-byte Folded Spill
	s_nop 0
	scratch_store_dwordx4 off, v[116:119], s2 offset:16 ; 16-byte Folded Spill
	scratch_store_dwordx4 off, v[120:123], s2 offset:32 ; 16-byte Folded Spill
	;; [unrolled: 1-line block ×7, first 2 shown]
	s_movk_i32 s2, 0x1314
	v_mov_b64_e32 v[192:193], v[16:17]
	scratch_load_dwordx4 v[6:9], off, s2    ; 16-byte Folded Reload
	scratch_load_dwordx4 v[10:13], off, s2 offset:16 ; 16-byte Folded Reload
	scratch_load_dwordx4 v[14:17], off, s2 offset:32 ; 16-byte Folded Reload
	;; [unrolled: 1-line block ×7, first 2 shown]
	s_movk_i32 s2, 0x1514
	scratch_load_dwordx4 v[12:15], off, s2  ; 16-byte Folded Reload
	scratch_load_dwordx4 v[16:19], off, s2 offset:16 ; 16-byte Folded Reload
	scratch_load_dwordx4 v[20:23], off, s2 offset:32 ; 16-byte Folded Reload
	;; [unrolled: 1-line block ×7, first 2 shown]
	v_mov_b64_e32 v[116:117], v[58:59]
	v_mov_b64_e32 v[114:115], v[56:57]
	;; [unrolled: 1-line block ×6, first 2 shown]
	v_mov_b32_e32 v120, v62
	v_mov_b32_e32 v119, v61
	v_mov_b32_e32 v118, v60
	v_mov_b32_e32 v124, v66
	v_mov_b32_e32 v125, v81
	v_mov_b32_e32 v130, v76
	s_movk_i32 s2, 0x1494
	v_mov_b32_e32 v122, v90
	v_mov_b32_e32 v123, v91
	;; [unrolled: 1-line block ×9, first 2 shown]
	s_waitcnt vmcnt(14)
	v_mov_b32_e32 v127, v11
	s_waitcnt vmcnt(6)
	v_mov_b32_e32 v54, v18
	v_mov_b32_e32 v53, v17
	;; [unrolled: 1-line block ×7, first 2 shown]
	s_waitcnt vmcnt(5)
	v_mov_b32_e32 v12, v68
	v_mov_b32_e32 v13, v69
	v_mov_b32_e32 v14, v70
	v_mov_b32_e32 v15, v71
	v_mov_b32_e32 v16, v72
	v_mov_b32_e32 v17, v73
	v_mov_b32_e32 v18, v74
	v_mov_b32_e32 v19, v75
	v_mov_b32_e32 v20, v76
	scratch_load_dwordx4 v[56:59], off, off offset:3728 ; 16-byte Folded Reload
	scratch_load_dwordx4 v[60:63], off, off offset:3744 ; 16-byte Folded Reload
	;; [unrolled: 1-line block ×8, first 2 shown]
	v_mov_b32_e32 v128, v54
	v_mov_b32_e32 v144, v20
	s_waitcnt vmcnt(5)
	v_mov_b64_e32 v[38:39], v[56:57]
	v_mov_b64_e32 v[40:41], v[58:59]
	;; [unrolled: 1-line block ×5, first 2 shown]
	scratch_load_dwordx4 v[56:59], off, off offset:3344 ; 16-byte Folded Reload
	scratch_load_dwordx4 v[60:63], off, off offset:3360 ; 16-byte Folded Reload
	;; [unrolled: 1-line block ×8, first 2 shown]
	v_mov_b32_e32 v131, v47
	v_mov_b32_e32 v145, v47
	s_waitcnt vmcnt(5)
	v_mov_b64_e32 v[26:27], v[56:57]
	v_mov_b64_e32 v[28:29], v[58:59]
	;; [unrolled: 1-line block ×6, first 2 shown]
	scratch_load_dwordx4 v[56:59], off, off offset:2064 ; 16-byte Folded Reload
	scratch_load_dwordx4 v[60:63], off, off offset:2080 ; 16-byte Folded Reload
	;; [unrolled: 1-line block ×8, first 2 shown]
	v_mov_b32_e32 v133, v37
	v_mov_b32_e32 v147, v37
	s_waitcnt vmcnt(5)
	v_mov_b64_e32 v[172:173], v[66:67]
	v_mov_b64_e32 v[170:171], v[64:65]
	;; [unrolled: 1-line block ×6, first 2 shown]
	s_waitcnt vmcnt(4)
	v_mov_b32_e32 v174, v68
	v_mov_b32_e32 v134, v68
	scratch_load_dwordx4 v[56:59], off, off offset:2192 ; 16-byte Folded Reload
	scratch_load_dwordx4 v[60:63], off, off offset:2208 ; 16-byte Folded Reload
	;; [unrolled: 1-line block ×8, first 2 shown]
	v_mov_b32_e32 v148, v174
	s_waitcnt vmcnt(4)
	v_mov_b64_e32 v[34:35], v[68:69]
	scratch_load_dwordx4 v[58:61], off, off offset:1808 ; 16-byte Folded Reload
	scratch_load_dwordx4 v[62:65], off, off offset:1824 ; 16-byte Folded Reload
	;; [unrolled: 1-line block ×8, first 2 shown]
	v_mov_b32_e32 v135, v35
	v_mov_b32_e32 v149, v35
	s_waitcnt vmcnt(4)
	v_mov_b32_e32 v136, v72
	scratch_load_dwordx4 v[56:59], off, off offset:2704 ; 16-byte Folded Reload
	scratch_load_dwordx4 v[60:63], off, off offset:2720 ; 16-byte Folded Reload
	scratch_load_dwordx4 v[64:67], off, off offset:2736 ; 16-byte Folded Reload
	scratch_load_dwordx4 v[68:71], off, off offset:2752 ; 16-byte Folded Reload
	scratch_load_dwordx4 v[72:75], off, off offset:2768 ; 16-byte Folded Reload
	scratch_load_dwordx4 v[76:79], off, off offset:2784 ; 16-byte Folded Reload
	scratch_load_dwordx4 v[80:83], off, off offset:2800 ; 16-byte Folded Reload
	scratch_load_dwordx4 v[84:87], off, off offset:2816 ; 16-byte Folded Reload
	s_waitcnt vmcnt(4)
	v_mov_b32_e32 v137, v71
	scratch_load_dwordx4 v[56:59], off, off offset:3216 ; 16-byte Folded Reload
	scratch_load_dwordx4 v[60:63], off, off offset:3232 ; 16-byte Folded Reload
	scratch_load_dwordx4 v[64:67], off, off offset:3248 ; 16-byte Folded Reload
	scratch_load_dwordx4 v[68:71], off, off offset:3264 ; 16-byte Folded Reload
	scratch_load_dwordx4 v[72:75], off, off offset:3280 ; 16-byte Folded Reload
	scratch_load_dwordx4 v[76:79], off, off offset:3296 ; 16-byte Folded Reload
	scratch_load_dwordx4 v[80:83], off, off offset:3312 ; 16-byte Folded Reload
	scratch_load_dwordx4 v[84:87], off, off offset:3328 ; 16-byte Folded Reload
	;; [unrolled: 10-line block ×3, first 2 shown]
	s_waitcnt vmcnt(3)
	v_mov_b32_e32 v139, v73
	scratch_load_dwordx4 v[56:59], off, s2  ; 16-byte Folded Reload
	scratch_load_dwordx4 v[60:63], off, s2 offset:16 ; 16-byte Folded Reload
	scratch_load_dwordx4 v[64:67], off, s2 offset:32 ; 16-byte Folded Reload
	;; [unrolled: 1-line block ×7, first 2 shown]
	s_waitcnt vmcnt(3)
	v_mov_b64_e32 v[58:59], v[122:123]
	v_mov_b64_e32 v[60:61], v[124:125]
	;; [unrolled: 1-line block ×8, first 2 shown]
	s_movk_i32 s2, 0x1090
	v_mov_b64_e32 v[130:131], v[46:47]
	v_mov_b64_e32 v[128:129], v[44:45]
	;; [unrolled: 1-line block ×5, first 2 shown]
	v_mov_b32_e32 v136, v90
	v_mov_b32_e32 v137, v91
	s_waitcnt vmcnt(2)
	v_mov_b32_e32 v142, v76
	v_mov_b64_e32 v[74:75], v[138:139]
	v_mov_b64_e32 v[76:77], v[140:141]
	;; [unrolled: 1-line block ×3, first 2 shown]
	scratch_store_dwordx4 off, v[58:61], s2 ; 16-byte Folded Spill
	s_nop 0
	scratch_store_dwordx4 off, v[62:65], s2 offset:16 ; 16-byte Folded Spill
	scratch_store_dwordx4 off, v[66:69], s2 offset:32 ; 16-byte Folded Spill
	;; [unrolled: 1-line block ×4, first 2 shown]
	s_waitcnt vmcnt(6)
	scratch_store_dwordx4 off, v[78:81], s2 offset:80 ; 16-byte Folded Spill
	s_waitcnt vmcnt(6)
	scratch_store_dwordx4 off, v[82:85], s2 offset:96 ; 16-byte Folded Spill
	scratch_store_dwordx4 off, v[86:89], s2 offset:112 ; 16-byte Folded Spill
	scratch_load_dwordx4 v[56:59], off, off offset:2832 ; 16-byte Folded Reload
	s_nop 0
	scratch_load_dwordx4 v[60:63], off, off offset:2848 ; 16-byte Folded Reload
	scratch_load_dwordx4 v[64:67], off, off offset:2864 ; 16-byte Folded Reload
	;; [unrolled: 1-line block ×7, first 2 shown]
	s_waitcnt vmcnt(6)
	v_mov_b32_e32 v58, v196
	v_mov_b32_e32 v59, v197
	;; [unrolled: 1-line block ×3, first 2 shown]
	s_movk_i32 s2, 0x1394
	v_mov_b64_e32 v[200:201], v[10:11]
	v_mov_b32_e32 v142, v54
	v_mov_b32_e32 v140, v4
	;; [unrolled: 1-line block ×3, first 2 shown]
	v_mov_b64_e32 v[198:199], v[8:9]
	v_mov_b64_e32 v[196:197], v[6:7]
	v_mov_b32_e32 v139, v217
	v_mov_b32_e32 v143, v209
	s_waitcnt vmcnt(2)
	v_mov_b32_e32 v158, v78
	scratch_store_dwordx4 off, v[58:61], s2 ; 16-byte Folded Spill
	s_nop 0
	scratch_store_dwordx4 off, v[62:65], s2 offset:16 ; 16-byte Folded Spill
	scratch_store_dwordx4 off, v[66:69], s2 offset:32 ; 16-byte Folded Spill
	;; [unrolled: 1-line block ×4, first 2 shown]
	s_waitcnt vmcnt(6)
	scratch_store_dwordx4 off, v[78:81], s2 offset:80 ; 16-byte Folded Spill
	s_waitcnt vmcnt(6)
	scratch_store_dwordx4 off, v[82:85], s2 offset:96 ; 16-byte Folded Spill
	scratch_store_dwordx4 off, v[86:89], s2 offset:112 ; 16-byte Folded Spill
	v_mov_b32_e32 v78, v54
	v_mov_b32_e32 v70, v4
	;; [unrolled: 1-line block ×21, first 2 shown]
	scratch_load_dwordx4 v[0:3], off, off offset:1808 ; 16-byte Folded Reload
	scratch_load_dwordx4 v[4:7], off, off offset:1824 ; 16-byte Folded Reload
	;; [unrolled: 1-line block ×8, first 2 shown]
	s_movk_i32 s2, 0x1494
	v_mov_b32_e32 v81, v223
	v_mov_b32_e32 v61, v217
	;; [unrolled: 1-line block ×6, first 2 shown]
	s_waitcnt vmcnt(4)
	v_mov_b32_e32 v150, v14
	scratch_load_dwordx4 v[0:3], off, off offset:2704 ; 16-byte Folded Reload
	scratch_load_dwordx4 v[4:7], off, off offset:2720 ; 16-byte Folded Reload
	;; [unrolled: 1-line block ×8, first 2 shown]
	s_waitcnt vmcnt(4)
	v_mov_b64_e32 v[46:47], v[14:15]
	v_mov_b64_e32 v[44:45], v[12:13]
	;; [unrolled: 1-line block ×8, first 2 shown]
	scratch_load_dwordx4 v[0:3], off, off offset:3216 ; 16-byte Folded Reload
	scratch_load_dwordx4 v[4:7], off, off offset:3232 ; 16-byte Folded Reload
	;; [unrolled: 1-line block ×8, first 2 shown]
	v_mov_b32_e32 v151, v47
	v_mov_b64_e32 v[32:33], v[106:107]
	v_mov_b64_e32 v[34:35], v[108:109]
	;; [unrolled: 1-line block ×6, first 2 shown]
	v_mov_b32_e32 v44, v118
	v_mov_b32_e32 v45, v119
	;; [unrolled: 1-line block ×4, first 2 shown]
	s_waitcnt vmcnt(3)
	v_mov_b32_e32 v152, v16
	scratch_load_dwordx4 v[0:3], off, off offset:2320 ; 16-byte Folded Reload
	scratch_load_dwordx4 v[4:7], off, off offset:2336 ; 16-byte Folded Reload
	scratch_load_dwordx4 v[8:11], off, off offset:2352 ; 16-byte Folded Reload
	scratch_load_dwordx4 v[12:15], off, off offset:2368 ; 16-byte Folded Reload
	scratch_load_dwordx4 v[16:19], off, off offset:2384 ; 16-byte Folded Reload
	scratch_load_dwordx4 v[20:23], off, off offset:2400 ; 16-byte Folded Reload
	scratch_load_dwordx4 v[24:27], off, off offset:2416 ; 16-byte Folded Reload
	scratch_load_dwordx4 v[28:31], off, off offset:2432 ; 16-byte Folded Reload
	s_nop 0
	scratch_store_dwordx4 off, v[224:227], off offset:3600 ; 16-byte Folded Spill
	s_nop 0
	scratch_store_dwordx4 off, v[228:231], off offset:3616 ; 16-byte Folded Spill
	scratch_store_dwordx4 off, v[232:235], off offset:3632 ; 16-byte Folded Spill
	;; [unrolled: 1-line block ×7, first 2 shown]
	scratch_load_dwordx4 v[224:227], off, s2 ; 16-byte Folded Reload
	s_nop 0
	scratch_load_dwordx4 v[228:231], off, s2 offset:16 ; 16-byte Folded Reload
	scratch_load_dwordx4 v[232:235], off, s2 offset:32 ; 16-byte Folded Reload
	;; [unrolled: 1-line block ×7, first 2 shown]
	s_movk_i32 s2, 0x1090
	s_waitcnt vmcnt(19)
	v_mov_b32_e32 v153, v17
	scratch_load_dwordx4 v[0:3], off, s2    ; 16-byte Folded Reload
	scratch_load_dwordx4 v[4:7], off, s2 offset:16 ; 16-byte Folded Reload
	scratch_load_dwordx4 v[8:11], off, s2 offset:32 ; 16-byte Folded Reload
	scratch_load_dwordx4 v[12:15], off, s2 offset:48 ; 16-byte Folded Reload
	scratch_load_dwordx4 v[16:19], off, s2 offset:64 ; 16-byte Folded Reload
	scratch_load_dwordx4 v[20:23], off, s2 offset:80 ; 16-byte Folded Reload
	scratch_load_dwordx4 v[24:27], off, s2 offset:96 ; 16-byte Folded Reload
	scratch_load_dwordx4 v[28:31], off, s2 offset:112 ; 16-byte Folded Reload
	s_movk_i32 s2, 0x1694
	s_waitcnt vmcnt(10)
	v_mov_b32_e32 v156, v244
	s_waitcnt vmcnt(4)
	v_mov_b64_e32 v[6:7], v[122:123]
	v_mov_b64_e32 v[8:9], v[124:125]
	;; [unrolled: 1-line block ×5, first 2 shown]
	v_mov_b32_e32 v78, v244
	s_waitcnt vmcnt(2)
	v_mov_b32_e32 v157, v21
	scratch_store_dwordx4 off, v[136:139], off offset:2832 ; 16-byte Folded Spill
	s_nop 0
	scratch_store_dwordx4 off, v[140:143], off offset:2848 ; 16-byte Folded Spill
	scratch_store_dwordx4 off, v[144:147], off offset:2864 ; 16-byte Folded Spill
	;; [unrolled: 1-line block ×7, first 2 shown]
	v_mov_b32_e32 v148, v70
	v_mov_b32_e32 v147, v69
	;; [unrolled: 1-line block ×5, first 2 shown]
	scratch_store_dwordx4 off, v[144:147], s2 ; 16-byte Folded Spill
	s_nop 0
	scratch_store_dwordx4 off, v[148:151], s2 offset:16 ; 16-byte Folded Spill
	scratch_store_dwordx4 off, v[152:155], s2 offset:32 ; 16-byte Folded Spill
	scratch_store_dwordx4 off, v[156:159], s2 offset:48 ; 16-byte Folded Spill
	scratch_store_dwordx4 off, v[160:163], s2 offset:64 ; 16-byte Folded Spill
	scratch_store_dwordx4 off, v[164:167], s2 offset:80 ; 16-byte Folded Spill
	scratch_store_dwordx4 off, v[168:171], s2 offset:96 ; 16-byte Folded Spill
	scratch_store_dwordx4 off, v[172:175], s2 offset:112 ; 16-byte Folded Spill
	s_movk_i32 s2, 0x1614
	s_waitcnt vmcnt(16)
	v_mov_b64_e32 v[16:17], v[90:91]
	scratch_store_dwordx4 off, v[202:205], s2 ; 16-byte Folded Spill
	s_nop 0
	scratch_store_dwordx4 off, v[206:209], s2 offset:16 ; 16-byte Folded Spill
	scratch_store_dwordx4 off, v[210:213], s2 offset:32 ; 16-byte Folded Spill
	;; [unrolled: 1-line block ×7, first 2 shown]
	v_mov_b64_e32 v[18:19], v[92:93]
	v_mov_b64_e32 v[20:21], v[94:95]
	;; [unrolled: 1-line block ×7, first 2 shown]
	scratch_load_dwordx4 v[82:85], off, off offset:3344 ; 16-byte Folded Reload
	scratch_load_dwordx4 v[86:89], off, off offset:3360 ; 16-byte Folded Reload
	;; [unrolled: 1-line block ×8, first 2 shown]
	s_movk_i32 s2, 0x1090
	v_mov_b32_e32 v58, v16
	v_mov_b32_e32 v59, v17
	;; [unrolled: 1-line block ×7, first 2 shown]
	v_mov_b64_e32 v[222:223], v[224:225]
	v_mov_b64_e32 v[224:225], v[226:227]
	;; [unrolled: 1-line block ×8, first 2 shown]
	s_waitcnt vmcnt(5)
	v_mov_b64_e32 v[146:147], v[92:93]
	v_mov_b64_e32 v[144:145], v[90:91]
	;; [unrolled: 1-line block ×6, first 2 shown]
	scratch_load_dwordx4 v[82:85], off, off offset:2064 ; 16-byte Folded Reload
	scratch_load_dwordx4 v[86:89], off, off offset:2080 ; 16-byte Folded Reload
	;; [unrolled: 1-line block ×8, first 2 shown]
	v_mov_b32_e32 v69, v147
	v_mov_b32_e32 v238, v240
	;; [unrolled: 1-line block ×6, first 2 shown]
	s_waitcnt vmcnt(4)
	v_mov_b32_e32 v70, v94
	scratch_load_dwordx4 v[82:85], off, off offset:2192 ; 16-byte Folded Reload
	scratch_load_dwordx4 v[86:89], off, off offset:2208 ; 16-byte Folded Reload
	;; [unrolled: 1-line block ×16, first 2 shown]
	s_waitcnt vmcnt(2)
	v_mov_b32_e32 v116, v46
	v_mov_b32_e32 v115, v45
	;; [unrolled: 1-line block ×7, first 2 shown]
	scratch_load_dwordx4 v[82:85], off, off offset:3216 ; 16-byte Folded Reload
	scratch_load_dwordx4 v[86:89], off, off offset:3232 ; 16-byte Folded Reload
	;; [unrolled: 1-line block ×8, first 2 shown]
	v_mov_b32_e32 v72, v14
	v_mov_b64_e32 v[8:9], v[196:197]
	v_mov_b64_e32 v[10:11], v[198:199]
	;; [unrolled: 1-line block ×3, first 2 shown]
	s_waitcnt vmcnt(3)
	v_mov_b32_e32 v134, v98
	v_mov_b32_e32 v74, v98
	scratch_load_dwordx4 v[82:85], off, off offset:2320 ; 16-byte Folded Reload
	scratch_load_dwordx4 v[86:89], off, off offset:2336 ; 16-byte Folded Reload
	scratch_load_dwordx4 v[90:93], off, off offset:2352 ; 16-byte Folded Reload
	scratch_load_dwordx4 v[94:97], off, off offset:2368 ; 16-byte Folded Reload
	scratch_load_dwordx4 v[98:101], off, off offset:2384 ; 16-byte Folded Reload
	scratch_load_dwordx4 v[102:105], off, off offset:2400 ; 16-byte Folded Reload
	scratch_load_dwordx4 v[106:109], off, off offset:2416 ; 16-byte Folded Reload
	scratch_load_dwordx4 v[110:113], off, off offset:2432 ; 16-byte Folded Reload
	s_waitcnt vmcnt(3)
	v_mov_b32_e32 v75, v99
	scratch_load_dwordx4 v[82:85], off, off offset:3600 ; 16-byte Folded Reload
	scratch_load_dwordx4 v[86:89], off, off offset:3616 ; 16-byte Folded Reload
	;; [unrolled: 1-line block ×8, first 2 shown]
	scratch_load_dwordx4 v[150:153], off, s2 ; 16-byte Folded Reload
	scratch_load_dwordx4 v[154:157], off, s2 offset:16 ; 16-byte Folded Reload
	scratch_load_dwordx4 v[158:161], off, s2 offset:32 ; 16-byte Folded Reload
	;; [unrolled: 1-line block ×7, first 2 shown]
	s_movk_i32 s2, 0x1190
	s_waitcnt vmcnt(8)
	v_mov_b64_e32 v[112:113], v[42:43]
	v_mov_b64_e32 v[110:111], v[40:41]
	;; [unrolled: 1-line block ×6, first 2 shown]
	v_mov_b32_e32 v76, v100
	s_waitcnt vmcnt(2)
	v_mov_b32_e32 v79, v171
	scratch_load_dwordx4 v[150:153], off, off offset:2832 ; 16-byte Folded Reload
	scratch_load_dwordx4 v[154:157], off, off offset:2848 ; 16-byte Folded Reload
	;; [unrolled: 1-line block ×8, first 2 shown]
	s_waitcnt vmcnt(2)
	v_mov_b32_e32 v80, v172
	scratch_store_dwordx4 off, v[58:61], s2 ; 16-byte Folded Spill
	s_nop 0
	scratch_store_dwordx4 off, v[62:65], s2 offset:16 ; 16-byte Folded Spill
	scratch_store_dwordx4 off, v[66:69], s2 offset:32 ; 16-byte Folded Spill
	;; [unrolled: 1-line block ×7, first 2 shown]
	s_movk_i32 s2, 0x1394
	v_mov_b64_e32 v[100:101], v[30:31]
	scratch_load_dwordx4 v[150:153], off, s2 ; 16-byte Folded Reload
	scratch_load_dwordx4 v[154:157], off, s2 offset:16 ; 16-byte Folded Reload
	scratch_load_dwordx4 v[158:161], off, s2 offset:32 ; 16-byte Folded Reload
	;; [unrolled: 1-line block ×7, first 2 shown]
	s_movk_i32 s2, 0x1514
	v_mov_b64_e32 v[98:99], v[28:29]
	v_mov_b64_e32 v[96:97], v[26:27]
	;; [unrolled: 1-line block ×7, first 2 shown]
	scratch_load_dwordx4 v[168:171], off, s2 ; 16-byte Folded Reload
	scratch_load_dwordx4 v[172:175], off, s2 offset:16 ; 16-byte Folded Reload
	scratch_load_dwordx4 v[176:179], off, s2 offset:32 ; 16-byte Folded Reload
	;; [unrolled: 1-line block ×7, first 2 shown]
	v_mov_b32_e32 v68, v56
	scratch_load_dwordx4 v[28:31], off, off offset:1424 ; 16-byte Folded Reload
	scratch_load_dwordx4 v[32:35], off, off offset:1440 ; 16-byte Folded Reload
	;; [unrolled: 1-line block ×8, first 2 shown]
	v_mov_b32_e32 v69, v15
	s_waitcnt vmcnt(19)
	v_mov_b64_e32 v[166:167], v[146:147]
	v_mov_b64_e32 v[164:165], v[144:145]
	;; [unrolled: 1-line block ×6, first 2 shown]
	v_mov_b32_e32 v64, v148
	v_mov_b32_e32 v71, v147
	;; [unrolled: 1-line block ×3, first 2 shown]
	s_movk_i32 s2, 0x1414
	v_mov_b32_e32 v84, v210
	v_mov_b32_e32 v60, v86
	;; [unrolled: 1-line block ×8, first 2 shown]
	s_waitcnt vmcnt(14)
	v_mov_b32_e32 v66, v174
	v_mov_b32_e32 v168, v174
	s_waitcnt vmcnt(5)
	v_mov_b32_e32 v70, v38
	scratch_load_dwordx4 v[14:17], off, off offset:2064 ; 16-byte Folded Reload
	scratch_load_dwordx4 v[18:21], off, off offset:2080 ; 16-byte Folded Reload
	;; [unrolled: 1-line block ×8, first 2 shown]
	s_waitcnt vmcnt(4)
	v_mov_b32_e32 v12, v26
	v_mov_b32_e32 v72, v26
	scratch_load_dwordx4 v[14:17], off, off offset:2192 ; 16-byte Folded Reload
	scratch_load_dwordx4 v[18:21], off, off offset:2208 ; 16-byte Folded Reload
	;; [unrolled: 1-line block ×16, first 2 shown]
	s_waitcnt vmcnt(12)
	v_mov_b32_e32 v73, v27
	s_waitcnt vmcnt(4)
	v_mov_b32_e32 v74, v42
	scratch_load_dwordx4 v[28:31], off, off offset:2704 ; 16-byte Folded Reload
	scratch_load_dwordx4 v[32:35], off, off offset:2720 ; 16-byte Folded Reload
	;; [unrolled: 1-line block ×8, first 2 shown]
	s_waitcnt vmcnt(4)
	v_mov_b64_e32 v[164:165], v[42:43]
	v_mov_b64_e32 v[162:163], v[40:41]
	;; [unrolled: 1-line block ×8, first 2 shown]
	scratch_load_dwordx4 v[132:135], off, off offset:2320 ; 16-byte Folded Reload
	scratch_load_dwordx4 v[136:139], off, off offset:2336 ; 16-byte Folded Reload
	;; [unrolled: 1-line block ×16, first 2 shown]
	v_mov_b32_e32 v75, v165
	s_waitcnt vmcnt(11)
	v_mov_b32_e32 v77, v149
	scratch_load_dwordx4 v[132:135], off, s2 ; 16-byte Folded Reload
	scratch_load_dwordx4 v[136:139], off, s2 offset:16 ; 16-byte Folded Reload
	scratch_load_dwordx4 v[140:143], off, s2 offset:32 ; 16-byte Folded Reload
	scratch_load_dwordx4 v[144:147], off, s2 offset:48 ; 16-byte Folded Reload
	scratch_load_dwordx4 v[148:151], off, s2 offset:64 ; 16-byte Folded Reload
	scratch_load_dwordx4 v[152:155], off, s2 offset:80 ; 16-byte Folded Reload
	scratch_load_dwordx4 v[156:159], off, s2 offset:96 ; 16-byte Folded Reload
	scratch_load_dwordx4 v[160:163], off, s2 offset:112 ; 16-byte Folded Reload
	s_movk_i32 s2, 0x1090
	s_waitcnt vmcnt(11)
	v_mov_b32_e32 v78, v46
	s_waitcnt vmcnt(3)
	v_mov_b32_e32 v79, v151
	scratch_load_dwordx4 v[132:135], off, s2 ; 16-byte Folded Reload
	scratch_load_dwordx4 v[136:139], off, s2 offset:16 ; 16-byte Folded Reload
	scratch_load_dwordx4 v[140:143], off, s2 offset:32 ; 16-byte Folded Reload
	;; [unrolled: 1-line block ×7, first 2 shown]
	s_movk_i32 s2, 0x1190
	s_waitcnt vmcnt(2)
	v_mov_b64_e32 v[202:203], v[152:153]
	v_mov_b64_e32 v[200:201], v[150:151]
	;; [unrolled: 1-line block ×3, first 2 shown]
	scratch_load_dwordx4 v[132:135], off, off offset:2832 ; 16-byte Folded Reload
	scratch_load_dwordx4 v[136:139], off, off offset:2848 ; 16-byte Folded Reload
	;; [unrolled: 1-line block ×8, first 2 shown]
	v_mov_b32_e32 v81, v203
	s_waitcnt vmcnt(2)
	v_mov_b32_e32 v82, v154
	scratch_load_dwordx4 v[132:135], off, s2 ; 16-byte Folded Reload
	scratch_load_dwordx4 v[136:139], off, s2 offset:16 ; 16-byte Folded Reload
	scratch_load_dwordx4 v[140:143], off, s2 offset:32 ; 16-byte Folded Reload
	;; [unrolled: 1-line block ×7, first 2 shown]
	s_movk_i32 s2, 0x1814
	s_waitcnt vmcnt(6)
	v_mov_b32_e32 v137, v13
	s_waitcnt vmcnt(4)
	v_mov_b32_e32 v144, v12
	v_mov_b32_e32 v145, v27
	s_waitcnt vmcnt(1)
	v_mov_b32_e32 v157, v211
	v_mov_b32_e32 v138, v174
	;; [unrolled: 1-line block ×6, first 2 shown]
	scratch_store_dwordx4 off, v[60:63], s2 ; 16-byte Folded Spill
	s_nop 0
	scratch_store_dwordx4 off, v[64:67], s2 offset:16 ; 16-byte Folded Spill
	scratch_store_dwordx4 off, v[68:71], s2 offset:32 ; 16-byte Folded Spill
	;; [unrolled: 1-line block ×7, first 2 shown]
	s_movk_i32 s2, 0x1394
	scratch_load_dwordx4 v[28:31], off, s2  ; 16-byte Folded Reload
	scratch_load_dwordx4 v[32:35], off, s2 offset:16 ; 16-byte Folded Reload
	scratch_load_dwordx4 v[36:39], off, s2 offset:32 ; 16-byte Folded Reload
	;; [unrolled: 1-line block ×7, first 2 shown]
	s_movk_i32 s2, 0x1694
	v_mov_b64_e32 v[218:219], v[100:101]
	v_mov_b64_e32 v[216:217], v[98:99]
	s_waitcnt vmcnt(7)
	v_mov_b32_e32 v134, v30
	scratch_load_dwordx4 v[28:31], off, off offset:3856 ; 16-byte Folded Reload
	scratch_load_dwordx4 v[32:35], off, off offset:3872 ; 16-byte Folded Reload
	;; [unrolled: 1-line block ×8, first 2 shown]
	v_mov_b64_e32 v[214:215], v[96:97]
	v_mov_b64_e32 v[212:213], v[94:95]
	;; [unrolled: 1-line block ×6, first 2 shown]
	v_mov_b32_e32 v132, v204
	v_mov_b32_e32 v133, v205
	s_waitcnt vmcnt(7)
	v_mov_b32_e32 v135, v31
	scratch_load_dwordx4 v[28:31], off, s2  ; 16-byte Folded Reload
	scratch_load_dwordx4 v[32:35], off, s2 offset:16 ; 16-byte Folded Reload
	scratch_load_dwordx4 v[36:39], off, s2 offset:32 ; 16-byte Folded Reload
	scratch_load_dwordx4 v[40:43], off, s2 offset:48 ; 16-byte Folded Reload
	scratch_load_dwordx4 v[44:47], off, s2 offset:64 ; 16-byte Folded Reload
	scratch_load_dwordx4 v[48:51], off, s2 offset:80 ; 16-byte Folded Reload
	scratch_load_dwordx4 v[52:55], off, s2 offset:96 ; 16-byte Folded Reload
	scratch_load_dwordx4 v[56:59], off, s2 offset:112 ; 16-byte Folded Reload
	s_movk_i32 s2, 0x1614
	s_waitcnt vmcnt(6)
	v_mov_b32_e32 v136, v32
	scratch_load_dwordx4 v[28:31], off, s2  ; 16-byte Folded Reload
	scratch_load_dwordx4 v[32:35], off, s2 offset:16 ; 16-byte Folded Reload
	scratch_load_dwordx4 v[36:39], off, s2 offset:32 ; 16-byte Folded Reload
	scratch_load_dwordx4 v[40:43], off, s2 offset:48 ; 16-byte Folded Reload
	scratch_load_dwordx4 v[44:47], off, s2 offset:64 ; 16-byte Folded Reload
	scratch_load_dwordx4 v[48:51], off, s2 offset:80 ; 16-byte Folded Reload
	scratch_load_dwordx4 v[52:55], off, s2 offset:96 ; 16-byte Folded Reload
	scratch_load_dwordx4 v[56:59], off, s2 offset:112 ; 16-byte Folded Reload
	s_movk_i32 s2, 0x1110
	;; [unrolled: 11-line block ×3, first 2 shown]
	s_waitcnt vmcnt(5)
	v_mov_b32_e32 v140, v36
	scratch_load_dwordx4 v[28:31], off, off offset:3728 ; 16-byte Folded Reload
	scratch_load_dwordx4 v[32:35], off, off offset:3744 ; 16-byte Folded Reload
	;; [unrolled: 1-line block ×8, first 2 shown]
	s_waitcnt vmcnt(5)
	v_mov_b32_e32 v141, v37
	scratch_load_dwordx4 v[28:31], off, off offset:1424 ; 16-byte Folded Reload
	scratch_load_dwordx4 v[32:35], off, off offset:1440 ; 16-byte Folded Reload
	;; [unrolled: 1-line block ×16, first 2 shown]
	s_waitcnt vmcnt(13)
	v_mov_b32_e32 v142, v38
	s_waitcnt vmcnt(4)
	v_mov_b32_e32 v76, v14
	v_mov_b32_e32 v75, v13
	;; [unrolled: 1-line block ×3, first 2 shown]
	scratch_load_dwordx4 v[0:3], off, off offset:3216 ; 16-byte Folded Reload
	scratch_load_dwordx4 v[4:7], off, off offset:3232 ; 16-byte Folded Reload
	;; [unrolled: 1-line block ×8, first 2 shown]
	v_mov_b32_e32 v146, v76
	s_waitcnt vmcnt(3)
	v_mov_b32_e32 v148, v16
	scratch_load_dwordx4 v[0:3], off, off offset:2320 ; 16-byte Folded Reload
	scratch_load_dwordx4 v[4:7], off, off offset:2336 ; 16-byte Folded Reload
	scratch_load_dwordx4 v[8:11], off, off offset:2352 ; 16-byte Folded Reload
	scratch_load_dwordx4 v[12:15], off, off offset:2368 ; 16-byte Folded Reload
	scratch_load_dwordx4 v[16:19], off, off offset:2384 ; 16-byte Folded Reload
	scratch_load_dwordx4 v[20:23], off, off offset:2400 ; 16-byte Folded Reload
	scratch_load_dwordx4 v[24:27], off, off offset:2416 ; 16-byte Folded Reload
	scratch_load_dwordx4 v[28:31], off, off offset:2432 ; 16-byte Folded Reload
	s_waitcnt vmcnt(3)
	v_mov_b32_e32 v149, v17
	scratch_load_dwordx4 v[0:3], off, off offset:3600 ; 16-byte Folded Reload
	scratch_load_dwordx4 v[4:7], off, off offset:3616 ; 16-byte Folded Reload
	;; [unrolled: 1-line block ×8, first 2 shown]
	s_waitcnt vmcnt(3)
	v_mov_b32_e32 v100, v18
	v_mov_b32_e32 v99, v17
	;; [unrolled: 1-line block ×3, first 2 shown]
	scratch_load_dwordx4 v[0:3], off, s2    ; 16-byte Folded Reload
	scratch_load_dwordx4 v[4:7], off, s2 offset:16 ; 16-byte Folded Reload
	scratch_load_dwordx4 v[8:11], off, s2 offset:32 ; 16-byte Folded Reload
	;; [unrolled: 1-line block ×7, first 2 shown]
	s_movk_i32 s2, 0x1494
	scratch_load_dwordx4 v[20:23], off, s2  ; 16-byte Folded Reload
	scratch_load_dwordx4 v[24:27], off, s2 offset:16 ; 16-byte Folded Reload
	scratch_load_dwordx4 v[28:31], off, s2 offset:32 ; 16-byte Folded Reload
	;; [unrolled: 1-line block ×7, first 2 shown]
	s_movk_i32 s2, 0x1190
	v_mov_b32_e32 v150, v100
	s_waitcnt vmcnt(11)
	v_mov_b32_e32 v151, v19
	s_waitcnt vmcnt(2)
	v_mov_b32_e32 v152, v40
	scratch_load_dwordx4 v[20:23], off, off offset:2832 ; 16-byte Folded Reload
	scratch_load_dwordx4 v[24:27], off, off offset:2848 ; 16-byte Folded Reload
	;; [unrolled: 1-line block ×8, first 2 shown]
	s_waitcnt vmcnt(2)
	v_mov_b32_e32 v128, v42
	v_mov_b32_e32 v127, v41
	;; [unrolled: 1-line block ×7, first 2 shown]
	scratch_load_dwordx4 v[20:23], off, s2  ; 16-byte Folded Reload
	scratch_load_dwordx4 v[24:27], off, s2 offset:16 ; 16-byte Folded Reload
	scratch_load_dwordx4 v[28:31], off, s2 offset:32 ; 16-byte Folded Reload
	scratch_load_dwordx4 v[32:35], off, s2 offset:48 ; 16-byte Folded Reload
	scratch_load_dwordx4 v[36:39], off, s2 offset:64 ; 16-byte Folded Reload
	scratch_load_dwordx4 v[40:43], off, s2 offset:80 ; 16-byte Folded Reload
	scratch_load_dwordx4 v[44:47], off, s2 offset:96 ; 16-byte Folded Reload
	scratch_load_dwordx4 v[48:51], off, s2 offset:112 ; 16-byte Folded Reload
	s_movk_i32 s2, 0x1814
	v_mov_b32_e32 v154, v128
	s_waitcnt vmcnt(2)
	v_mov_b32_e32 v155, v43
	scratch_load_dwordx4 v[20:23], off, s2  ; 16-byte Folded Reload
	scratch_load_dwordx4 v[24:27], off, s2 offset:16 ; 16-byte Folded Reload
	scratch_load_dwordx4 v[28:31], off, s2 offset:32 ; 16-byte Folded Reload
	;; [unrolled: 1-line block ×7, first 2 shown]
	s_movk_i32 s2, 0x1394
	s_waitcnt vmcnt(1)
	v_mov_b32_e32 v156, v44
	scratch_store_dwordx4 off, v[132:135], off offset:400 ; 16-byte Folded Spill
	s_nop 0
	scratch_store_dwordx4 off, v[136:139], off offset:416 ; 16-byte Folded Spill
	scratch_store_dwordx4 off, v[140:143], off offset:432 ; 16-byte Folded Spill
	;; [unrolled: 1-line block ×7, first 2 shown]
	scratch_load_dwordx4 v[20:23], off, off offset:528 ; 16-byte Folded Reload
	scratch_load_dwordx4 v[24:27], off, off offset:544 ; 16-byte Folded Reload
	;; [unrolled: 1-line block ×8, first 2 shown]
	v_mov_b64_e32 v[132:133], v[204:205]
	v_mov_b64_e32 v[158:159], v[112:113]
	s_waitcnt vmcnt(7)
	v_mov_b32_e32 v20, v204
	v_mov_b32_e32 v21, v205
	v_mov_b64_e32 v[134:135], v[206:207]
	v_mov_b64_e32 v[136:137], v[208:209]
	;; [unrolled: 1-line block ×12, first 2 shown]
	v_mov_b32_e32 v162, v116
	v_mov_b32_e32 v161, v115
	;; [unrolled: 1-line block ×3, first 2 shown]
	s_waitcnt vmcnt(1)
	v_mov_b32_e32 v27, v47
	scratch_load_dwordx4 v[28:31], off, off offset:144 ; 16-byte Folded Reload
	scratch_load_dwordx4 v[32:35], off, off offset:160 ; 16-byte Folded Reload
	;; [unrolled: 1-line block ×8, first 2 shown]
	scratch_load_dwordx4 v[196:199], off, s2 ; 16-byte Folded Reload
	scratch_load_dwordx4 v[200:203], off, s2 offset:16 ; 16-byte Folded Reload
	scratch_load_dwordx4 v[204:207], off, s2 offset:32 ; 16-byte Folded Reload
	;; [unrolled: 1-line block ×7, first 2 shown]
	scratch_load_dwordx4 v[78:81], off, off offset:3856 ; 16-byte Folded Reload
	scratch_load_dwordx4 v[82:85], off, off offset:3872 ; 16-byte Folded Reload
	;; [unrolled: 1-line block ×8, first 2 shown]
	s_movk_i32 s2, 0x1694
	s_waitcnt vmcnt(13)
	v_mov_b32_e32 v206, v76
	s_waitcnt vmcnt(12)
	v_mov_b32_e32 v211, v19
	;; [unrolled: 2-line block ×3, first 2 shown]
	v_mov_b32_e32 v22, v198
	s_waitcnt vmcnt(7)
	v_mov_b64_e32 v[114:115], v[80:81]
	v_mov_b64_e32 v[112:113], v[78:79]
	v_mov_b32_e32 v194, v22
	v_mov_b32_e32 v193, v21
	;; [unrolled: 1-line block ×3, first 2 shown]
	scratch_load_dwordx4 v[28:31], off, s2  ; 16-byte Folded Reload
	scratch_load_dwordx4 v[32:35], off, s2 offset:16 ; 16-byte Folded Reload
	scratch_load_dwordx4 v[36:39], off, s2 offset:32 ; 16-byte Folded Reload
	;; [unrolled: 1-line block ×7, first 2 shown]
	s_movk_i32 s2, 0x1314
	scratch_load_dwordx4 v[80:83], off, s2  ; 16-byte Folded Reload
	scratch_load_dwordx4 v[84:87], off, s2 offset:16 ; 16-byte Folded Reload
	scratch_load_dwordx4 v[88:91], off, s2 offset:32 ; 16-byte Folded Reload
	;; [unrolled: 1-line block ×7, first 2 shown]
	s_movk_i32 s2, 0x1614
	v_mov_b32_e32 v192, v20
	v_mov_b32_e32 v195, v115
	;; [unrolled: 1-line block ×3, first 2 shown]
	s_waitcnt vmcnt(14)
	v_mov_b32_e32 v20, v28
	v_mov_b32_e32 v21, v29
	s_waitcnt vmcnt(6)
	v_mov_b32_e32 v197, v85
	scratch_load_dwordx4 v[80:83], off, s2  ; 16-byte Folded Reload
	scratch_load_dwordx4 v[84:87], off, s2 offset:16 ; 16-byte Folded Reload
	scratch_load_dwordx4 v[88:91], off, s2 offset:32 ; 16-byte Folded Reload
	;; [unrolled: 1-line block ×7, first 2 shown]
	s_movk_i32 s2, 0x1110
	v_mov_b32_e32 v22, v30
	v_mov_b32_e32 v23, v31
	;; [unrolled: 1-line block ×4, first 2 shown]
	s_waitcnt vmcnt(6)
	v_mov_b32_e32 v199, v87
	scratch_load_dwordx4 v[80:83], off, s2  ; 16-byte Folded Reload
	scratch_load_dwordx4 v[84:87], off, s2 offset:16 ; 16-byte Folded Reload
	scratch_load_dwordx4 v[88:91], off, s2 offset:32 ; 16-byte Folded Reload
	;; [unrolled: 1-line block ×7, first 2 shown]
	s_movk_i32 s2, 0x1494
	s_waitcnt vmcnt(5)
	v_mov_b32_e32 v200, v88
	scratch_load_dwordx4 v[80:83], off, off offset:3728 ; 16-byte Folded Reload
	scratch_load_dwordx4 v[84:87], off, off offset:3744 ; 16-byte Folded Reload
	;; [unrolled: 1-line block ×8, first 2 shown]
	s_waitcnt vmcnt(5)
	v_mov_b32_e32 v201, v89
	scratch_load_dwordx4 v[82:85], off, off offset:1424 ; 16-byte Folded Reload
	scratch_load_dwordx4 v[86:89], off, off offset:1440 ; 16-byte Folded Reload
	;; [unrolled: 1-line block ×16, first 2 shown]
	s_waitcnt vmcnt(13)
	v_mov_b32_e32 v202, v92
	scratch_load_dwordx4 v[80:83], off, off offset:2064 ; 16-byte Folded Reload
	scratch_load_dwordx4 v[84:87], off, off offset:2080 ; 16-byte Folded Reload
	;; [unrolled: 1-line block ×8, first 2 shown]
	s_waitcnt vmcnt(13)
	v_mov_b32_e32 v203, v39
	s_waitcnt vmcnt(4)
	v_mov_b32_e32 v204, v92
	scratch_load_dwordx4 v[80:83], off, off offset:2192 ; 16-byte Folded Reload
	scratch_load_dwordx4 v[84:87], off, off offset:2208 ; 16-byte Folded Reload
	;; [unrolled: 1-line block ×16, first 2 shown]
	s_waitcnt vmcnt(12)
	v_mov_b32_e32 v205, v93
	s_waitcnt vmcnt(4)
	v_mov_b32_e32 v207, v61
	scratch_load_dwordx4 v[46:49], off, off offset:3216 ; 16-byte Folded Reload
	scratch_load_dwordx4 v[50:53], off, off offset:3232 ; 16-byte Folded Reload
	scratch_load_dwordx4 v[54:57], off, off offset:3248 ; 16-byte Folded Reload
	scratch_load_dwordx4 v[58:61], off, off offset:3264 ; 16-byte Folded Reload
	scratch_load_dwordx4 v[62:65], off, off offset:3280 ; 16-byte Folded Reload
	scratch_load_dwordx4 v[66:69], off, off offset:3296 ; 16-byte Folded Reload
	scratch_load_dwordx4 v[70:73], off, off offset:3312 ; 16-byte Folded Reload
	scratch_load_dwordx4 v[74:77], off, off offset:3328 ; 16-byte Folded Reload
	scratch_load_dwordx4 v[28:31], off, off offset:2320 ; 16-byte Folded Reload
	scratch_load_dwordx4 v[32:35], off, off offset:2336 ; 16-byte Folded Reload
	scratch_load_dwordx4 v[36:39], off, off offset:2352 ; 16-byte Folded Reload
	scratch_load_dwordx4 v[40:43], off, off offset:2368 ; 16-byte Folded Reload
	scratch_load_dwordx4 v[44:47], off, off offset:2384 ; 16-byte Folded Reload
	scratch_load_dwordx4 v[48:51], off, off offset:2400 ; 16-byte Folded Reload
	scratch_load_dwordx4 v[52:55], off, off offset:2416 ; 16-byte Folded Reload
	scratch_load_dwordx4 v[56:59], off, off offset:2432 ; 16-byte Folded Reload
	s_waitcnt vmcnt(11)
	v_mov_b32_e32 v208, v62
	scratch_load_dwordx4 v[46:49], off, off offset:3600 ; 16-byte Folded Reload
	scratch_load_dwordx4 v[50:53], off, off offset:3616 ; 16-byte Folded Reload
	;; [unrolled: 1-line block ×8, first 2 shown]
	s_waitcnt vmcnt(11)
	v_mov_b64_e32 v[98:99], v[44:45]
	scratch_load_dwordx4 v[28:31], off, s2  ; 16-byte Folded Reload
	scratch_load_dwordx4 v[32:35], off, s2 offset:16 ; 16-byte Folded Reload
	scratch_load_dwordx4 v[36:39], off, s2 offset:32 ; 16-byte Folded Reload
	;; [unrolled: 1-line block ×7, first 2 shown]
	s_movk_i32 s2, 0x1090
	scratch_load_dwordx4 v[224:227], off, s2 ; 16-byte Folded Reload
	scratch_load_dwordx4 v[228:231], off, s2 offset:16 ; 16-byte Folded Reload
	scratch_load_dwordx4 v[232:235], off, s2 offset:32 ; 16-byte Folded Reload
	;; [unrolled: 1-line block ×7, first 2 shown]
	s_movk_i32 s2, 0x1190
	v_mov_b32_e32 v209, v99
	s_waitcnt vmcnt(19)
	v_mov_b32_e32 v60, v160
	v_mov_b32_e32 v61, v161
	;; [unrolled: 1-line block ×4, first 2 shown]
	s_waitcnt vmcnt(10)
	v_mov_b32_e32 v16, v44
	v_mov_b32_e32 v17, v45
	;; [unrolled: 1-line block ×5, first 2 shown]
	s_waitcnt vmcnt(2)
	v_mov_b32_e32 v213, v245
	scratch_load_dwordx4 v[224:227], off, off offset:2832 ; 16-byte Folded Reload
	scratch_load_dwordx4 v[228:231], off, off offset:2848 ; 16-byte Folded Reload
	;; [unrolled: 1-line block ×8, first 2 shown]
	scratch_load_dwordx4 v[28:31], off, s2  ; 16-byte Folded Reload
	scratch_load_dwordx4 v[32:35], off, s2 offset:16 ; 16-byte Folded Reload
	scratch_load_dwordx4 v[36:39], off, s2 offset:32 ; 16-byte Folded Reload
	;; [unrolled: 1-line block ×7, first 2 shown]
	s_movk_i32 s2, 0x1814
	v_mov_b32_e32 v212, v20
	s_waitcnt vmcnt(10)
	v_mov_b32_e32 v214, v246
	s_waitcnt vmcnt(2)
	v_mov_b32_e32 v215, v51
	scratch_load_dwordx4 v[28:31], off, s2  ; 16-byte Folded Reload
	scratch_load_dwordx4 v[32:35], off, s2 offset:16 ; 16-byte Folded Reload
	scratch_load_dwordx4 v[36:39], off, s2 offset:32 ; 16-byte Folded Reload
	;; [unrolled: 1-line block ×7, first 2 shown]
	s_waitcnt vmcnt(4)
	v_mov_b64_e32 v[28:29], v[192:193]
	v_mov_b64_e32 v[30:31], v[194:195]
	;; [unrolled: 1-line block ×8, first 2 shown]
	scratch_load_dwordx4 v[176:179], off, off offset:400 ; 16-byte Folded Reload
	scratch_load_dwordx4 v[180:183], off, off offset:416 ; 16-byte Folded Reload
	;; [unrolled: 1-line block ×8, first 2 shown]
	s_waitcnt vmcnt(9)
	v_mov_b32_e32 v54, v218
	s_movk_i32 s2, 0x1394
	s_waitcnt vmcnt(2)
	v_mov_b32_e32 v196, v24
	v_mov_b32_e32 v195, v115
	;; [unrolled: 1-line block ×14, first 2 shown]
	s_waitcnt vmcnt(1)
	v_mov_b32_e32 v53, v201
	scratch_store_dwordx4 off, v[28:31], off offset:144 ; 16-byte Folded Spill
	s_nop 0
	scratch_store_dwordx4 off, v[32:35], off offset:160 ; 16-byte Folded Spill
	scratch_store_dwordx4 off, v[36:39], off offset:176 ; 16-byte Folded Spill
	;; [unrolled: 1-line block ×7, first 2 shown]
	v_mov_b64_e32 v[32:33], v[132:133]
	v_mov_b32_e32 v0, v32
	v_mov_b32_e32 v1, v33
	scratch_load_dwordx4 v[220:223], off, s2 ; 16-byte Folded Reload
	scratch_load_dwordx4 v[224:227], off, s2 offset:16 ; 16-byte Folded Reload
	scratch_load_dwordx4 v[228:231], off, s2 offset:32 ; 16-byte Folded Reload
	;; [unrolled: 1-line block ×7, first 2 shown]
	s_movk_i32 s2, 0x1314
	v_mov_b64_e32 v[192:193], v[0:1]
	scratch_load_dwordx4 v[0:3], off, s2    ; 16-byte Folded Reload
	scratch_load_dwordx4 v[4:7], off, s2 offset:16 ; 16-byte Folded Reload
	scratch_load_dwordx4 v[8:11], off, s2 offset:32 ; 16-byte Folded Reload
	;; [unrolled: 1-line block ×7, first 2 shown]
	s_movk_i32 s2, 0x1614
	v_mov_b64_e32 v[34:35], v[134:135]
	v_mov_b64_e32 v[36:37], v[136:137]
	v_mov_b64_e32 v[38:39], v[138:139]
	v_mov_b64_e32 v[40:41], v[140:141]
	v_mov_b64_e32 v[42:43], v[142:143]
	v_mov_b64_e32 v[44:45], v[144:145]
	v_mov_b64_e32 v[46:47], v[146:147]
	v_mov_b64_e32 v[48:49], v[148:149]
	v_mov_b64_e32 v[50:51], v[150:151]
	v_mov_b64_e32 v[52:53], v[152:153]
	v_mov_b64_e32 v[54:55], v[154:155]
	v_mov_b64_e32 v[56:57], v[156:157]
	v_mov_b64_e32 v[58:59], v[158:159]
	s_waitcnt vmcnt(15)
	v_mov_b32_e32 v162, v220
	v_mov_b32_e32 v163, v221
	;; [unrolled: 1-line block ×4, first 2 shown]
	s_waitcnt vmcnt(6)
	v_mov_b32_e32 v197, v5
	scratch_load_dwordx4 v[0:3], off, s2    ; 16-byte Folded Reload
	scratch_load_dwordx4 v[4:7], off, s2 offset:16 ; 16-byte Folded Reload
	scratch_load_dwordx4 v[8:11], off, s2 offset:32 ; 16-byte Folded Reload
	scratch_load_dwordx4 v[12:15], off, s2 offset:48 ; 16-byte Folded Reload
	scratch_load_dwordx4 v[16:19], off, s2 offset:64 ; 16-byte Folded Reload
	scratch_load_dwordx4 v[20:23], off, s2 offset:80 ; 16-byte Folded Reload
	scratch_load_dwordx4 v[24:27], off, s2 offset:96 ; 16-byte Folded Reload
	scratch_load_dwordx4 v[28:31], off, s2 offset:112 ; 16-byte Folded Reload
	s_movk_i32 s2, 0x1110
	scratch_load_dwordx4 v[114:117], off, s2 ; 16-byte Folded Reload
	scratch_load_dwordx4 v[118:121], off, s2 offset:16 ; 16-byte Folded Reload
	scratch_load_dwordx4 v[122:125], off, s2 offset:32 ; 16-byte Folded Reload
	;; [unrolled: 1-line block ×7, first 2 shown]
	scratch_load_dwordx4 v[124:127], off, off offset:3728 ; 16-byte Folded Reload
	scratch_load_dwordx4 v[128:131], off, off offset:3744 ; 16-byte Folded Reload
	;; [unrolled: 1-line block ×16, first 2 shown]
	s_movk_i32 s2, 0x1414
	v_mov_b32_e32 v194, v164
	s_waitcnt vmcnt(29)
	v_mov_b64_e32 v[10:11], v[6:7]
	v_mov_b64_e32 v[8:9], v[4:5]
	;; [unrolled: 1-line block ×4, first 2 shown]
	s_waitcnt vmcnt(21)
	v_mov_b32_e32 v2, v114
	v_mov_b32_e32 v3, v115
	;; [unrolled: 1-line block ×8, first 2 shown]
	s_waitcnt vmcnt(13)
	v_mov_b64_e32 v[0:1], v[124:125]
	v_mov_b32_e32 v10, v122
	v_mov_b64_e32 v[2:3], v[126:127]
	v_mov_b64_e32 v[4:5], v[128:129]
	;; [unrolled: 1-line block ×4, first 2 shown]
	scratch_load_dwordx4 v[100:103], off, off offset:3344 ; 16-byte Folded Reload
	scratch_load_dwordx4 v[104:107], off, off offset:3360 ; 16-byte Folded Reload
	;; [unrolled: 1-line block ×8, first 2 shown]
	s_waitcnt vmcnt(13)
	v_mov_b32_e32 v202, v234
	scratch_load_dwordx4 v[224:227], off, off offset:2064 ; 16-byte Folded Reload
	scratch_load_dwordx4 v[228:231], off, off offset:2080 ; 16-byte Folded Reload
	;; [unrolled: 1-line block ×16, first 2 shown]
	v_mov_b32_e32 v199, v11
	v_mov_b32_e32 v200, v10
	;; [unrolled: 1-line block ×6, first 2 shown]
	s_waitcnt vmcnt(21)
	v_mov_b64_e32 v[186:187], v[110:111]
	v_mov_b64_e32 v[184:185], v[108:109]
	;; [unrolled: 1-line block ×3, first 2 shown]
	s_waitcnt vmcnt(12)
	v_mov_b32_e32 v204, v236
	s_waitcnt vmcnt(4)
	v_mov_b32_e32 v205, v137
	scratch_load_dwordx4 v[124:127], off, off offset:1808 ; 16-byte Folded Reload
	scratch_load_dwordx4 v[128:131], off, off offset:1824 ; 16-byte Folded Reload
	;; [unrolled: 1-line block ×16, first 2 shown]
	v_mov_b64_e32 v[180:181], v[104:105]
	v_mov_b64_e32 v[178:179], v[102:103]
	;; [unrolled: 1-line block ×3, first 2 shown]
	v_mov_b32_e32 v203, v187
	v_mov_b32_e32 v173, v187
	s_waitcnt vmcnt(12)
	v_mov_b32_e32 v206, v138
	s_waitcnt vmcnt(4)
	v_mov_b32_e32 v207, v239
	scratch_load_dwordx4 v[224:227], off, off offset:3216 ; 16-byte Folded Reload
	scratch_load_dwordx4 v[228:231], off, off offset:3232 ; 16-byte Folded Reload
	;; [unrolled: 1-line block ×16, first 2 shown]
	s_waitcnt vmcnt(11)
	v_mov_b32_e32 v208, v240
	s_waitcnt vmcnt(3)
	v_mov_b32_e32 v210, v98
	scratch_load_dwordx4 v[80:83], off, s2  ; 16-byte Folded Reload
	scratch_load_dwordx4 v[84:87], off, s2 offset:16 ; 16-byte Folded Reload
	scratch_load_dwordx4 v[88:91], off, s2 offset:32 ; 16-byte Folded Reload
	;; [unrolled: 1-line block ×7, first 2 shown]
	s_movk_i32 s2, 0x1494
	scratch_load_dwordx4 v[64:67], off, s2  ; 16-byte Folded Reload
	scratch_load_dwordx4 v[68:71], off, s2 offset:16 ; 16-byte Folded Reload
	scratch_load_dwordx4 v[72:75], off, s2 offset:32 ; 16-byte Folded Reload
	;; [unrolled: 1-line block ×7, first 2 shown]
	s_movk_i32 s2, 0x1090
	s_waitcnt vmcnt(11)
	v_mov_b32_e32 v211, v99
	s_waitcnt vmcnt(4)
	v_mov_b64_e32 v[154:155], v[78:79]
	v_mov_b64_e32 v[152:153], v[76:77]
	s_waitcnt vmcnt(2)
	v_mov_b32_e32 v160, v84
	v_mov_b32_e32 v159, v83
	;; [unrolled: 1-line block ×5, first 2 shown]
	scratch_load_dwordx4 v[80:83], off, s2  ; 16-byte Folded Reload
	scratch_load_dwordx4 v[84:87], off, s2 offset:16 ; 16-byte Folded Reload
	scratch_load_dwordx4 v[88:91], off, s2 offset:32 ; 16-byte Folded Reload
	;; [unrolled: 1-line block ×7, first 2 shown]
	s_movk_i32 s2, 0x1190
	v_mov_b64_e32 v[150:151], v[74:75]
	v_mov_b64_e32 v[148:149], v[72:73]
	;; [unrolled: 1-line block ×6, first 2 shown]
	v_mov_b32_e32 v182, v160
	v_mov_b32_e32 v212, v160
	s_waitcnt vmcnt(2)
	v_mov_b32_e32 v213, v101
	scratch_load_dwordx4 v[80:83], off, off offset:2832 ; 16-byte Folded Reload
	scratch_load_dwordx4 v[84:87], off, off offset:2848 ; 16-byte Folded Reload
	;; [unrolled: 1-line block ×8, first 2 shown]
	s_waitcnt vmcnt(2)
	v_mov_b32_e32 v214, v102
	scratch_load_dwordx4 v[80:83], off, s2  ; 16-byte Folded Reload
	scratch_load_dwordx4 v[84:87], off, s2 offset:16 ; 16-byte Folded Reload
	scratch_load_dwordx4 v[88:91], off, s2 offset:32 ; 16-byte Folded Reload
	;; [unrolled: 1-line block ×7, first 2 shown]
	s_movk_i32 s2, 0x1814
	scratch_load_dwordx4 v[64:67], off, s2  ; 16-byte Folded Reload
	scratch_load_dwordx4 v[68:71], off, s2 offset:16 ; 16-byte Folded Reload
	scratch_load_dwordx4 v[72:75], off, s2 offset:32 ; 16-byte Folded Reload
	scratch_load_dwordx4 v[76:79], off, s2 offset:48 ; 16-byte Folded Reload
	scratch_load_dwordx4 v[80:83], off, s2 offset:64 ; 16-byte Folded Reload
	scratch_load_dwordx4 v[84:87], off, s2 offset:80 ; 16-byte Folded Reload
	scratch_load_dwordx4 v[88:91], off, s2 offset:96 ; 16-byte Folded Reload
	scratch_load_dwordx4 v[92:95], off, s2 offset:112 ; 16-byte Folded Reload
	s_movk_i32 s2, 0x1694
	s_waitcnt vmcnt(10)
	v_mov_b32_e32 v215, v103
	s_waitcnt vmcnt(4)
	v_mov_b64_e32 v[128:129], v[78:79]
	v_mov_b64_e32 v[126:127], v[76:77]
	s_waitcnt vmcnt(1)
	v_mov_b32_e32 v138, v88
	v_mov_b32_e32 v137, v87
	;; [unrolled: 1-line block ×9, first 2 shown]
	scratch_load_dwordx4 v[80:83], off, off offset:400 ; 16-byte Folded Reload
	scratch_load_dwordx4 v[84:87], off, off offset:416 ; 16-byte Folded Reload
	;; [unrolled: 1-line block ×8, first 2 shown]
	v_mov_b64_e32 v[124:125], v[74:75]
	v_mov_b64_e32 v[122:123], v[72:73]
	v_mov_b64_e32 v[120:121], v[70:71]
	v_mov_b64_e32 v[118:119], v[68:69]
	v_mov_b64_e32 v[116:117], v[66:67]
	v_mov_b64_e32 v[114:115], v[64:65]
	v_mov_b32_e32 v216, v138
	s_waitcnt vmcnt(1)
	v_mov_b32_e32 v217, v105
	scratch_load_dwordx4 v[80:83], off, off offset:144 ; 16-byte Folded Reload
	scratch_load_dwordx4 v[84:87], off, off offset:160 ; 16-byte Folded Reload
	;; [unrolled: 1-line block ×8, first 2 shown]
	s_waitcnt vmcnt(1)
	v_mov_b32_e32 v218, v106
	scratch_load_dwordx4 v[82:85], off, off offset:272 ; 16-byte Folded Reload
	scratch_load_dwordx4 v[86:89], off, off offset:288 ; 16-byte Folded Reload
	;; [unrolled: 1-line block ×8, first 2 shown]
	s_waitcnt vmcnt(7)
	v_mov_b32_e32 v82, v32
	scratch_store_dwordx4 off, v[82:85], off offset:272 ; 16-byte Folded Spill
	s_waitcnt vmcnt(7)
	scratch_store_dwordx4 off, v[86:89], off offset:288 ; 16-byte Folded Spill
	s_waitcnt vmcnt(7)
	;; [unrolled: 2-line block ×7, first 2 shown]
	scratch_store_dwordx4 off, v[110:113], off offset:384 ; 16-byte Folded Spill
	scratch_load_dwordx4 v[82:85], off, off offset:272 ; 16-byte Folded Reload
	s_nop 0
	scratch_load_dwordx4 v[86:89], off, off offset:288 ; 16-byte Folded Reload
	scratch_load_dwordx4 v[90:93], off, off offset:304 ; 16-byte Folded Reload
	;; [unrolled: 1-line block ×7, first 2 shown]
	s_nop 0
	scratch_store_dwordx4 off, v[32:35], off offset:4 ; 16-byte Folded Spill
	s_nop 0
	scratch_store_dwordx4 off, v[36:39], off offset:20 ; 16-byte Folded Spill
	scratch_store_dwordx4 off, v[40:43], off offset:36 ; 16-byte Folded Spill
	;; [unrolled: 1-line block ×7, first 2 shown]
	scratch_load_dwordx4 v[28:31], off, off offset:3856 ; 16-byte Folded Reload
	s_nop 0
	scratch_load_dwordx4 v[32:35], off, off offset:3872 ; 16-byte Folded Reload
	scratch_load_dwordx4 v[36:39], off, off offset:3888 ; 16-byte Folded Reload
	;; [unrolled: 1-line block ×7, first 2 shown]
	s_waitcnt vmcnt(23)
	v_mov_b32_e32 v162, v82
	s_waitcnt vmcnt(7)
	v_mov_b32_e32 v165, v31
	scratch_load_dwordx4 v[28:31], off, s2  ; 16-byte Folded Reload
	scratch_load_dwordx4 v[32:35], off, s2 offset:16 ; 16-byte Folded Reload
	scratch_load_dwordx4 v[36:39], off, s2 offset:32 ; 16-byte Folded Reload
	;; [unrolled: 1-line block ×7, first 2 shown]
	s_movk_i32 s2, 0x1314
	s_waitcnt vmcnt(0)
	v_mov_b32_e32 v48, v130
	v_mov_b32_e32 v49, v131
	;; [unrolled: 1-line block ×3, first 2 shown]
	scratch_load_dwordx4 v[80:83], off, s2  ; 16-byte Folded Reload
	scratch_load_dwordx4 v[84:87], off, s2 offset:16 ; 16-byte Folded Reload
	scratch_load_dwordx4 v[88:91], off, s2 offset:32 ; 16-byte Folded Reload
	;; [unrolled: 1-line block ×7, first 2 shown]
	s_movk_i32 s2, 0x1414
	v_mov_b32_e32 v50, v132
	v_mov_b32_e32 v51, v133
	;; [unrolled: 1-line block ×9, first 2 shown]
	v_mov_b64_e32 v[32:33], v[114:115]
	v_mov_b64_e32 v[34:35], v[116:117]
	;; [unrolled: 1-line block ×4, first 2 shown]
	s_waitcnt vmcnt(6)
	v_mov_b32_e32 v167, v85
	scratch_load_dwordx4 v[82:85], off, off offset:1424 ; 16-byte Folded Reload
	scratch_load_dwordx4 v[86:89], off, off offset:1440 ; 16-byte Folded Reload
	;; [unrolled: 1-line block ×24, first 2 shown]
	v_mov_b64_e32 v[40:41], v[122:123]
	v_mov_b64_e32 v[42:43], v[124:125]
	;; [unrolled: 1-line block ×4, first 2 shown]
	s_waitcnt vmcnt(4)
	v_mov_b32_e32 v234, v190
	v_mov_b32_e32 v172, v92
	;; [unrolled: 1-line block ×3, first 2 shown]
	scratch_load_dwordx4 v[0:3], off, off offset:1808 ; 16-byte Folded Reload
	scratch_load_dwordx4 v[4:7], off, off offset:1824 ; 16-byte Folded Reload
	;; [unrolled: 1-line block ×8, first 2 shown]
	v_mov_b32_e32 v175, v233
	s_waitcnt vmcnt(4)
	v_mov_b32_e32 v176, v14
	scratch_load_dwordx4 v[0:3], off, off offset:2704 ; 16-byte Folded Reload
	scratch_load_dwordx4 v[4:7], off, off offset:2720 ; 16-byte Folded Reload
	scratch_load_dwordx4 v[8:11], off, off offset:2736 ; 16-byte Folded Reload
	scratch_load_dwordx4 v[12:15], off, off offset:2752 ; 16-byte Folded Reload
	scratch_load_dwordx4 v[16:19], off, off offset:2768 ; 16-byte Folded Reload
	scratch_load_dwordx4 v[20:23], off, off offset:2784 ; 16-byte Folded Reload
	scratch_load_dwordx4 v[24:27], off, off offset:2800 ; 16-byte Folded Reload
	scratch_load_dwordx4 v[28:31], off, off offset:2816 ; 16-byte Folded Reload
	s_waitcnt vmcnt(4)
	v_mov_b32_e32 v177, v15
	scratch_load_dwordx4 v[0:3], off, off offset:3216 ; 16-byte Folded Reload
	scratch_load_dwordx4 v[4:7], off, off offset:3232 ; 16-byte Folded Reload
	scratch_load_dwordx4 v[8:11], off, off offset:3248 ; 16-byte Folded Reload
	scratch_load_dwordx4 v[12:15], off, off offset:3264 ; 16-byte Folded Reload
	scratch_load_dwordx4 v[16:19], off, off offset:3280 ; 16-byte Folded Reload
	scratch_load_dwordx4 v[20:23], off, off offset:3296 ; 16-byte Folded Reload
	scratch_load_dwordx4 v[24:27], off, off offset:3312 ; 16-byte Folded Reload
	scratch_load_dwordx4 v[28:31], off, off offset:3328 ; 16-byte Folded Reload
	;; [unrolled: 10-line block ×4, first 2 shown]
	scratch_load_dwordx4 v[58:61], off, s2  ; 16-byte Folded Reload
	scratch_load_dwordx4 v[62:65], off, s2 offset:16 ; 16-byte Folded Reload
	scratch_load_dwordx4 v[66:69], off, s2 offset:32 ; 16-byte Folded Reload
	;; [unrolled: 1-line block ×7, first 2 shown]
	s_movk_i32 s2, 0x1090
	s_waitcnt vmcnt(11)
	v_mov_b32_e32 v180, v18
	scratch_load_dwordx4 v[0:3], off, s2    ; 16-byte Folded Reload
	scratch_load_dwordx4 v[4:7], off, s2 offset:16 ; 16-byte Folded Reload
	scratch_load_dwordx4 v[8:11], off, s2 offset:32 ; 16-byte Folded Reload
	;; [unrolled: 1-line block ×7, first 2 shown]
	s_movk_i32 s2, 0x1190
	s_waitcnt vmcnt(11)
	v_mov_b32_e32 v181, v77
	s_waitcnt vmcnt(4)
	v_mov_b64_e32 v[96:97], v[14:15]
	v_mov_b64_e32 v[94:95], v[12:13]
	s_waitcnt vmcnt(2)
	v_mov_b64_e32 v[102:103], v[20:21]
	v_mov_b64_e32 v[92:93], v[10:11]
	;; [unrolled: 1-line block ×9, first 2 shown]
	scratch_load_dwordx4 v[0:3], off, off offset:2832 ; 16-byte Folded Reload
	scratch_load_dwordx4 v[4:7], off, off offset:2848 ; 16-byte Folded Reload
	;; [unrolled: 1-line block ×8, first 2 shown]
	v_mov_b32_e32 v183, v103
	s_waitcnt vmcnt(2)
	v_mov_b32_e32 v184, v22
	scratch_load_dwordx4 v[0:3], off, s2    ; 16-byte Folded Reload
	scratch_load_dwordx4 v[4:7], off, s2 offset:16 ; 16-byte Folded Reload
	scratch_load_dwordx4 v[8:11], off, s2 offset:32 ; 16-byte Folded Reload
	scratch_load_dwordx4 v[12:15], off, s2 offset:48 ; 16-byte Folded Reload
	scratch_load_dwordx4 v[16:19], off, s2 offset:64 ; 16-byte Folded Reload
	scratch_load_dwordx4 v[20:23], off, s2 offset:80 ; 16-byte Folded Reload
	scratch_load_dwordx4 v[24:27], off, s2 offset:96 ; 16-byte Folded Reload
	scratch_load_dwordx4 v[28:31], off, s2 offset:112 ; 16-byte Folded Reload
	scratch_load_dwordx4 v[108:111], off, off offset:400 ; 16-byte Folded Reload
	scratch_load_dwordx4 v[112:115], off, off offset:416 ; 16-byte Folded Reload
	;; [unrolled: 1-line block ×8, first 2 shown]
	s_movk_i32 s2, 0x1894
	s_waitcnt vmcnt(10)
	v_mov_b32_e32 v185, v23
	scratch_load_dwordx4 v[0:3], off, off offset:144 ; 16-byte Folded Reload
	scratch_load_dwordx4 v[4:7], off, off offset:160 ; 16-byte Folded Reload
	;; [unrolled: 1-line block ×8, first 2 shown]
	s_waitcnt lgkmcnt(0)
	s_barrier
	scratch_load_dword v0, off, s2          ; 4-byte Folded Reload
	s_movk_i32 s2, 0x1290
	s_waitcnt vmcnt(10)
	v_mov_b32_e32 v187, v133
	s_waitcnt vmcnt(2)
	v_mov_b32_e32 v188, v26
	s_waitcnt vmcnt(0)
	v_cmp_lt_u32_e32 vcc, 1, v0
	scratch_load_dword v0, off, s2          ; 4-byte Folded Reload
	s_movk_i32 s2, 0x1a94
	s_waitcnt vmcnt(0)
	ds_read_b32 v0, v0
	s_waitcnt lgkmcnt(0)
	scratch_store_dword off, v0, s2         ; 4-byte Folded Spill
	scratch_store_dwordx4 off, v[162:165], off offset:784 ; 16-byte Folded Spill
	s_nop 0
	scratch_store_dwordx4 off, v[166:169], off offset:800 ; 16-byte Folded Spill
	scratch_store_dwordx4 off, v[170:173], off offset:816 ; 16-byte Folded Spill
	;; [unrolled: 1-line block ×7, first 2 shown]
	v_mov_b32_e32 v185, v219
	scratch_store_dwordx4 off, v[192:195], off offset:912 ; 16-byte Folded Spill
	s_nop 0
	scratch_store_dwordx4 off, v[196:199], off offset:928 ; 16-byte Folded Spill
	scratch_store_dwordx4 off, v[200:203], off offset:944 ; 16-byte Folded Spill
	;; [unrolled: 1-line block ×7, first 2 shown]
	scratch_load_dwordx4 v[0:3], off, off offset:144 ; 16-byte Folded Reload
	scratch_load_dwordx4 v[4:7], off, off offset:160 ; 16-byte Folded Reload
	;; [unrolled: 1-line block ×8, first 2 shown]
	v_mov_b32_e32 v184, v56
	s_movk_i32 s2, 0x1190
	v_mov_b32_e32 v182, v160
	s_waitcnt vmcnt(1)
	v_mov_b32_e32 v138, v26
	scratch_store_dwordx4 off, v[0:3], off offset:144 ; 16-byte Folded Spill
	s_nop 0
	scratch_store_dwordx4 off, v[4:7], off offset:160 ; 16-byte Folded Spill
	scratch_store_dwordx4 off, v[8:11], off offset:176 ; 16-byte Folded Spill
	;; [unrolled: 1-line block ×6, first 2 shown]
	s_waitcnt vmcnt(7)
	scratch_store_dwordx4 off, v[28:31], off offset:256 ; 16-byte Folded Spill
	scratch_store_dwordx4 off, v[108:111], off offset:1040 ; 16-byte Folded Spill
	s_nop 0
	scratch_store_dwordx4 off, v[112:115], off offset:1056 ; 16-byte Folded Spill
	scratch_store_dwordx4 off, v[116:119], off offset:1072 ; 16-byte Folded Spill
	;; [unrolled: 1-line block ×8, first 2 shown]
	s_nop 0
	scratch_store_dwordx4 off, v[36:39], off offset:288 ; 16-byte Folded Spill
	scratch_store_dwordx4 off, v[40:43], off offset:304 ; 16-byte Folded Spill
	scratch_store_dwordx4 off, v[44:47], off offset:320 ; 16-byte Folded Spill
	scratch_store_dwordx4 off, v[48:51], off offset:336 ; 16-byte Folded Spill
	scratch_store_dwordx4 off, v[52:55], off offset:352 ; 16-byte Folded Spill
	scratch_store_dwordx4 off, v[56:59], off offset:368 ; 16-byte Folded Spill
	scratch_store_dwordx4 off, v[60:63], off offset:384 ; 16-byte Folded Spill
	scratch_load_dwordx4 v[0:3], off, s2    ; 16-byte Folded Reload
	scratch_load_dwordx4 v[4:7], off, s2 offset:16 ; 16-byte Folded Reload
	scratch_load_dwordx4 v[8:11], off, s2 offset:32 ; 16-byte Folded Reload
	;; [unrolled: 1-line block ×7, first 2 shown]
	s_movk_i32 s2, 0x1010
	v_mov_b32_e32 v137, v133
	v_mov_b64_e32 v[56:57], v[58:59]
	v_mov_b64_e32 v[58:59], v[60:61]
	;; [unrolled: 1-line block ×4, first 2 shown]
	s_waitcnt vmcnt(4)
	v_mov_b64_e32 v[200:201], v[14:15]
	v_mov_b64_e32 v[198:199], v[12:13]
	s_waitcnt vmcnt(2)
	v_mov_b64_e32 v[208:209], v[22:23]
	v_mov_b64_e32 v[196:197], v[10:11]
	;; [unrolled: 1-line block ×10, first 2 shown]
	scratch_store_dwordx4 off, v[186:189], off offset:1296 ; 16-byte Folded Spill
	s_nop 0
	scratch_store_dwordx4 off, v[190:193], off offset:1312 ; 16-byte Folded Spill
	scratch_store_dwordx4 off, v[194:197], off offset:1328 ; 16-byte Folded Spill
	;; [unrolled: 1-line block ×7, first 2 shown]
	scratch_load_dwordx4 v[104:107], off, off offset:2832 ; 16-byte Folded Reload
	scratch_load_dwordx4 v[108:111], off, off offset:2848 ; 16-byte Folded Reload
	;; [unrolled: 1-line block ×8, first 2 shown]
	v_mov_b64_e32 v[64:65], v[66:67]
	v_mov_b64_e32 v[66:67], v[68:69]
	v_mov_b64_e32 v[68:69], v[70:71]
	v_mov_b64_e32 v[70:71], v[72:73]
	v_mov_b64_e32 v[72:73], v[74:75]
	v_mov_b64_e32 v[74:75], v[76:77]
	v_mov_b32_e32 v187, v233
	s_waitcnt vmcnt(2)
	v_mov_b32_e32 v34, v126
	scratch_store_dwordx4 off, v[104:107], off offset:656 ; 16-byte Folded Spill
	s_nop 0
	scratch_store_dwordx4 off, v[108:111], off offset:672 ; 16-byte Folded Spill
	scratch_store_dwordx4 off, v[112:115], off offset:688 ; 16-byte Folded Spill
	;; [unrolled: 1-line block ×5, first 2 shown]
	s_waitcnt vmcnt(7)
	scratch_store_dwordx4 off, v[128:131], off offset:752 ; 16-byte Folded Spill
	s_waitcnt vmcnt(7)
	scratch_store_dwordx4 off, v[132:135], off offset:768 ; 16-byte Folded Spill
	scratch_store_dwordx4 off, v[82:85], off offset:1552 ; 16-byte Folded Spill
	s_nop 0
	scratch_store_dwordx4 off, v[86:89], off offset:1568 ; 16-byte Folded Spill
	scratch_store_dwordx4 off, v[90:93], off offset:1584 ; 16-byte Folded Spill
	;; [unrolled: 1-line block ×8, first 2 shown]
	s_nop 0
	scratch_store_dwordx4 off, v[144:147], off offset:416 ; 16-byte Folded Spill
	scratch_store_dwordx4 off, v[148:151], off offset:432 ; 16-byte Folded Spill
	;; [unrolled: 1-line block ×7, first 2 shown]
	v_mov_b32_e32 v113, v75
	scratch_store_dwordx4 off, v[56:59], off offset:1936 ; 16-byte Folded Spill
	s_nop 0
	scratch_store_dwordx4 off, v[60:63], off offset:1952 ; 16-byte Folded Spill
	scratch_store_dwordx4 off, v[64:67], off offset:1968 ; 16-byte Folded Spill
	;; [unrolled: 1-line block ×7, first 2 shown]
	scratch_load_dwordx4 v[56:59], off, off offset:3600 ; 16-byte Folded Reload
	s_nop 0
	scratch_load_dwordx4 v[60:63], off, off offset:3616 ; 16-byte Folded Reload
	scratch_load_dwordx4 v[64:67], off, off offset:3632 ; 16-byte Folded Reload
	;; [unrolled: 1-line block ×7, first 2 shown]
	v_mov_b32_e32 v55, v103
	s_waitcnt vmcnt(4)
	v_mov_b64_e32 v[36:37], v[56:57]
	s_waitcnt vmcnt(3)
	v_mov_b32_e32 v52, v72
	v_mov_b64_e32 v[38:39], v[58:59]
	v_mov_b64_e32 v[40:41], v[60:61]
	;; [unrolled: 1-line block ×7, first 2 shown]
	v_mov_b32_e32 v53, v73
	v_mov_b32_e32 v54, v74
	scratch_store_dwordx4 off, v[36:39], off offset:528 ; 16-byte Folded Spill
	s_nop 0
	scratch_store_dwordx4 off, v[40:43], off offset:544 ; 16-byte Folded Spill
	scratch_store_dwordx4 off, v[44:47], off offset:560 ; 16-byte Folded Spill
	;; [unrolled: 1-line block ×7, first 2 shown]
	scratch_load_dwordx4 v[0:3], off, off offset:2320 ; 16-byte Folded Reload
	scratch_load_dwordx4 v[4:7], off, off offset:2336 ; 16-byte Folded Reload
	;; [unrolled: 1-line block ×8, first 2 shown]
	s_waitcnt vmcnt(4)
	v_mov_b64_e32 v[50:51], v[14:15]
	v_mov_b64_e32 v[48:49], v[12:13]
	;; [unrolled: 1-line block ×8, first 2 shown]
	s_waitcnt vmcnt(3)
	v_mov_b64_e32 v[52:53], v[16:17]
	v_mov_b32_e32 v147, v53
	scratch_store_dwordx4 off, v[36:39], off offset:2576 ; 16-byte Folded Spill
	s_nop 0
	scratch_store_dwordx4 off, v[40:43], off offset:2592 ; 16-byte Folded Spill
	scratch_store_dwordx4 off, v[44:47], off offset:2608 ; 16-byte Folded Spill
	;; [unrolled: 1-line block ×7, first 2 shown]
	scratch_load_dwordx4 v[56:59], off, off offset:3216 ; 16-byte Folded Reload
	s_nop 0
	scratch_load_dwordx4 v[60:63], off, off offset:3232 ; 16-byte Folded Reload
	scratch_load_dwordx4 v[64:67], off, off offset:3248 ; 16-byte Folded Reload
	;; [unrolled: 1-line block ×7, first 2 shown]
	s_waitcnt vmcnt(4)
	v_mov_b64_e32 v[36:37], v[56:57]
	v_mov_b64_e32 v[38:39], v[58:59]
	;; [unrolled: 1-line block ×8, first 2 shown]
	s_waitcnt vmcnt(3)
	v_mov_b32_e32 v52, v72
	scratch_store_dwordx4 off, v[36:39], off offset:1168 ; 16-byte Folded Spill
	s_nop 0
	scratch_store_dwordx4 off, v[40:43], off offset:1184 ; 16-byte Folded Spill
	scratch_store_dwordx4 off, v[44:47], off offset:1200 ; 16-byte Folded Spill
	;; [unrolled: 1-line block ×7, first 2 shown]
	v_mov_b32_e32 v146, v72
	scratch_load_dwordx4 v[56:59], off, off offset:2704 ; 16-byte Folded Reload
	scratch_load_dwordx4 v[60:63], off, off offset:2720 ; 16-byte Folded Reload
	;; [unrolled: 1-line block ×8, first 2 shown]
	s_waitcnt vmcnt(4)
	v_mov_b64_e32 v[36:37], v[56:57]
	v_mov_b64_e32 v[38:39], v[58:59]
	;; [unrolled: 1-line block ×8, first 2 shown]
	v_mov_b32_e32 v145, v51
	scratch_store_dwordx4 off, v[36:39], off offset:3088 ; 16-byte Folded Spill
	s_nop 0
	scratch_store_dwordx4 off, v[40:43], off offset:3104 ; 16-byte Folded Spill
	scratch_store_dwordx4 off, v[44:47], off offset:3120 ; 16-byte Folded Spill
	;; [unrolled: 1-line block ×7, first 2 shown]
	scratch_load_dwordx4 v[0:3], off, off offset:1808 ; 16-byte Folded Reload
	scratch_load_dwordx4 v[4:7], off, off offset:1824 ; 16-byte Folded Reload
	;; [unrolled: 1-line block ×8, first 2 shown]
	s_waitcnt vmcnt(5)
	v_mov_b64_e32 v[46:47], v[10:11]
	s_waitcnt vmcnt(4)
	v_mov_b32_e32 v50, v14
	v_mov_b64_e32 v[44:45], v[8:9]
	v_mov_b64_e32 v[42:43], v[6:7]
	;; [unrolled: 1-line block ×5, first 2 shown]
	v_mov_b32_e32 v49, v13
	v_mov_b32_e32 v48, v12
	;; [unrolled: 1-line block ×3, first 2 shown]
	scratch_store_dwordx4 off, v[36:39], off offset:1680 ; 16-byte Folded Spill
	s_nop 0
	scratch_store_dwordx4 off, v[40:43], off offset:1696 ; 16-byte Folded Spill
	scratch_store_dwordx4 off, v[44:47], off offset:1712 ; 16-byte Folded Spill
	;; [unrolled: 1-line block ×8, first 2 shown]
	s_nop 0
	scratch_store_dwordx4 off, v[224:227], off offset:3488 ; 16-byte Folded Spill
	scratch_store_dwordx4 off, v[228:231], off offset:3504 ; 16-byte Folded Spill
	;; [unrolled: 1-line block ×7, first 2 shown]
	scratch_load_dwordx4 v[56:59], off, off offset:2064 ; 16-byte Folded Reload
	scratch_load_dwordx4 v[60:63], off, off offset:2080 ; 16-byte Folded Reload
	;; [unrolled: 1-line block ×8, first 2 shown]
	s_waitcnt vmcnt(5)
	v_mov_b64_e32 v[36:37], v[56:57]
	v_mov_b64_e32 v[38:39], v[58:59]
	;; [unrolled: 1-line block ×6, first 2 shown]
	s_waitcnt vmcnt(4)
	v_mov_b32_e32 v48, v68
	scratch_store_dwordx4 off, v[36:39], off offset:2448 ; 16-byte Folded Spill
	s_nop 0
	scratch_store_dwordx4 off, v[40:43], off offset:2464 ; 16-byte Folded Spill
	scratch_store_dwordx4 off, v[44:47], off offset:2480 ; 16-byte Folded Spill
	scratch_store_dwordx4 off, v[48:51], off offset:2496 ; 16-byte Folded Spill
	scratch_store_dwordx4 off, v[52:55], off offset:2512 ; 16-byte Folded Spill
	scratch_store_dwordx4 off, v[56:59], off offset:2528 ; 16-byte Folded Spill
	scratch_store_dwordx4 off, v[60:63], off offset:2544 ; 16-byte Folded Spill
	scratch_store_dwordx4 off, v[64:67], off offset:2560 ; 16-byte Folded Spill
	scratch_load_dwordx4 v[0:3], off, off offset:3344 ; 16-byte Folded Reload
	scratch_load_dwordx4 v[4:7], off, off offset:3360 ; 16-byte Folded Reload
	;; [unrolled: 1-line block ×8, first 2 shown]
	v_mov_b32_e32 v144, v68
	s_waitcnt vmcnt(5)
	v_mov_b64_e32 v[46:47], v[10:11]
	v_mov_b64_e32 v[44:45], v[8:9]
	;; [unrolled: 1-line block ×6, first 2 shown]
	v_mov_b32_e32 v119, v47
	scratch_store_dwordx4 off, v[36:39], s2 ; 16-byte Folded Spill
	s_nop 0
	scratch_store_dwordx4 off, v[40:43], s2 offset:16 ; 16-byte Folded Spill
	scratch_store_dwordx4 off, v[44:47], s2 offset:32 ; 16-byte Folded Spill
	;; [unrolled: 1-line block ×7, first 2 shown]
	scratch_load_dwordx4 v[56:59], off, off offset:1424 ; 16-byte Folded Reload
	s_nop 0
	scratch_load_dwordx4 v[60:63], off, off offset:1440 ; 16-byte Folded Reload
	scratch_load_dwordx4 v[64:67], off, off offset:1456 ; 16-byte Folded Reload
	;; [unrolled: 1-line block ×7, first 2 shown]
	s_movk_i32 s2, 0x1294
	s_waitcnt vmcnt(5)
	v_mov_b32_e32 v36, v56
	v_mov_b32_e32 v37, v57
	;; [unrolled: 1-line block ×11, first 2 shown]
	scratch_store_dwordx4 off, v[36:39], off offset:2960 ; 16-byte Folded Spill
	s_nop 0
	scratch_store_dwordx4 off, v[40:43], off offset:2976 ; 16-byte Folded Spill
	scratch_store_dwordx4 off, v[44:47], off offset:2992 ; 16-byte Folded Spill
	;; [unrolled: 1-line block ×7, first 2 shown]
	scratch_load_dwordx4 v[0:3], off, off offset:3728 ; 16-byte Folded Reload
	scratch_load_dwordx4 v[4:7], off, off offset:3744 ; 16-byte Folded Reload
	;; [unrolled: 1-line block ×8, first 2 shown]
	s_waitcnt vmcnt(5)
	v_mov_b64_e32 v[44:45], v[8:9]
	v_mov_b64_e32 v[42:43], v[6:7]
	;; [unrolled: 1-line block ×5, first 2 shown]
	v_mov_b32_e32 v115, v45
	scratch_store_dwordx4 off, v[36:39], s2 ; 16-byte Folded Spill
	s_nop 0
	scratch_store_dwordx4 off, v[40:43], s2 offset:16 ; 16-byte Folded Spill
	scratch_store_dwordx4 off, v[44:47], s2 offset:32 ; 16-byte Folded Spill
	;; [unrolled: 1-line block ×7, first 2 shown]
	s_movk_i32 s2, 0x1110
	scratch_load_dwordx4 v[0:3], off, s2    ; 16-byte Folded Reload
	scratch_load_dwordx4 v[4:7], off, s2 offset:16 ; 16-byte Folded Reload
	scratch_load_dwordx4 v[8:11], off, s2 offset:32 ; 16-byte Folded Reload
	;; [unrolled: 1-line block ×7, first 2 shown]
	s_movk_i32 s2, 0xf90
	s_waitcnt vmcnt(5)
	v_mov_b32_e32 v50, v8
	v_mov_b32_e32 v49, v7
	;; [unrolled: 1-line block ×9, first 2 shown]
	scratch_store_dwordx4 off, v[42:45], s2 ; 16-byte Folded Spill
	s_nop 0
	scratch_store_dwordx4 off, v[46:49], s2 offset:16 ; 16-byte Folded Spill
	scratch_store_dwordx4 off, v[50:53], s2 offset:32 ; 16-byte Folded Spill
	;; [unrolled: 1-line block ×7, first 2 shown]
	s_movk_i32 s2, 0x1614
	scratch_load_dwordx4 v[0:3], off, s2    ; 16-byte Folded Reload
	scratch_load_dwordx4 v[4:7], off, s2 offset:16 ; 16-byte Folded Reload
	scratch_load_dwordx4 v[8:11], off, s2 offset:32 ; 16-byte Folded Reload
	;; [unrolled: 1-line block ×7, first 2 shown]
	s_movk_i32 s2, 0x1594
	s_waitcnt vmcnt(6)
	v_mov_b64_e32 v[42:43], v[6:7]
	v_mov_b64_e32 v[40:41], v[4:5]
	;; [unrolled: 1-line block ×4, first 2 shown]
	v_mov_b32_e32 v149, v43
	scratch_store_dwordx4 off, v[36:39], s2 ; 16-byte Folded Spill
	s_nop 0
	scratch_store_dwordx4 off, v[40:43], s2 offset:16 ; 16-byte Folded Spill
	scratch_store_dwordx4 off, v[44:47], s2 offset:32 ; 16-byte Folded Spill
	;; [unrolled: 1-line block ×7, first 2 shown]
	s_movk_i32 s2, 0x1514
	scratch_load_dwordx4 v[0:3], off, s2    ; 16-byte Folded Reload
	scratch_load_dwordx4 v[4:7], off, s2 offset:16 ; 16-byte Folded Reload
	scratch_load_dwordx4 v[8:11], off, s2 offset:32 ; 16-byte Folded Reload
	;; [unrolled: 1-line block ×7, first 2 shown]
	s_movk_i32 s2, 0x1210
	s_waitcnt vmcnt(6)
	v_mov_b32_e32 v42, v6
	v_mov_b32_e32 v41, v5
	;; [unrolled: 1-line block ×8, first 2 shown]
	scratch_store_dwordx4 off, v[36:39], s2 ; 16-byte Folded Spill
	s_nop 0
	scratch_store_dwordx4 off, v[40:43], s2 offset:16 ; 16-byte Folded Spill
	scratch_store_dwordx4 off, v[44:47], s2 offset:32 ; 16-byte Folded Spill
	;; [unrolled: 1-line block ×7, first 2 shown]
	s_movk_i32 s2, 0x1314
	scratch_load_dwordx4 v[56:59], off, s2  ; 16-byte Folded Reload
	scratch_load_dwordx4 v[60:63], off, s2 offset:16 ; 16-byte Folded Reload
	scratch_load_dwordx4 v[64:67], off, s2 offset:32 ; 16-byte Folded Reload
	;; [unrolled: 1-line block ×7, first 2 shown]
	s_movk_i32 s2, 0x1794
	s_waitcnt vmcnt(6)
	v_mov_b64_e32 v[28:29], v[56:57]
	v_mov_b64_e32 v[30:31], v[58:59]
	;; [unrolled: 1-line block ×3, first 2 shown]
	v_mov_b32_e32 v121, v33
	scratch_store_dwordx4 off, v[28:31], s2 ; 16-byte Folded Spill
	s_nop 0
	scratch_store_dwordx4 off, v[32:35], s2 offset:16 ; 16-byte Folded Spill
	scratch_store_dwordx4 off, v[36:39], s2 offset:32 ; 16-byte Folded Spill
	;; [unrolled: 1-line block ×7, first 2 shown]
	s_movk_i32 s2, 0x1694
	scratch_load_dwordx4 v[0:3], off, s2    ; 16-byte Folded Reload
	scratch_load_dwordx4 v[4:7], off, s2 offset:16 ; 16-byte Folded Reload
	scratch_load_dwordx4 v[8:11], off, s2 offset:32 ; 16-byte Folded Reload
	;; [unrolled: 1-line block ×7, first 2 shown]
	s_movk_i32 s2, 0x1714
	s_waitcnt vmcnt(0)
	v_mov_b32_e32 v32, v4
	v_mov_b32_e32 v31, v3
	;; [unrolled: 1-line block ×6, first 2 shown]
	scratch_store_dwordx4 off, v[28:31], s2 ; 16-byte Folded Spill
	s_nop 0
	scratch_store_dwordx4 off, v[32:35], s2 offset:16 ; 16-byte Folded Spill
	scratch_store_dwordx4 off, v[36:39], s2 offset:32 ; 16-byte Folded Spill
	;; [unrolled: 1-line block ×7, first 2 shown]
	scratch_load_dwordx4 v[0:3], off, off offset:3856 ; 16-byte Folded Reload
	s_nop 0
	scratch_load_dwordx4 v[4:7], off, off offset:3872 ; 16-byte Folded Reload
	scratch_load_dwordx4 v[8:11], off, off offset:3888 ; 16-byte Folded Reload
	;; [unrolled: 1-line block ×7, first 2 shown]
	s_movk_i32 s2, 0x1898
	s_waitcnt vmcnt(0)
	v_mov_b64_e32 v[30:31], v[2:3]
	v_mov_b64_e32 v[28:29], v[0:1]
	v_mov_b32_e32 v39, v31
	scratch_store_dwordx4 off, v[28:31], s2 ; 16-byte Folded Spill
	s_nop 0
	scratch_store_dwordx4 off, v[32:35], s2 offset:16 ; 16-byte Folded Spill
	scratch_store_dwordx4 off, v[36:39], s2 offset:32 ; 16-byte Folded Spill
	;; [unrolled: 1-line block ×7, first 2 shown]
	s_movk_i32 s2, 0x1394
	scratch_load_dwordx4 v[56:59], off, s2  ; 16-byte Folded Reload
	scratch_load_dwordx4 v[60:63], off, s2 offset:16 ; 16-byte Folded Reload
	scratch_load_dwordx4 v[64:67], off, s2 offset:32 ; 16-byte Folded Reload
	;; [unrolled: 1-line block ×7, first 2 shown]
	s_movk_i32 s2, 0x1918
	s_waitcnt vmcnt(7)
	scratch_store_dwordx4 off, v[56:59], s2 ; 16-byte Folded Spill
	s_waitcnt vmcnt(7)
	scratch_store_dwordx4 off, v[60:63], s2 offset:16 ; 16-byte Folded Spill
	s_waitcnt vmcnt(7)
	scratch_store_dwordx4 off, v[64:67], s2 offset:32 ; 16-byte Folded Spill
	;; [unrolled: 2-line block ×7, first 2 shown]
	scratch_load_dwordx4 v[150:153], off, off offset:4 ; 16-byte Folded Reload
	scratch_load_dwordx4 v[154:157], off, off offset:20 ; 16-byte Folded Reload
	;; [unrolled: 1-line block ×8, first 2 shown]
	s_mov_b64 s[2:3], exec
	s_and_b64 s[4:5], s[2:3], vcc
	v_mov_b32_e32 v40, v54
	v_mov_b32_e32 v33, v137
	;; [unrolled: 1-line block ×4, first 2 shown]
	s_mov_b64 exec, s[4:5]
	s_cbranch_execz .LBB61_13
; %bb.12:
	scratch_load_dwordx4 v[0:3], off, off offset:1424 ; 16-byte Folded Reload
	scratch_load_dwordx4 v[4:7], off, off offset:1440 ; 16-byte Folded Reload
	;; [unrolled: 1-line block ×8, first 2 shown]
	scratch_load_dword v9, off, off offset:140 ; 4-byte Folded Reload
	s_movk_i32 s4, 0x1a94
	v_mov_b32_e32 v59, v39
	v_mov_b32_e32 v54, v186
	v_mov_b32_e32 v55, v121
	v_mov_b32_e32 v52, v116
	v_mov_b32_e32 v53, v149
	v_mov_b32_e32 v51, v115
	v_mov_b32_e32 v49, v119
	v_mov_b32_e32 v46, v144
	v_mov_b32_e32 v47, v187
	v_mov_b32_e32 v44, v114
	v_mov_b32_e32 v45, v145
	v_mov_b32_e32 v42, v146
	v_mov_b32_e32 v43, v147
	v_mov_b32_e32 v41, v113
	v_mov_b32_e32 v36, v182
	v_mov_b32_e32 v139, v185
	v_mov_b32_e32 v32, v184
	v_mov_b32_e32 v38, v234
	s_waitcnt vmcnt(0)
	ds_read2_b32 v[0:1], v9 offset0:2 offset1:3
	ds_read2_b32 v[2:3], v9 offset0:4 offset1:5
	;; [unrolled: 1-line block ×4, first 2 shown]
	scratch_load_dword v8, off, s4          ; 4-byte Folded Reload
	scratch_load_dwordx4 v[60:63], off, off offset:4 ; 16-byte Folded Reload
	scratch_load_dwordx4 v[64:67], off, off offset:20 ; 16-byte Folded Reload
	;; [unrolled: 1-line block ×8, first 2 shown]
	v_mov_b32_e32 v48, v10
	s_movk_i32 s4, 0x1918
	s_waitcnt vmcnt(7)
	v_mul_f32_e32 v222, v61, v8
	s_waitcnt lgkmcnt(3)
	v_pk_fma_f32 v[58:59], v[222:223], v[0:1], v[58:59] op_sel_hi:[0,1,1] neg_lo:[1,0,0] neg_hi:[1,0,0]
	s_waitcnt lgkmcnt(2)
	v_pk_fma_f32 v[54:55], v[222:223], v[2:3], v[54:55] op_sel_hi:[0,1,1] neg_lo:[1,0,0] neg_hi:[1,0,0]
	;; [unrolled: 2-line block ×4, first 2 shown]
	ds_read2_b32 v[0:1], v9 offset0:10 offset1:11
	ds_read2_b32 v[2:3], v9 offset0:12 offset1:13
	;; [unrolled: 1-line block ×4, first 2 shown]
	v_mov_b32_e32 v61, v222
	s_waitcnt lgkmcnt(3)
	v_pk_fma_f32 v[48:49], v[222:223], v[0:1], v[48:49] op_sel_hi:[0,1,1] neg_lo:[1,0,0] neg_hi:[1,0,0]
	s_waitcnt lgkmcnt(2)
	v_pk_fma_f32 v[46:47], v[222:223], v[2:3], v[46:47] op_sel_hi:[0,1,1] neg_lo:[1,0,0] neg_hi:[1,0,0]
	;; [unrolled: 2-line block ×4, first 2 shown]
	ds_read2_b32 v[0:1], v9 offset0:18 offset1:19
	ds_read2_b32 v[2:3], v9 offset0:20 offset1:21
	;; [unrolled: 1-line block ×4, first 2 shown]
	s_waitcnt vmcnt(0)
	v_mov_b64_e32 v[180:181], v[90:91]
	s_waitcnt lgkmcnt(3)
	v_pk_fma_f32 v[40:41], v[222:223], v[0:1], v[40:41] op_sel_hi:[0,1,1] neg_lo:[1,0,0] neg_hi:[1,0,0]
	s_waitcnt lgkmcnt(2)
	v_pk_fma_f32 v[36:37], v[222:223], v[2:3], v[36:37] op_sel_hi:[0,1,1] neg_lo:[1,0,0] neg_hi:[1,0,0]
	ds_read2_b32 v[0:1], v9 offset0:26 offset1:27
	ds_read2_b32 v[2:3], v9 offset0:28 offset1:29
	v_mov_b64_e32 v[178:179], v[88:89]
	v_mov_b64_e32 v[176:177], v[86:87]
	;; [unrolled: 1-line block ×15, first 2 shown]
	v_mov_b32_e32 v62, v58
	s_waitcnt lgkmcnt(1)
	v_pk_fma_f32 v[138:139], v[222:223], v[0:1], v[138:139] op_sel_hi:[0,1,1] neg_lo:[1,0,0] neg_hi:[1,0,0]
	scratch_load_dwordx2 v[56:57], off, off offset:132 ; 8-byte Folded Reload
	ds_read_b32 v0, v9 offset:120
	scratch_store_dwordx4 off, v[60:63], s4 ; 16-byte Folded Spill
	s_nop 0
	scratch_store_dwordx4 off, v[64:67], s4 offset:16 ; 16-byte Folded Spill
	scratch_store_dwordx4 off, v[68:71], s4 offset:32 ; 16-byte Folded Spill
	;; [unrolled: 1-line block ×7, first 2 shown]
	v_mov_b32_e32 v63, v59
	s_movk_i32 s4, 0x1898
	v_pk_fma_f32 v[34:35], v[222:223], v[4:5], v[34:35] op_sel_hi:[0,1,1] neg_lo:[1,0,0] neg_hi:[1,0,0]
	v_pk_fma_f32 v[32:33], v[222:223], v[6:7], v[32:33] op_sel_hi:[0,1,1] neg_lo:[1,0,0] neg_hi:[1,0,0]
	v_mov_b32_e32 v186, v54
	v_mov_b32_e32 v121, v55
	;; [unrolled: 1-line block ×8, first 2 shown]
	scratch_store_dwordx4 off, v[60:63], s4 ; 16-byte Folded Spill
	s_nop 0
	scratch_store_dwordx4 off, v[64:67], s4 offset:16 ; 16-byte Folded Spill
	scratch_store_dwordx4 off, v[68:71], s4 offset:32 ; 16-byte Folded Spill
	;; [unrolled: 1-line block ×7, first 2 shown]
	v_mov_b32_e32 v64, v54
	s_movk_i32 s4, 0x1714
	scratch_store_dwordx4 off, v[60:63], s4 ; 16-byte Folded Spill
	s_nop 0
	scratch_store_dwordx4 off, v[64:67], s4 offset:16 ; 16-byte Folded Spill
	scratch_store_dwordx4 off, v[68:71], s4 offset:32 ; 16-byte Folded Spill
	;; [unrolled: 1-line block ×7, first 2 shown]
	v_mov_b32_e32 v65, v55
	s_movk_i32 s4, 0x1794
	s_waitcnt vmcnt(24)
	v_mov_b32_e32 v39, v56
	s_waitcnt lgkmcnt(1)
	v_pk_fma_f32 v[38:39], v[222:223], v[2:3], v[38:39] op_sel_hi:[0,1,1] neg_lo:[1,0,0] neg_hi:[1,0,0]
	s_waitcnt lgkmcnt(0)
	v_fma_f32 v57, -v222, v0, v57
	v_mov_b32_e32 v56, v39
	v_mov_b32_e32 v234, v38
	scratch_store_dwordx4 off, v[60:63], s4 ; 16-byte Folded Spill
	s_nop 0
	scratch_store_dwordx4 off, v[64:67], s4 offset:16 ; 16-byte Folded Spill
	scratch_store_dwordx4 off, v[68:71], s4 offset:32 ; 16-byte Folded Spill
	scratch_store_dwordx4 off, v[72:75], s4 offset:48 ; 16-byte Folded Spill
	scratch_store_dwordx4 off, v[76:79], s4 offset:64 ; 16-byte Folded Spill
	scratch_store_dwordx4 off, v[80:83], s4 offset:80 ; 16-byte Folded Spill
	scratch_store_dwordx4 off, v[84:87], s4 offset:96 ; 16-byte Folded Spill
	scratch_store_dwordx4 off, v[88:91], s4 offset:112 ; 16-byte Folded Spill
	v_mov_b32_e32 v66, v52
	s_movk_i32 s4, 0x1210
	scratch_store_dwordx4 off, v[60:63], s4 ; 16-byte Folded Spill
	s_nop 0
	scratch_store_dwordx4 off, v[64:67], s4 offset:16 ; 16-byte Folded Spill
	scratch_store_dwordx4 off, v[68:71], s4 offset:32 ; 16-byte Folded Spill
	scratch_store_dwordx4 off, v[72:75], s4 offset:48 ; 16-byte Folded Spill
	scratch_store_dwordx4 off, v[76:79], s4 offset:64 ; 16-byte Folded Spill
	scratch_store_dwordx4 off, v[80:83], s4 offset:80 ; 16-byte Folded Spill
	scratch_store_dwordx4 off, v[84:87], s4 offset:96 ; 16-byte Folded Spill
	scratch_store_dwordx4 off, v[88:91], s4 offset:112 ; 16-byte Folded Spill
	v_mov_b32_e32 v67, v53
	s_movk_i32 s4, 0x1594
	;; [unrolled: 11-line block ×5, first 2 shown]
	scratch_store_dwordx4 off, v[60:63], off offset:2960 ; 16-byte Folded Spill
	s_nop 0
	scratch_store_dwordx4 off, v[64:67], off offset:2976 ; 16-byte Folded Spill
	scratch_store_dwordx4 off, v[68:71], off offset:2992 ; 16-byte Folded Spill
	;; [unrolled: 1-line block ×7, first 2 shown]
	v_mov_b32_e32 v71, v49
	scratch_store_dwordx4 off, v[60:63], s4 ; 16-byte Folded Spill
	s_nop 0
	scratch_store_dwordx4 off, v[64:67], s4 offset:16 ; 16-byte Folded Spill
	scratch_store_dwordx4 off, v[68:71], s4 offset:32 ; 16-byte Folded Spill
	;; [unrolled: 1-line block ×7, first 2 shown]
	v_mov_b32_e32 v72, v46
	scratch_store_dwordx4 off, v[60:63], off offset:2448 ; 16-byte Folded Spill
	s_nop 0
	scratch_store_dwordx4 off, v[64:67], off offset:2464 ; 16-byte Folded Spill
	scratch_store_dwordx4 off, v[68:71], off offset:2480 ; 16-byte Folded Spill
	scratch_store_dwordx4 off, v[72:75], off offset:2496 ; 16-byte Folded Spill
	scratch_store_dwordx4 off, v[76:79], off offset:2512 ; 16-byte Folded Spill
	scratch_store_dwordx4 off, v[80:83], off offset:2528 ; 16-byte Folded Spill
	scratch_store_dwordx4 off, v[84:87], off offset:2544 ; 16-byte Folded Spill
	scratch_store_dwordx4 off, v[88:91], off offset:2560 ; 16-byte Folded Spill
	v_mov_b32_e32 v73, v47
	scratch_store_dwordx4 off, v[60:63], off offset:3472 ; 16-byte Folded Spill
	s_nop 0
	scratch_store_dwordx4 off, v[64:67], off offset:3488 ; 16-byte Folded Spill
	scratch_store_dwordx4 off, v[68:71], off offset:3504 ; 16-byte Folded Spill
	scratch_store_dwordx4 off, v[72:75], off offset:3520 ; 16-byte Folded Spill
	scratch_store_dwordx4 off, v[76:79], off offset:3536 ; 16-byte Folded Spill
	scratch_store_dwordx4 off, v[80:83], off offset:3552 ; 16-byte Folded Spill
	scratch_store_dwordx4 off, v[84:87], off offset:3568 ; 16-byte Folded Spill
	scratch_store_dwordx4 off, v[88:91], off offset:3584 ; 16-byte Folded Spill
	;; [unrolled: 10-line block ×12, first 2 shown]
	s_nop 0
	v_mov_b32_e32 v84, v32
	scratch_store_dwordx4 off, v[60:63], off offset:272 ; 16-byte Folded Spill
	s_nop 0
	scratch_store_dwordx4 off, v[64:67], off offset:288 ; 16-byte Folded Spill
	scratch_store_dwordx4 off, v[68:71], off offset:304 ; 16-byte Folded Spill
	scratch_store_dwordx4 off, v[72:75], off offset:320 ; 16-byte Folded Spill
	scratch_store_dwordx4 off, v[76:79], off offset:336 ; 16-byte Folded Spill
	scratch_store_dwordx4 off, v[80:83], off offset:352 ; 16-byte Folded Spill
	scratch_store_dwordx4 off, v[84:87], off offset:368 ; 16-byte Folded Spill
	scratch_store_dwordx4 off, v[88:91], off offset:384 ; 16-byte Folded Spill
	s_nop 0
	v_mov_b32_e32 v85, v33
	scratch_store_dwordx4 off, v[60:63], off offset:1040 ; 16-byte Folded Spill
	s_nop 0
	scratch_store_dwordx4 off, v[64:67], off offset:1056 ; 16-byte Folded Spill
	scratch_store_dwordx4 off, v[68:71], off offset:1072 ; 16-byte Folded Spill
	scratch_store_dwordx4 off, v[72:75], off offset:1088 ; 16-byte Folded Spill
	scratch_store_dwordx4 off, v[76:79], off offset:1104 ; 16-byte Folded Spill
	scratch_store_dwordx4 off, v[80:83], off offset:1120 ; 16-byte Folded Spill
	scratch_store_dwordx4 off, v[84:87], off offset:1136 ; 16-byte Folded Spill
	scratch_store_dwordx4 off, v[88:91], off offset:1152 ; 16-byte Folded Spill
	;; [unrolled: 11-line block ×5, first 2 shown]
	s_nop 1
	v_mov_b32_e32 v89, v39
	v_mov_b32_e32 v90, v57
	;; [unrolled: 1-line block ×3, first 2 shown]
	scratch_store_dwordx4 off, v[60:63], off offset:4 ; 16-byte Folded Spill
	s_nop 0
	scratch_store_dwordx4 off, v[64:67], off offset:20 ; 16-byte Folded Spill
	scratch_store_dwordx4 off, v[68:71], off offset:36 ; 16-byte Folded Spill
	;; [unrolled: 1-line block ×7, first 2 shown]
	scratch_store_dwordx2 off, v[56:57], off offset:132 ; 8-byte Folded Spill
	scratch_store_dwordx4 off, v[38:41], off offset:1424 ; 16-byte Folded Spill
	s_nop 0
	scratch_store_dwordx4 off, v[42:45], off offset:1440 ; 16-byte Folded Spill
	scratch_store_dwordx4 off, v[46:49], off offset:1456 ; 16-byte Folded Spill
	;; [unrolled: 1-line block ×7, first 2 shown]
	v_mov_b32_e32 v119, v49
	v_mov_b32_e32 v144, v46
	;; [unrolled: 1-line block ×8, first 2 shown]
.LBB61_13:
	s_or_b64 exec, exec, s[2:3]
	s_movk_i32 s2, 0x1894
	s_waitcnt vmcnt(63) expcnt(7) lgkmcnt(15)
	s_barrier
	scratch_load_dword v254, off, s2        ; 4-byte Folded Reload
	s_waitcnt vmcnt(0)
	v_cmp_eq_u32_e32 vcc, 2, v254
	s_mov_b64 s[2:3], exec
	s_movk_i32 s8, 0x1290
	scratch_load_dword v255, off, s8        ; 4-byte Folded Reload
	s_and_b64 s[4:5], s[2:3], vcc
	s_mov_b64 exec, s[4:5]
	s_cbranch_execz .LBB61_16
; %bb.14:
	s_waitcnt vmcnt(0)
	ds_write_b32 v255, v58
	scratch_load_dwordx4 v[60:63], off, off offset:4 ; 16-byte Folded Reload
	scratch_load_dwordx4 v[64:67], off, off offset:20 ; 16-byte Folded Reload
	;; [unrolled: 1-line block ×8, first 2 shown]
	scratch_load_dword v28, off, off offset:140 ; 4-byte Folded Reload
	s_waitcnt vmcnt(0)
	ds_write2_b32 v28, v63, v64 offset0:3 offset1:4
	ds_write2_b32 v28, v65, v66 offset0:5 offset1:6
	;; [unrolled: 1-line block ×14, first 2 shown]
	ds_read_b32 v28, v255
	s_waitcnt lgkmcnt(0)
	v_cmp_neq_f32_e32 vcc, 0, v28
	s_and_b64 exec, exec, vcc
	s_cbranch_execz .LBB61_16
; %bb.15:
	v_div_scale_f32 v29, s[4:5], v28, v28, 1.0
	v_rcp_f32_e32 v30, v29
	v_div_scale_f32 v31, vcc, 1.0, v28, 1.0
	v_fma_f32 v56, -v29, v30, 1.0
	v_fmac_f32_e32 v30, v56, v30
	v_mul_f32_e32 v56, v31, v30
	v_fma_f32 v57, -v29, v56, v31
	v_fmac_f32_e32 v56, v57, v30
	v_fma_f32 v29, -v29, v56, v31
	v_div_fmas_f32 v29, v29, v30, v56
	v_div_fixup_f32 v28, v29, v28, 1.0
	ds_write_b32 v255, v28
.LBB61_16:
	s_or_b64 exec, exec, s[2:3]
	s_waitcnt lgkmcnt(0)
	s_barrier
	s_waitcnt vmcnt(0)
	ds_read_b32 v28, v255
	v_cmp_lt_u32_e32 vcc, 2, v254
	s_waitcnt lgkmcnt(0)
	scratch_store_dword off, v28, off offset:1808 ; 4-byte Folded Spill
	s_and_saveexec_b64 s[2:3], vcc
	s_cbranch_execz .LBB61_18
; %bb.17:
	scratch_load_dword v0, off, off offset:1808 ; 4-byte Folded Reload
	scratch_load_dword v10, off, off offset:140 ; 4-byte Folded Reload
	s_movk_i32 s4, 0x1714
	v_mov_b32_e32 v106, v150
	v_mov_b32_e32 v107, v151
	;; [unrolled: 1-line block ×6, first 2 shown]
	s_waitcnt vmcnt(1)
	v_mul_f32_e32 v152, v58, v0
	s_waitcnt vmcnt(0)
	ds_read2_b32 v[0:1], v10 offset0:3 offset1:4
	scratch_load_dwordx4 v[36:39], off, off offset:4 ; 16-byte Folded Reload
	scratch_load_dwordx4 v[40:43], off, off offset:20 ; 16-byte Folded Reload
	;; [unrolled: 1-line block ×8, first 2 shown]
	ds_read2_b32 v[4:5], v10 offset0:5 offset1:6
	ds_read2_b32 v[6:7], v10 offset0:7 offset1:8
	;; [unrolled: 1-line block ×3, first 2 shown]
	v_mov_b32_e32 v108, v152
	v_mov_b32_e32 v226, v152
	v_mov_b32_e32 v162, v152
	s_waitcnt vmcnt(3)
	v_mov_b32_e32 v210, v54
	v_mov_b32_e32 v196, v40
	;; [unrolled: 1-line block ×9, first 2 shown]
	s_waitcnt lgkmcnt(3)
	v_pk_fma_f32 v[28:29], v[152:153], v[0:1], v[2:3] op_sel_hi:[0,1,1] neg_lo:[1,0,0] neg_hi:[1,0,0]
	v_mov_b32_e32 v0, v197
	v_mov_b32_e32 v1, v198
	v_mov_b32_e32 v202, v46
	v_mov_b32_e32 v201, v45
	s_waitcnt vmcnt(0)
	v_mov_b32_e32 v222, v66
	s_waitcnt lgkmcnt(2)
	v_pk_fma_f32 v[30:31], v[152:153], v[4:5], v[0:1] op_sel_hi:[0,1,1] neg_lo:[1,0,0] neg_hi:[1,0,0]
	v_mov_b32_e32 v0, v199
	v_mov_b32_e32 v1, v200
	;; [unrolled: 1-line block ×13, first 2 shown]
	s_waitcnt lgkmcnt(1)
	v_pk_fma_f32 v[56:57], v[152:153], v[6:7], v[0:1] op_sel_hi:[0,1,1] neg_lo:[1,0,0] neg_hi:[1,0,0]
	v_mov_b32_e32 v0, v201
	v_mov_b32_e32 v1, v202
	s_waitcnt lgkmcnt(0)
	v_pk_fma_f32 v[58:59], v[152:153], v[8:9], v[0:1] op_sel_hi:[0,1,1] neg_lo:[1,0,0] neg_hi:[1,0,0]
	ds_read2_b32 v[0:1], v10 offset0:11 offset1:12
	v_mov_b32_e32 v204, v48
	v_mov_b32_e32 v203, v47
	ds_read2_b32 v[4:5], v10 offset0:13 offset1:14
	ds_read2_b32 v[6:7], v10 offset0:15 offset1:16
	;; [unrolled: 1-line block ×3, first 2 shown]
	v_mov_b32_e32 v206, v50
	v_mov_b32_e32 v205, v49
	v_mov_b32_e32 v2, v203
	v_mov_b32_e32 v3, v204
	v_mov_b32_e32 v208, v52
	v_mov_b32_e32 v207, v51
	s_waitcnt lgkmcnt(3)
	v_pk_fma_f32 v[60:61], v[152:153], v[0:1], v[2:3] op_sel_hi:[0,1,1] neg_lo:[1,0,0] neg_hi:[1,0,0]
	v_mov_b32_e32 v0, v205
	v_mov_b32_e32 v1, v206
	;; [unrolled: 1-line block ×3, first 2 shown]
	s_waitcnt lgkmcnt(2)
	v_pk_fma_f32 v[62:63], v[152:153], v[4:5], v[0:1] op_sel_hi:[0,1,1] neg_lo:[1,0,0] neg_hi:[1,0,0]
	v_mov_b32_e32 v0, v207
	v_mov_b32_e32 v1, v208
	s_waitcnt lgkmcnt(1)
	v_pk_fma_f32 v[92:93], v[152:153], v[6:7], v[0:1] op_sel_hi:[0,1,1] neg_lo:[1,0,0] neg_hi:[1,0,0]
	v_mov_b32_e32 v0, v209
	v_mov_b32_e32 v1, v210
	s_waitcnt lgkmcnt(0)
	v_pk_fma_f32 v[94:95], v[152:153], v[8:9], v[0:1] op_sel_hi:[0,1,1] neg_lo:[1,0,0] neg_hi:[1,0,0]
	ds_read2_b32 v[0:1], v10 offset0:19 offset1:20
	ds_read2_b32 v[4:5], v10 offset0:21 offset1:22
	;; [unrolled: 1-line block ×4, first 2 shown]
	v_mov_b32_e32 v2, v211
	v_mov_b32_e32 v3, v212
	;; [unrolled: 1-line block ×3, first 2 shown]
	s_waitcnt lgkmcnt(3)
	v_pk_fma_f32 v[122:123], v[152:153], v[0:1], v[2:3] op_sel_hi:[0,1,1] neg_lo:[1,0,0] neg_hi:[1,0,0]
	v_mov_b32_e32 v0, v213
	v_mov_b32_e32 v1, v214
	ds_read2_b32 v[2:3], v10 offset0:27 offset1:28
	s_waitcnt lgkmcnt(3)
	v_pk_fma_f32 v[124:125], v[152:153], v[4:5], v[0:1] op_sel_hi:[0,1,1] neg_lo:[1,0,0] neg_hi:[1,0,0]
	ds_read2_b32 v[4:5], v10 offset0:29 offset1:30
	v_mov_b32_e32 v0, v215
	v_mov_b32_e32 v1, v216
	s_waitcnt lgkmcnt(3)
	v_pk_fma_f32 v[126:127], v[152:153], v[6:7], v[0:1] op_sel_hi:[0,1,1] neg_lo:[1,0,0] neg_hi:[1,0,0]
	v_mov_b32_e32 v0, v217
	v_mov_b32_e32 v1, v218
	s_waitcnt lgkmcnt(2)
	v_pk_fma_f32 v[158:159], v[152:153], v[8:9], v[0:1] op_sel_hi:[0,1,1] neg_lo:[1,0,0] neg_hi:[1,0,0]
	;; [unrolled: 4-line block ×4, first 2 shown]
	v_mov_b32_e32 v0, v150
	v_mov_b32_e32 v1, v151
	;; [unrolled: 1-line block ×6, first 2 shown]
	scratch_store_dwordx4 off, v[0:3], s4   ; 16-byte Folded Spill
	s_nop 0
	scratch_store_dwordx4 off, v[4:7], s4 offset:16 ; 16-byte Folded Spill
	scratch_store_dwordx4 off, v[8:11], s4 offset:32 ; 16-byte Folded Spill
	;; [unrolled: 1-line block ×7, first 2 shown]
	s_movk_i32 s4, 0x1794
	v_mov_b32_e32 v114, v57
	v_mov_b32_e32 v115, v58
	;; [unrolled: 1-line block ×38, first 2 shown]
	scratch_store_dwordx4 off, v[0:3], s4   ; 16-byte Folded Spill
	s_nop 0
	scratch_store_dwordx4 off, v[4:7], s4 offset:16 ; 16-byte Folded Spill
	scratch_store_dwordx4 off, v[8:11], s4 offset:32 ; 16-byte Folded Spill
	;; [unrolled: 1-line block ×7, first 2 shown]
	s_movk_i32 s4, 0x1210
	v_mov_b32_e32 v6, v31
	scratch_store_dwordx4 off, v[0:3], s4   ; 16-byte Folded Spill
	s_nop 0
	scratch_store_dwordx4 off, v[4:7], s4 offset:16 ; 16-byte Folded Spill
	scratch_store_dwordx4 off, v[8:11], s4 offset:32 ; 16-byte Folded Spill
	scratch_store_dwordx4 off, v[12:15], s4 offset:48 ; 16-byte Folded Spill
	scratch_store_dwordx4 off, v[16:19], s4 offset:64 ; 16-byte Folded Spill
	scratch_store_dwordx4 off, v[20:23], s4 offset:80 ; 16-byte Folded Spill
	scratch_store_dwordx4 off, v[24:27], s4 offset:96 ; 16-byte Folded Spill
	scratch_store_dwordx4 off, v[28:31], s4 offset:112 ; 16-byte Folded Spill
	v_mov_b32_e32 v7, v56
	s_movk_i32 s4, 0x1594
	scratch_store_dwordx4 off, v[0:3], s4   ; 16-byte Folded Spill
	s_nop 0
	scratch_store_dwordx4 off, v[4:7], s4 offset:16 ; 16-byte Folded Spill
	scratch_store_dwordx4 off, v[8:11], s4 offset:32 ; 16-byte Folded Spill
	scratch_store_dwordx4 off, v[12:15], s4 offset:48 ; 16-byte Folded Spill
	scratch_store_dwordx4 off, v[16:19], s4 offset:64 ; 16-byte Folded Spill
	scratch_store_dwordx4 off, v[20:23], s4 offset:80 ; 16-byte Folded Spill
	scratch_store_dwordx4 off, v[24:27], s4 offset:96 ; 16-byte Folded Spill
	scratch_store_dwordx4 off, v[28:31], s4 offset:112 ; 16-byte Folded Spill
	v_mov_b32_e32 v8, v57
	s_movk_i32 s4, 0xf90
	;; [unrolled: 11-line block ×4, first 2 shown]
	scratch_store_dwordx4 off, v[0:3], off offset:2960 ; 16-byte Folded Spill
	s_nop 0
	scratch_store_dwordx4 off, v[4:7], off offset:2976 ; 16-byte Folded Spill
	scratch_store_dwordx4 off, v[8:11], off offset:2992 ; 16-byte Folded Spill
	;; [unrolled: 1-line block ×7, first 2 shown]
	v_mov_b32_e32 v11, v60
	scratch_store_dwordx4 off, v[0:3], s4   ; 16-byte Folded Spill
	s_nop 0
	scratch_store_dwordx4 off, v[4:7], s4 offset:16 ; 16-byte Folded Spill
	scratch_store_dwordx4 off, v[8:11], s4 offset:32 ; 16-byte Folded Spill
	;; [unrolled: 1-line block ×7, first 2 shown]
	v_mov_b32_e32 v12, v61
	v_mov_b32_e32 v13, v62
	s_movk_i32 s4, 0x1898
	v_mov_b32_e32 v109, v28
	v_mov_b32_e32 v110, v29
	;; [unrolled: 1-line block ×4, first 2 shown]
	scratch_store_dwordx4 off, v[106:109], off offset:2448 ; 16-byte Folded Spill
	s_nop 0
	scratch_store_dwordx4 off, v[110:113], off offset:2464 ; 16-byte Folded Spill
	scratch_store_dwordx4 off, v[114:117], off offset:2480 ; 16-byte Folded Spill
	scratch_store_dwordx4 off, v[118:121], off offset:2496 ; 16-byte Folded Spill
	scratch_store_dwordx4 off, v[122:125], off offset:2512 ; 16-byte Folded Spill
	scratch_store_dwordx4 off, v[126:129], off offset:2528 ; 16-byte Folded Spill
	scratch_store_dwordx4 off, v[130:133], off offset:2544 ; 16-byte Folded Spill
	scratch_store_dwordx4 off, v[134:137], off offset:2560 ; 16-byte Folded Spill
	scratch_store_dwordx4 off, v[0:3], off offset:3472 ; 16-byte Folded Spill
	s_nop 0
	scratch_store_dwordx4 off, v[4:7], off offset:3488 ; 16-byte Folded Spill
	scratch_store_dwordx4 off, v[8:11], off offset:3504 ; 16-byte Folded Spill
	;; [unrolled: 1-line block ×7, first 2 shown]
	v_mov_b32_e32 v14, v63
	v_mov_b32_e32 v119, v60
	;; [unrolled: 1-line block ×3, first 2 shown]
	scratch_store_dwordx4 off, v[0:3], off offset:1680 ; 16-byte Folded Spill
	s_nop 0
	scratch_store_dwordx4 off, v[4:7], off offset:1696 ; 16-byte Folded Spill
	scratch_store_dwordx4 off, v[8:11], off offset:1712 ; 16-byte Folded Spill
	;; [unrolled: 1-line block ×7, first 2 shown]
	v_mov_b32_e32 v15, v92
	v_mov_b32_e32 v243, v122
	;; [unrolled: 1-line block ×9, first 2 shown]
	scratch_store_dwordx4 off, v[0:3], off offset:3088 ; 16-byte Folded Spill
	s_nop 0
	scratch_store_dwordx4 off, v[4:7], off offset:3104 ; 16-byte Folded Spill
	scratch_store_dwordx4 off, v[8:11], off offset:3120 ; 16-byte Folded Spill
	;; [unrolled: 1-line block ×7, first 2 shown]
	v_mov_b32_e32 v16, v93
	v_mov_b32_e32 v181, v124
	;; [unrolled: 1-line block ×8, first 2 shown]
	scratch_store_dwordx4 off, v[0:3], off offset:1168 ; 16-byte Folded Spill
	s_nop 0
	scratch_store_dwordx4 off, v[4:7], off offset:1184 ; 16-byte Folded Spill
	scratch_store_dwordx4 off, v[8:11], off offset:1200 ; 16-byte Folded Spill
	scratch_store_dwordx4 off, v[12:15], off offset:1216 ; 16-byte Folded Spill
	scratch_store_dwordx4 off, v[16:19], off offset:1232 ; 16-byte Folded Spill
	scratch_store_dwordx4 off, v[20:23], off offset:1248 ; 16-byte Folded Spill
	scratch_store_dwordx4 off, v[24:27], off offset:1264 ; 16-byte Folded Spill
	scratch_store_dwordx4 off, v[28:31], off offset:1280 ; 16-byte Folded Spill
	v_mov_b32_e32 v17, v94
	scratch_store_dwordx4 off, v[0:3], off offset:2576 ; 16-byte Folded Spill
	s_nop 0
	scratch_store_dwordx4 off, v[4:7], off offset:2592 ; 16-byte Folded Spill
	scratch_store_dwordx4 off, v[8:11], off offset:2608 ; 16-byte Folded Spill
	scratch_store_dwordx4 off, v[12:15], off offset:2624 ; 16-byte Folded Spill
	scratch_store_dwordx4 off, v[16:19], off offset:2640 ; 16-byte Folded Spill
	scratch_store_dwordx4 off, v[20:23], off offset:2656 ; 16-byte Folded Spill
	scratch_store_dwordx4 off, v[24:27], off offset:2672 ; 16-byte Folded Spill
	scratch_store_dwordx4 off, v[28:31], off offset:2688 ; 16-byte Folded Spill
	v_mov_b32_e32 v18, v95
	;; [unrolled: 10-line block ×7, first 2 shown]
	scratch_store_dwordx4 off, v[0:3], off offset:1296 ; 16-byte Folded Spill
	s_nop 0
	scratch_store_dwordx4 off, v[4:7], off offset:1312 ; 16-byte Folded Spill
	scratch_store_dwordx4 off, v[8:11], off offset:1328 ; 16-byte Folded Spill
	;; [unrolled: 1-line block ×7, first 2 shown]
	s_nop 0
	v_mov_b32_e32 v24, v127
	v_mov_b32_e32 v25, v158
	;; [unrolled: 1-line block ×6, first 2 shown]
	scratch_store_dwordx4 off, v[224:227], off offset:272 ; 16-byte Folded Spill
	s_nop 0
	scratch_store_dwordx4 off, v[228:231], off offset:288 ; 16-byte Folded Spill
	scratch_store_dwordx4 off, v[232:235], off offset:304 ; 16-byte Folded Spill
	;; [unrolled: 1-line block ×8, first 2 shown]
	s_nop 0
	scratch_store_dwordx4 off, v[4:7], off offset:1056 ; 16-byte Folded Spill
	scratch_store_dwordx4 off, v[8:11], off offset:1072 ; 16-byte Folded Spill
	;; [unrolled: 1-line block ×7, first 2 shown]
	v_mov_b32_e32 v234, v129
	v_mov_b32_e32 v26, v159
	scratch_store_dwordx4 off, v[0:3], off offset:144 ; 16-byte Folded Spill
	s_nop 0
	scratch_store_dwordx4 off, v[4:7], off offset:160 ; 16-byte Folded Spill
	scratch_store_dwordx4 off, v[8:11], off offset:176 ; 16-byte Folded Spill
	;; [unrolled: 1-line block ×7, first 2 shown]
	s_nop 0
	v_mov_b32_e32 v27, v128
	scratch_store_dwordx4 off, v[0:3], off offset:912 ; 16-byte Folded Spill
	s_nop 0
	scratch_store_dwordx4 off, v[4:7], off offset:928 ; 16-byte Folded Spill
	scratch_store_dwordx4 off, v[8:11], off offset:944 ; 16-byte Folded Spill
	;; [unrolled: 1-line block ×7, first 2 shown]
	v_mov_b32_e32 v163, v28
	v_mov_b32_e32 v164, v29
	v_mov_b32_e32 v165, v30
	v_mov_b32_e32 v166, v31
	scratch_store_dwordx4 off, v[160:163], off offset:784 ; 16-byte Folded Spill
	s_nop 0
	scratch_store_dwordx4 off, v[164:167], off offset:800 ; 16-byte Folded Spill
	scratch_store_dwordx4 off, v[168:171], off offset:816 ; 16-byte Folded Spill
	;; [unrolled: 1-line block ×7, first 2 shown]
	scratch_store_dwordx2 off, v[130:131], off offset:132 ; 8-byte Folded Spill
	v_mov_b32_e32 v39, v28
	v_mov_b32_e32 v189, v130
	;; [unrolled: 1-line block ×3, first 2 shown]
	scratch_store_dwordx4 off, v[160:163], off offset:4 ; 16-byte Folded Spill
	s_nop 0
	scratch_store_dwordx4 off, v[164:167], off offset:20 ; 16-byte Folded Spill
	scratch_store_dwordx4 off, v[168:171], off offset:36 ; 16-byte Folded Spill
	;; [unrolled: 1-line block ×7, first 2 shown]
	v_mov_b32_e32 v28, v59
	v_mov_b32_e32 v186, v29
	scratch_store_dwordx4 off, v[150:153], s4 ; 16-byte Folded Spill
	s_nop 0
	scratch_store_dwordx4 off, v[154:157], s4 offset:16 ; 16-byte Folded Spill
	scratch_store_dwordx4 off, v[158:161], s4 offset:32 ; 16-byte Folded Spill
	;; [unrolled: 1-line block ×7, first 2 shown]
	s_movk_i32 s4, 0x1918
	v_mov_b32_e32 v121, v30
	scratch_store_dwordx4 off, v[150:153], s4 ; 16-byte Folded Spill
	s_nop 0
	scratch_store_dwordx4 off, v[154:157], s4 offset:16 ; 16-byte Folded Spill
	scratch_store_dwordx4 off, v[158:161], s4 offset:32 ; 16-byte Folded Spill
	;; [unrolled: 1-line block ×7, first 2 shown]
	v_mov_b32_e32 v116, v31
	scratch_store_dwordx4 off, v[18:21], off offset:1424 ; 16-byte Folded Spill
	s_nop 0
	scratch_store_dwordx4 off, v[22:25], off offset:1440 ; 16-byte Folded Spill
	scratch_store_dwordx4 off, v[26:29], off offset:1456 ; 16-byte Folded Spill
	;; [unrolled: 1-line block ×7, first 2 shown]
	v_mov_b32_e32 v187, v62
	v_mov_b32_e32 v40, v95
	v_mov_b32_e32 v182, v123
	v_mov_b32_e32 v37, v124
	v_mov_b32_e32 v34, v125
	v_mov_b32_e32 v35, v126
	v_mov_b32_e32 v185, v128
	v_mov_b32_e32 v33, v158
	v_mov_b32_e32 v138, v159
.LBB61_18:
	s_or_b64 exec, exec, s[2:3]
	v_mov_b32_e32 v77, v37
	v_mov_b32_e32 v32, v40
	v_cmp_eq_u32_e32 vcc, 3, v254
	s_waitcnt vmcnt(63) expcnt(7) lgkmcnt(15)
	s_barrier
	s_and_saveexec_b64 s[2:3], vcc
	s_cbranch_execz .LBB61_21
; %bb.19:
	ds_write_b32 v255, v39
	scratch_load_dwordx4 v[78:81], off, off offset:4 ; 16-byte Folded Reload
	scratch_load_dwordx4 v[82:85], off, off offset:20 ; 16-byte Folded Reload
	;; [unrolled: 1-line block ×8, first 2 shown]
	scratch_load_dword v30, off, off offset:140 ; 4-byte Folded Reload
	s_waitcnt vmcnt(0)
	ds_write2_b32 v30, v82, v83 offset0:4 offset1:5
	ds_write2_b32 v30, v84, v85 offset0:6 offset1:7
	;; [unrolled: 1-line block ×13, first 2 shown]
	scratch_load_dwordx2 v[28:29], off, off offset:132 ; 8-byte Folded Reload
	s_waitcnt vmcnt(0)
	ds_write_b32 v30, v29 offset:120
	ds_read_b32 v28, v255
	s_waitcnt lgkmcnt(0)
	v_cmp_neq_f32_e32 vcc, 0, v28
	s_and_b64 exec, exec, vcc
	s_cbranch_execz .LBB61_21
; %bb.20:
	v_div_scale_f32 v29, s[4:5], v28, v28, 1.0
	v_rcp_f32_e32 v30, v29
	v_div_scale_f32 v31, vcc, 1.0, v28, 1.0
	v_fma_f32 v56, -v29, v30, 1.0
	v_fmac_f32_e32 v30, v56, v30
	v_mul_f32_e32 v56, v31, v30
	v_fma_f32 v57, -v29, v56, v31
	v_fmac_f32_e32 v56, v57, v30
	v_fma_f32 v29, -v29, v56, v31
	v_div_fmas_f32 v29, v29, v30, v56
	v_div_fixup_f32 v28, v29, v28, 1.0
	ds_write_b32 v255, v28
.LBB61_21:
	s_or_b64 exec, exec, s[2:3]
	s_waitcnt lgkmcnt(0)
	s_barrier
	ds_read_b32 v28, v255
	v_cmp_lt_u32_e32 vcc, 3, v254
	s_waitcnt lgkmcnt(0)
	scratch_store_dword off, v28, off offset:2320 ; 4-byte Folded Spill
	s_and_saveexec_b64 s[2:3], vcc
	s_cbranch_execz .LBB61_23
; %bb.22:
	scratch_load_dword v1, off, off offset:140 ; 4-byte Folded Reload
	s_movk_i32 s4, 0x1918
	s_waitcnt vmcnt(0)
	ds_read2_b32 v[2:3], v1 offset0:4 offset1:5
	ds_read2_b32 v[4:5], v1 offset0:6 offset1:7
	;; [unrolled: 1-line block ×3, first 2 shown]
	scratch_load_dword v0, off, off offset:2320 ; 4-byte Folded Reload
	ds_read2_b32 v[8:9], v1 offset0:10 offset1:11
	s_waitcnt vmcnt(0)
	v_mul_f32_e32 v0, v39, v0
	scratch_load_dwordx4 v[10:13], off, off offset:4 ; 16-byte Folded Reload
	scratch_load_dwordx4 v[14:17], off, off offset:20 ; 16-byte Folded Reload
	;; [unrolled: 1-line block ×8, first 2 shown]
	v_mov_b32_e32 v145, v0
	v_mov_b32_e32 v133, v0
	;; [unrolled: 1-line block ×3, first 2 shown]
	s_waitcnt vmcnt(3)
	v_mov_b64_e32 v[210:211], v[28:29]
	v_mov_b64_e32 v[196:197], v[14:15]
	s_waitcnt lgkmcnt(3)
	v_pk_fma_f32 v[42:43], v[0:1], v[2:3], v[196:197] op_sel_hi:[0,1,1] neg_lo:[1,0,0] neg_hi:[1,0,0]
	ds_read2_b32 v[2:3], v1 offset0:12 offset1:13
	v_mov_b64_e32 v[204:205], v[22:23]
	v_mov_b64_e32 v[202:203], v[20:21]
	;; [unrolled: 1-line block ×4, first 2 shown]
	s_waitcnt vmcnt(0)
	v_mov_b64_e32 v[220:221], v[38:39]
	v_mov_b64_e32 v[208:209], v[26:27]
	;; [unrolled: 1-line block ×7, first 2 shown]
	s_waitcnt lgkmcnt(3)
	v_pk_fma_f32 v[148:149], v[0:1], v[4:5], v[198:199] op_sel_hi:[0,1,1] neg_lo:[1,0,0] neg_hi:[1,0,0]
	s_waitcnt lgkmcnt(2)
	v_pk_fma_f32 v[138:139], v[0:1], v[6:7], v[200:201] op_sel_hi:[0,1,1] neg_lo:[1,0,0] neg_hi:[1,0,0]
	;; [unrolled: 2-line block ×3, first 2 shown]
	ds_read2_b32 v[4:5], v1 offset0:14 offset1:15
	ds_read2_b32 v[6:7], v1 offset0:16 offset1:17
	;; [unrolled: 1-line block ×3, first 2 shown]
	s_waitcnt lgkmcnt(3)
	v_pk_fma_f32 v[34:35], v[0:1], v[2:3], v[204:205] op_sel_hi:[0,1,1] neg_lo:[1,0,0] neg_hi:[1,0,0]
	ds_read2_b32 v[2:3], v1 offset0:20 offset1:21
	ds_read2_b32 v[10:11], v1 offset0:22 offset1:23
	ds_read2_b32 v[12:13], v1 offset0:24 offset1:25
	ds_read2_b32 v[14:15], v1 offset0:26 offset1:27
	ds_read2_b32 v[16:17], v1 offset0:28 offset1:29
	ds_read_b32 v1, v1 offset:120
	v_mov_b64_e32 v[200:201], v[34:35]
	v_mov_b32_e32 v136, v148
	v_mov_b32_e32 v137, v149
	s_waitcnt lgkmcnt(0)
	v_pk_fma_f32 v[40:41], v[0:1], v[4:5], v[206:207] op_sel_hi:[0,1,1] neg_lo:[1,0,0] neg_hi:[1,0,0]
	v_pk_fma_f32 v[36:37], v[0:1], v[6:7], v[208:209] op_sel_hi:[0,1,1] neg_lo:[1,0,0] neg_hi:[1,0,0]
	;; [unrolled: 1-line block ×8, first 2 shown]
	scratch_load_dwordx4 v[2:5], off, s4    ; 16-byte Folded Reload
	scratch_load_dwordx4 v[6:9], off, s4 offset:16 ; 16-byte Folded Reload
	scratch_load_dwordx4 v[10:13], off, s4 offset:32 ; 16-byte Folded Reload
	;; [unrolled: 1-line block ×7, first 2 shown]
	s_waitcnt vmcnt(4)
	v_mov_b64_e32 v[14:15], v[42:43]
	s_waitcnt vmcnt(2)
	v_mov_b32_e32 v25, v0
	v_mov_b32_e32 v13, v0
	;; [unrolled: 1-line block ×5, first 2 shown]
	s_movk_i32 s4, 0x1794
	v_mov_b32_e32 v24, v4
	v_mov_b32_e32 v23, v3
	v_mov_b32_e32 v22, v2
	v_mov_b32_e32 v10, v22
	v_mov_b32_e32 v11, v23
	v_mov_b32_e32 v12, v24
	scratch_store_dwordx4 off, v[2:5], s4   ; 16-byte Folded Spill
	s_nop 0
	scratch_store_dwordx4 off, v[6:9], s4 offset:16 ; 16-byte Folded Spill
	scratch_store_dwordx4 off, v[10:13], s4 offset:32 ; 16-byte Folded Spill
	;; [unrolled: 1-line block ×5, first 2 shown]
	s_waitcnt vmcnt(7)
	scratch_store_dwordx4 off, v[26:29], s4 offset:96 ; 16-byte Folded Spill
	s_waitcnt vmcnt(7)
	scratch_store_dwordx4 off, v[30:33], s4 offset:112 ; 16-byte Folded Spill
	v_mov_b32_e32 v8, v148
	v_mov_b32_e32 v9, v149
	s_movk_i32 s4, 0x1594
	v_mov_b32_e32 v142, v22
	v_mov_b32_e32 v143, v23
	;; [unrolled: 1-line block ×5, first 2 shown]
	scratch_store_dwordx4 off, v[2:5], s4   ; 16-byte Folded Spill
	s_nop 0
	scratch_store_dwordx4 off, v[6:9], s4 offset:16 ; 16-byte Folded Spill
	scratch_store_dwordx4 off, v[10:13], s4 offset:32 ; 16-byte Folded Spill
	;; [unrolled: 1-line block ×7, first 2 shown]
	s_movk_i32 s4, 0x1294
	v_mov_b64_e32 v[20:21], v[14:15]
	v_mov_b64_e32 v[18:19], v[12:13]
	;; [unrolled: 1-line block ×3, first 2 shown]
	v_mov_b32_e32 v10, v138
	v_mov_b32_e32 v11, v139
	;; [unrolled: 1-line block ×7, first 2 shown]
	scratch_store_dwordx4 off, v[2:5], s4   ; 16-byte Folded Spill
	s_nop 0
	scratch_store_dwordx4 off, v[6:9], s4 offset:16 ; 16-byte Folded Spill
	scratch_store_dwordx4 off, v[10:13], s4 offset:32 ; 16-byte Folded Spill
	;; [unrolled: 1-line block ×7, first 2 shown]
	v_mov_b64_e32 v[12:13], v[38:39]
	s_movk_i32 s4, 0x1010
	v_mov_b32_e32 v6, v20
	v_mov_b32_e32 v7, v21
	v_mov_b64_e32 v[86:87], v[12:13]
	v_mov_b64_e32 v[204:205], v[24:25]
	;; [unrolled: 1-line block ×8, first 2 shown]
	scratch_store_dwordx4 off, v[2:5], s4   ; 16-byte Folded Spill
	s_nop 0
	scratch_store_dwordx4 off, v[6:9], s4 offset:16 ; 16-byte Folded Spill
	scratch_store_dwordx4 off, v[10:13], s4 offset:32 ; 16-byte Folded Spill
	;; [unrolled: 1-line block ×7, first 2 shown]
	v_mov_b32_e32 v12, v86
	v_mov_b32_e32 v13, v87
	;; [unrolled: 1-line block ×7, first 2 shown]
	s_movk_i32 s4, 0x1714
	v_mov_b64_e32 v[22:23], v[20:21]
	v_mov_b64_e32 v[198:199], v[12:13]
	;; [unrolled: 1-line block ×9, first 2 shown]
	v_mov_b32_e32 v6, v22
	v_mov_b32_e32 v7, v23
	scratch_store_dwordx4 off, v[2:5], off offset:3472 ; 16-byte Folded Spill
	s_nop 0
	scratch_store_dwordx4 off, v[6:9], off offset:3488 ; 16-byte Folded Spill
	scratch_store_dwordx4 off, v[10:13], off offset:3504 ; 16-byte Folded Spill
	;; [unrolled: 1-line block ×7, first 2 shown]
	v_mov_b64_e32 v[16:17], v[40:41]
	v_mov_b32_e32 v14, v200
	v_mov_b64_e32 v[102:103], v[16:17]
	v_mov_b64_e32 v[128:129], v[22:23]
	;; [unrolled: 1-line block ×11, first 2 shown]
	scratch_store_dwordx4 off, v[2:5], off offset:3088 ; 16-byte Folded Spill
	s_nop 0
	scratch_store_dwordx4 off, v[6:9], off offset:3104 ; 16-byte Folded Spill
	scratch_store_dwordx4 off, v[10:13], off offset:3120 ; 16-byte Folded Spill
	;; [unrolled: 1-line block ×7, first 2 shown]
	v_mov_b32_e32 v16, v102
	v_mov_b32_e32 v17, v103
	v_mov_b64_e32 v[18:19], v[36:37]
	v_mov_b32_e32 v6, v128
	v_mov_b32_e32 v7, v129
	v_mov_b64_e32 v[46:47], v[18:19]
	v_mov_b64_e32 v[210:211], v[128:129]
	;; [unrolled: 1-line block ×12, first 2 shown]
	scratch_store_dwordx4 off, v[2:5], off offset:2576 ; 16-byte Folded Spill
	s_nop 0
	scratch_store_dwordx4 off, v[6:9], off offset:2592 ; 16-byte Folded Spill
	scratch_store_dwordx4 off, v[10:13], off offset:2608 ; 16-byte Folded Spill
	;; [unrolled: 1-line block ×7, first 2 shown]
	v_mov_b64_e32 v[20:21], v[54:55]
	v_mov_b64_e32 v[118:119], v[16:17]
	;; [unrolled: 1-line block ×9, first 2 shown]
	scratch_store_dwordx4 off, v[2:5], off offset:1936 ; 16-byte Folded Spill
	s_nop 0
	scratch_store_dwordx4 off, v[6:9], off offset:1952 ; 16-byte Folded Spill
	scratch_store_dwordx4 off, v[10:13], off offset:1968 ; 16-byte Folded Spill
	;; [unrolled: 1-line block ×7, first 2 shown]
	v_mov_b64_e32 v[22:23], v[56:57]
	v_mov_b64_e32 v[164:165], v[16:17]
	v_mov_b64_e32 v[162:163], v[14:15]
	v_mov_b64_e32 v[160:161], v[12:13]
	v_mov_b64_e32 v[158:159], v[10:11]
	v_mov_b64_e32 v[156:157], v[8:9]
	v_mov_b64_e32 v[154:155], v[6:7]
	v_mov_b64_e32 v[152:153], v[4:5]
	v_mov_b64_e32 v[150:151], v[2:3]
	scratch_store_dwordx4 off, v[2:5], off offset:1552 ; 16-byte Folded Spill
	s_nop 0
	scratch_store_dwordx4 off, v[6:9], off offset:1568 ; 16-byte Folded Spill
	scratch_store_dwordx4 off, v[10:13], off offset:1584 ; 16-byte Folded Spill
	;; [unrolled: 1-line block ×7, first 2 shown]
	v_mov_b64_e32 v[24:25], v[52:53]
	v_mov_b32_e32 v155, v0
	v_mov_b64_e32 v[66:67], v[16:17]
	v_mov_b64_e32 v[74:75], v[24:25]
	;; [unrolled: 1-line block ×12, first 2 shown]
	scratch_store_dwordx4 off, v[2:5], off offset:1296 ; 16-byte Folded Spill
	s_nop 0
	scratch_store_dwordx4 off, v[6:9], off offset:1312 ; 16-byte Folded Spill
	scratch_store_dwordx4 off, v[10:13], off offset:1328 ; 16-byte Folded Spill
	;; [unrolled: 1-line block ×7, first 2 shown]
	v_mov_b64_e32 v[236:237], v[16:17]
	v_mov_b64_e32 v[26:27], v[50:51]
	;; [unrolled: 1-line block ×12, first 2 shown]
	scratch_store_dwordx4 off, v[2:5], off offset:1040 ; 16-byte Folded Spill
	s_nop 0
	scratch_store_dwordx4 off, v[6:9], off offset:1056 ; 16-byte Folded Spill
	scratch_store_dwordx4 off, v[10:13], off offset:1072 ; 16-byte Folded Spill
	scratch_store_dwordx4 off, v[14:17], off offset:1088 ; 16-byte Folded Spill
	scratch_store_dwordx4 off, v[18:21], off offset:1104 ; 16-byte Folded Spill
	scratch_store_dwordx4 off, v[22:25], off offset:1120 ; 16-byte Folded Spill
	scratch_store_dwordx4 off, v[26:29], off offset:1136 ; 16-byte Folded Spill
	scratch_store_dwordx4 off, v[30:33], off offset:1152 ; 16-byte Folded Spill
	scratch_store_dwordx4 off, v[222:225], off offset:400 ; 16-byte Folded Spill
	s_nop 0
	scratch_store_dwordx4 off, v[226:229], off offset:416 ; 16-byte Folded Spill
	scratch_store_dwordx4 off, v[230:233], off offset:432 ; 16-byte Folded Spill
	scratch_store_dwordx4 off, v[234:237], off offset:448 ; 16-byte Folded Spill
	scratch_store_dwordx4 off, v[238:241], off offset:464 ; 16-byte Folded Spill
	scratch_store_dwordx4 off, v[242:245], off offset:480 ; 16-byte Folded Spill
	scratch_store_dwordx4 off, v[246:249], off offset:496 ; 16-byte Folded Spill
	scratch_store_dwordx4 off, v[250:253], off offset:512 ; 16-byte Folded Spill
	;; [unrolled: 9-line block ×3, first 2 shown]
	v_mov_b64_e32 v[28:29], v[48:49]
	v_mov_b64_e32 v[180:181], v[26:27]
	;; [unrolled: 1-line block ×14, first 2 shown]
	scratch_store_dwordx4 off, v[2:5], off offset:144 ; 16-byte Folded Spill
	s_nop 0
	scratch_store_dwordx4 off, v[6:9], off offset:160 ; 16-byte Folded Spill
	scratch_store_dwordx4 off, v[10:13], off offset:176 ; 16-byte Folded Spill
	;; [unrolled: 1-line block ×7, first 2 shown]
	scratch_load_dwordx2 v[2:3], off, off offset:132 ; 8-byte Folded Reload
	s_nop 0
	scratch_store_dwordx4 off, v[76:79], off offset:2960 ; 16-byte Folded Spill
	s_nop 0
	scratch_store_dwordx4 off, v[80:83], off offset:2976 ; 16-byte Folded Spill
	scratch_store_dwordx4 off, v[84:87], off offset:2992 ; 16-byte Folded Spill
	;; [unrolled: 1-line block ×7, first 2 shown]
	s_waitcnt vmcnt(8)
	v_mov_b32_e32 v2, v204
	v_mov_b32_e32 v12, v200
	;; [unrolled: 1-line block ×11, first 2 shown]
	v_mov_b64_e32 v[70:71], v[44:45]
	v_mov_b64_e32 v[68:69], v[42:43]
	;; [unrolled: 1-line block ×8, first 2 shown]
	v_fma_f32 v182, -v0, v1, v3
	v_mov_b32_e32 v3, v0
	v_mov_b32_e32 v0, v202
	v_mov_b32_e32 v1, v203
	scratch_store_dwordx4 off, v[188:191], off offset:2448 ; 16-byte Folded Spill
	s_nop 0
	scratch_store_dwordx4 off, v[192:195], off offset:2464 ; 16-byte Folded Spill
	scratch_store_dwordx4 off, v[196:199], off offset:2480 ; 16-byte Folded Spill
	;; [unrolled: 1-line block ×8, first 2 shown]
	s_nop 0
	scratch_store_dwordx4 off, v[92:95], off offset:1696 ; 16-byte Folded Spill
	scratch_store_dwordx4 off, v[96:99], off offset:1712 ; 16-byte Folded Spill
	;; [unrolled: 1-line block ×7, first 2 shown]
	scratch_load_dwordx4 v[22:25], off, off offset:400 ; 16-byte Folded Reload
	scratch_load_dwordx4 v[26:29], off, off offset:416 ; 16-byte Folded Reload
	;; [unrolled: 1-line block ×8, first 2 shown]
	v_mov_b64_e32 v[232:233], v[20:21]
	v_mov_b32_e32 v10, v86
	v_mov_b32_e32 v11, v87
	v_mov_b64_e32 v[230:231], v[18:19]
	v_mov_b64_e32 v[72:73], v[18:19]
	v_mov_b32_e32 v18, v232
	v_mov_b32_e32 v19, v233
	;; [unrolled: 1-line block ×9, first 2 shown]
	v_mov_b64_e32 v[228:229], v[118:119]
	v_mov_b32_e32 v14, v102
	v_mov_b32_e32 v15, v103
	v_mov_b64_e32 v[226:227], v[116:117]
	v_mov_b64_e32 v[224:225], v[114:115]
	;; [unrolled: 1-line block ×7, first 2 shown]
	s_waitcnt vmcnt(2)
	v_mov_b32_e32 v20, v42
	v_mov_b32_e32 v21, v43
	scratch_load_dwordx4 v[22:25], off, off offset:656 ; 16-byte Folded Reload
	scratch_load_dwordx4 v[26:29], off, off offset:672 ; 16-byte Folded Reload
	scratch_load_dwordx4 v[30:33], off, off offset:688 ; 16-byte Folded Reload
	scratch_load_dwordx4 v[34:37], off, off offset:704 ; 16-byte Folded Reload
	scratch_load_dwordx4 v[38:41], off, off offset:720 ; 16-byte Folded Reload
	scratch_load_dwordx4 v[42:45], off, off offset:736 ; 16-byte Folded Reload
	scratch_load_dwordx4 v[46:49], off, off offset:752 ; 16-byte Folded Reload
	scratch_load_dwordx4 v[50:53], off, off offset:768 ; 16-byte Folded Reload
	scratch_load_dwordx4 v[74:77], off, off offset:144 ; 16-byte Folded Reload
	scratch_load_dwordx4 v[78:81], off, off offset:160 ; 16-byte Folded Reload
	scratch_load_dwordx4 v[82:85], off, off offset:176 ; 16-byte Folded Reload
	scratch_load_dwordx4 v[86:89], off, off offset:192 ; 16-byte Folded Reload
	scratch_load_dwordx4 v[90:93], off, off offset:208 ; 16-byte Folded Reload
	scratch_load_dwordx4 v[94:97], off, off offset:224 ; 16-byte Folded Reload
	scratch_load_dwordx4 v[98:101], off, off offset:240 ; 16-byte Folded Reload
	scratch_load_dwordx4 v[102:105], off, off offset:256 ; 16-byte Folded Reload
	s_waitcnt vmcnt(8)
	v_mov_b64_e32 v[48:49], v[202:203]
	v_mov_b64_e32 v[50:51], v[204:205]
	v_mov_b32_e32 v202, v232
	v_mov_b32_e32 v203, v233
	v_mov_b64_e32 v[46:47], v[72:73]
	v_mov_b32_e32 v200, v46
	v_mov_b32_e32 v201, v47
	v_mov_b64_e32 v[120:121], v[36:37]
	v_mov_b64_e32 v[118:119], v[34:35]
	;; [unrolled: 1-line block ×9, first 2 shown]
	v_mov_b32_e32 v22, v128
	v_mov_b32_e32 v23, v129
	;; [unrolled: 1-line block ×4, first 2 shown]
	s_waitcnt vmcnt(1)
	v_mov_b32_e32 v26, v100
	v_mov_b32_e32 v27, v101
	scratch_store_dwordx4 off, v[0:3], off offset:912 ; 16-byte Folded Spill
	s_nop 0
	scratch_store_dwordx4 off, v[4:7], off offset:928 ; 16-byte Folded Spill
	scratch_store_dwordx4 off, v[8:11], off offset:944 ; 16-byte Folded Spill
	;; [unrolled: 1-line block ×7, first 2 shown]
	v_mov_b64_e32 v[0:1], v[206:207]
	v_mov_b64_e32 v[2:3], v[208:209]
	;; [unrolled: 1-line block ×3, first 2 shown]
	scratch_store_dwordx4 off, v[0:3], s4   ; 16-byte Folded Spill
	s_nop 0
	scratch_store_dwordx4 off, v[4:7], s4 offset:16 ; 16-byte Folded Spill
	scratch_store_dwordx4 off, v[8:11], s4 offset:32 ; 16-byte Folded Spill
	;; [unrolled: 1-line block ×7, first 2 shown]
	v_mov_b64_e32 v[124:125], v[40:41]
	v_mov_b64_e32 v[122:123], v[38:39]
	s_waitcnt vmcnt(16)
	v_mov_b64_e32 v[102:103], v[106:107]
	v_mov_b64_e32 v[126:127], v[42:43]
	;; [unrolled: 1-line block ×10, first 2 shown]
	v_mov_b32_e32 v206, v128
	v_mov_b32_e32 v207, v129
	v_mov_b64_e32 v[120:121], v[124:125]
	v_mov_b64_e32 v[122:123], v[126:127]
	;; [unrolled: 1-line block ×5, first 2 shown]
	v_mov_b32_e32 v188, v4
	v_mov_b32_e32 v189, v5
	scratch_load_dwordx4 v[0:3], off, off offset:2960 ; 16-byte Folded Reload
	scratch_load_dwordx4 v[4:7], off, off offset:2976 ; 16-byte Folded Reload
	scratch_load_dwordx4 v[8:11], off, off offset:2992 ; 16-byte Folded Reload
	scratch_load_dwordx4 v[12:15], off, off offset:3008 ; 16-byte Folded Reload
	scratch_load_dwordx4 v[16:19], off, off offset:3024 ; 16-byte Folded Reload
	scratch_load_dwordx4 v[20:23], off, off offset:3040 ; 16-byte Folded Reload
	scratch_load_dwordx4 v[24:27], off, off offset:3056 ; 16-byte Folded Reload
	scratch_load_dwordx4 v[28:31], off, off offset:3072 ; 16-byte Folded Reload
	s_waitcnt vmcnt(5)
	v_mov_b32_e32 v194, v10
	v_mov_b32_e32 v195, v11
	scratch_load_dwordx4 v[0:3], off, off offset:2448 ; 16-byte Folded Reload
	scratch_load_dwordx4 v[4:7], off, off offset:2464 ; 16-byte Folded Reload
	scratch_load_dwordx4 v[8:11], off, off offset:2480 ; 16-byte Folded Reload
	scratch_load_dwordx4 v[12:15], off, off offset:2496 ; 16-byte Folded Reload
	scratch_load_dwordx4 v[16:19], off, off offset:2512 ; 16-byte Folded Reload
	scratch_load_dwordx4 v[20:23], off, off offset:2528 ; 16-byte Folded Reload
	scratch_load_dwordx4 v[24:27], off, off offset:2544 ; 16-byte Folded Reload
	scratch_load_dwordx4 v[28:31], off, off offset:2560 ; 16-byte Folded Reload
	s_waitcnt vmcnt(4)
	;; [unrolled: 11-line block ×3, first 2 shown]
	v_mov_b64_e32 v[30:31], v[56:57]
	scratch_store_dwordx4 off, v[214:217], off offset:528 ; 16-byte Folded Spill
	s_nop 0
	scratch_store_dwordx4 off, v[218:221], off offset:544 ; 16-byte Folded Spill
	scratch_store_dwordx4 off, v[222:225], off offset:560 ; 16-byte Folded Spill
	;; [unrolled: 1-line block ×7, first 2 shown]
	v_mov_b64_e32 v[26:27], v[48:49]
	v_mov_b64_e32 v[32:33], v[58:59]
	;; [unrolled: 1-line block ×8, first 2 shown]
	scratch_load_dwordx4 v[214:217], off, off offset:400 ; 16-byte Folded Reload
	scratch_load_dwordx4 v[218:221], off, off offset:416 ; 16-byte Folded Reload
	;; [unrolled: 1-line block ×8, first 2 shown]
	v_mov_b64_e32 v[28:29], v[50:51]
	scratch_load_dwordx4 v[48:51], off, s4  ; 16-byte Folded Reload
	scratch_load_dwordx4 v[52:55], off, s4 offset:16 ; 16-byte Folded Reload
	scratch_load_dwordx4 v[56:59], off, s4 offset:32 ; 16-byte Folded Reload
	;; [unrolled: 1-line block ×7, first 2 shown]
	v_mov_b32_e32 v152, v26
	v_mov_b32_e32 v153, v27
	v_mov_b32_e32 v154, v28
	s_movk_i32 s4, 0x1898
	v_mov_b32_e32 v198, v14
	v_mov_b32_e32 v199, v15
	v_mov_b64_e32 v[0:1], v[156:157]
	v_mov_b64_e32 v[2:3], v[158:159]
	;; [unrolled: 1-line block ×8, first 2 shown]
	v_mov_b32_e32 v168, v46
	s_waitcnt vmcnt(6)
	v_mov_b32_e32 v156, v52
	v_mov_b32_e32 v157, v53
	scratch_load_dwordx4 v[48:51], off, off offset:2960 ; 16-byte Folded Reload
	scratch_load_dwordx4 v[52:55], off, off offset:2976 ; 16-byte Folded Reload
	;; [unrolled: 1-line block ×8, first 2 shown]
	v_mov_b64_e32 v[16:17], v[230:231]
	v_mov_b64_e32 v[18:19], v[232:233]
	;; [unrolled: 1-line block ×3, first 2 shown]
	v_mov_b32_e32 v204, v20
	v_mov_b32_e32 v205, v21
	v_mov_b64_e32 v[16:17], v[172:173]
	v_mov_b64_e32 v[24:25], v[180:181]
	v_mov_b32_e32 v208, v24
	v_mov_b32_e32 v209, v25
	v_mov_b64_e32 v[230:231], v[208:209]
	v_mov_b64_e32 v[228:229], v[206:207]
	;; [unrolled: 1-line block ×5, first 2 shown]
	v_mov_b32_e32 v169, v47
	v_mov_b64_e32 v[18:19], v[174:175]
	v_mov_b64_e32 v[20:21], v[176:177]
	;; [unrolled: 1-line block ×3, first 2 shown]
	v_mov_b32_e32 v158, v148
	v_mov_b32_e32 v159, v149
	v_mov_b32_e32 v160, v138
	v_mov_b32_e32 v161, v139
	v_mov_b64_e32 v[234:235], v[212:213]
	v_mov_b32_e32 v176, v24
	v_mov_b32_e32 v177, v25
	;; [unrolled: 1-line block ×6, first 2 shown]
	v_mov_b64_e32 v[220:221], v[198:199]
	v_mov_b64_e32 v[218:219], v[196:197]
	;; [unrolled: 1-line block ×8, first 2 shown]
	s_waitcnt vmcnt(5)
	v_mov_b32_e32 v162, v58
	v_mov_b32_e32 v163, v59
	scratch_load_dwordx4 v[48:51], off, off offset:2448 ; 16-byte Folded Reload
	scratch_load_dwordx4 v[52:55], off, off offset:2464 ; 16-byte Folded Reload
	;; [unrolled: 1-line block ×8, first 2 shown]
	s_waitcnt vmcnt(4)
	v_mov_b64_e32 v[200:201], v[60:61]
	scratch_load_dwordx4 v[48:51], off, off offset:1680 ; 16-byte Folded Reload
	scratch_load_dwordx4 v[52:55], off, off offset:1696 ; 16-byte Folded Reload
	;; [unrolled: 1-line block ×8, first 2 shown]
	s_waitcnt vmcnt(1)
	v_mov_b64_e32 v[74:75], v[46:47]
	v_mov_b32_e32 v164, v200
	v_mov_b32_e32 v165, v201
	;; [unrolled: 1-line block ×4, first 2 shown]
	v_mov_b64_e32 v[72:73], v[44:45]
	v_mov_b64_e32 v[70:71], v[42:43]
	v_mov_b64_e32 v[68:69], v[40:41]
	v_mov_b64_e32 v[66:67], v[38:39]
	v_mov_b64_e32 v[64:65], v[36:37]
	v_mov_b64_e32 v[62:63], v[34:35]
	v_mov_b64_e32 v[60:61], v[32:33]
	v_mov_b64_e32 v[58:59], v[30:31]
	scratch_load_dwordx4 v[26:29], off, off offset:528 ; 16-byte Folded Reload
	scratch_load_dwordx4 v[30:33], off, off offset:544 ; 16-byte Folded Reload
	;; [unrolled: 1-line block ×8, first 2 shown]
	s_waitcnt vmcnt(3)
	v_mov_b64_e32 v[94:95], v[44:45]
	v_mov_b64_e32 v[92:93], v[42:43]
	scratch_load_dwordx4 v[26:29], off, off offset:400 ; 16-byte Folded Reload
	scratch_load_dwordx4 v[30:33], off, off offset:416 ; 16-byte Folded Reload
	;; [unrolled: 1-line block ×8, first 2 shown]
	v_mov_b32_e32 v170, v94
	v_mov_b32_e32 v171, v95
	v_mov_b64_e32 v[92:93], v[118:119]
	v_mov_b64_e32 v[98:99], v[124:125]
	v_mov_b32_e32 v174, v98
	v_mov_b32_e32 v175, v99
	v_mov_b64_e32 v[94:95], v[120:121]
	v_mov_b64_e32 v[96:97], v[122:123]
	s_waitcnt vmcnt(2)
	v_mov_b32_e32 v172, v46
	v_mov_b32_e32 v173, v47
	scratch_load_dwordx4 v[26:29], off, off offset:144 ; 16-byte Folded Reload
	scratch_load_dwordx4 v[30:33], off, off offset:160 ; 16-byte Folded Reload
	;; [unrolled: 1-line block ×8, first 2 shown]
	s_nop 0
	scratch_store_dwordx4 off, v[126:129], s4 ; 16-byte Folded Spill
	s_nop 0
	scratch_store_dwordx4 off, v[130:133], s4 offset:16 ; 16-byte Folded Spill
	scratch_store_dwordx4 off, v[134:137], s4 offset:32 ; 16-byte Folded Spill
	;; [unrolled: 1-line block ×7, first 2 shown]
	s_waitcnt vmcnt(15)
	v_mov_b32_e32 v28, v235
	v_mov_b32_e32 v29, v182
	s_movk_i32 s4, 0x1714
	v_mov_b64_e32 v[150:151], v[152:153]
	v_mov_b64_e32 v[152:153], v[154:155]
	;; [unrolled: 1-line block ×5, first 2 shown]
	s_waitcnt vmcnt(9)
	v_mov_b32_e32 v178, v52
	v_mov_b32_e32 v179, v53
	v_mov_b64_e32 v[160:161], v[162:163]
	v_mov_b64_e32 v[162:163], v[164:165]
	;; [unrolled: 1-line block ×9, first 2 shown]
	v_mov_b32_e32 v178, v180
	v_mov_b32_e32 v179, v181
	;; [unrolled: 1-line block ×3, first 2 shown]
	scratch_store_dwordx4 off, v[150:153], off offset:4 ; 16-byte Folded Spill
	s_nop 0
	scratch_store_dwordx4 off, v[154:157], off offset:20 ; 16-byte Folded Spill
	scratch_store_dwordx4 off, v[158:161], off offset:36 ; 16-byte Folded Spill
	;; [unrolled: 1-line block ×7, first 2 shown]
	scratch_store_dwordx2 off, v[28:29], off offset:132 ; 8-byte Folded Spill
	scratch_load_dwordx4 v[76:79], off, s4  ; 16-byte Folded Reload
	scratch_load_dwordx4 v[80:83], off, s4 offset:16 ; 16-byte Folded Reload
	scratch_load_dwordx4 v[84:87], off, s4 offset:32 ; 16-byte Folded Reload
	;; [unrolled: 1-line block ×7, first 2 shown]
	s_movk_i32 s4, 0x1210
	s_waitcnt vmcnt(0)
	v_mov_b32_e32 v106, v130
	v_mov_b32_e32 v116, v148
	scratch_store_dwordx4 off, v[142:145], s4 ; 16-byte Folded Spill
	s_nop 0
	scratch_store_dwordx4 off, v[146:149], s4 offset:16 ; 16-byte Folded Spill
	scratch_store_dwordx4 off, v[150:153], s4 offset:32 ; 16-byte Folded Spill
	;; [unrolled: 1-line block ×7, first 2 shown]
	v_mov_b32_e32 v120, v138
	v_mov_b32_e32 v107, v131
	v_mov_b64_e32 v[186:187], v[80:81]
	v_mov_b32_e32 v121, v187
	v_mov_b32_e32 v108, v132
	;; [unrolled: 1-line block ×8, first 2 shown]
	s_movk_i32 s4, 0xf90
	scratch_store_dwordx4 off, v[106:109], s4 ; 16-byte Folded Spill
	s_nop 0
	scratch_store_dwordx4 off, v[110:113], s4 offset:16 ; 16-byte Folded Spill
	scratch_store_dwordx4 off, v[114:117], s4 offset:32 ; 16-byte Folded Spill
	;; [unrolled: 1-line block ×7, first 2 shown]
	v_mov_b64_e32 v[184:185], v[78:79]
	v_mov_b64_e32 v[182:183], v[76:77]
	scratch_load_dwordx4 v[76:79], off, off offset:2960 ; 16-byte Folded Reload
	scratch_load_dwordx4 v[80:83], off, off offset:2976 ; 16-byte Folded Reload
	;; [unrolled: 1-line block ×8, first 2 shown]
	v_mov_b32_e32 v115, v139
	v_mov_b64_e32 v[168:169], v[200:201]
	v_mov_b32_e32 v144, v168
	v_mov_b32_e32 v187, v169
	s_waitcnt vmcnt(5)
	v_mov_b32_e32 v28, v86
	scratch_store_dwordx4 off, v[18:21], off offset:1424 ; 16-byte Folded Spill
	s_nop 0
	scratch_store_dwordx4 off, v[22:25], off offset:1440 ; 16-byte Folded Spill
	scratch_store_dwordx4 off, v[26:29], off offset:1456 ; 16-byte Folded Spill
	;; [unrolled: 1-line block ×7, first 2 shown]
	v_mov_b32_e32 v119, v87
	scratch_load_dwordx4 v[78:81], off, off offset:1680 ; 16-byte Folded Reload
	scratch_load_dwordx4 v[82:85], off, off offset:1696 ; 16-byte Folded Reload
	;; [unrolled: 1-line block ×8, first 2 shown]
	v_mov_b64_e32 v[30:31], v[58:59]
	v_mov_b64_e32 v[32:33], v[60:61]
	;; [unrolled: 1-line block ×9, first 2 shown]
	v_mov_b32_e32 v146, v46
	scratch_store_dwordx4 off, v[30:33], off offset:1168 ; 16-byte Folded Spill
	s_nop 0
	scratch_store_dwordx4 off, v[34:37], off offset:1184 ; 16-byte Folded Spill
	scratch_store_dwordx4 off, v[38:41], off offset:1200 ; 16-byte Folded Spill
	;; [unrolled: 1-line block ×7, first 2 shown]
	v_mov_b32_e32 v184, v24
	v_mov_b64_e32 v[52:53], v[222:223]
	v_mov_b64_e32 v[54:55], v[224:225]
	v_mov_b64_e32 v[56:57], v[226:227]
	s_waitcnt vmcnt(12)
	v_mov_b32_e32 v114, v92
	v_mov_b32_e32 v145, v93
	scratch_load_dwordx4 v[76:79], off, off offset:528 ; 16-byte Folded Reload
	scratch_load_dwordx4 v[80:83], off, off offset:544 ; 16-byte Folded Reload
	;; [unrolled: 1-line block ×8, first 2 shown]
	v_mov_b64_e32 v[58:59], v[228:229]
	v_mov_b64_e32 v[60:61], v[230:231]
	;; [unrolled: 1-line block ×3, first 2 shown]
	v_mov_b32_e32 v64, v234
	v_mov_b32_e32 v147, v47
	v_mov_b64_e32 v[36:37], v[206:207]
	v_mov_b64_e32 v[38:39], v[208:209]
	;; [unrolled: 1-line block ×8, first 2 shown]
	s_waitcnt vmcnt(3)
	v_mov_b64_e32 v[140:141], v[94:95]
	v_mov_b64_e32 v[138:139], v[92:93]
	scratch_load_dwordx4 v[76:79], off, off offset:400 ; 16-byte Folded Reload
	scratch_load_dwordx4 v[80:83], off, off offset:416 ; 16-byte Folded Reload
	;; [unrolled: 1-line block ×8, first 2 shown]
	v_mov_b32_e32 v32, v140
	v_mov_b32_e32 v113, v141
	s_waitcnt vmcnt(2)
	v_mov_b64_e32 v[142:143], v[96:97]
	v_mov_b64_e32 v[140:141], v[94:95]
	;; [unrolled: 1-line block ×3, first 2 shown]
	scratch_load_dwordx4 v[78:81], off, off offset:656 ; 16-byte Folded Reload
	scratch_load_dwordx4 v[82:85], off, off offset:672 ; 16-byte Folded Reload
	;; [unrolled: 1-line block ×8, first 2 shown]
	s_nop 0
	scratch_store_dwordx4 off, v[0:3], off offset:272 ; 16-byte Folded Spill
	s_nop 0
	scratch_store_dwordx4 off, v[4:7], off offset:288 ; 16-byte Folded Spill
	scratch_store_dwordx4 off, v[8:11], off offset:304 ; 16-byte Folded Spill
	;; [unrolled: 1-line block ×7, first 2 shown]
	v_mov_b32_e32 v182, v142
	v_mov_b32_e32 v77, v143
	;; [unrolled: 1-line block ×3, first 2 shown]
	scratch_load_dwordx4 v[0:3], off, off offset:144 ; 16-byte Folded Reload
	scratch_load_dwordx4 v[4:7], off, off offset:160 ; 16-byte Folded Reload
	;; [unrolled: 1-line block ×8, first 2 shown]
	s_nop 0
	scratch_store_dwordx4 off, v[36:39], off offset:784 ; 16-byte Folded Spill
	s_nop 0
	scratch_store_dwordx4 off, v[40:43], off offset:800 ; 16-byte Folded Spill
	scratch_store_dwordx4 off, v[44:47], off offset:816 ; 16-byte Folded Spill
	;; [unrolled: 1-line block ×7, first 2 shown]
	v_mov_b32_e32 v50, v120
	s_waitcnt vmcnt(26)
	v_mov_b64_e32 v[180:181], v[100:101]
	v_mov_b64_e32 v[178:179], v[98:99]
	;; [unrolled: 1-line block ×4, first 2 shown]
	v_mov_b32_e32 v34, v180
	v_mov_b32_e32 v35, v181
	s_waitcnt vmcnt(9)
	v_mov_b64_e32 v[104:105], v[26:27]
	v_mov_b32_e32 v138, v104
	v_mov_b32_e32 v185, v105
	v_mov_b64_e32 v[102:103], v[24:25]
	v_mov_b64_e32 v[100:101], v[22:23]
	;; [unrolled: 1-line block ×5, first 2 shown]
.LBB61_23:
	s_or_b64 exec, exec, s[2:3]
	v_cmp_eq_u32_e32 vcc, 4, v254
	s_waitcnt vmcnt(63) expcnt(7) lgkmcnt(15)
	s_barrier
	s_and_saveexec_b64 s[2:3], vcc
	s_cbranch_execz .LBB61_26
; %bb.24:
	ds_write_b32 v255, v186
	scratch_load_dwordx4 v[78:81], off, off offset:4 ; 16-byte Folded Reload
	scratch_load_dwordx4 v[82:85], off, off offset:20 ; 16-byte Folded Reload
	scratch_load_dwordx4 v[86:89], off, off offset:36 ; 16-byte Folded Reload
	scratch_load_dwordx4 v[90:93], off, off offset:52 ; 16-byte Folded Reload
	scratch_load_dwordx4 v[94:97], off, off offset:68 ; 16-byte Folded Reload
	scratch_load_dwordx4 v[98:101], off, off offset:84 ; 16-byte Folded Reload
	scratch_load_dwordx4 v[102:105], off, off offset:100 ; 16-byte Folded Reload
	scratch_load_dwordx4 v[106:109], off, off offset:116 ; 16-byte Folded Reload
	scratch_load_dword v28, off, off offset:140 ; 4-byte Folded Reload
	s_waitcnt vmcnt(0)
	ds_write2_b32 v28, v83, v84 offset0:5 offset1:6
	ds_write2_b32 v28, v85, v86 offset0:7 offset1:8
	ds_write2_b32 v28, v87, v88 offset0:9 offset1:10
	ds_write2_b32 v28, v89, v90 offset0:11 offset1:12
	ds_write2_b32 v28, v91, v92 offset0:13 offset1:14
	ds_write2_b32 v28, v93, v94 offset0:15 offset1:16
	ds_write2_b32 v28, v95, v96 offset0:17 offset1:18
	ds_write2_b32 v28, v97, v98 offset0:19 offset1:20
	ds_write2_b32 v28, v99, v100 offset0:21 offset1:22
	ds_write2_b32 v28, v101, v102 offset0:23 offset1:24
	ds_write2_b32 v28, v103, v104 offset0:25 offset1:26
	ds_write2_b32 v28, v105, v106 offset0:27 offset1:28
	ds_write2_b32 v28, v107, v108 offset0:29 offset1:30
	ds_read_b32 v28, v255
	s_waitcnt lgkmcnt(0)
	v_cmp_neq_f32_e32 vcc, 0, v28
	s_and_b64 exec, exec, vcc
	s_cbranch_execz .LBB61_26
; %bb.25:
	v_div_scale_f32 v29, s[4:5], v28, v28, 1.0
	v_rcp_f32_e32 v30, v29
	v_div_scale_f32 v31, vcc, 1.0, v28, 1.0
	v_fma_f32 v56, -v29, v30, 1.0
	v_fmac_f32_e32 v30, v56, v30
	v_mul_f32_e32 v56, v31, v30
	v_fma_f32 v57, -v29, v56, v31
	v_fmac_f32_e32 v56, v57, v30
	v_fma_f32 v29, -v29, v56, v31
	v_div_fmas_f32 v29, v29, v30, v56
	v_div_fixup_f32 v28, v29, v28, 1.0
	ds_write_b32 v255, v28
.LBB61_26:
	s_or_b64 exec, exec, s[2:3]
	s_waitcnt lgkmcnt(0)
	s_barrier
	s_waitcnt vmcnt(8)
	ds_read_b32 v28, v255
	v_cmp_lt_u32_e32 vcc, 4, v254
	s_waitcnt lgkmcnt(0)
	scratch_store_dword off, v28, off offset:2064 ; 4-byte Folded Spill
	s_and_saveexec_b64 s[2:3], vcc
	s_cbranch_execz .LBB61_28
; %bb.27:
	s_movk_i32 s4, 0x1898
	scratch_load_dwordx4 v[32:35], off, s4  ; 16-byte Folded Reload
	scratch_load_dwordx4 v[36:39], off, s4 offset:16 ; 16-byte Folded Reload
	scratch_load_dwordx4 v[40:43], off, s4 offset:32 ; 16-byte Folded Reload
	;; [unrolled: 1-line block ×7, first 2 shown]
	scratch_load_dword v0, off, off offset:2064 ; 4-byte Folded Reload
	scratch_load_dword v10, off, off offset:140 ; 4-byte Folded Reload
	s_movk_i32 s4, 0x1210
	s_waitcnt vmcnt(9)
	v_mov_b32_e32 v106, v32
	v_mov_b32_e32 v107, v33
	;; [unrolled: 1-line block ×8, first 2 shown]
	s_waitcnt vmcnt(1)
	v_mul_f32_e32 v36, v186, v0
	s_waitcnt vmcnt(0)
	ds_read2_b32 v[0:1], v10 offset0:5 offset1:6
	scratch_load_dwordx4 v[38:41], off, off offset:4 ; 16-byte Folded Reload
	scratch_load_dwordx4 v[42:45], off, off offset:20 ; 16-byte Folded Reload
	;; [unrolled: 1-line block ×8, first 2 shown]
	ds_read2_b32 v[4:5], v10 offset0:7 offset1:8
	ds_read2_b32 v[6:7], v10 offset0:9 offset1:10
	;; [unrolled: 1-line block ×3, first 2 shown]
	v_mov_b32_e32 v110, v36
	v_mov_b32_e32 v228, v36
	;; [unrolled: 1-line block ×7, first 2 shown]
	s_waitcnt vmcnt(2)
	v_mov_b32_e32 v212, v58
	v_mov_b32_e32 v198, v44
	;; [unrolled: 1-line block ×9, first 2 shown]
	s_waitcnt lgkmcnt(3)
	v_pk_fma_f32 v[28:29], v[36:37], v[0:1], v[2:3] op_sel_hi:[0,1,1] neg_lo:[1,0,0] neg_hi:[1,0,0]
	v_mov_b32_e32 v0, v199
	v_mov_b32_e32 v1, v200
	;; [unrolled: 1-line block ×4, first 2 shown]
	s_waitcnt lgkmcnt(2)
	v_pk_fma_f32 v[30:31], v[36:37], v[4:5], v[0:1] op_sel_hi:[0,1,1] neg_lo:[1,0,0] neg_hi:[1,0,0]
	v_mov_b32_e32 v0, v201
	v_mov_b32_e32 v1, v202
	;; [unrolled: 1-line block ×9, first 2 shown]
	s_waitcnt vmcnt(0)
	v_mov_b32_e32 v222, v68
	s_waitcnt lgkmcnt(1)
	v_pk_fma_f32 v[56:57], v[36:37], v[6:7], v[0:1] op_sel_hi:[0,1,1] neg_lo:[1,0,0] neg_hi:[1,0,0]
	v_mov_b32_e32 v0, v203
	v_mov_b32_e32 v1, v204
	;; [unrolled: 1-line block ×11, first 2 shown]
	s_waitcnt lgkmcnt(0)
	v_pk_fma_f32 v[58:59], v[36:37], v[8:9], v[0:1] op_sel_hi:[0,1,1] neg_lo:[1,0,0] neg_hi:[1,0,0]
	ds_read2_b32 v[0:1], v10 offset0:13 offset1:14
	ds_read2_b32 v[4:5], v10 offset0:15 offset1:16
	;; [unrolled: 1-line block ×4, first 2 shown]
	v_mov_b32_e32 v2, v205
	v_mov_b32_e32 v3, v206
	;; [unrolled: 1-line block ×3, first 2 shown]
	s_waitcnt lgkmcnt(3)
	v_pk_fma_f32 v[60:61], v[36:37], v[0:1], v[2:3] op_sel_hi:[0,1,1] neg_lo:[1,0,0] neg_hi:[1,0,0]
	v_mov_b32_e32 v0, v207
	v_mov_b32_e32 v1, v208
	s_waitcnt lgkmcnt(2)
	v_pk_fma_f32 v[62:63], v[36:37], v[4:5], v[0:1] op_sel_hi:[0,1,1] neg_lo:[1,0,0] neg_hi:[1,0,0]
	v_mov_b32_e32 v0, v209
	v_mov_b32_e32 v1, v210
	;; [unrolled: 4-line block ×3, first 2 shown]
	s_waitcnt lgkmcnt(0)
	v_pk_fma_f32 v[94:95], v[36:37], v[8:9], v[0:1] op_sel_hi:[0,1,1] neg_lo:[1,0,0] neg_hi:[1,0,0]
	ds_read2_b32 v[0:1], v10 offset0:21 offset1:22
	v_mov_b32_e32 v2, v213
	v_mov_b32_e32 v3, v214
	ds_read2_b32 v[4:5], v10 offset0:23 offset1:24
	ds_read2_b32 v[6:7], v10 offset0:25 offset1:26
	;; [unrolled: 1-line block ×3, first 2 shown]
	v_mov_b32_e32 v116, v57
	s_waitcnt lgkmcnt(3)
	v_pk_fma_f32 v[122:123], v[36:37], v[0:1], v[2:3] op_sel_hi:[0,1,1] neg_lo:[1,0,0] neg_hi:[1,0,0]
	ds_read2_b32 v[2:3], v10 offset0:29 offset1:30
	v_mov_b32_e32 v0, v215
	v_mov_b32_e32 v1, v216
	s_waitcnt lgkmcnt(3)
	v_pk_fma_f32 v[124:125], v[36:37], v[4:5], v[0:1] op_sel_hi:[0,1,1] neg_lo:[1,0,0] neg_hi:[1,0,0]
	v_mov_b32_e32 v0, v217
	v_mov_b32_e32 v1, v218
	s_waitcnt lgkmcnt(2)
	v_pk_fma_f32 v[126:127], v[36:37], v[6:7], v[0:1] op_sel_hi:[0,1,1] neg_lo:[1,0,0] neg_hi:[1,0,0]
	;; [unrolled: 4-line block ×4, first 2 shown]
	v_mov_b32_e32 v0, v32
	v_mov_b32_e32 v1, v33
	;; [unrolled: 1-line block ×8, first 2 shown]
	scratch_store_dwordx4 off, v[0:3], s4   ; 16-byte Folded Spill
	s_nop 0
	scratch_store_dwordx4 off, v[4:7], s4 offset:16 ; 16-byte Folded Spill
	scratch_store_dwordx4 off, v[8:11], s4 offset:32 ; 16-byte Folded Spill
	;; [unrolled: 1-line block ×7, first 2 shown]
	s_movk_i32 s4, 0x1594
	v_mov_b32_e32 v117, v58
	v_mov_b32_e32 v118, v59
	;; [unrolled: 1-line block ×30, first 2 shown]
	scratch_store_dwordx4 off, v[0:3], s4   ; 16-byte Folded Spill
	s_nop 0
	scratch_store_dwordx4 off, v[4:7], s4 offset:16 ; 16-byte Folded Spill
	scratch_store_dwordx4 off, v[8:11], s4 offset:32 ; 16-byte Folded Spill
	scratch_store_dwordx4 off, v[12:15], s4 offset:48 ; 16-byte Folded Spill
	scratch_store_dwordx4 off, v[16:19], s4 offset:64 ; 16-byte Folded Spill
	scratch_store_dwordx4 off, v[20:23], s4 offset:80 ; 16-byte Folded Spill
	scratch_store_dwordx4 off, v[24:27], s4 offset:96 ; 16-byte Folded Spill
	scratch_store_dwordx4 off, v[28:31], s4 offset:112 ; 16-byte Folded Spill
	s_movk_i32 s4, 0xf90
	v_mov_b32_e32 v8, v31
	scratch_store_dwordx4 off, v[0:3], s4   ; 16-byte Folded Spill
	s_nop 0
	scratch_store_dwordx4 off, v[4:7], s4 offset:16 ; 16-byte Folded Spill
	scratch_store_dwordx4 off, v[8:11], s4 offset:32 ; 16-byte Folded Spill
	;; [unrolled: 1-line block ×7, first 2 shown]
	v_mov_b32_e32 v9, v56
	s_movk_i32 s4, 0x1294
	scratch_store_dwordx4 off, v[0:3], s4   ; 16-byte Folded Spill
	s_nop 0
	scratch_store_dwordx4 off, v[4:7], s4 offset:16 ; 16-byte Folded Spill
	scratch_store_dwordx4 off, v[8:11], s4 offset:32 ; 16-byte Folded Spill
	;; [unrolled: 1-line block ×7, first 2 shown]
	v_mov_b32_e32 v10, v57
	s_movk_i32 s4, 0x1010
	scratch_store_dwordx4 off, v[0:3], off offset:2960 ; 16-byte Folded Spill
	s_nop 0
	scratch_store_dwordx4 off, v[4:7], off offset:2976 ; 16-byte Folded Spill
	scratch_store_dwordx4 off, v[8:11], off offset:2992 ; 16-byte Folded Spill
	;; [unrolled: 1-line block ×7, first 2 shown]
	v_mov_b32_e32 v11, v58
	scratch_store_dwordx4 off, v[0:3], s4   ; 16-byte Folded Spill
	s_nop 0
	scratch_store_dwordx4 off, v[4:7], s4 offset:16 ; 16-byte Folded Spill
	scratch_store_dwordx4 off, v[8:11], s4 offset:32 ; 16-byte Folded Spill
	;; [unrolled: 1-line block ×7, first 2 shown]
	v_mov_b32_e32 v12, v59
	v_mov_b32_e32 v13, v60
	s_movk_i32 s4, 0x1794
	v_mov_b32_e32 v111, v28
	v_mov_b32_e32 v112, v29
	;; [unrolled: 1-line block ×4, first 2 shown]
	scratch_store_dwordx4 off, v[106:109], off offset:2448 ; 16-byte Folded Spill
	s_nop 0
	scratch_store_dwordx4 off, v[110:113], off offset:2464 ; 16-byte Folded Spill
	scratch_store_dwordx4 off, v[114:117], off offset:2480 ; 16-byte Folded Spill
	;; [unrolled: 1-line block ×8, first 2 shown]
	s_nop 0
	scratch_store_dwordx4 off, v[4:7], off offset:3488 ; 16-byte Folded Spill
	scratch_store_dwordx4 off, v[8:11], off offset:3504 ; 16-byte Folded Spill
	;; [unrolled: 1-line block ×7, first 2 shown]
	v_mov_b32_e32 v14, v61
	v_mov_b32_e32 v113, v94
	scratch_store_dwordx4 off, v[0:3], off offset:1680 ; 16-byte Folded Spill
	s_nop 0
	scratch_store_dwordx4 off, v[4:7], off offset:1696 ; 16-byte Folded Spill
	scratch_store_dwordx4 off, v[8:11], off offset:1712 ; 16-byte Folded Spill
	;; [unrolled: 1-line block ×7, first 2 shown]
	v_mov_b32_e32 v15, v62
	v_mov_b32_e32 v245, v122
	;; [unrolled: 1-line block ×11, first 2 shown]
	scratch_store_dwordx4 off, v[0:3], off offset:3088 ; 16-byte Folded Spill
	s_nop 0
	scratch_store_dwordx4 off, v[4:7], off offset:3104 ; 16-byte Folded Spill
	scratch_store_dwordx4 off, v[8:11], off offset:3120 ; 16-byte Folded Spill
	;; [unrolled: 1-line block ×7, first 2 shown]
	v_mov_b32_e32 v16, v63
	v_mov_b32_e32 v77, v122
	;; [unrolled: 1-line block ×3, first 2 shown]
	scratch_store_dwordx4 off, v[0:3], off offset:1168 ; 16-byte Folded Spill
	s_nop 0
	scratch_store_dwordx4 off, v[4:7], off offset:1184 ; 16-byte Folded Spill
	scratch_store_dwordx4 off, v[8:11], off offset:1200 ; 16-byte Folded Spill
	scratch_store_dwordx4 off, v[12:15], off offset:1216 ; 16-byte Folded Spill
	scratch_store_dwordx4 off, v[16:19], off offset:1232 ; 16-byte Folded Spill
	scratch_store_dwordx4 off, v[20:23], off offset:1248 ; 16-byte Folded Spill
	scratch_store_dwordx4 off, v[24:27], off offset:1264 ; 16-byte Folded Spill
	scratch_store_dwordx4 off, v[28:31], off offset:1280 ; 16-byte Folded Spill
	v_mov_b32_e32 v17, v92
	scratch_store_dwordx4 off, v[0:3], off offset:2576 ; 16-byte Folded Spill
	s_nop 0
	scratch_store_dwordx4 off, v[4:7], off offset:2592 ; 16-byte Folded Spill
	scratch_store_dwordx4 off, v[8:11], off offset:2608 ; 16-byte Folded Spill
	scratch_store_dwordx4 off, v[12:15], off offset:2624 ; 16-byte Folded Spill
	scratch_store_dwordx4 off, v[16:19], off offset:2640 ; 16-byte Folded Spill
	scratch_store_dwordx4 off, v[20:23], off offset:2656 ; 16-byte Folded Spill
	scratch_store_dwordx4 off, v[24:27], off offset:2672 ; 16-byte Folded Spill
	scratch_store_dwordx4 off, v[28:31], off offset:2688 ; 16-byte Folded Spill
	v_mov_b32_e32 v18, v93
	;; [unrolled: 10-line block ×7, first 2 shown]
	scratch_store_dwordx4 off, v[0:3], off offset:1296 ; 16-byte Folded Spill
	s_nop 0
	scratch_store_dwordx4 off, v[4:7], off offset:1312 ; 16-byte Folded Spill
	scratch_store_dwordx4 off, v[8:11], off offset:1328 ; 16-byte Folded Spill
	;; [unrolled: 1-line block ×7, first 2 shown]
	s_nop 0
	v_mov_b32_e32 v24, v125
	v_mov_b32_e32 v25, v126
	;; [unrolled: 1-line block ×6, first 2 shown]
	scratch_store_dwordx4 off, v[224:227], off offset:272 ; 16-byte Folded Spill
	s_nop 0
	scratch_store_dwordx4 off, v[228:231], off offset:288 ; 16-byte Folded Spill
	scratch_store_dwordx4 off, v[232:235], off offset:304 ; 16-byte Folded Spill
	;; [unrolled: 1-line block ×8, first 2 shown]
	s_nop 0
	scratch_store_dwordx4 off, v[4:7], off offset:1056 ; 16-byte Folded Spill
	scratch_store_dwordx4 off, v[8:11], off offset:1072 ; 16-byte Folded Spill
	;; [unrolled: 1-line block ×7, first 2 shown]
	v_mov_b32_e32 v234, v159
	v_mov_b32_e32 v26, v127
	scratch_store_dwordx4 off, v[0:3], off offset:144 ; 16-byte Folded Spill
	s_nop 0
	scratch_store_dwordx4 off, v[4:7], off offset:160 ; 16-byte Folded Spill
	scratch_store_dwordx4 off, v[8:11], off offset:176 ; 16-byte Folded Spill
	;; [unrolled: 1-line block ×7, first 2 shown]
	s_nop 0
	v_mov_b32_e32 v27, v158
	scratch_store_dwordx4 off, v[0:3], off offset:912 ; 16-byte Folded Spill
	s_nop 0
	scratch_store_dwordx4 off, v[4:7], off offset:928 ; 16-byte Folded Spill
	scratch_store_dwordx4 off, v[8:11], off offset:944 ; 16-byte Folded Spill
	;; [unrolled: 1-line block ×7, first 2 shown]
	v_mov_b32_e32 v165, v28
	v_mov_b32_e32 v166, v29
	;; [unrolled: 1-line block ×4, first 2 shown]
	scratch_store_dwordx4 off, v[160:163], off offset:784 ; 16-byte Folded Spill
	s_nop 0
	scratch_store_dwordx4 off, v[164:167], off offset:800 ; 16-byte Folded Spill
	scratch_store_dwordx4 off, v[168:171], off offset:816 ; 16-byte Folded Spill
	;; [unrolled: 1-line block ×7, first 2 shown]
	scratch_store_dwordx2 off, v[128:129], off offset:132 ; 8-byte Folded Spill
	v_mov_b32_e32 v121, v28
	v_mov_b32_e32 v189, v128
	v_mov_b32_e32 v190, v129
	scratch_store_dwordx4 off, v[160:163], off offset:4 ; 16-byte Folded Spill
	s_nop 0
	scratch_store_dwordx4 off, v[164:167], off offset:20 ; 16-byte Folded Spill
	scratch_store_dwordx4 off, v[168:171], off offset:36 ; 16-byte Folded Spill
	;; [unrolled: 1-line block ×7, first 2 shown]
	scratch_store_dwordx4 off, v[32:35], s4 ; 16-byte Folded Spill
	s_nop 0
	scratch_store_dwordx4 off, v[36:39], s4 offset:16 ; 16-byte Folded Spill
	scratch_store_dwordx4 off, v[40:43], s4 offset:32 ; 16-byte Folded Spill
	;; [unrolled: 1-line block ×7, first 2 shown]
	s_movk_i32 s4, 0x1714
	v_mov_b32_e32 v116, v29
	v_mov_b32_e32 v149, v30
	scratch_store_dwordx4 off, v[32:35], s4 ; 16-byte Folded Spill
	s_nop 0
	scratch_store_dwordx4 off, v[36:39], s4 offset:16 ; 16-byte Folded Spill
	scratch_store_dwordx4 off, v[40:43], s4 offset:32 ; 16-byte Folded Spill
	;; [unrolled: 1-line block ×7, first 2 shown]
	v_mov_b32_e32 v50, v31
	v_mov_b32_e32 v182, v95
	;; [unrolled: 1-line block ×4, first 2 shown]
	scratch_store_dwordx4 off, v[18:21], off offset:1424 ; 16-byte Folded Spill
	s_nop 0
	scratch_store_dwordx4 off, v[22:25], off offset:1440 ; 16-byte Folded Spill
	scratch_store_dwordx4 off, v[26:29], off offset:1456 ; 16-byte Folded Spill
	scratch_store_dwordx4 off, v[30:33], off offset:1472 ; 16-byte Folded Spill
	scratch_store_dwordx4 off, v[34:37], off offset:1488 ; 16-byte Folded Spill
	scratch_store_dwordx4 off, v[38:41], off offset:1504 ; 16-byte Folded Spill
	scratch_store_dwordx4 off, v[42:45], off offset:1520 ; 16-byte Folded Spill
	scratch_store_dwordx4 off, v[46:49], off offset:1536 ; 16-byte Folded Spill
	v_mov_b32_e32 v119, v58
	v_mov_b32_e32 v144, v59
	;; [unrolled: 1-line block ×10, first 2 shown]
.LBB61_28:
	s_or_b64 exec, exec, s[2:3]
	v_cmp_eq_u32_e32 vcc, 5, v254
	s_waitcnt vmcnt(63) expcnt(7) lgkmcnt(15)
	s_barrier
	s_and_saveexec_b64 s[2:3], vcc
	s_cbranch_execz .LBB61_31
; %bb.29:
	ds_write_b32 v255, v121
	scratch_load_dwordx4 v[78:81], off, off offset:4 ; 16-byte Folded Reload
	scratch_load_dwordx4 v[82:85], off, off offset:20 ; 16-byte Folded Reload
	;; [unrolled: 1-line block ×8, first 2 shown]
	scratch_load_dword v30, off, off offset:140 ; 4-byte Folded Reload
	s_waitcnt vmcnt(0)
	ds_write2_b32 v30, v84, v85 offset0:6 offset1:7
	ds_write2_b32 v30, v86, v87 offset0:8 offset1:9
	;; [unrolled: 1-line block ×12, first 2 shown]
	scratch_load_dwordx2 v[28:29], off, off offset:132 ; 8-byte Folded Reload
	s_waitcnt vmcnt(0)
	ds_write_b32 v30, v29 offset:120
	ds_read_b32 v28, v255
	s_waitcnt lgkmcnt(0)
	v_cmp_neq_f32_e32 vcc, 0, v28
	s_and_b64 exec, exec, vcc
	s_cbranch_execz .LBB61_31
; %bb.30:
	v_div_scale_f32 v29, s[4:5], v28, v28, 1.0
	v_rcp_f32_e32 v30, v29
	v_div_scale_f32 v31, vcc, 1.0, v28, 1.0
	v_fma_f32 v56, -v29, v30, 1.0
	v_fmac_f32_e32 v30, v56, v30
	v_mul_f32_e32 v56, v31, v30
	v_fma_f32 v57, -v29, v56, v31
	v_fmac_f32_e32 v56, v57, v30
	v_fma_f32 v29, -v29, v56, v31
	v_div_fmas_f32 v29, v29, v30, v56
	v_div_fixup_f32 v28, v29, v28, 1.0
	ds_write_b32 v255, v28
.LBB61_31:
	s_or_b64 exec, exec, s[2:3]
	s_waitcnt lgkmcnt(0)
	s_barrier
	ds_read_b32 v28, v255
	v_cmp_lt_u32_e32 vcc, 5, v254
	s_waitcnt lgkmcnt(0)
	scratch_store_dword off, v28, off offset:2192 ; 4-byte Folded Spill
	s_and_saveexec_b64 s[2:3], vcc
	s_cbranch_execz .LBB61_33
; %bb.32:
	scratch_load_dword v1, off, off offset:140 ; 4-byte Folded Reload
	s_movk_i32 s4, 0x1714
	s_waitcnt vmcnt(0)
	ds_read2_b32 v[2:3], v1 offset0:6 offset1:7
	ds_read2_b32 v[4:5], v1 offset0:8 offset1:9
	;; [unrolled: 1-line block ×3, first 2 shown]
	scratch_load_dword v0, off, off offset:2192 ; 4-byte Folded Reload
	ds_read2_b32 v[8:9], v1 offset0:12 offset1:13
	scratch_load_dwordx4 v[10:13], off, off offset:4 ; 16-byte Folded Reload
	scratch_load_dwordx4 v[14:17], off, off offset:20 ; 16-byte Folded Reload
	;; [unrolled: 1-line block ×8, first 2 shown]
	s_waitcnt vmcnt(2)
	v_mov_b64_e32 v[212:213], v[30:31]
	v_mul_f32_e32 v0, v121, v0
	v_mov_b64_e32 v[198:199], v[16:17]
	s_waitcnt vmcnt(0)
	v_mov_b64_e32 v[220:221], v[38:39]
	v_mov_b64_e32 v[218:219], v[36:37]
	;; [unrolled: 1-line block ×4, first 2 shown]
	s_waitcnt lgkmcnt(3)
	v_pk_fma_f32 v[34:35], v[0:1], v[2:3], v[198:199] op_sel_hi:[0,1,1] neg_lo:[1,0,0] neg_hi:[1,0,0]
	ds_read2_b32 v[2:3], v1 offset0:14 offset1:15
	v_mov_b64_e32 v[206:207], v[24:25]
	v_mov_b64_e32 v[204:205], v[22:23]
	;; [unrolled: 1-line block ×4, first 2 shown]
	s_waitcnt lgkmcnt(3)
	v_pk_fma_f32 v[42:43], v[0:1], v[4:5], v[200:201] op_sel_hi:[0,1,1] neg_lo:[1,0,0] neg_hi:[1,0,0]
	s_waitcnt lgkmcnt(2)
	v_pk_fma_f32 v[38:39], v[0:1], v[6:7], v[202:203] op_sel_hi:[0,1,1] neg_lo:[1,0,0] neg_hi:[1,0,0]
	;; [unrolled: 2-line block ×3, first 2 shown]
	ds_read2_b32 v[4:5], v1 offset0:16 offset1:17
	ds_read2_b32 v[6:7], v1 offset0:18 offset1:19
	;; [unrolled: 1-line block ×3, first 2 shown]
	s_waitcnt lgkmcnt(3)
	v_pk_fma_f32 v[68:69], v[0:1], v[2:3], v[206:207] op_sel_hi:[0,1,1] neg_lo:[1,0,0] neg_hi:[1,0,0]
	ds_read2_b32 v[2:3], v1 offset0:22 offset1:23
	ds_read2_b32 v[10:11], v1 offset0:24 offset1:25
	;; [unrolled: 1-line block ×4, first 2 shown]
	v_mov_b64_e32 v[210:211], v[28:29]
	v_mov_b64_e32 v[208:209], v[26:27]
	s_waitcnt lgkmcnt(6)
	v_pk_fma_f32 v[70:71], v[0:1], v[4:5], v[208:209] op_sel_hi:[0,1,1] neg_lo:[1,0,0] neg_hi:[1,0,0]
	s_waitcnt lgkmcnt(5)
	v_pk_fma_f32 v[36:37], v[0:1], v[6:7], v[210:211] op_sel_hi:[0,1,1] neg_lo:[1,0,0] neg_hi:[1,0,0]
	;; [unrolled: 2-line block ×7, first 2 shown]
	scratch_load_dwordx4 v[2:5], off, s4    ; 16-byte Folded Reload
	scratch_load_dwordx4 v[6:9], off, s4 offset:16 ; 16-byte Folded Reload
	scratch_load_dwordx4 v[10:13], off, s4 offset:32 ; 16-byte Folded Reload
	scratch_load_dwordx4 v[14:17], off, s4 offset:48 ; 16-byte Folded Reload
	scratch_load_dwordx4 v[18:21], off, s4 offset:64 ; 16-byte Folded Reload
	scratch_load_dwordx4 v[22:25], off, s4 offset:80 ; 16-byte Folded Reload
	scratch_load_dwordx4 v[26:29], off, s4 offset:96 ; 16-byte Folded Reload
	scratch_load_dwordx4 v[30:33], off, s4 offset:112 ; 16-byte Folded Reload
	s_waitcnt vmcnt(6)
	v_mov_b64_e32 v[8:9], v[34:35]
	v_mov_b32_e32 v7, v0
	s_waitcnt vmcnt(1)
	v_mov_b32_e32 v29, v0
	s_movk_i32 s4, 0x1594
	v_mov_b64_e32 v[166:167], v[40:41]
	v_mov_b32_e32 v59, v0
	v_mov_b32_e32 v66, v166
	;; [unrolled: 1-line block ×3, first 2 shown]
	v_mov_b64_e32 v[132:133], v[70:71]
	v_mov_b64_e32 v[232:233], v[70:71]
	v_mov_b32_e32 v28, v6
	v_mov_b64_e32 v[22:23], v[8:9]
	v_mov_b32_e32 v27, v5
	v_mov_b32_e32 v26, v4
	;; [unrolled: 1-line block ×4, first 2 shown]
	v_mov_b64_e32 v[20:21], v[6:7]
	v_mov_b64_e32 v[18:19], v[4:5]
	;; [unrolled: 1-line block ×3, first 2 shown]
	scratch_store_dwordx4 off, v[2:5], s4   ; 16-byte Folded Spill
	s_nop 0
	scratch_store_dwordx4 off, v[6:9], s4 offset:16 ; 16-byte Folded Spill
	scratch_store_dwordx4 off, v[10:13], s4 offset:32 ; 16-byte Folded Spill
	;; [unrolled: 1-line block ×6, first 2 shown]
	s_waitcnt vmcnt(7)
	scratch_store_dwordx4 off, v[30:33], s4 offset:112 ; 16-byte Folded Spill
	v_mov_b64_e32 v[10:11], v[42:43]
	s_movk_i32 s4, 0x1294
	v_mov_b64_e32 v[110:111], v[10:11]
	v_mov_b64_e32 v[108:109], v[8:9]
	v_mov_b64_e32 v[106:107], v[6:7]
	v_mov_b64_e32 v[104:105], v[4:5]
	v_mov_b64_e32 v[102:103], v[2:3]
	scratch_store_dwordx4 off, v[2:5], s4   ; 16-byte Folded Spill
	s_nop 0
	scratch_store_dwordx4 off, v[6:9], s4 offset:16 ; 16-byte Folded Spill
	scratch_store_dwordx4 off, v[10:13], s4 offset:32 ; 16-byte Folded Spill
	;; [unrolled: 1-line block ×7, first 2 shown]
	v_mov_b64_e32 v[12:13], v[38:39]
	s_movk_i32 s4, 0x1010
	v_mov_b32_e32 v62, v110
	v_mov_b32_e32 v63, v111
	v_mov_b64_e32 v[82:83], v[12:13]
	v_mov_b64_e32 v[80:81], v[10:11]
	;; [unrolled: 1-line block ×6, first 2 shown]
	scratch_store_dwordx4 off, v[2:5], s4   ; 16-byte Folded Spill
	s_nop 0
	scratch_store_dwordx4 off, v[6:9], s4 offset:16 ; 16-byte Folded Spill
	scratch_store_dwordx4 off, v[10:13], s4 offset:32 ; 16-byte Folded Spill
	;; [unrolled: 1-line block ×7, first 2 shown]
	v_mov_b32_e32 v14, v166
	v_mov_b32_e32 v15, v167
	v_mov_b32_e32 v64, v82
	v_mov_b32_e32 v65, v83
	s_movk_i32 s4, 0x1210
	v_mov_b64_e32 v[164:165], v[12:13]
	v_mov_b64_e32 v[162:163], v[10:11]
	v_mov_b64_e32 v[160:161], v[8:9]
	v_mov_b64_e32 v[158:159], v[6:7]
	v_mov_b64_e32 v[156:157], v[4:5]
	v_mov_b64_e32 v[154:155], v[2:3]
	scratch_store_dwordx4 off, v[2:5], off offset:3472 ; 16-byte Folded Spill
	s_nop 0
	scratch_store_dwordx4 off, v[6:9], off offset:3488 ; 16-byte Folded Spill
	scratch_store_dwordx4 off, v[10:13], off offset:3504 ; 16-byte Folded Spill
	;; [unrolled: 1-line block ×7, first 2 shown]
	v_mov_b32_e32 v10, v110
	v_mov_b32_e32 v11, v111
	v_mov_b32_e32 v12, v82
	v_mov_b32_e32 v13, v83
	v_mov_b32_e32 v14, v166
	v_mov_b64_e32 v[46:47], v[28:29]
	v_mov_b32_e32 v54, v24
	v_mov_b32_e32 v55, v25
	;; [unrolled: 1-line block ×5, first 2 shown]
	v_mov_b64_e32 v[44:45], v[26:27]
	v_mov_b64_e32 v[42:43], v[24:25]
	v_mov_b32_e32 v60, v22
	v_mov_b32_e32 v61, v23
	v_mov_b64_e32 v[24:25], v[8:9]
	v_mov_b64_e32 v[98:99], v[68:69]
	;; [unrolled: 1-line block ×5, first 2 shown]
	v_mov_b32_e32 v2, v42
	v_mov_b32_e32 v3, v43
	;; [unrolled: 1-line block ×9, first 2 shown]
	scratch_store_dwordx4 off, v[2:5], off offset:3088 ; 16-byte Folded Spill
	s_nop 0
	scratch_store_dwordx4 off, v[6:9], off offset:3104 ; 16-byte Folded Spill
	scratch_store_dwordx4 off, v[10:13], off offset:3120 ; 16-byte Folded Spill
	;; [unrolled: 1-line block ×7, first 2 shown]
	v_mov_b64_e32 v[96:97], v[66:67]
	v_mov_b64_e32 v[94:95], v[64:65]
	;; [unrolled: 1-line block ×7, first 2 shown]
	v_mov_b32_e32 v68, v98
	v_mov_b32_e32 v69, v99
	;; [unrolled: 1-line block ×12, first 2 shown]
	v_mov_b64_e32 v[130:131], v[68:69]
	v_mov_b64_e32 v[128:129], v[66:67]
	;; [unrolled: 1-line block ×9, first 2 shown]
	v_mov_b32_e32 v8, v24
	v_mov_b64_e32 v[58:59], v[22:23]
	v_mov_b64_e32 v[56:57], v[20:21]
	;; [unrolled: 1-line block ×3, first 2 shown]
	v_mov_b32_e32 v18, v132
	v_mov_b32_e32 v19, v133
	scratch_store_dwordx4 off, v[2:5], off offset:2576 ; 16-byte Folded Spill
	s_nop 0
	scratch_store_dwordx4 off, v[6:9], off offset:2592 ; 16-byte Folded Spill
	scratch_store_dwordx4 off, v[10:13], off offset:2608 ; 16-byte Folded Spill
	;; [unrolled: 1-line block ×7, first 2 shown]
	v_mov_b64_e32 v[20:21], v[36:37]
	v_mov_b32_e32 v8, v60
	v_mov_b32_e32 v9, v61
	;; [unrolled: 1-line block ×4, first 2 shown]
	v_mov_b64_e32 v[40:41], v[20:21]
	v_mov_b64_e32 v[38:39], v[18:19]
	;; [unrolled: 1-line block ×11, first 2 shown]
	v_mov_b32_e32 v118, v44
	v_mov_b32_e32 v119, v45
	;; [unrolled: 1-line block ×3, first 2 shown]
	v_mov_b64_e32 v[64:65], v[44:45]
	v_mov_b64_e32 v[62:63], v[42:43]
	;; [unrolled: 1-line block ×3, first 2 shown]
	v_mov_b32_e32 v116, v42
	v_mov_b32_e32 v117, v43
	;; [unrolled: 1-line block ×6, first 2 shown]
	v_mov_b64_e32 v[188:189], v[136:137]
	v_mov_b64_e32 v[44:45], v[38:39]
	v_mov_b32_e32 v130, v98
	v_mov_b32_e32 v131, v99
	;; [unrolled: 1-line block ×11, first 2 shown]
	v_mov_b64_e32 v[182:183], v[130:131]
	v_mov_b64_e32 v[180:181], v[128:129]
	;; [unrolled: 1-line block ×18, first 2 shown]
	scratch_store_dwordx4 off, v[2:5], off offset:1936 ; 16-byte Folded Spill
	s_nop 0
	scratch_store_dwordx4 off, v[6:9], off offset:1952 ; 16-byte Folded Spill
	scratch_store_dwordx4 off, v[10:13], off offset:1968 ; 16-byte Folded Spill
	;; [unrolled: 1-line block ×7, first 2 shown]
	v_mov_b32_e32 v20, v46
	v_mov_b32_e32 v21, v47
	;; [unrolled: 1-line block ×4, first 2 shown]
	v_mov_b64_e32 v[48:49], v[46:47]
	v_mov_b64_e32 v[46:47], v[44:45]
	;; [unrolled: 1-line block ×10, first 2 shown]
	v_mov_b32_e32 v2, v62
	v_mov_b32_e32 v3, v63
	;; [unrolled: 1-line block ×5, first 2 shown]
	scratch_store_dwordx4 off, v[2:5], off offset:1552 ; 16-byte Folded Spill
	s_nop 0
	scratch_store_dwordx4 off, v[6:9], off offset:1568 ; 16-byte Folded Spill
	scratch_store_dwordx4 off, v[10:13], off offset:1584 ; 16-byte Folded Spill
	;; [unrolled: 1-line block ×7, first 2 shown]
	v_mov_b64_e32 v[24:25], v[52:53]
	v_mov_b32_e32 v22, v188
	v_mov_b32_e32 v23, v189
	v_mov_b64_e32 v[130:131], v[16:17]
	v_mov_b64_e32 v[138:139], v[24:25]
	;; [unrolled: 1-line block ×12, first 2 shown]
	scratch_store_dwordx4 off, v[2:5], off offset:1296 ; 16-byte Folded Spill
	s_nop 0
	scratch_store_dwordx4 off, v[6:9], off offset:1312 ; 16-byte Folded Spill
	scratch_store_dwordx4 off, v[10:13], off offset:1328 ; 16-byte Folded Spill
	;; [unrolled: 1-line block ×7, first 2 shown]
	v_mov_b32_e32 v22, v188
	v_mov_b64_e32 v[26:27], v[50:51]
	v_mov_b32_e32 v23, v189
	v_mov_b32_e32 v24, v138
	;; [unrolled: 1-line block ×3, first 2 shown]
	v_mov_b64_e32 v[144:145], v[138:139]
	v_mov_b64_e32 v[142:143], v[136:137]
	;; [unrolled: 1-line block ×5, first 2 shown]
	v_mov_b32_e32 v121, v0
	v_mov_b64_e32 v[116:117], v[64:65]
	v_mov_b64_e32 v[114:115], v[62:63]
	;; [unrolled: 1-line block ×23, first 2 shown]
	scratch_store_dwordx4 off, v[2:5], off offset:1040 ; 16-byte Folded Spill
	s_nop 0
	scratch_store_dwordx4 off, v[6:9], off offset:1056 ; 16-byte Folded Spill
	scratch_store_dwordx4 off, v[10:13], off offset:1072 ; 16-byte Folded Spill
	;; [unrolled: 1-line block ×8, first 2 shown]
	s_nop 0
	scratch_store_dwordx4 off, v[220:223], off offset:1184 ; 16-byte Folded Spill
	scratch_store_dwordx4 off, v[224:227], off offset:1200 ; 16-byte Folded Spill
	;; [unrolled: 1-line block ×7, first 2 shown]
	v_mov_b32_e32 v20, v48
	v_mov_b32_e32 v21, v49
	scratch_store_dwordx4 off, v[30:33], off offset:528 ; 16-byte Folded Spill
	s_nop 0
	scratch_store_dwordx4 off, v[34:37], off offset:544 ; 16-byte Folded Spill
	scratch_store_dwordx4 off, v[38:41], off offset:560 ; 16-byte Folded Spill
	;; [unrolled: 1-line block ×7, first 2 shown]
	v_mov_b64_e32 v[28:29], v[100:101]
	v_mov_b64_e32 v[136:137], v[16:17]
	v_mov_b32_e32 v26, v214
	v_mov_b64_e32 v[134:135], v[14:15]
	v_mov_b64_e32 v[132:133], v[12:13]
	;; [unrolled: 1-line block ×7, first 2 shown]
	scratch_store_dwordx4 off, v[190:193], off offset:272 ; 16-byte Folded Spill
	s_nop 0
	scratch_store_dwordx4 off, v[194:197], off offset:288 ; 16-byte Folded Spill
	scratch_store_dwordx4 off, v[198:201], off offset:304 ; 16-byte Folded Spill
	;; [unrolled: 1-line block ×8, first 2 shown]
	s_nop 0
	scratch_store_dwordx4 off, v[6:9], off offset:160 ; 16-byte Folded Spill
	scratch_store_dwordx4 off, v[10:13], off offset:176 ; 16-byte Folded Spill
	;; [unrolled: 1-line block ×7, first 2 shown]
	scratch_load_dwordx2 v[2:3], off, off offset:132 ; 8-byte Folded Reload
	ds_read_b32 v1, v1 offset:120
	v_mov_b32_e32 v229, v0
	v_mov_b32_e32 v5, v0
	s_waitcnt vmcnt(0)
	v_mov_b32_e32 v2, v64
	v_mov_b32_e32 v4, v66
	;; [unrolled: 1-line block ×6, first 2 shown]
	s_waitcnt lgkmcnt(0)
	v_fma_f32 v146, -v0, v1, v3
	v_mov_b32_e32 v0, v62
	v_mov_b32_e32 v1, v63
	v_mov_b32_e32 v3, v65
	scratch_store_dwordx4 off, v[54:57], s4 ; 16-byte Folded Spill
	s_nop 0
	scratch_store_dwordx4 off, v[58:61], s4 offset:16 ; 16-byte Folded Spill
	scratch_store_dwordx4 off, v[62:65], s4 offset:32 ; 16-byte Folded Spill
	;; [unrolled: 1-line block ×7, first 2 shown]
	s_movk_i32 s4, 0xf90
	scratch_store_dwordx4 off, v[102:105], s4 ; 16-byte Folded Spill
	s_nop 0
	scratch_store_dwordx4 off, v[106:109], s4 offset:16 ; 16-byte Folded Spill
	scratch_store_dwordx4 off, v[110:113], s4 offset:32 ; 16-byte Folded Spill
	scratch_store_dwordx4 off, v[114:117], s4 offset:48 ; 16-byte Folded Spill
	scratch_store_dwordx4 off, v[118:121], s4 offset:64 ; 16-byte Folded Spill
	scratch_store_dwordx4 off, v[122:125], s4 offset:80 ; 16-byte Folded Spill
	scratch_store_dwordx4 off, v[126:129], s4 offset:96 ; 16-byte Folded Spill
	scratch_store_dwordx4 off, v[130:133], s4 offset:112 ; 16-byte Folded Spill
	scratch_store_dwordx4 off, v[72:75], off offset:2960 ; 16-byte Folded Spill
	s_nop 0
	scratch_store_dwordx4 off, v[76:79], off offset:2976 ; 16-byte Folded Spill
	scratch_store_dwordx4 off, v[80:83], off offset:2992 ; 16-byte Folded Spill
	;; [unrolled: 1-line block ×7, first 2 shown]
	v_mov_b32_e32 v6, v60
	v_mov_b32_e32 v7, v61
	;; [unrolled: 1-line block ×4, first 2 shown]
	s_movk_i32 s4, 0x1210
	v_mov_b64_e32 v[14:15], v[84:85]
	v_mov_b64_e32 v[16:17], v[86:87]
	;; [unrolled: 1-line block ×8, first 2 shown]
	scratch_store_dwordx4 off, v[14:17], off offset:1680 ; 16-byte Folded Spill
	s_nop 0
	scratch_store_dwordx4 off, v[18:21], off offset:1696 ; 16-byte Folded Spill
	scratch_store_dwordx4 off, v[22:25], off offset:1712 ; 16-byte Folded Spill
	;; [unrolled: 1-line block ×7, first 2 shown]
	v_mov_b32_e32 v10, v82
	v_mov_b32_e32 v11, v83
	;; [unrolled: 1-line block ×4, first 2 shown]
	scratch_load_dwordx4 v[18:21], off, off offset:1168 ; 16-byte Folded Reload
	scratch_load_dwordx4 v[22:25], off, off offset:1184 ; 16-byte Folded Reload
	;; [unrolled: 1-line block ×8, first 2 shown]
	s_waitcnt vmcnt(4)
	v_mov_b64_e32 v[206:207], v[32:33]
	v_mov_b64_e32 v[204:205], v[30:31]
	;; [unrolled: 1-line block ×8, first 2 shown]
	s_waitcnt vmcnt(3)
	v_mov_b64_e32 v[208:209], v[34:35]
	scratch_load_dwordx4 v[20:23], off, off offset:528 ; 16-byte Folded Reload
	scratch_load_dwordx4 v[24:27], off, off offset:544 ; 16-byte Folded Reload
	;; [unrolled: 1-line block ×8, first 2 shown]
	s_waitcnt vmcnt(7)
	v_mov_b32_e32 v20, v188
	v_mov_b32_e32 v21, v189
	scratch_store_dwordx4 off, v[168:171], off offset:400 ; 16-byte Folded Spill
	s_nop 0
	scratch_store_dwordx4 off, v[172:175], off offset:416 ; 16-byte Folded Spill
	scratch_store_dwordx4 off, v[176:179], off offset:432 ; 16-byte Folded Spill
	;; [unrolled: 1-line block ×7, first 2 shown]
	v_mov_b32_e32 v16, v208
	v_mov_b32_e32 v17, v209
	;; [unrolled: 1-line block ×6, first 2 shown]
	v_mov_b64_e32 v[188:189], v[164:165]
	v_mov_b64_e32 v[186:187], v[162:163]
	;; [unrolled: 1-line block ×7, first 2 shown]
	v_mov_b32_e32 v236, v190
	v_mov_b32_e32 v237, v191
	s_waitcnt vmcnt(11)
	v_mov_b32_e32 v18, v38
	v_mov_b32_e32 v19, v39
	scratch_load_dwordx4 v[24:27], off, off offset:272 ; 16-byte Folded Reload
	scratch_load_dwordx4 v[28:31], off, off offset:288 ; 16-byte Folded Reload
	;; [unrolled: 1-line block ×16, first 2 shown]
	s_waitcnt vmcnt(9)
	v_mov_b64_e32 v[50:51], v[48:49]
	v_mov_b64_e32 v[48:49], v[46:47]
	;; [unrolled: 1-line block ×7, first 2 shown]
	s_waitcnt vmcnt(8)
	v_mov_b64_e32 v[62:63], v[50:51]
	v_mov_b64_e32 v[36:37], v[34:35]
	;; [unrolled: 1-line block ×7, first 2 shown]
	v_mov_b32_e32 v24, v50
	v_mov_b32_e32 v25, v51
	v_mov_b64_e32 v[60:61], v[48:49]
	v_mov_b64_e32 v[58:59], v[46:47]
	v_mov_b64_e32 v[56:57], v[44:45]
	v_mov_b64_e32 v[54:55], v[42:43]
	v_mov_b64_e32 v[52:53], v[40:41]
	v_mov_b64_e32 v[50:51], v[38:39]
	v_mov_b64_e32 v[48:49], v[36:37]
	v_mov_b64_e32 v[46:47], v[34:35]
	v_mov_b64_e32 v[44:45], v[32:33]
	v_mov_b64_e32 v[42:43], v[30:31]
	v_mov_b64_e32 v[40:41], v[28:29]
	v_mov_b64_e32 v[38:39], v[26:27]
	s_waitcnt vmcnt(1)
	v_mov_b32_e32 v26, v90
	v_mov_b32_e32 v27, v91
	scratch_store_dwordx4 off, v[0:3], off offset:912 ; 16-byte Folded Spill
	s_nop 0
	scratch_store_dwordx4 off, v[4:7], off offset:928 ; 16-byte Folded Spill
	scratch_store_dwordx4 off, v[8:11], off offset:944 ; 16-byte Folded Spill
	;; [unrolled: 1-line block ×7, first 2 shown]
	v_mov_b64_e32 v[0:1], v[114:115]
	v_mov_b64_e32 v[2:3], v[116:117]
	;; [unrolled: 1-line block ×3, first 2 shown]
	v_mov_b32_e32 v224, v0
	v_mov_b32_e32 v225, v1
	;; [unrolled: 1-line block ×5, first 2 shown]
	scratch_load_dwordx4 v[0:3], off, s4    ; 16-byte Folded Reload
	scratch_load_dwordx4 v[4:7], off, s4 offset:16 ; 16-byte Folded Reload
	scratch_load_dwordx4 v[8:11], off, s4 offset:32 ; 16-byte Folded Reload
	;; [unrolled: 1-line block ×7, first 2 shown]
	s_movk_i32 s4, 0xf90
	v_mov_b64_e32 v[112:113], v[90:91]
	v_mov_b64_e32 v[110:111], v[88:89]
	;; [unrolled: 1-line block ×6, first 2 shown]
	s_waitcnt vmcnt(16)
	v_mov_b64_e32 v[100:101], v[78:79]
	v_mov_b64_e32 v[98:99], v[76:77]
	v_mov_b64_e32 v[96:97], v[74:75]
	v_mov_b64_e32 v[94:95], v[72:73]
	v_mov_b64_e32 v[92:93], v[70:71]
	v_mov_b64_e32 v[90:91], v[68:69]
	v_mov_b64_e32 v[88:89], v[66:67]
	v_mov_b64_e32 v[86:87], v[64:65]
	v_mov_b64_e32 v[84:85], v[62:63]
	v_mov_b32_e32 v248, v62
	v_mov_b32_e32 v249, v63
	v_mov_b64_e32 v[82:83], v[60:61]
	v_mov_b64_e32 v[80:81], v[58:59]
	;; [unrolled: 1-line block ×16, first 2 shown]
	v_mov_b32_e32 v116, v38
	v_mov_b32_e32 v117, v39
	;; [unrolled: 1-line block ×5, first 2 shown]
	v_mov_b64_e32 v[88:89], v[40:41]
	v_mov_b64_e32 v[86:87], v[38:39]
	v_mov_b32_e32 v250, v112
	v_mov_b32_e32 v251, v113
	s_waitcnt vmcnt(6)
	v_mov_b32_e32 v230, v6
	v_mov_b32_e32 v231, v7
	scratch_load_dwordx4 v[0:3], off, s4    ; 16-byte Folded Reload
	scratch_load_dwordx4 v[4:7], off, s4 offset:16 ; 16-byte Folded Reload
	scratch_load_dwordx4 v[8:11], off, s4 offset:32 ; 16-byte Folded Reload
	;; [unrolled: 1-line block ×7, first 2 shown]
	s_movk_i32 s4, 0x1210
	s_waitcnt vmcnt(5)
	v_mov_b32_e32 v232, v8
	v_mov_b32_e32 v233, v9
	scratch_load_dwordx4 v[0:3], off, off offset:2960 ; 16-byte Folded Reload
	scratch_load_dwordx4 v[4:7], off, off offset:2976 ; 16-byte Folded Reload
	scratch_load_dwordx4 v[8:11], off, off offset:2992 ; 16-byte Folded Reload
	scratch_load_dwordx4 v[12:15], off, off offset:3008 ; 16-byte Folded Reload
	scratch_load_dwordx4 v[16:19], off, off offset:3024 ; 16-byte Folded Reload
	scratch_load_dwordx4 v[20:23], off, off offset:3040 ; 16-byte Folded Reload
	scratch_load_dwordx4 v[24:27], off, off offset:3056 ; 16-byte Folded Reload
	scratch_load_dwordx4 v[28:31], off, off offset:3072 ; 16-byte Folded Reload
	s_waitcnt vmcnt(5)
	v_mov_b32_e32 v234, v10
	v_mov_b32_e32 v235, v11
	scratch_load_dwordx4 v[0:3], off, off offset:1680 ; 16-byte Folded Reload
	scratch_load_dwordx4 v[4:7], off, off offset:1696 ; 16-byte Folded Reload
	scratch_load_dwordx4 v[8:11], off, off offset:1712 ; 16-byte Folded Reload
	scratch_load_dwordx4 v[12:15], off, off offset:1728 ; 16-byte Folded Reload
	scratch_load_dwordx4 v[16:19], off, off offset:1744 ; 16-byte Folded Reload
	scratch_load_dwordx4 v[20:23], off, off offset:1760 ; 16-byte Folded Reload
	scratch_load_dwordx4 v[24:27], off, off offset:1776 ; 16-byte Folded Reload
	scratch_load_dwordx4 v[28:31], off, off offset:1792 ; 16-byte Folded Reload
	s_waitcnt vmcnt(4)
	v_mov_b32_e32 v238, v14
	v_mov_b32_e32 v239, v15
	scratch_load_dwordx4 v[0:3], off, off offset:528 ; 16-byte Folded Reload
	scratch_load_dwordx4 v[4:7], off, off offset:544 ; 16-byte Folded Reload
	scratch_load_dwordx4 v[8:11], off, off offset:560 ; 16-byte Folded Reload
	scratch_load_dwordx4 v[12:15], off, off offset:576 ; 16-byte Folded Reload
	scratch_load_dwordx4 v[16:19], off, off offset:592 ; 16-byte Folded Reload
	scratch_load_dwordx4 v[20:23], off, off offset:608 ; 16-byte Folded Reload
	scratch_load_dwordx4 v[24:27], off, off offset:624 ; 16-byte Folded Reload
	scratch_load_dwordx4 v[28:31], off, off offset:640 ; 16-byte Folded Reload
	s_waitcnt vmcnt(3)
	v_mov_b32_e32 v242, v18
	v_mov_b32_e32 v243, v19
	scratch_load_dwordx4 v[0:3], off, off offset:400 ; 16-byte Folded Reload
	scratch_load_dwordx4 v[4:7], off, off offset:416 ; 16-byte Folded Reload
	scratch_load_dwordx4 v[8:11], off, off offset:432 ; 16-byte Folded Reload
	scratch_load_dwordx4 v[12:15], off, off offset:448 ; 16-byte Folded Reload
	scratch_load_dwordx4 v[16:19], off, off offset:464 ; 16-byte Folded Reload
	scratch_load_dwordx4 v[20:23], off, off offset:480 ; 16-byte Folded Reload
	scratch_load_dwordx4 v[24:27], off, off offset:496 ; 16-byte Folded Reload
	scratch_load_dwordx4 v[28:31], off, off offset:512 ; 16-byte Folded Reload
	s_nop 0
	scratch_store_dwordx4 off, v[122:125], off offset:656 ; 16-byte Folded Spill
	s_nop 0
	scratch_store_dwordx4 off, v[126:129], off offset:672 ; 16-byte Folded Spill
	scratch_store_dwordx4 off, v[130:133], off offset:688 ; 16-byte Folded Spill
	;; [unrolled: 1-line block ×7, first 2 shown]
	scratch_load_dwordx4 v[28:31], off, s4  ; 16-byte Folded Reload
	scratch_load_dwordx4 v[32:35], off, s4 offset:16 ; 16-byte Folded Reload
	scratch_load_dwordx4 v[36:39], off, s4 offset:32 ; 16-byte Folded Reload
	;; [unrolled: 1-line block ×7, first 2 shown]
	s_movk_i32 s4, 0xf90
	scratch_load_dwordx4 v[192:195], off, s4 ; 16-byte Folded Reload
	scratch_load_dwordx4 v[196:199], off, s4 offset:16 ; 16-byte Folded Reload
	scratch_load_dwordx4 v[200:203], off, s4 offset:32 ; 16-byte Folded Reload
	;; [unrolled: 1-line block ×7, first 2 shown]
	v_mov_b32_e32 v128, v190
	v_mov_b32_e32 v129, v191
	s_movk_i32 s4, 0x1794
	v_mov_b32_e32 v140, v84
	v_mov_b32_e32 v141, v85
	;; [unrolled: 1-line block ×4, first 2 shown]
	s_waitcnt vmcnt(13)
	v_mov_b64_e32 v[36:37], v[34:35]
	v_mov_b32_e32 v122, v36
	v_mov_b32_e32 v244, v20
	;; [unrolled: 1-line block ×3, first 2 shown]
	v_mov_b64_e32 v[16:17], v[102:103]
	v_mov_b64_e32 v[18:19], v[104:105]
	;; [unrolled: 1-line block ×6, first 2 shown]
	s_waitcnt vmcnt(5)
	v_mov_b64_e32 v[106:107], v[192:193]
	v_mov_b64_e32 v[108:109], v[194:195]
	v_mov_b64_e32 v[110:111], v[196:197]
	v_mov_b64_e32 v[112:113], v[198:199]
	v_mov_b64_e32 v[114:115], v[200:201]
	scratch_load_dwordx4 v[192:195], off, off offset:2960 ; 16-byte Folded Reload
	scratch_load_dwordx4 v[196:199], off, off offset:2976 ; 16-byte Folded Reload
	;; [unrolled: 1-line block ×8, first 2 shown]
	v_mov_b32_e32 v124, v114
	v_mov_b32_e32 v125, v115
	s_waitcnt vmcnt(0)
	v_mov_b64_e32 v[222:223], v[224:225]
	v_mov_b64_e32 v[224:225], v[226:227]
	;; [unrolled: 1-line block ×9, first 2 shown]
	v_mov_b32_e32 v123, v37
	v_mov_b64_e32 v[240:241], v[242:243]
	v_mov_b64_e32 v[242:243], v[244:245]
	;; [unrolled: 1-line block ×9, first 2 shown]
	v_mov_b32_e32 v28, v251
	v_mov_b32_e32 v29, v146
	v_mov_b64_e32 v[94:95], v[192:193]
	v_mov_b64_e32 v[96:97], v[194:195]
	;; [unrolled: 1-line block ×6, first 2 shown]
	scratch_store_dwordx4 off, v[178:181], off offset:2448 ; 16-byte Folded Spill
	s_nop 0
	scratch_store_dwordx4 off, v[182:185], off offset:2464 ; 16-byte Folded Spill
	scratch_store_dwordx4 off, v[186:189], off offset:2480 ; 16-byte Folded Spill
	;; [unrolled: 1-line block ×7, first 2 shown]
	scratch_load_dwordx4 v[148:151], off, off offset:1680 ; 16-byte Folded Reload
	s_nop 0
	scratch_load_dwordx4 v[152:155], off, off offset:1696 ; 16-byte Folded Reload
	scratch_load_dwordx4 v[156:159], off, off offset:1712 ; 16-byte Folded Reload
	;; [unrolled: 1-line block ×7, first 2 shown]
	v_mov_b32_e32 v126, v104
	v_mov_b32_e32 v127, v105
	s_waitcnt vmcnt(4)
	v_mov_b64_e32 v[38:39], v[148:149]
	v_mov_b64_e32 v[40:41], v[150:151]
	v_mov_b64_e32 v[42:43], v[152:153]
	v_mov_b64_e32 v[44:45], v[154:155]
	v_mov_b64_e32 v[46:47], v[156:157]
	v_mov_b64_e32 v[48:49], v[158:159]
	v_mov_b64_e32 v[50:51], v[160:161]
	v_mov_b64_e32 v[52:53], v[162:163]
	scratch_load_dwordx4 v[148:151], off, off offset:1168 ; 16-byte Folded Reload
	scratch_load_dwordx4 v[152:155], off, off offset:1184 ; 16-byte Folded Reload
	;; [unrolled: 1-line block ×8, first 2 shown]
	v_mov_b32_e32 v130, v52
	v_mov_b32_e32 v131, v53
	s_waitcnt vmcnt(3)
	v_mov_b64_e32 v[206:207], v[164:165]
	v_mov_b32_e32 v132, v206
	v_mov_b32_e32 v133, v207
	scratch_load_dwordx4 v[190:193], off, off offset:528 ; 16-byte Folded Reload
	scratch_load_dwordx4 v[194:197], off, off offset:544 ; 16-byte Folded Reload
	;; [unrolled: 1-line block ×16, first 2 shown]
	s_waitcnt vmcnt(8)
	v_mov_b32_e32 v220, v146
	v_mov_b32_e32 v219, v145
	;; [unrolled: 1-line block ×3, first 2 shown]
	s_waitcnt vmcnt(4)
	v_mov_b64_e32 v[38:39], v[148:149]
	v_mov_b64_e32 v[40:41], v[150:151]
	s_waitcnt vmcnt(2)
	v_mov_b64_e32 v[54:55], v[164:165]
	v_mov_b64_e32 v[42:43], v[152:153]
	;; [unrolled: 1-line block ×9, first 2 shown]
	scratch_load_dwordx4 v[148:151], off, off offset:656 ; 16-byte Folded Reload
	scratch_load_dwordx4 v[152:155], off, off offset:672 ; 16-byte Folded Reload
	;; [unrolled: 1-line block ×8, first 2 shown]
	s_nop 0
	scratch_store_dwordx4 off, v[86:89], s4 ; 16-byte Folded Spill
	s_nop 0
	scratch_store_dwordx4 off, v[90:93], s4 offset:16 ; 16-byte Folded Spill
	scratch_store_dwordx4 off, v[94:97], s4 offset:32 ; 16-byte Folded Spill
	;; [unrolled: 1-line block ×7, first 2 shown]
	v_mov_b32_e32 v134, v208
	v_mov_b32_e32 v135, v209
	v_mov_b64_e32 v[216:217], v[26:27]
	v_mov_b64_e32 v[214:215], v[24:25]
	v_mov_b64_e32 v[212:213], v[22:23]
	v_mov_b64_e32 v[210:211], v[20:21]
	v_mov_b64_e32 v[208:209], v[18:19]
	v_mov_b64_e32 v[206:207], v[16:17]
	v_mov_b32_e32 v142, v216
	v_mov_b32_e32 v143, v217
	;; [unrolled: 1-line block ×4, first 2 shown]
	v_mov_b64_e32 v[48:49], v[60:61]
	v_mov_b64_e32 v[50:51], v[62:63]
	;; [unrolled: 1-line block ×23, first 2 shown]
	s_waitcnt vmcnt(8)
	v_mov_b64_e32 v[176:177], v[170:171]
	v_mov_b64_e32 v[174:175], v[168:169]
	;; [unrolled: 1-line block ×5, first 2 shown]
	v_mov_b32_e32 v138, v176
	v_mov_b32_e32 v139, v177
	v_mov_b64_e32 v[216:217], v[142:143]
	v_mov_b64_e32 v[166:167], v[160:161]
	;; [unrolled: 1-line block ×18, first 2 shown]
	scratch_store_dwordx4 off, v[190:193], off offset:4 ; 16-byte Folded Spill
	s_nop 0
	scratch_store_dwordx4 off, v[194:197], off offset:20 ; 16-byte Folded Spill
	scratch_store_dwordx4 off, v[198:201], off offset:36 ; 16-byte Folded Spill
	scratch_store_dwordx4 off, v[202:205], off offset:52 ; 16-byte Folded Spill
	scratch_store_dwordx4 off, v[206:209], off offset:68 ; 16-byte Folded Spill
	scratch_store_dwordx4 off, v[210:213], off offset:84 ; 16-byte Folded Spill
	scratch_store_dwordx4 off, v[214:217], off offset:100 ; 16-byte Folded Spill
	scratch_store_dwordx4 off, v[218:221], off offset:116 ; 16-byte Folded Spill
	scratch_store_dwordx2 off, v[28:29], off offset:132 ; 8-byte Folded Spill
	v_mov_b64_e32 v[146:147], v[34:35]
	v_mov_b64_e32 v[144:145], v[32:33]
	;; [unrolled: 1-line block ×9, first 2 shown]
	v_mov_b32_e32 v28, v38
	scratch_store_dwordx4 off, v[18:21], off offset:1424 ; 16-byte Folded Spill
	s_nop 0
	scratch_store_dwordx4 off, v[22:25], off offset:1440 ; 16-byte Folded Spill
	scratch_store_dwordx4 off, v[26:29], off offset:1456 ; 16-byte Folded Spill
	;; [unrolled: 1-line block ×7, first 2 shown]
	scratch_load_dwordx4 v[74:77], off, off offset:2448 ; 16-byte Folded Reload
	scratch_load_dwordx4 v[78:81], off, off offset:2464 ; 16-byte Folded Reload
	;; [unrolled: 1-line block ×8, first 2 shown]
	v_mov_b32_e32 v120, v114
	v_mov_b32_e32 v116, v148
	;; [unrolled: 1-line block ×3, first 2 shown]
	s_waitcnt vmcnt(4)
	v_mov_b64_e32 v[188:189], v[86:87]
	scratch_load_dwordx4 v[78:81], off, off offset:1680 ; 16-byte Folded Reload
	scratch_load_dwordx4 v[82:85], off, off offset:1696 ; 16-byte Folded Reload
	;; [unrolled: 1-line block ×8, first 2 shown]
	v_mov_b32_e32 v144, v188
	v_mov_b32_e32 v187, v189
	s_waitcnt vmcnt(4)
	v_mov_b32_e32 v114, v92
	v_mov_b32_e32 v145, v93
	scratch_load_dwordx4 v[74:77], off, off offset:1168 ; 16-byte Folded Reload
	scratch_load_dwordx4 v[78:81], off, off offset:1184 ; 16-byte Folded Reload
	;; [unrolled: 1-line block ×8, first 2 shown]
	s_waitcnt vmcnt(3)
	v_mov_b64_e32 v[46:47], v[90:91]
	scratch_load_dwordx4 v[74:77], off, off offset:528 ; 16-byte Folded Reload
	scratch_load_dwordx4 v[78:81], off, off offset:544 ; 16-byte Folded Reload
	;; [unrolled: 1-line block ×8, first 2 shown]
	v_mov_b32_e32 v146, v46
	v_mov_b32_e32 v147, v47
	v_mov_b64_e32 v[36:37], v[222:223]
	v_mov_b64_e32 v[38:39], v[224:225]
	;; [unrolled: 1-line block ×8, first 2 shown]
	v_mov_b32_e32 v234, v250
	s_waitcnt vmcnt(3)
	v_mov_b64_e32 v[140:141], v[92:93]
	v_mov_b64_e32 v[138:139], v[90:91]
	scratch_load_dwordx4 v[74:77], off, off offset:400 ; 16-byte Folded Reload
	scratch_load_dwordx4 v[78:81], off, off offset:416 ; 16-byte Folded Reload
	;; [unrolled: 1-line block ×8, first 2 shown]
	v_mov_b32_e32 v32, v140
	v_mov_b32_e32 v113, v141
	s_waitcnt vmcnt(2)
	v_mov_b64_e32 v[142:143], v[94:95]
	v_mov_b64_e32 v[140:141], v[92:93]
	;; [unrolled: 1-line block ×3, first 2 shown]
	scratch_load_dwordx4 v[78:81], off, off offset:656 ; 16-byte Folded Reload
	scratch_load_dwordx4 v[82:85], off, off offset:672 ; 16-byte Folded Reload
	;; [unrolled: 1-line block ×8, first 2 shown]
	v_mov_b32_e32 v182, v142
	v_mov_b32_e32 v77, v143
	s_waitcnt vmcnt(2)
	v_mov_b64_e32 v[180:181], v[100:101]
	v_mov_b64_e32 v[178:179], v[98:99]
	v_mov_b64_e32 v[176:177], v[96:97]
	v_mov_b64_e32 v[174:175], v[94:95]
	s_waitcnt vmcnt(1)
	v_mov_b64_e32 v[102:103], v[72:73]
	v_mov_b64_e32 v[100:101], v[70:71]
	;; [unrolled: 1-line block ×5, first 2 shown]
	v_mov_b32_e32 v64, v250
	v_mov_b32_e32 v184, v102
	;; [unrolled: 1-line block ×3, first 2 shown]
	v_mov_b64_e32 v[104:105], v[26:27]
	scratch_store_dwordx4 off, v[36:39], off offset:784 ; 16-byte Folded Spill
	s_nop 0
	scratch_store_dwordx4 off, v[40:43], off offset:800 ; 16-byte Folded Spill
	scratch_store_dwordx4 off, v[44:47], off offset:816 ; 16-byte Folded Spill
	;; [unrolled: 1-line block ×7, first 2 shown]
	v_mov_b32_e32 v34, v180
	v_mov_b32_e32 v35, v181
	;; [unrolled: 1-line block ×5, first 2 shown]
	v_mov_b64_e32 v[102:103], v[24:25]
	v_mov_b64_e32 v[100:101], v[22:23]
	;; [unrolled: 1-line block ×5, first 2 shown]
.LBB61_33:
	s_or_b64 exec, exec, s[2:3]
	v_cmp_eq_u32_e32 vcc, 6, v254
	s_waitcnt vmcnt(63) expcnt(7) lgkmcnt(15)
	s_barrier
	s_and_saveexec_b64 s[2:3], vcc
	s_cbranch_execz .LBB61_36
; %bb.34:
	ds_write_b32 v255, v116
	scratch_load_dwordx4 v[78:81], off, off offset:4 ; 16-byte Folded Reload
	scratch_load_dwordx4 v[82:85], off, off offset:20 ; 16-byte Folded Reload
	;; [unrolled: 1-line block ×8, first 2 shown]
	scratch_load_dword v28, off, off offset:140 ; 4-byte Folded Reload
	s_waitcnt vmcnt(0)
	ds_write2_b32 v28, v85, v86 offset0:7 offset1:8
	ds_write2_b32 v28, v87, v88 offset0:9 offset1:10
	;; [unrolled: 1-line block ×12, first 2 shown]
	ds_read_b32 v28, v255
	s_waitcnt lgkmcnt(0)
	v_cmp_neq_f32_e32 vcc, 0, v28
	s_and_b64 exec, exec, vcc
	s_cbranch_execz .LBB61_36
; %bb.35:
	v_div_scale_f32 v29, s[4:5], v28, v28, 1.0
	v_rcp_f32_e32 v30, v29
	v_div_scale_f32 v31, vcc, 1.0, v28, 1.0
	v_fma_f32 v56, -v29, v30, 1.0
	v_fmac_f32_e32 v30, v56, v30
	v_mul_f32_e32 v56, v31, v30
	v_fma_f32 v57, -v29, v56, v31
	v_fmac_f32_e32 v56, v57, v30
	v_fma_f32 v29, -v29, v56, v31
	v_div_fmas_f32 v29, v29, v30, v56
	v_div_fixup_f32 v28, v29, v28, 1.0
	ds_write_b32 v255, v28
.LBB61_36:
	s_or_b64 exec, exec, s[2:3]
	s_waitcnt lgkmcnt(0)
	s_barrier
	ds_read_b32 v0, v255
	v_cmp_lt_u32_e32 vcc, 6, v254
	s_waitcnt lgkmcnt(0)
	scratch_store_dword off, v0, off offset:2704 ; 4-byte Folded Spill
	s_mov_b64 s[2:3], exec
	s_and_b64 s[4:5], s[2:3], vcc
	v_mov_b32_e32 v37, v113
	s_mov_b64 exec, s[4:5]
	s_cbranch_execz .LBB61_38
; %bb.37:
	s_movk_i32 s4, 0x1794
	scratch_load_dwordx4 v[32:35], off, s4  ; 16-byte Folded Reload
	scratch_load_dwordx4 v[36:39], off, s4 offset:16 ; 16-byte Folded Reload
	scratch_load_dwordx4 v[40:43], off, s4 offset:32 ; 16-byte Folded Reload
	;; [unrolled: 1-line block ×7, first 2 shown]
	scratch_load_dword v0, off, off offset:2704 ; 4-byte Folded Reload
	scratch_load_dword v10, off, off offset:140 ; 4-byte Folded Reload
	s_movk_i32 s4, 0xf90
	s_waitcnt vmcnt(9)
	v_mov_b32_e32 v106, v32
	v_mov_b32_e32 v107, v33
	;; [unrolled: 1-line block ×4, first 2 shown]
	s_waitcnt vmcnt(8)
	v_mov_b32_e32 v110, v36
	v_mov_b32_e32 v111, v37
	;; [unrolled: 1-line block ×4, first 2 shown]
	s_waitcnt vmcnt(1)
	v_mul_f32_e32 v38, v116, v0
	s_waitcnt vmcnt(0)
	ds_read2_b32 v[0:1], v10 offset0:7 offset1:8
	scratch_load_dwordx4 v[40:43], off, off offset:4 ; 16-byte Folded Reload
	scratch_load_dwordx4 v[44:47], off, off offset:20 ; 16-byte Folded Reload
	;; [unrolled: 1-line block ×8, first 2 shown]
	ds_read2_b32 v[4:5], v10 offset0:9 offset1:10
	ds_read2_b32 v[6:7], v10 offset0:11 offset1:12
	;; [unrolled: 1-line block ×3, first 2 shown]
	v_mov_b32_e32 v112, v38
	v_mov_b32_e32 v226, v34
	;; [unrolled: 1-line block ×13, first 2 shown]
	s_waitcnt vmcnt(2)
	v_mov_b32_e32 v214, v62
	v_mov_b32_e32 v200, v48
	;; [unrolled: 1-line block ×9, first 2 shown]
	s_waitcnt lgkmcnt(3)
	v_pk_fma_f32 v[28:29], v[38:39], v[0:1], v[2:3] op_sel_hi:[0,1,1] neg_lo:[1,0,0] neg_hi:[1,0,0]
	v_mov_b32_e32 v0, v201
	v_mov_b32_e32 v1, v202
	;; [unrolled: 1-line block ×4, first 2 shown]
	s_waitcnt lgkmcnt(2)
	v_pk_fma_f32 v[30:31], v[38:39], v[4:5], v[0:1] op_sel_hi:[0,1,1] neg_lo:[1,0,0] neg_hi:[1,0,0]
	v_mov_b32_e32 v0, v203
	v_mov_b32_e32 v1, v204
	;; [unrolled: 1-line block ×9, first 2 shown]
	s_waitcnt lgkmcnt(1)
	v_pk_fma_f32 v[56:57], v[38:39], v[6:7], v[0:1] op_sel_hi:[0,1,1] neg_lo:[1,0,0] neg_hi:[1,0,0]
	v_mov_b32_e32 v0, v205
	v_mov_b32_e32 v1, v206
	s_waitcnt lgkmcnt(0)
	v_pk_fma_f32 v[58:59], v[38:39], v[8:9], v[0:1] op_sel_hi:[0,1,1] neg_lo:[1,0,0] neg_hi:[1,0,0]
	ds_read2_b32 v[0:1], v10 offset0:15 offset1:16
	ds_read2_b32 v[4:5], v10 offset0:17 offset1:18
	;; [unrolled: 1-line block ×4, first 2 shown]
	v_mov_b32_e32 v2, v207
	v_mov_b32_e32 v3, v208
	s_waitcnt vmcnt(0)
	v_mov_b32_e32 v222, v70
	s_waitcnt lgkmcnt(3)
	v_pk_fma_f32 v[60:61], v[38:39], v[0:1], v[2:3] op_sel_hi:[0,1,1] neg_lo:[1,0,0] neg_hi:[1,0,0]
	v_mov_b32_e32 v0, v209
	v_mov_b32_e32 v1, v210
	;; [unrolled: 1-line block ×9, first 2 shown]
	s_waitcnt lgkmcnt(2)
	v_pk_fma_f32 v[62:63], v[38:39], v[4:5], v[0:1] op_sel_hi:[0,1,1] neg_lo:[1,0,0] neg_hi:[1,0,0]
	v_mov_b32_e32 v0, v211
	v_mov_b32_e32 v1, v212
	s_waitcnt lgkmcnt(1)
	v_pk_fma_f32 v[92:93], v[38:39], v[6:7], v[0:1] op_sel_hi:[0,1,1] neg_lo:[1,0,0] neg_hi:[1,0,0]
	v_mov_b32_e32 v0, v213
	v_mov_b32_e32 v1, v214
	s_waitcnt lgkmcnt(0)
	v_pk_fma_f32 v[94:95], v[38:39], v[8:9], v[0:1] op_sel_hi:[0,1,1] neg_lo:[1,0,0] neg_hi:[1,0,0]
	ds_read2_b32 v[0:1], v10 offset0:23 offset1:24
	ds_read2_b32 v[4:5], v10 offset0:25 offset1:26
	;; [unrolled: 1-line block ×4, first 2 shown]
	v_mov_b32_e32 v2, v215
	v_mov_b32_e32 v3, v216
	;; [unrolled: 1-line block ×3, first 2 shown]
	s_waitcnt lgkmcnt(3)
	v_pk_fma_f32 v[122:123], v[38:39], v[0:1], v[2:3] op_sel_hi:[0,1,1] neg_lo:[1,0,0] neg_hi:[1,0,0]
	v_mov_b32_e32 v0, v217
	v_mov_b32_e32 v1, v218
	s_waitcnt lgkmcnt(2)
	v_pk_fma_f32 v[124:125], v[38:39], v[4:5], v[0:1] op_sel_hi:[0,1,1] neg_lo:[1,0,0] neg_hi:[1,0,0]
	v_mov_b32_e32 v0, v219
	v_mov_b32_e32 v1, v220
	;; [unrolled: 4-line block ×4, first 2 shown]
	v_mov_b32_e32 v2, v34
	v_mov_b32_e32 v3, v35
	v_mov_b32_e32 v4, v36
	v_mov_b32_e32 v5, v37
	v_mov_b32_e32 v6, v38
	v_mov_b32_e32 v7, v28
	v_mov_b32_e32 v8, v29
	v_mov_b32_e32 v39, v28
	scratch_store_dwordx4 off, v[0:3], s4   ; 16-byte Folded Spill
	s_nop 0
	scratch_store_dwordx4 off, v[4:7], s4 offset:16 ; 16-byte Folded Spill
	scratch_store_dwordx4 off, v[8:11], s4 offset:32 ; 16-byte Folded Spill
	;; [unrolled: 1-line block ×7, first 2 shown]
	s_movk_i32 s4, 0x1294
	v_mov_b32_e32 v118, v57
	v_mov_b32_e32 v235, v56
	;; [unrolled: 1-line block ×40, first 2 shown]
	scratch_store_dwordx4 off, v[0:3], s4   ; 16-byte Folded Spill
	s_nop 0
	scratch_store_dwordx4 off, v[4:7], s4 offset:16 ; 16-byte Folded Spill
	scratch_store_dwordx4 off, v[8:11], s4 offset:32 ; 16-byte Folded Spill
	;; [unrolled: 1-line block ×7, first 2 shown]
	s_movk_i32 s4, 0x1010
	v_mov_b32_e32 v10, v31
	scratch_store_dwordx4 off, v[0:3], off offset:2960 ; 16-byte Folded Spill
	s_nop 0
	scratch_store_dwordx4 off, v[4:7], off offset:2976 ; 16-byte Folded Spill
	scratch_store_dwordx4 off, v[8:11], off offset:2992 ; 16-byte Folded Spill
	;; [unrolled: 1-line block ×7, first 2 shown]
	v_mov_b32_e32 v11, v56
	scratch_store_dwordx4 off, v[0:3], s4   ; 16-byte Folded Spill
	s_nop 0
	scratch_store_dwordx4 off, v[4:7], s4 offset:16 ; 16-byte Folded Spill
	scratch_store_dwordx4 off, v[8:11], s4 offset:32 ; 16-byte Folded Spill
	;; [unrolled: 1-line block ×7, first 2 shown]
	v_mov_b32_e32 v12, v57
	v_mov_b32_e32 v13, v58
	s_movk_i32 s4, 0x1594
	v_mov_b32_e32 v113, v28
	v_mov_b32_e32 v114, v29
	;; [unrolled: 1-line block ×4, first 2 shown]
	scratch_store_dwordx4 off, v[106:109], off offset:2448 ; 16-byte Folded Spill
	s_nop 0
	scratch_store_dwordx4 off, v[110:113], off offset:2464 ; 16-byte Folded Spill
	scratch_store_dwordx4 off, v[114:117], off offset:2480 ; 16-byte Folded Spill
	;; [unrolled: 1-line block ×8, first 2 shown]
	s_nop 0
	scratch_store_dwordx4 off, v[4:7], off offset:3488 ; 16-byte Folded Spill
	scratch_store_dwordx4 off, v[8:11], off offset:3504 ; 16-byte Folded Spill
	;; [unrolled: 1-line block ×7, first 2 shown]
	v_mov_b32_e32 v14, v59
	v_mov_b32_e32 v128, v32
	;; [unrolled: 1-line block ×8, first 2 shown]
	scratch_store_dwordx4 off, v[0:3], off offset:1680 ; 16-byte Folded Spill
	s_nop 0
	scratch_store_dwordx4 off, v[4:7], off offset:1696 ; 16-byte Folded Spill
	scratch_store_dwordx4 off, v[8:11], off offset:1712 ; 16-byte Folded Spill
	scratch_store_dwordx4 off, v[12:15], off offset:1728 ; 16-byte Folded Spill
	scratch_store_dwordx4 off, v[16:19], off offset:1744 ; 16-byte Folded Spill
	scratch_store_dwordx4 off, v[20:23], off offset:1760 ; 16-byte Folded Spill
	scratch_store_dwordx4 off, v[24:27], off offset:1776 ; 16-byte Folded Spill
	scratch_store_dwordx4 off, v[28:31], off offset:1792 ; 16-byte Folded Spill
	v_mov_b32_e32 v15, v60
	v_mov_b32_e32 v247, v122
	;; [unrolled: 1-line block ×14, first 2 shown]
	scratch_store_dwordx4 off, v[0:3], off offset:3088 ; 16-byte Folded Spill
	s_nop 0
	scratch_store_dwordx4 off, v[4:7], off offset:3104 ; 16-byte Folded Spill
	scratch_store_dwordx4 off, v[8:11], off offset:3120 ; 16-byte Folded Spill
	;; [unrolled: 1-line block ×7, first 2 shown]
	v_mov_b32_e32 v16, v61
	v_mov_b32_e32 v156, v127
	scratch_store_dwordx4 off, v[0:3], off offset:1168 ; 16-byte Folded Spill
	s_nop 0
	scratch_store_dwordx4 off, v[4:7], off offset:1184 ; 16-byte Folded Spill
	scratch_store_dwordx4 off, v[8:11], off offset:1200 ; 16-byte Folded Spill
	scratch_store_dwordx4 off, v[12:15], off offset:1216 ; 16-byte Folded Spill
	scratch_store_dwordx4 off, v[16:19], off offset:1232 ; 16-byte Folded Spill
	scratch_store_dwordx4 off, v[20:23], off offset:1248 ; 16-byte Folded Spill
	scratch_store_dwordx4 off, v[24:27], off offset:1264 ; 16-byte Folded Spill
	scratch_store_dwordx4 off, v[28:31], off offset:1280 ; 16-byte Folded Spill
	v_mov_b32_e32 v17, v62
	scratch_store_dwordx4 off, v[0:3], off offset:2576 ; 16-byte Folded Spill
	s_nop 0
	scratch_store_dwordx4 off, v[4:7], off offset:2592 ; 16-byte Folded Spill
	scratch_store_dwordx4 off, v[8:11], off offset:2608 ; 16-byte Folded Spill
	scratch_store_dwordx4 off, v[12:15], off offset:2624 ; 16-byte Folded Spill
	scratch_store_dwordx4 off, v[16:19], off offset:2640 ; 16-byte Folded Spill
	scratch_store_dwordx4 off, v[20:23], off offset:2656 ; 16-byte Folded Spill
	scratch_store_dwordx4 off, v[24:27], off offset:2672 ; 16-byte Folded Spill
	scratch_store_dwordx4 off, v[28:31], off offset:2688 ; 16-byte Folded Spill
	;; [unrolled: 10-line block ×8, first 2 shown]
	s_nop 0
	v_mov_b32_e32 v24, v123
	v_mov_b32_e32 v25, v124
	;; [unrolled: 1-line block ×6, first 2 shown]
	scratch_store_dwordx4 off, v[224:227], off offset:272 ; 16-byte Folded Spill
	s_nop 0
	scratch_store_dwordx4 off, v[228:231], off offset:288 ; 16-byte Folded Spill
	scratch_store_dwordx4 off, v[232:235], off offset:304 ; 16-byte Folded Spill
	;; [unrolled: 1-line block ×8, first 2 shown]
	s_nop 0
	scratch_store_dwordx4 off, v[4:7], off offset:1056 ; 16-byte Folded Spill
	scratch_store_dwordx4 off, v[8:11], off offset:1072 ; 16-byte Folded Spill
	;; [unrolled: 1-line block ×7, first 2 shown]
	v_mov_b32_e32 v234, v127
	v_mov_b32_e32 v26, v125
	scratch_store_dwordx4 off, v[0:3], off offset:144 ; 16-byte Folded Spill
	s_nop 0
	scratch_store_dwordx4 off, v[4:7], off offset:160 ; 16-byte Folded Spill
	scratch_store_dwordx4 off, v[8:11], off offset:176 ; 16-byte Folded Spill
	;; [unrolled: 1-line block ×7, first 2 shown]
	s_nop 0
	v_mov_b32_e32 v27, v126
	scratch_store_dwordx4 off, v[0:3], off offset:912 ; 16-byte Folded Spill
	s_nop 0
	scratch_store_dwordx4 off, v[4:7], off offset:928 ; 16-byte Folded Spill
	scratch_store_dwordx4 off, v[8:11], off offset:944 ; 16-byte Folded Spill
	;; [unrolled: 1-line block ×7, first 2 shown]
	v_mov_b32_e32 v167, v28
	v_mov_b32_e32 v168, v29
	;; [unrolled: 1-line block ×4, first 2 shown]
	scratch_store_dwordx4 off, v[160:163], off offset:784 ; 16-byte Folded Spill
	s_nop 0
	scratch_store_dwordx4 off, v[164:167], off offset:800 ; 16-byte Folded Spill
	scratch_store_dwordx4 off, v[168:171], off offset:816 ; 16-byte Folded Spill
	;; [unrolled: 1-line block ×7, first 2 shown]
	v_mov_b32_e32 v135, v28
	v_mov_b32_e32 v136, v29
	;; [unrolled: 1-line block ×4, first 2 shown]
	scratch_store_dwordx2 off, v[158:159], off offset:132 ; 8-byte Folded Spill
	v_mov_b32_e32 v158, v159
	scratch_store_dwordx4 off, v[128:131], off offset:4 ; 16-byte Folded Spill
	s_nop 0
	scratch_store_dwordx4 off, v[132:135], off offset:20 ; 16-byte Folded Spill
	scratch_store_dwordx4 off, v[136:139], off offset:36 ; 16-byte Folded Spill
	;; [unrolled: 1-line block ×7, first 2 shown]
	scratch_store_dwordx4 off, v[32:35], s4 ; 16-byte Folded Spill
	s_nop 0
	scratch_store_dwordx4 off, v[36:39], s4 offset:16 ; 16-byte Folded Spill
	scratch_store_dwordx4 off, v[40:43], s4 offset:32 ; 16-byte Folded Spill
	;; [unrolled: 1-line block ×7, first 2 shown]
	s_movk_i32 s4, 0x1210
	scratch_store_dwordx4 off, v[32:35], s4 ; 16-byte Folded Spill
	s_nop 0
	scratch_store_dwordx4 off, v[36:39], s4 offset:16 ; 16-byte Folded Spill
	scratch_store_dwordx4 off, v[40:43], s4 offset:32 ; 16-byte Folded Spill
	;; [unrolled: 1-line block ×7, first 2 shown]
	v_mov_b32_e32 v149, v28
	v_mov_b32_e32 v28, v31
	;; [unrolled: 1-line block ×3, first 2 shown]
	scratch_store_dwordx4 off, v[18:21], off offset:1424 ; 16-byte Folded Spill
	s_nop 0
	scratch_store_dwordx4 off, v[22:25], off offset:1440 ; 16-byte Folded Spill
	scratch_store_dwordx4 off, v[26:29], off offset:1456 ; 16-byte Folded Spill
	;; [unrolled: 1-line block ×7, first 2 shown]
	v_mov_b32_e32 v119, v56
	v_mov_b32_e32 v144, v57
	;; [unrolled: 1-line block ×15, first 2 shown]
.LBB61_38:
	s_or_b64 exec, exec, s[2:3]
	v_mov_b32_e32 v143, v77
	v_cmp_eq_u32_e32 vcc, 7, v254
	s_waitcnt vmcnt(63) expcnt(7) lgkmcnt(15)
	s_barrier
	s_and_saveexec_b64 s[2:3], vcc
	s_cbranch_execz .LBB61_41
; %bb.39:
	ds_write_b32 v255, v149
	scratch_load_dwordx4 v[52:55], off, off offset:4 ; 16-byte Folded Reload
	scratch_load_dwordx4 v[56:59], off, off offset:20 ; 16-byte Folded Reload
	;; [unrolled: 1-line block ×8, first 2 shown]
	scratch_load_dword v30, off, off offset:140 ; 4-byte Folded Reload
	s_waitcnt vmcnt(0)
	ds_write2_b32 v30, v60, v61 offset0:8 offset1:9
	ds_write2_b32 v30, v62, v63 offset0:10 offset1:11
	;; [unrolled: 1-line block ×11, first 2 shown]
	scratch_load_dwordx2 v[28:29], off, off offset:132 ; 8-byte Folded Reload
	s_waitcnt vmcnt(0)
	ds_write_b32 v30, v29 offset:120
	ds_read_b32 v28, v255
	s_waitcnt lgkmcnt(0)
	v_cmp_neq_f32_e32 vcc, 0, v28
	s_and_b64 exec, exec, vcc
	s_cbranch_execz .LBB61_41
; %bb.40:
	v_div_scale_f32 v29, s[4:5], v28, v28, 1.0
	v_rcp_f32_e32 v30, v29
	v_div_scale_f32 v31, vcc, 1.0, v28, 1.0
	v_fma_f32 v56, -v29, v30, 1.0
	v_fmac_f32_e32 v30, v56, v30
	v_mul_f32_e32 v56, v31, v30
	v_fma_f32 v57, -v29, v56, v31
	v_fmac_f32_e32 v56, v57, v30
	v_fma_f32 v29, -v29, v56, v31
	v_div_fmas_f32 v29, v29, v30, v56
	v_div_fixup_f32 v28, v29, v28, 1.0
	ds_write_b32 v255, v28
.LBB61_41:
	s_or_b64 exec, exec, s[2:3]
	s_waitcnt lgkmcnt(0)
	s_barrier
	ds_read_b32 v0, v255
	v_cmp_lt_u32_e32 vcc, 7, v254
	s_waitcnt lgkmcnt(0)
	scratch_store_dword off, v0, off offset:2832 ; 4-byte Folded Spill
	s_and_saveexec_b64 s[2:3], vcc
	s_cbranch_execz .LBB61_43
; %bb.42:
	scratch_load_dword v1, off, off offset:140 ; 4-byte Folded Reload
	s_movk_i32 s4, 0x1210
	s_waitcnt vmcnt(0)
	ds_read2_b32 v[2:3], v1 offset0:8 offset1:9
	ds_read2_b32 v[4:5], v1 offset0:10 offset1:11
	;; [unrolled: 1-line block ×3, first 2 shown]
	scratch_load_dword v0, off, off offset:2832 ; 4-byte Folded Reload
	ds_read2_b32 v[8:9], v1 offset0:14 offset1:15
	scratch_load_dwordx4 v[10:13], off, off offset:4 ; 16-byte Folded Reload
	scratch_load_dwordx4 v[14:17], off, off offset:20 ; 16-byte Folded Reload
	;; [unrolled: 1-line block ×8, first 2 shown]
	s_waitcnt vmcnt(2)
	v_mov_b64_e32 v[214:215], v[32:33]
	v_mul_f32_e32 v0, v149, v0
	v_mov_b64_e32 v[200:201], v[18:19]
	s_waitcnt vmcnt(0) lgkmcnt(3)
	v_pk_fma_f32 v[40:41], v[0:1], v[2:3], v[200:201] op_sel_hi:[0,1,1] neg_lo:[1,0,0] neg_hi:[1,0,0]
	ds_read2_b32 v[2:3], v1 offset0:16 offset1:17
	v_mov_b64_e32 v[208:209], v[26:27]
	v_mov_b64_e32 v[206:207], v[24:25]
	;; [unrolled: 1-line block ×7, first 2 shown]
	s_waitcnt lgkmcnt(3)
	v_pk_fma_f32 v[38:39], v[0:1], v[4:5], v[202:203] op_sel_hi:[0,1,1] neg_lo:[1,0,0] neg_hi:[1,0,0]
	s_waitcnt lgkmcnt(2)
	v_pk_fma_f32 v[34:35], v[0:1], v[6:7], v[204:205] op_sel_hi:[0,1,1] neg_lo:[1,0,0] neg_hi:[1,0,0]
	;; [unrolled: 2-line block ×3, first 2 shown]
	ds_read2_b32 v[4:5], v1 offset0:18 offset1:19
	ds_read2_b32 v[6:7], v1 offset0:20 offset1:21
	;; [unrolled: 1-line block ×3, first 2 shown]
	s_waitcnt lgkmcnt(3)
	v_pk_fma_f32 v[36:37], v[0:1], v[2:3], v[208:209] op_sel_hi:[0,1,1] neg_lo:[1,0,0] neg_hi:[1,0,0]
	ds_read2_b32 v[2:3], v1 offset0:24 offset1:25
	ds_read2_b32 v[10:11], v1 offset0:26 offset1:27
	;; [unrolled: 1-line block ×3, first 2 shown]
	ds_read_b32 v1, v1 offset:120
	v_mov_b64_e32 v[212:213], v[30:31]
	v_mov_b64_e32 v[210:211], v[28:29]
	v_mov_b32_e32 v61, v0
	v_mov_b32_e32 v113, v0
	s_waitcnt lgkmcnt(0)
	v_pk_fma_f32 v[72:73], v[0:1], v[4:5], v[210:211] op_sel_hi:[0,1,1] neg_lo:[1,0,0] neg_hi:[1,0,0]
	v_pk_fma_f32 v[70:71], v[0:1], v[6:7], v[212:213] op_sel_hi:[0,1,1] neg_lo:[1,0,0] neg_hi:[1,0,0]
	;; [unrolled: 1-line block ×6, first 2 shown]
	scratch_load_dwordx4 v[2:5], off, s4    ; 16-byte Folded Reload
	scratch_load_dwordx4 v[6:9], off, s4 offset:16 ; 16-byte Folded Reload
	scratch_load_dwordx4 v[10:13], off, s4 offset:32 ; 16-byte Folded Reload
	;; [unrolled: 1-line block ×7, first 2 shown]
	s_waitcnt vmcnt(5)
	v_mov_b64_e32 v[10:11], v[40:41]
	v_mov_b32_e32 v9, v0
	s_movk_i32 s4, 0x1294
	v_mov_b32_e32 v112, v8
	v_mov_b64_e32 v[136:137], v[10:11]
	v_mov_b32_e32 v111, v7
	v_mov_b32_e32 v110, v6
	;; [unrolled: 1-line block ×6, first 2 shown]
	v_mov_b64_e32 v[134:135], v[8:9]
	v_mov_b64_e32 v[132:133], v[6:7]
	;; [unrolled: 1-line block ×4, first 2 shown]
	scratch_store_dwordx4 off, v[2:5], s4   ; 16-byte Folded Spill
	s_nop 0
	scratch_store_dwordx4 off, v[6:9], s4 offset:16 ; 16-byte Folded Spill
	scratch_store_dwordx4 off, v[10:13], s4 offset:32 ; 16-byte Folded Spill
	s_waitcnt vmcnt(7)
	scratch_store_dwordx4 off, v[14:17], s4 offset:48 ; 16-byte Folded Spill
	s_waitcnt vmcnt(7)
	;; [unrolled: 2-line block ×5, first 2 shown]
	scratch_store_dwordx4 off, v[30:33], s4 offset:112 ; 16-byte Folded Spill
	v_mov_b64_e32 v[12:13], v[38:39]
	s_movk_i32 s4, 0x1010
	v_mov_b32_e32 v54, v106
	v_mov_b32_e32 v55, v107
	;; [unrolled: 1-line block ×9, first 2 shown]
	v_mov_b64_e32 v[188:189], v[112:113]
	v_mov_b64_e32 v[186:187], v[110:111]
	;; [unrolled: 1-line block ×10, first 2 shown]
	scratch_store_dwordx4 off, v[2:5], s4   ; 16-byte Folded Spill
	s_nop 0
	scratch_store_dwordx4 off, v[6:9], s4 offset:16 ; 16-byte Folded Spill
	scratch_store_dwordx4 off, v[10:13], s4 offset:32 ; 16-byte Folded Spill
	scratch_store_dwordx4 off, v[14:17], s4 offset:48 ; 16-byte Folded Spill
	scratch_store_dwordx4 off, v[18:21], s4 offset:64 ; 16-byte Folded Spill
	scratch_store_dwordx4 off, v[22:25], s4 offset:80 ; 16-byte Folded Spill
	scratch_store_dwordx4 off, v[26:29], s4 offset:96 ; 16-byte Folded Spill
	scratch_store_dwordx4 off, v[30:33], s4 offset:112 ; 16-byte Folded Spill
	v_mov_b32_e32 v64, v88
	v_mov_b64_e32 v[28:29], v[34:35]
	v_mov_b32_e32 v14, v28
	v_mov_b32_e32 v15, v29
	v_mov_b32_e32 v65, v89
	s_movk_i32 s4, 0x1210
	v_mov_b64_e32 v[26:27], v[12:13]
	v_mov_b64_e32 v[24:25], v[10:11]
	;; [unrolled: 1-line block ×6, first 2 shown]
	scratch_store_dwordx4 off, v[2:5], off offset:3472 ; 16-byte Folded Spill
	s_nop 0
	scratch_store_dwordx4 off, v[6:9], off offset:3488 ; 16-byte Folded Spill
	scratch_store_dwordx4 off, v[10:13], off offset:3504 ; 16-byte Folded Spill
	;; [unrolled: 1-line block ×7, first 2 shown]
	v_mov_b32_e32 v66, v28
	v_mov_b32_e32 v67, v29
	v_mov_b64_e32 v[104:105], v[68:69]
	v_mov_b64_e32 v[102:103], v[66:67]
	;; [unrolled: 1-line block ×10, first 2 shown]
	v_mov_b32_e32 v14, v66
	v_mov_b32_e32 v15, v67
	;; [unrolled: 1-line block ×4, first 2 shown]
	v_mov_b64_e32 v[62:63], v[10:11]
	v_mov_b64_e32 v[60:61], v[8:9]
	;; [unrolled: 1-line block ×5, first 2 shown]
	scratch_store_dwordx4 off, v[2:5], off offset:3088 ; 16-byte Folded Spill
	s_nop 0
	scratch_store_dwordx4 off, v[6:9], off offset:3104 ; 16-byte Folded Spill
	scratch_store_dwordx4 off, v[10:13], off offset:3120 ; 16-byte Folded Spill
	;; [unrolled: 1-line block ×7, first 2 shown]
	v_mov_b32_e32 v16, v104
	v_mov_b32_e32 v17, v105
	v_mov_b64_e32 v[18:19], v[36:37]
	v_mov_b64_e32 v[68:69], v[66:67]
	;; [unrolled: 1-line block ×16, first 2 shown]
	scratch_store_dwordx4 off, v[2:5], off offset:2576 ; 16-byte Folded Spill
	s_nop 0
	scratch_store_dwordx4 off, v[6:9], off offset:2592 ; 16-byte Folded Spill
	scratch_store_dwordx4 off, v[10:13], off offset:2608 ; 16-byte Folded Spill
	scratch_store_dwordx4 off, v[14:17], off offset:2624 ; 16-byte Folded Spill
	scratch_store_dwordx4 off, v[18:21], off offset:2640 ; 16-byte Folded Spill
	scratch_store_dwordx4 off, v[22:25], off offset:2656 ; 16-byte Folded Spill
	scratch_store_dwordx4 off, v[26:29], off offset:2672 ; 16-byte Folded Spill
	scratch_store_dwordx4 off, v[30:33], off offset:2688 ; 16-byte Folded Spill
	v_mov_b64_e32 v[20:21], v[72:73]
	v_mov_b32_e32 v16, v104
	v_mov_b32_e32 v17, v105
	;; [unrolled: 1-line block ×13, first 2 shown]
	v_mov_b64_e32 v[232:233], v[16:17]
	v_mov_b64_e32 v[236:237], v[20:21]
	;; [unrolled: 1-line block ×10, first 2 shown]
	scratch_store_dwordx4 off, v[2:5], off offset:1936 ; 16-byte Folded Spill
	s_nop 0
	scratch_store_dwordx4 off, v[6:9], off offset:1952 ; 16-byte Folded Spill
	scratch_store_dwordx4 off, v[10:13], off offset:1968 ; 16-byte Folded Spill
	;; [unrolled: 1-line block ×7, first 2 shown]
	v_mov_b64_e32 v[22:23], v[70:71]
	v_mov_b32_e32 v16, v104
	v_mov_b32_e32 v17, v105
	v_mov_b64_e32 v[120:121], v[16:17]
	v_mov_b64_e32 v[126:127], v[22:23]
	;; [unrolled: 1-line block ×11, first 2 shown]
	scratch_store_dwordx4 off, v[2:5], off offset:1552 ; 16-byte Folded Spill
	s_nop 0
	scratch_store_dwordx4 off, v[6:9], off offset:1568 ; 16-byte Folded Spill
	scratch_store_dwordx4 off, v[10:13], off offset:1584 ; 16-byte Folded Spill
	;; [unrolled: 1-line block ×7, first 2 shown]
	v_mov_b64_e32 v[24:25], v[52:53]
	v_mov_b32_e32 v16, v104
	v_mov_b32_e32 v17, v105
	v_mov_b64_e32 v[156:157], v[16:17]
	v_mov_b64_e32 v[164:165], v[24:25]
	;; [unrolled: 1-line block ×12, first 2 shown]
	scratch_store_dwordx4 off, v[2:5], off offset:1296 ; 16-byte Folded Spill
	s_nop 0
	scratch_store_dwordx4 off, v[6:9], off offset:1312 ; 16-byte Folded Spill
	scratch_store_dwordx4 off, v[10:13], off offset:1328 ; 16-byte Folded Spill
	;; [unrolled: 1-line block ×7, first 2 shown]
	v_mov_b32_e32 v16, v104
	v_mov_b64_e32 v[26:27], v[50:51]
	v_mov_b32_e32 v17, v105
	v_mov_b64_e32 v[206:207], v[16:17]
	v_mov_b64_e32 v[216:217], v[26:27]
	;; [unrolled: 1-line block ×13, first 2 shown]
	scratch_store_dwordx4 off, v[2:5], off offset:1040 ; 16-byte Folded Spill
	s_nop 0
	scratch_store_dwordx4 off, v[6:9], off offset:1056 ; 16-byte Folded Spill
	scratch_store_dwordx4 off, v[10:13], off offset:1072 ; 16-byte Folded Spill
	;; [unrolled: 1-line block ×7, first 2 shown]
	s_nop 0
	v_mov_b64_e32 v[28:29], v[48:49]
	scratch_store_dwordx4 off, v[218:221], off offset:528 ; 16-byte Folded Spill
	s_nop 0
	scratch_store_dwordx4 off, v[222:225], off offset:544 ; 16-byte Folded Spill
	scratch_store_dwordx4 off, v[226:229], off offset:560 ; 16-byte Folded Spill
	scratch_store_dwordx4 off, v[230:233], off offset:576 ; 16-byte Folded Spill
	scratch_store_dwordx4 off, v[234:237], off offset:592 ; 16-byte Folded Spill
	scratch_store_dwordx4 off, v[238:241], off offset:608 ; 16-byte Folded Spill
	scratch_store_dwordx4 off, v[242:245], off offset:624 ; 16-byte Folded Spill
	scratch_store_dwordx4 off, v[246:249], off offset:640 ; 16-byte Folded Spill
	scratch_store_dwordx4 off, v[142:145], off offset:656 ; 16-byte Folded Spill
	s_nop 0
	scratch_store_dwordx4 off, v[146:149], off offset:672 ; 16-byte Folded Spill
	scratch_store_dwordx4 off, v[150:153], off offset:688 ; 16-byte Folded Spill
	scratch_store_dwordx4 off, v[154:157], off offset:704 ; 16-byte Folded Spill
	scratch_store_dwordx4 off, v[158:161], off offset:720 ; 16-byte Folded Spill
	scratch_store_dwordx4 off, v[162:165], off offset:736 ; 16-byte Folded Spill
	scratch_store_dwordx4 off, v[166:169], off offset:752 ; 16-byte Folded Spill
	scratch_store_dwordx4 off, v[170:173], off offset:768 ; 16-byte Folded Spill
	;; [unrolled: 9-line block ×4, first 2 shown]
	v_mov_b64_e32 v[200:201], v[88:89]
	scratch_load_dwordx2 v[2:3], off, off offset:132 ; 8-byte Folded Reload
	v_mov_b64_e32 v[198:199], v[86:87]
	v_mov_b64_e32 v[196:197], v[84:85]
	;; [unrolled: 1-line block ×5, first 2 shown]
	v_mov_b32_e32 v12, v68
	v_mov_b32_e32 v13, v69
	scratch_store_dwordx4 off, v[56:59], off offset:2448 ; 16-byte Folded Spill
	s_nop 0
	scratch_store_dwordx4 off, v[60:63], off offset:2464 ; 16-byte Folded Spill
	scratch_store_dwordx4 off, v[64:67], off offset:2480 ; 16-byte Folded Spill
	;; [unrolled: 1-line block ×7, first 2 shown]
	v_mov_b32_e32 v10, v88
	v_mov_b32_e32 v11, v89
	scratch_load_dwordx4 v[58:61], off, off offset:528 ; 16-byte Folded Reload
	scratch_load_dwordx4 v[62:65], off, off offset:544 ; 16-byte Folded Reload
	;; [unrolled: 1-line block ×8, first 2 shown]
	v_mov_b64_e32 v[236:237], v[120:121]
	v_mov_b64_e32 v[242:243], v[126:127]
	;; [unrolled: 1-line block ×12, first 2 shown]
	v_mov_b32_e32 v14, v104
	v_mov_b32_e32 v15, v105
	v_mov_b64_e32 v[168:169], v[102:103]
	v_mov_b64_e32 v[166:167], v[100:101]
	;; [unrolled: 1-line block ×7, first 2 shown]
	v_mov_b32_e32 v8, v136
	v_mov_b32_e32 v9, v137
	v_mov_b64_e32 v[140:141], v[136:137]
	v_mov_b64_e32 v[138:139], v[134:135]
	;; [unrolled: 1-line block ×5, first 2 shown]
	v_mov_b32_e32 v153, v0
	v_mov_b32_e32 v149, v0
	;; [unrolled: 1-line block ×3, first 2 shown]
	s_waitcnt vmcnt(16)
	v_mov_b32_e32 v2, v184
	v_mov_b32_e32 v4, v186
	;; [unrolled: 1-line block ×6, first 2 shown]
	v_mov_b64_e32 v[202:203], v[174:175]
	v_mov_b32_e32 v181, v153
	v_mov_b64_e32 v[218:219], v[44:45]
	v_mov_b64_e32 v[216:217], v[42:43]
	;; [unrolled: 1-line block ×8, first 2 shown]
	scratch_load_dwordx4 v[22:25], off, off offset:656 ; 16-byte Folded Reload
	scratch_load_dwordx4 v[26:29], off, off offset:672 ; 16-byte Folded Reload
	;; [unrolled: 1-line block ×16, first 2 shown]
	v_mov_b64_e32 v[220:221], v[18:19]
	v_fma_f32 v172, -v0, v1, v3
	v_mov_b32_e32 v0, v182
	v_mov_b32_e32 v1, v183
	;; [unrolled: 1-line block ×5, first 2 shown]
	s_waitcnt vmcnt(19)
	v_mov_b32_e32 v18, v76
	v_mov_b32_e32 v19, v77
	s_waitcnt vmcnt(10)
	v_mov_b64_e32 v[126:127], v[44:45]
	v_mov_b64_e32 v[124:125], v[42:43]
	;; [unrolled: 1-line block ×4, first 2 shown]
	scratch_load_dwordx4 v[26:29], off, off offset:144 ; 16-byte Folded Reload
	scratch_load_dwordx4 v[30:33], off, off offset:160 ; 16-byte Folded Reload
	;; [unrolled: 1-line block ×8, first 2 shown]
	v_mov_b32_e32 v22, v126
	v_mov_b32_e32 v23, v127
	s_waitcnt vmcnt(9)
	v_mov_b32_e32 v24, v102
	v_mov_b32_e32 v25, v103
	v_mov_b64_e32 v[62:63], v[94:95]
	v_mov_b64_e32 v[70:71], v[102:103]
	;; [unrolled: 1-line block ×5, first 2 shown]
	s_waitcnt vmcnt(4)
	v_mov_b64_e32 v[118:119], v[40:41]
	v_mov_b64_e32 v[116:117], v[38:39]
	;; [unrolled: 1-line block ×3, first 2 shown]
	s_waitcnt vmcnt(1)
	v_mov_b64_e32 v[130:131], v[52:53]
	v_mov_b64_e32 v[112:113], v[34:35]
	;; [unrolled: 1-line block ×6, first 2 shown]
	v_mov_b32_e32 v26, v130
	v_mov_b32_e32 v27, v131
	scratch_store_dwordx4 off, v[0:3], off offset:912 ; 16-byte Folded Spill
	s_nop 0
	scratch_store_dwordx4 off, v[4:7], off offset:928 ; 16-byte Folded Spill
	scratch_store_dwordx4 off, v[8:11], off offset:944 ; 16-byte Folded Spill
	;; [unrolled: 1-line block ×7, first 2 shown]
	scratch_store_dwordx4 off, v[182:185], s4 ; 16-byte Folded Spill
	s_nop 0
	scratch_store_dwordx4 off, v[186:189], s4 offset:16 ; 16-byte Folded Spill
	scratch_store_dwordx4 off, v[190:193], s4 offset:32 ; 16-byte Folded Spill
	;; [unrolled: 1-line block ×7, first 2 shown]
	s_movk_i32 s4, 0xf90
	scratch_store_dwordx4 off, v[132:135], s4 ; 16-byte Folded Spill
	s_nop 0
	scratch_store_dwordx4 off, v[136:139], s4 offset:16 ; 16-byte Folded Spill
	scratch_store_dwordx4 off, v[140:143], s4 offset:32 ; 16-byte Folded Spill
	;; [unrolled: 1-line block ×7, first 2 shown]
	v_mov_b32_e32 v189, v171
	v_mov_b64_e32 v[128:129], v[50:51]
	v_mov_b64_e32 v[126:127], v[48:49]
	;; [unrolled: 1-line block ×5, first 2 shown]
	s_waitcnt vmcnt(24)
	v_mov_b64_e32 v[46:47], v[78:79]
	s_movk_i32 s4, 0x1210
	v_mov_b64_e32 v[48:49], v[80:81]
	v_mov_b64_e32 v[50:51], v[82:83]
	;; [unrolled: 1-line block ×13, first 2 shown]
	scratch_store_dwordx4 off, v[0:3], off offset:2960 ; 16-byte Folded Spill
	s_nop 0
	scratch_store_dwordx4 off, v[4:7], off offset:2976 ; 16-byte Folded Spill
	scratch_store_dwordx4 off, v[8:11], off offset:2992 ; 16-byte Folded Spill
	;; [unrolled: 1-line block ×7, first 2 shown]
	v_mov_b32_e32 v176, v184
	v_mov_b32_e32 v177, v185
	;; [unrolled: 1-line block ×20, first 2 shown]
	v_mov_b64_e32 v[132:133], v[130:131]
	v_mov_b64_e32 v[130:131], v[128:129]
	;; [unrolled: 1-line block ×14, first 2 shown]
	v_mov_b32_e32 v184, v10
	v_mov_b32_e32 v185, v11
	scratch_load_dwordx4 v[0:3], off, off offset:2448 ; 16-byte Folded Reload
	scratch_load_dwordx4 v[4:7], off, off offset:2464 ; 16-byte Folded Reload
	;; [unrolled: 1-line block ×8, first 2 shown]
	s_nop 0
	scratch_store_dwordx4 off, v[204:207], off offset:1168 ; 16-byte Folded Spill
	s_nop 0
	scratch_store_dwordx4 off, v[208:211], off offset:1184 ; 16-byte Folded Spill
	scratch_store_dwordx4 off, v[212:215], off offset:1200 ; 16-byte Folded Spill
	;; [unrolled: 1-line block ×7, first 2 shown]
	s_waitcnt vmcnt(12)
	v_mov_b32_e32 v186, v12
	v_mov_b32_e32 v187, v13
	scratch_load_dwordx4 v[0:3], off, off offset:656 ; 16-byte Folded Reload
	scratch_load_dwordx4 v[4:7], off, off offset:672 ; 16-byte Folded Reload
	;; [unrolled: 1-line block ×8, first 2 shown]
	s_waitcnt vmcnt(0)
	v_mov_b32_e32 v29, v172
	v_mov_b32_e32 v196, v22
	;; [unrolled: 1-line block ×3, first 2 shown]
	scratch_store_dwordx4 off, v[174:177], off offset:784 ; 16-byte Folded Spill
	s_nop 0
	scratch_store_dwordx4 off, v[178:181], off offset:800 ; 16-byte Folded Spill
	scratch_store_dwordx4 off, v[182:185], off offset:816 ; 16-byte Folded Spill
	;; [unrolled: 1-line block ×7, first 2 shown]
	scratch_load_dwordx4 v[72:75], off, s4  ; 16-byte Folded Reload
	scratch_load_dwordx4 v[76:79], off, s4 offset:16 ; 16-byte Folded Reload
	scratch_load_dwordx4 v[80:83], off, s4 offset:32 ; 16-byte Folded Reload
	;; [unrolled: 1-line block ×7, first 2 shown]
	s_movk_i32 s4, 0xf90
	v_mov_b64_e32 v[44:45], v[22:23]
	v_mov_b64_e32 v[42:43], v[20:21]
	;; [unrolled: 1-line block ×4, first 2 shown]
	s_waitcnt vmcnt(6)
	v_mov_b64_e32 v[0:1], v[72:73]
	v_mov_b64_e32 v[140:141], v[78:79]
	;; [unrolled: 1-line block ×8, first 2 shown]
	scratch_load_dwordx4 v[72:75], off, s4  ; 16-byte Folded Reload
	scratch_load_dwordx4 v[76:79], off, s4 offset:16 ; 16-byte Folded Reload
	scratch_load_dwordx4 v[80:83], off, s4 offset:32 ; 16-byte Folded Reload
	;; [unrolled: 1-line block ×7, first 2 shown]
	v_mov_b32_e32 v142, v0
	v_mov_b32_e32 v143, v1
	;; [unrolled: 1-line block ×7, first 2 shown]
	s_movk_i32 s4, 0x1594
	s_waitcnt vmcnt(5)
	v_mov_b64_e32 v[0:1], v[72:73]
	v_mov_b64_e32 v[2:3], v[74:75]
	v_mov_b64_e32 v[4:5], v[76:77]
	v_mov_b64_e32 v[6:7], v[78:79]
	v_mov_b64_e32 v[8:9], v[80:81]
	scratch_load_dwordx4 v[72:75], off, off offset:2960 ; 16-byte Folded Reload
	scratch_load_dwordx4 v[76:79], off, off offset:2976 ; 16-byte Folded Reload
	;; [unrolled: 1-line block ×16, first 2 shown]
	v_mov_b32_e32 v150, v8
	v_mov_b32_e32 v151, v9
	s_waitcnt vmcnt(8)
	v_mov_b64_e32 v[104:105], v[82:83]
	v_mov_b64_e32 v[102:103], v[80:81]
	s_waitcnt vmcnt(4)
	v_mov_b32_e32 v154, v194
	v_mov_b32_e32 v155, v195
	scratch_load_dwordx4 v[174:177], off, off offset:1168 ; 16-byte Folded Reload
	scratch_load_dwordx4 v[178:181], off, off offset:1184 ; 16-byte Folded Reload
	;; [unrolled: 1-line block ×8, first 2 shown]
	v_mov_b64_e32 v[100:101], v[78:79]
	v_mov_b64_e32 v[98:99], v[76:77]
	;; [unrolled: 1-line block ×12, first 2 shown]
	v_mov_b32_e32 v162, v242
	v_mov_b32_e32 v163, v243
	;; [unrolled: 1-line block ×12, first 2 shown]
	v_mov_b64_e32 v[72:73], v[70:71]
	v_mov_b64_e32 v[70:71], v[68:69]
	;; [unrolled: 1-line block ×13, first 2 shown]
	s_waitcnt vmcnt(3)
	v_mov_b64_e32 v[16:17], v[190:191]
	scratch_load_dwordx4 v[174:177], off, off offset:528 ; 16-byte Folded Reload
	scratch_load_dwordx4 v[178:181], off, off offset:544 ; 16-byte Folded Reload
	scratch_load_dwordx4 v[182:185], off, off offset:560 ; 16-byte Folded Reload
	scratch_load_dwordx4 v[186:189], off, off offset:576 ; 16-byte Folded Reload
	scratch_load_dwordx4 v[190:193], off, off offset:592 ; 16-byte Folded Reload
	scratch_load_dwordx4 v[194:197], off, off offset:608 ; 16-byte Folded Reload
	scratch_load_dwordx4 v[198:201], off, off offset:624 ; 16-byte Folded Reload
	scratch_load_dwordx4 v[202:205], off, off offset:640 ; 16-byte Folded Reload
	v_mov_b32_e32 v158, v16
	v_mov_b32_e32 v159, v17
	scratch_store_dwordx4 off, v[222:225], off offset:400 ; 16-byte Folded Spill
	s_nop 0
	scratch_store_dwordx4 off, v[226:229], off offset:416 ; 16-byte Folded Spill
	scratch_store_dwordx4 off, v[230:233], off offset:432 ; 16-byte Folded Spill
	;; [unrolled: 1-line block ×7, first 2 shown]
	s_waitcnt vmcnt(11)
	v_mov_b64_e32 v[16:17], v[190:191]
	v_mov_b64_e32 v[18:19], v[192:193]
	scratch_load_dwordx4 v[174:177], off, off offset:784 ; 16-byte Folded Reload
	scratch_load_dwordx4 v[178:181], off, off offset:800 ; 16-byte Folded Reload
	;; [unrolled: 1-line block ×8, first 2 shown]
	v_mov_b32_e32 v160, v18
	v_mov_b32_e32 v161, v19
	scratch_store_dwordx4 off, v[134:137], s4 ; 16-byte Folded Spill
	s_nop 0
	scratch_store_dwordx4 off, v[138:141], s4 offset:16 ; 16-byte Folded Spill
	scratch_store_dwordx4 off, v[142:145], s4 offset:32 ; 16-byte Folded Spill
	;; [unrolled: 1-line block ×7, first 2 shown]
	v_mov_b64_e32 v[16:17], v[122:123]
	v_mov_b64_e32 v[18:19], v[124:125]
	;; [unrolled: 1-line block ×6, first 2 shown]
	s_movk_i32 s4, 0xf90
	v_mov_b64_e32 v[218:219], v[168:169]
	v_mov_b64_e32 v[216:217], v[166:167]
	v_mov_b64_e32 v[214:215], v[164:165]
	v_mov_b64_e32 v[212:213], v[162:163]
	s_waitcnt vmcnt(8)
	v_mov_b64_e32 v[252:253], v[202:203]
	v_mov_b32_e32 v170, v252
	v_mov_b32_e32 v171, v253
	v_mov_b64_e32 v[206:207], v[156:157]
	v_mov_b32_e32 v222, v172
	v_mov_b32_e32 v28, v253
	v_mov_b64_e32 v[204:205], v[154:155]
	v_mov_b64_e32 v[202:203], v[152:153]
	;; [unrolled: 1-line block ×9, first 2 shown]
	v_mov_b32_e32 v221, v171
	v_mov_b32_e32 v220, v170
	scratch_store_dwordx4 off, v[192:195], off offset:4 ; 16-byte Folded Spill
	s_nop 0
	scratch_store_dwordx4 off, v[196:199], off offset:20 ; 16-byte Folded Spill
	scratch_store_dwordx4 off, v[200:203], off offset:36 ; 16-byte Folded Spill
	;; [unrolled: 1-line block ×7, first 2 shown]
	scratch_store_dwordx2 off, v[28:29], off offset:132 ; 8-byte Folded Spill
	v_mov_b64_e32 v[28:29], v[94:95]
	v_mov_b64_e32 v[38:39], v[104:105]
	;; [unrolled: 1-line block ×6, first 2 shown]
	v_mov_b32_e32 v28, v38
	scratch_load_dwordx4 v[112:115], off, s4 ; 16-byte Folded Reload
	scratch_load_dwordx4 v[116:119], off, s4 offset:16 ; 16-byte Folded Reload
	scratch_load_dwordx4 v[120:123], off, s4 offset:32 ; 16-byte Folded Reload
	scratch_load_dwordx4 v[124:127], off, s4 offset:48 ; 16-byte Folded Reload
	scratch_load_dwordx4 v[128:131], off, s4 offset:64 ; 16-byte Folded Reload
	scratch_load_dwordx4 v[132:135], off, s4 offset:80 ; 16-byte Folded Reload
	scratch_load_dwordx4 v[136:139], off, s4 offset:96 ; 16-byte Folded Reload
	scratch_load_dwordx4 v[140:143], off, s4 offset:112 ; 16-byte Folded Reload
	s_nop 0
	scratch_store_dwordx4 off, v[18:21], off offset:1424 ; 16-byte Folded Spill
	s_nop 0
	scratch_store_dwordx4 off, v[22:25], off offset:1440 ; 16-byte Folded Spill
	scratch_store_dwordx4 off, v[26:29], off offset:1456 ; 16-byte Folded Spill
	;; [unrolled: 1-line block ×7, first 2 shown]
	scratch_load_dwordx4 v[122:125], off, off offset:2448 ; 16-byte Folded Reload
	scratch_load_dwordx4 v[126:129], off, off offset:2464 ; 16-byte Folded Reload
	;; [unrolled: 1-line block ×8, first 2 shown]
	s_waitcnt vmcnt(23)
	v_mov_b32_e32 v114, v92
	v_mov_b32_e32 v234, v252
	s_waitcnt vmcnt(22)
	v_mov_b32_e32 v119, v39
	s_waitcnt vmcnt(21)
	v_mov_b32_e32 v115, v121
	v_mov_b32_e32 v50, v120
	s_waitcnt vmcnt(5)
	v_mov_b64_e32 v[94:95], v[122:123]
	v_mov_b64_e32 v[96:97], v[124:125]
	;; [unrolled: 1-line block ×6, first 2 shown]
	s_waitcnt vmcnt(4)
	v_mov_b64_e32 v[106:107], v[134:135]
	s_waitcnt vmcnt(2)
	v_mov_b32_e32 v144, v106
	v_mov_b32_e32 v187, v107
	scratch_store_dwordx4 off, v[78:81], off offset:1680 ; 16-byte Folded Spill
	s_nop 0
	scratch_store_dwordx4 off, v[82:85], off offset:1696 ; 16-byte Folded Spill
	scratch_store_dwordx4 off, v[86:89], off offset:1712 ; 16-byte Folded Spill
	;; [unrolled: 1-line block ×7, first 2 shown]
	v_mov_b32_e32 v145, v93
	scratch_load_dwordx4 v[74:77], off, off offset:1168 ; 16-byte Folded Reload
	scratch_load_dwordx4 v[78:81], off, off offset:1184 ; 16-byte Folded Reload
	scratch_load_dwordx4 v[82:85], off, off offset:1200 ; 16-byte Folded Reload
	scratch_load_dwordx4 v[86:89], off, off offset:1216 ; 16-byte Folded Reload
	scratch_load_dwordx4 v[90:93], off, off offset:1232 ; 16-byte Folded Reload
	scratch_load_dwordx4 v[94:97], off, off offset:1248 ; 16-byte Folded Reload
	scratch_load_dwordx4 v[98:101], off, off offset:1264 ; 16-byte Folded Reload
	scratch_load_dwordx4 v[102:105], off, off offset:1280 ; 16-byte Folded Reload
	s_waitcnt vmcnt(3)
	v_mov_b64_e32 v[46:47], v[90:91]
	scratch_load_dwordx4 v[74:77], off, off offset:528 ; 16-byte Folded Reload
	scratch_load_dwordx4 v[78:81], off, off offset:544 ; 16-byte Folded Reload
	;; [unrolled: 1-line block ×8, first 2 shown]
	v_mov_b32_e32 v146, v46
	v_mov_b32_e32 v147, v47
	s_waitcnt vmcnt(3)
	v_mov_b64_e32 v[140:141], v[92:93]
	v_mov_b64_e32 v[138:139], v[90:91]
	scratch_load_dwordx4 v[74:77], off, off offset:400 ; 16-byte Folded Reload
	scratch_load_dwordx4 v[78:81], off, off offset:416 ; 16-byte Folded Reload
	;; [unrolled: 1-line block ×8, first 2 shown]
	v_mov_b32_e32 v28, v140
	v_mov_b32_e32 v29, v141
	;; [unrolled: 1-line block ×4, first 2 shown]
	s_waitcnt vmcnt(2)
	v_mov_b64_e32 v[142:143], v[94:95]
	v_mov_b64_e32 v[140:141], v[92:93]
	v_mov_b64_e32 v[138:139], v[90:91]
	scratch_load_dwordx4 v[74:77], off, off offset:656 ; 16-byte Folded Reload
	scratch_load_dwordx4 v[78:81], off, off offset:672 ; 16-byte Folded Reload
	;; [unrolled: 1-line block ×8, first 2 shown]
	v_mov_b32_e32 v182, v142
	s_waitcnt vmcnt(2)
	v_mov_b64_e32 v[180:181], v[96:97]
	v_mov_b64_e32 v[178:179], v[94:95]
	;; [unrolled: 1-line block ×4, first 2 shown]
	s_waitcnt vmcnt(0)
	v_mov_b64_e32 v[102:103], v[72:73]
	v_mov_b64_e32 v[100:101], v[70:71]
	;; [unrolled: 1-line block ×5, first 2 shown]
	v_mov_b32_e32 v184, v102
	v_mov_b32_e32 v33, v103
	v_mov_b64_e32 v[104:105], v[26:27]
	v_mov_b32_e32 v34, v180
	v_mov_b32_e32 v35, v181
	;; [unrolled: 1-line block ×4, first 2 shown]
	v_mov_b64_e32 v[102:103], v[24:25]
	v_mov_b64_e32 v[100:101], v[22:23]
	v_mov_b64_e32 v[98:99], v[20:21]
	v_mov_b64_e32 v[96:97], v[18:19]
	v_mov_b64_e32 v[94:95], v[16:17]
.LBB61_43:
	s_or_b64 exec, exec, s[2:3]
	v_cmp_eq_u32_e32 vcc, 8, v254
	s_waitcnt vmcnt(63) expcnt(7) lgkmcnt(15)
	s_barrier
	s_and_saveexec_b64 s[2:3], vcc
	s_cbranch_execz .LBB61_46
; %bb.44:
	ds_write_b32 v255, v50
	scratch_load_dwordx4 v[52:55], off, off offset:4 ; 16-byte Folded Reload
	scratch_load_dwordx4 v[56:59], off, off offset:20 ; 16-byte Folded Reload
	;; [unrolled: 1-line block ×8, first 2 shown]
	scratch_load_dword v28, off, off offset:140 ; 4-byte Folded Reload
	s_waitcnt vmcnt(0)
	ds_write2_b32 v28, v61, v62 offset0:9 offset1:10
	ds_write2_b32 v28, v63, v64 offset0:11 offset1:12
	ds_write2_b32 v28, v65, v66 offset0:13 offset1:14
	ds_write2_b32 v28, v67, v68 offset0:15 offset1:16
	ds_write2_b32 v28, v69, v70 offset0:17 offset1:18
	ds_write2_b32 v28, v71, v72 offset0:19 offset1:20
	ds_write2_b32 v28, v73, v74 offset0:21 offset1:22
	ds_write2_b32 v28, v75, v76 offset0:23 offset1:24
	ds_write2_b32 v28, v77, v78 offset0:25 offset1:26
	ds_write2_b32 v28, v79, v80 offset0:27 offset1:28
	ds_write2_b32 v28, v81, v82 offset0:29 offset1:30
	ds_read_b32 v28, v255
	s_waitcnt lgkmcnt(0)
	v_cmp_neq_f32_e32 vcc, 0, v28
	s_and_b64 exec, exec, vcc
	s_cbranch_execz .LBB61_46
; %bb.45:
	v_div_scale_f32 v29, s[4:5], v28, v28, 1.0
	v_rcp_f32_e32 v30, v29
	v_div_scale_f32 v31, vcc, 1.0, v28, 1.0
	v_fma_f32 v56, -v29, v30, 1.0
	v_fmac_f32_e32 v30, v56, v30
	v_mul_f32_e32 v56, v31, v30
	v_fma_f32 v57, -v29, v56, v31
	v_fmac_f32_e32 v56, v57, v30
	v_fma_f32 v29, -v29, v56, v31
	v_div_fmas_f32 v29, v29, v30, v56
	v_div_fixup_f32 v28, v29, v28, 1.0
	ds_write_b32 v255, v28
.LBB61_46:
	s_or_b64 exec, exec, s[2:3]
	s_waitcnt lgkmcnt(0)
	s_barrier
	ds_read_b32 v252, v255
	v_cmp_lt_u32_e32 vcc, 8, v254
	s_mov_b64 s[2:3], exec
	s_and_b64 s[4:5], s[2:3], vcc
	v_mov_b32_e32 v39, v115
	s_mov_b64 exec, s[4:5]
	s_cbranch_execz .LBB61_48
; %bb.47:
	s_movk_i32 s4, 0x1594
	v_mov_b32_e32 v8, v50
	scratch_load_dwordx4 v[32:35], off, s4  ; 16-byte Folded Reload
	scratch_load_dwordx4 v[36:39], off, s4 offset:16 ; 16-byte Folded Reload
	scratch_load_dwordx4 v[40:43], off, s4 offset:32 ; 16-byte Folded Reload
	;; [unrolled: 1-line block ×7, first 2 shown]
	scratch_load_dword v10, off, off offset:140 ; 4-byte Folded Reload
	s_waitcnt vmcnt(6) lgkmcnt(0)
	v_mul_f32_e32 v40, v8, v252
	s_movk_i32 s4, 0x1010
	v_mov_b32_e32 v114, v40
	v_mov_b32_e32 v232, v40
	;; [unrolled: 1-line block ×11, first 2 shown]
	s_waitcnt vmcnt(0)
	ds_read2_b32 v[0:1], v10 offset0:9 offset1:10
	scratch_load_dwordx4 v[42:45], off, off offset:4 ; 16-byte Folded Reload
	scratch_load_dwordx4 v[46:49], off, off offset:20 ; 16-byte Folded Reload
	;; [unrolled: 1-line block ×8, first 2 shown]
	ds_read2_b32 v[4:5], v10 offset0:11 offset1:12
	ds_read2_b32 v[6:7], v10 offset0:13 offset1:14
	;; [unrolled: 1-line block ×3, first 2 shown]
	v_mov_b32_e32 v224, v32
	v_mov_b32_e32 v225, v33
	;; [unrolled: 1-line block ×20, first 2 shown]
	s_waitcnt vmcnt(1)
	v_mov_b32_e32 v216, v66
	v_mov_b32_e32 v202, v52
	;; [unrolled: 1-line block ×9, first 2 shown]
	s_waitcnt lgkmcnt(3)
	v_pk_fma_f32 v[28:29], v[40:41], v[0:1], v[2:3] op_sel_hi:[0,1,1] neg_lo:[1,0,0] neg_hi:[1,0,0]
	v_mov_b32_e32 v0, v203
	v_mov_b32_e32 v1, v204
	v_mov_b32_e32 v208, v58
	v_mov_b32_e32 v207, v57
	s_waitcnt lgkmcnt(2)
	v_pk_fma_f32 v[30:31], v[40:41], v[4:5], v[0:1] op_sel_hi:[0,1,1] neg_lo:[1,0,0] neg_hi:[1,0,0]
	v_mov_b32_e32 v0, v205
	v_mov_b32_e32 v1, v206
	;; [unrolled: 1-line block ×9, first 2 shown]
	s_waitcnt lgkmcnt(1)
	v_pk_fma_f32 v[56:57], v[40:41], v[6:7], v[0:1] op_sel_hi:[0,1,1] neg_lo:[1,0,0] neg_hi:[1,0,0]
	v_mov_b32_e32 v0, v207
	v_mov_b32_e32 v1, v208
	s_waitcnt lgkmcnt(0)
	v_pk_fma_f32 v[58:59], v[40:41], v[8:9], v[0:1] op_sel_hi:[0,1,1] neg_lo:[1,0,0] neg_hi:[1,0,0]
	ds_read2_b32 v[0:1], v10 offset0:17 offset1:18
	ds_read2_b32 v[4:5], v10 offset0:19 offset1:20
	;; [unrolled: 1-line block ×4, first 2 shown]
	v_mov_b32_e32 v2, v209
	v_mov_b32_e32 v3, v210
	s_waitcnt vmcnt(0)
	v_mov_b32_e32 v222, v72
	s_waitcnt lgkmcnt(3)
	v_pk_fma_f32 v[60:61], v[40:41], v[0:1], v[2:3] op_sel_hi:[0,1,1] neg_lo:[1,0,0] neg_hi:[1,0,0]
	v_mov_b32_e32 v0, v211
	v_mov_b32_e32 v1, v212
	s_waitcnt lgkmcnt(2)
	v_pk_fma_f32 v[62:63], v[40:41], v[4:5], v[0:1] op_sel_hi:[0,1,1] neg_lo:[1,0,0] neg_hi:[1,0,0]
	v_mov_b32_e32 v0, v213
	;; [unrolled: 4-line block ×3, first 2 shown]
	v_mov_b32_e32 v1, v216
	s_waitcnt lgkmcnt(0)
	v_pk_fma_f32 v[94:95], v[40:41], v[8:9], v[0:1] op_sel_hi:[0,1,1] neg_lo:[1,0,0] neg_hi:[1,0,0]
	ds_read2_b32 v[0:1], v10 offset0:25 offset1:26
	ds_read2_b32 v[4:5], v10 offset0:27 offset1:28
	;; [unrolled: 1-line block ×3, first 2 shown]
	v_mov_b32_e32 v218, v68
	v_mov_b32_e32 v217, v67
	;; [unrolled: 1-line block ×7, first 2 shown]
	s_waitcnt lgkmcnt(2)
	v_pk_fma_f32 v[122:123], v[40:41], v[0:1], v[2:3] op_sel_hi:[0,1,1] neg_lo:[1,0,0] neg_hi:[1,0,0]
	v_mov_b32_e32 v0, v219
	v_mov_b32_e32 v1, v220
	s_waitcnt lgkmcnt(1)
	v_pk_fma_f32 v[124:125], v[40:41], v[4:5], v[0:1] op_sel_hi:[0,1,1] neg_lo:[1,0,0] neg_hi:[1,0,0]
	v_mov_b32_e32 v0, v221
	v_mov_b32_e32 v1, v222
	;; [unrolled: 4-line block ×3, first 2 shown]
	v_mov_b32_e32 v2, v34
	v_mov_b32_e32 v3, v35
	;; [unrolled: 1-line block ×10, first 2 shown]
	scratch_store_dwordx4 off, v[0:3], off offset:2960 ; 16-byte Folded Spill
	s_nop 0
	scratch_store_dwordx4 off, v[4:7], off offset:2976 ; 16-byte Folded Spill
	scratch_store_dwordx4 off, v[8:11], off offset:2992 ; 16-byte Folded Spill
	;; [unrolled: 1-line block ×7, first 2 shown]
	v_mov_b32_e32 v237, v56
	v_mov_b32_e32 v238, v57
	;; [unrolled: 1-line block ×26, first 2 shown]
	scratch_store_dwordx4 off, v[0:3], s4   ; 16-byte Folded Spill
	s_nop 0
	scratch_store_dwordx4 off, v[4:7], s4 offset:16 ; 16-byte Folded Spill
	scratch_store_dwordx4 off, v[8:11], s4 offset:32 ; 16-byte Folded Spill
	;; [unrolled: 1-line block ×7, first 2 shown]
	v_mov_b32_e32 v13, v56
	s_movk_i32 s4, 0x1294
	v_mov_b32_e32 v115, v28
	v_mov_b32_e32 v116, v29
	;; [unrolled: 1-line block ×5, first 2 shown]
	scratch_store_dwordx4 off, v[106:109], off offset:2448 ; 16-byte Folded Spill
	s_nop 0
	scratch_store_dwordx4 off, v[110:113], off offset:2464 ; 16-byte Folded Spill
	scratch_store_dwordx4 off, v[114:117], off offset:2480 ; 16-byte Folded Spill
	;; [unrolled: 1-line block ×8, first 2 shown]
	s_nop 0
	scratch_store_dwordx4 off, v[4:7], off offset:3488 ; 16-byte Folded Spill
	scratch_store_dwordx4 off, v[8:11], off offset:3504 ; 16-byte Folded Spill
	;; [unrolled: 1-line block ×7, first 2 shown]
	v_mov_b32_e32 v14, v57
	scratch_store_dwordx4 off, v[0:3], off offset:1680 ; 16-byte Folded Spill
	s_nop 0
	scratch_store_dwordx4 off, v[4:7], off offset:1696 ; 16-byte Folded Spill
	scratch_store_dwordx4 off, v[8:11], off offset:1712 ; 16-byte Folded Spill
	;; [unrolled: 1-line block ×7, first 2 shown]
	v_mov_b32_e32 v15, v58
	v_mov_b32_e32 v185, v122
	;; [unrolled: 1-line block ×6, first 2 shown]
	scratch_store_dwordx4 off, v[0:3], off offset:3088 ; 16-byte Folded Spill
	s_nop 0
	scratch_store_dwordx4 off, v[4:7], off offset:3104 ; 16-byte Folded Spill
	scratch_store_dwordx4 off, v[8:11], off offset:3120 ; 16-byte Folded Spill
	scratch_store_dwordx4 off, v[12:15], off offset:3136 ; 16-byte Folded Spill
	scratch_store_dwordx4 off, v[16:19], off offset:3152 ; 16-byte Folded Spill
	scratch_store_dwordx4 off, v[20:23], off offset:3168 ; 16-byte Folded Spill
	scratch_store_dwordx4 off, v[24:27], off offset:3184 ; 16-byte Folded Spill
	scratch_store_dwordx4 off, v[28:31], off offset:3200 ; 16-byte Folded Spill
	v_mov_b32_e32 v16, v59
	scratch_store_dwordx4 off, v[0:3], off offset:1168 ; 16-byte Folded Spill
	s_nop 0
	scratch_store_dwordx4 off, v[4:7], off offset:1184 ; 16-byte Folded Spill
	scratch_store_dwordx4 off, v[8:11], off offset:1200 ; 16-byte Folded Spill
	scratch_store_dwordx4 off, v[12:15], off offset:1216 ; 16-byte Folded Spill
	scratch_store_dwordx4 off, v[16:19], off offset:1232 ; 16-byte Folded Spill
	scratch_store_dwordx4 off, v[20:23], off offset:1248 ; 16-byte Folded Spill
	scratch_store_dwordx4 off, v[24:27], off offset:1264 ; 16-byte Folded Spill
	scratch_store_dwordx4 off, v[28:31], off offset:1280 ; 16-byte Folded Spill
	v_mov_b32_e32 v17, v60
	;; [unrolled: 10-line block ×8, first 2 shown]
	scratch_store_dwordx4 off, v[0:3], off offset:1296 ; 16-byte Folded Spill
	s_nop 0
	scratch_store_dwordx4 off, v[4:7], off offset:1312 ; 16-byte Folded Spill
	scratch_store_dwordx4 off, v[8:11], off offset:1328 ; 16-byte Folded Spill
	scratch_store_dwordx4 off, v[12:15], off offset:1344 ; 16-byte Folded Spill
	scratch_store_dwordx4 off, v[16:19], off offset:1360 ; 16-byte Folded Spill
	scratch_store_dwordx4 off, v[20:23], off offset:1376 ; 16-byte Folded Spill
	scratch_store_dwordx4 off, v[24:27], off offset:1392 ; 16-byte Folded Spill
	scratch_store_dwordx4 off, v[28:31], off offset:1408 ; 16-byte Folded Spill
	s_nop 0
	v_mov_b32_e32 v24, v95
	v_mov_b32_e32 v25, v122
	;; [unrolled: 1-line block ×6, first 2 shown]
	scratch_store_dwordx4 off, v[224:227], off offset:272 ; 16-byte Folded Spill
	s_nop 0
	scratch_store_dwordx4 off, v[228:231], off offset:288 ; 16-byte Folded Spill
	scratch_store_dwordx4 off, v[232:235], off offset:304 ; 16-byte Folded Spill
	;; [unrolled: 1-line block ×8, first 2 shown]
	s_nop 0
	scratch_store_dwordx4 off, v[4:7], off offset:1056 ; 16-byte Folded Spill
	scratch_store_dwordx4 off, v[8:11], off offset:1072 ; 16-byte Folded Spill
	;; [unrolled: 1-line block ×7, first 2 shown]
	v_mov_b32_e32 v234, v125
	v_mov_b32_e32 v26, v123
	scratch_store_dwordx4 off, v[0:3], off offset:144 ; 16-byte Folded Spill
	s_nop 0
	scratch_store_dwordx4 off, v[4:7], off offset:160 ; 16-byte Folded Spill
	scratch_store_dwordx4 off, v[8:11], off offset:176 ; 16-byte Folded Spill
	;; [unrolled: 1-line block ×7, first 2 shown]
	s_nop 0
	v_mov_b32_e32 v27, v124
	scratch_store_dwordx4 off, v[0:3], off offset:912 ; 16-byte Folded Spill
	s_nop 0
	scratch_store_dwordx4 off, v[4:7], off offset:928 ; 16-byte Folded Spill
	scratch_store_dwordx4 off, v[8:11], off offset:944 ; 16-byte Folded Spill
	;; [unrolled: 1-line block ×7, first 2 shown]
	v_mov_b32_e32 v169, v28
	v_mov_b32_e32 v170, v29
	;; [unrolled: 1-line block ×4, first 2 shown]
	scratch_store_dwordx4 off, v[160:163], off offset:784 ; 16-byte Folded Spill
	s_nop 0
	scratch_store_dwordx4 off, v[164:167], off offset:800 ; 16-byte Folded Spill
	scratch_store_dwordx4 off, v[168:171], off offset:816 ; 16-byte Folded Spill
	;; [unrolled: 1-line block ×7, first 2 shown]
	v_mov_b32_e32 v160, v36
	v_mov_b32_e32 v161, v37
	;; [unrolled: 1-line block ×27, first 2 shown]
	scratch_store_dwordx2 off, v[126:127], off offset:132 ; 8-byte Folded Spill
	scratch_store_dwordx4 off, v[156:159], off offset:4 ; 16-byte Folded Spill
	s_nop 0
	scratch_store_dwordx4 off, v[160:163], off offset:20 ; 16-byte Folded Spill
	scratch_store_dwordx4 off, v[164:167], off offset:36 ; 16-byte Folded Spill
	;; [unrolled: 1-line block ×7, first 2 shown]
	scratch_store_dwordx4 off, v[32:35], s4 ; 16-byte Folded Spill
	s_nop 0
	scratch_store_dwordx4 off, v[36:39], s4 offset:16 ; 16-byte Folded Spill
	scratch_store_dwordx4 off, v[40:43], s4 offset:32 ; 16-byte Folded Spill
	;; [unrolled: 1-line block ×7, first 2 shown]
	s_movk_i32 s4, 0xf90
	v_mov_b32_e32 v184, v95
	v_mov_b32_e32 v185, v124
	scratch_store_dwordx4 off, v[32:35], s4 ; 16-byte Folded Spill
	s_nop 0
	scratch_store_dwordx4 off, v[36:39], s4 offset:16 ; 16-byte Folded Spill
	scratch_store_dwordx4 off, v[40:43], s4 offset:32 ; 16-byte Folded Spill
	;; [unrolled: 1-line block ×7, first 2 shown]
	v_mov_b32_e32 v39, v28
	v_mov_b32_e32 v28, v29
	scratch_store_dwordx4 off, v[18:21], off offset:1424 ; 16-byte Folded Spill
	s_nop 0
	scratch_store_dwordx4 off, v[22:25], off offset:1440 ; 16-byte Folded Spill
	scratch_store_dwordx4 off, v[26:29], off offset:1456 ; 16-byte Folded Spill
	;; [unrolled: 1-line block ×7, first 2 shown]
	v_mov_b32_e32 v187, v56
	v_mov_b32_e32 v114, v57
	;; [unrolled: 1-line block ×13, first 2 shown]
.LBB61_48:
	s_or_b64 exec, exec, s[2:3]
	v_mov_b32_e32 v181, v35
	v_mov_b32_e32 v249, v33
	v_cmp_eq_u32_e32 vcc, 9, v254
	s_waitcnt lgkmcnt(0)
	s_barrier
	s_and_saveexec_b64 s[2:3], vcc
	s_cbranch_execz .LBB61_51
; %bb.49:
	ds_write_b32 v255, v39
	scratch_load_dwordx4 v[40:43], off, off offset:4 ; 16-byte Folded Reload
	scratch_load_dwordx4 v[44:47], off, off offset:20 ; 16-byte Folded Reload
	;; [unrolled: 1-line block ×8, first 2 shown]
	scratch_load_dword v30, off, off offset:140 ; 4-byte Folded Reload
	s_waitcnt vmcnt(0)
	ds_write2_b32 v30, v50, v51 offset0:10 offset1:11
	ds_write2_b32 v30, v52, v53 offset0:12 offset1:13
	;; [unrolled: 1-line block ×10, first 2 shown]
	scratch_load_dwordx2 v[28:29], off, off offset:132 ; 8-byte Folded Reload
	s_waitcnt vmcnt(0)
	ds_write_b32 v30, v29 offset:120
	ds_read_b32 v28, v255
	s_waitcnt lgkmcnt(0)
	v_cmp_neq_f32_e32 vcc, 0, v28
	s_and_b64 exec, exec, vcc
	s_cbranch_execz .LBB61_51
; %bb.50:
	v_div_scale_f32 v29, s[4:5], v28, v28, 1.0
	v_rcp_f32_e32 v30, v29
	v_div_scale_f32 v31, vcc, 1.0, v28, 1.0
	v_fma_f32 v56, -v29, v30, 1.0
	v_fmac_f32_e32 v30, v56, v30
	v_mul_f32_e32 v56, v31, v30
	v_fma_f32 v57, -v29, v56, v31
	v_fmac_f32_e32 v56, v57, v30
	v_fma_f32 v29, -v29, v56, v31
	v_div_fmas_f32 v29, v29, v30, v56
	v_div_fixup_f32 v28, v29, v28, 1.0
	ds_write_b32 v255, v28
.LBB61_51:
	s_or_b64 exec, exec, s[2:3]
	s_waitcnt lgkmcnt(0)
	s_barrier
	ds_read_b32 v253, v255
	v_cmp_lt_u32_e32 vcc, 9, v254
	s_and_saveexec_b64 s[2:3], vcc
	s_cbranch_execz .LBB61_53
; %bb.52:
	scratch_load_dword v1, off, off offset:140 ; 4-byte Folded Reload
	s_waitcnt lgkmcnt(0)
	v_mul_f32_e32 v0, v39, v253
	s_movk_i32 s4, 0xf90
	v_mov_b32_e32 v147, v0
	v_mov_b32_e32 v197, v0
	;; [unrolled: 1-line block ×5, first 2 shown]
	s_waitcnt vmcnt(0)
	ds_read2_b32 v[2:3], v1 offset0:10 offset1:11
	ds_read2_b32 v[4:5], v1 offset0:12 offset1:13
	;; [unrolled: 1-line block ×4, first 2 shown]
	scratch_load_dwordx4 v[10:13], off, off offset:4 ; 16-byte Folded Reload
	scratch_load_dwordx4 v[14:17], off, off offset:20 ; 16-byte Folded Reload
	;; [unrolled: 1-line block ×8, first 2 shown]
	s_waitcnt vmcnt(1)
	v_mov_b64_e32 v[216:217], v[34:35]
	v_mov_b64_e32 v[202:203], v[20:21]
	s_waitcnt lgkmcnt(3)
	v_pk_fma_f32 v[12:13], v[0:1], v[2:3], v[202:203] op_sel_hi:[0,1,1] neg_lo:[1,0,0] neg_hi:[1,0,0]
	ds_read2_b32 v[2:3], v1 offset0:18 offset1:19
	v_mov_b64_e32 v[210:211], v[28:29]
	v_mov_b64_e32 v[208:209], v[26:27]
	v_mov_b64_e32 v[206:207], v[24:25]
	v_mov_b64_e32 v[204:205], v[22:23]
	v_mov_b64_e32 v[214:215], v[32:33]
	v_mov_b64_e32 v[212:213], v[30:31]
	s_waitcnt lgkmcnt(3)
	v_pk_fma_f32 v[200:201], v[0:1], v[4:5], v[204:205] op_sel_hi:[0,1,1] neg_lo:[1,0,0] neg_hi:[1,0,0]
	s_waitcnt lgkmcnt(2)
	v_pk_fma_f32 v[16:17], v[0:1], v[6:7], v[206:207] op_sel_hi:[0,1,1] neg_lo:[1,0,0] neg_hi:[1,0,0]
	;; [unrolled: 2-line block ×3, first 2 shown]
	ds_read2_b32 v[4:5], v1 offset0:20 offset1:21
	ds_read2_b32 v[6:7], v1 offset0:22 offset1:23
	;; [unrolled: 1-line block ×3, first 2 shown]
	s_waitcnt lgkmcnt(3)
	v_pk_fma_f32 v[20:21], v[0:1], v[2:3], v[210:211] op_sel_hi:[0,1,1] neg_lo:[1,0,0] neg_hi:[1,0,0]
	ds_read2_b32 v[2:3], v1 offset0:26 offset1:27
	ds_read2_b32 v[10:11], v1 offset0:28 offset1:29
	ds_read_b32 v1, v1 offset:120
	scratch_load_dwordx4 v[106:109], off, s4 ; 16-byte Folded Reload
	scratch_load_dwordx4 v[110:113], off, s4 offset:16 ; 16-byte Folded Reload
	scratch_load_dwordx4 v[114:117], off, s4 offset:32 ; 16-byte Folded Reload
	scratch_load_dwordx4 v[118:121], off, s4 offset:48 ; 16-byte Folded Reload
	scratch_load_dwordx4 v[122:125], off, s4 offset:64 ; 16-byte Folded Reload
	scratch_load_dwordx4 v[126:129], off, s4 offset:80 ; 16-byte Folded Reload
	scratch_load_dwordx4 v[130:133], off, s4 offset:96 ; 16-byte Folded Reload
	scratch_load_dwordx4 v[134:137], off, s4 offset:112 ; 16-byte Folded Reload
	s_waitcnt vmcnt(8)
	v_mov_b64_e32 v[220:221], v[38:39]
	v_mov_b64_e32 v[218:219], v[36:37]
	s_movk_i32 s4, 0x1010
	s_waitcnt lgkmcnt(0)
	v_pk_fma_f32 v[168:169], v[0:1], v[4:5], v[212:213] op_sel_hi:[0,1,1] neg_lo:[1,0,0] neg_hi:[1,0,0]
	v_pk_fma_f32 v[246:247], v[0:1], v[6:7], v[214:215] op_sel_hi:[0,1,1] neg_lo:[1,0,0] neg_hi:[1,0,0]
	;; [unrolled: 1-line block ×5, first 2 shown]
	v_mov_b32_e32 v11, v0
	v_mov_b32_e32 v182, v200
	;; [unrolled: 1-line block ×13, first 2 shown]
	s_waitcnt vmcnt(5)
	v_mov_b32_e32 v146, v114
	v_mov_b32_e32 v145, v113
	;; [unrolled: 1-line block ×18, first 2 shown]
	v_mov_b64_e32 v[88:89], v[12:13]
	v_mov_b64_e32 v[86:87], v[10:11]
	;; [unrolled: 1-line block ×6, first 2 shown]
	scratch_store_dwordx4 off, v[2:5], s4   ; 16-byte Folded Spill
	s_nop 0
	scratch_store_dwordx4 off, v[6:9], s4 offset:16 ; 16-byte Folded Spill
	scratch_store_dwordx4 off, v[10:13], s4 offset:32 ; 16-byte Folded Spill
	;; [unrolled: 1-line block ×7, first 2 shown]
	v_mov_b32_e32 v14, v200
	v_mov_b32_e32 v15, v201
	;; [unrolled: 1-line block ×40, first 2 shown]
	scratch_store_dwordx4 off, v[2:5], off offset:3472 ; 16-byte Folded Spill
	s_nop 0
	scratch_store_dwordx4 off, v[6:9], off offset:3488 ; 16-byte Folded Spill
	scratch_store_dwordx4 off, v[10:13], off offset:3504 ; 16-byte Folded Spill
	;; [unrolled: 1-line block ×7, first 2 shown]
	v_mov_b32_e32 v227, v141
	v_mov_b32_e32 v228, v142
	;; [unrolled: 1-line block ×6, first 2 shown]
	s_movk_i32 s4, 0x1294
	v_mov_b64_e32 v[104:105], v[16:17]
	v_mov_b64_e32 v[102:103], v[14:15]
	;; [unrolled: 1-line block ×8, first 2 shown]
	scratch_store_dwordx4 off, v[2:5], off offset:3088 ; 16-byte Folded Spill
	s_nop 0
	scratch_store_dwordx4 off, v[6:9], off offset:3104 ; 16-byte Folded Spill
	scratch_store_dwordx4 off, v[10:13], off offset:3120 ; 16-byte Folded Spill
	;; [unrolled: 1-line block ×7, first 2 shown]
	v_mov_b32_e32 v18, v186
	v_mov_b32_e32 v19, v187
	v_mov_b32_e32 v184, v104
	v_mov_b32_e32 v185, v105
	v_mov_b32_e32 v162, v104
	v_mov_b32_e32 v163, v105
	v_mov_b32_e32 v238, v104
	v_mov_b32_e32 v239, v105
	scratch_store_dwordx4 off, v[2:5], off offset:2576 ; 16-byte Folded Spill
	s_nop 0
	scratch_store_dwordx4 off, v[6:9], off offset:2592 ; 16-byte Folded Spill
	scratch_store_dwordx4 off, v[10:13], off offset:2608 ; 16-byte Folded Spill
	scratch_store_dwordx4 off, v[14:17], off offset:2624 ; 16-byte Folded Spill
	scratch_store_dwordx4 off, v[18:21], off offset:2640 ; 16-byte Folded Spill
	scratch_store_dwordx4 off, v[22:25], off offset:2656 ; 16-byte Folded Spill
	scratch_store_dwordx4 off, v[26:29], off offset:2672 ; 16-byte Folded Spill
	scratch_store_dwordx4 off, v[30:33], off offset:2688 ; 16-byte Folded Spill
	v_mov_b64_e32 v[66:67], v[20:21]
	v_mov_b64_e32 v[64:65], v[18:19]
	scratch_store_dwordx4 off, v[2:5], off offset:1936 ; 16-byte Folded Spill
	s_nop 0
	scratch_store_dwordx4 off, v[6:9], off offset:1952 ; 16-byte Folded Spill
	scratch_store_dwordx4 off, v[10:13], off offset:1968 ; 16-byte Folded Spill
	;; [unrolled: 1-line block ×7, first 2 shown]
	v_mov_b32_e32 v22, v168
	v_mov_b32_e32 v23, v169
	;; [unrolled: 1-line block ×6, first 2 shown]
	scratch_store_dwordx4 off, v[2:5], off offset:1552 ; 16-byte Folded Spill
	s_nop 0
	scratch_store_dwordx4 off, v[6:9], off offset:1568 ; 16-byte Folded Spill
	scratch_store_dwordx4 off, v[10:13], off offset:1584 ; 16-byte Folded Spill
	scratch_store_dwordx4 off, v[14:17], off offset:1600 ; 16-byte Folded Spill
	scratch_store_dwordx4 off, v[18:21], off offset:1616 ; 16-byte Folded Spill
	scratch_store_dwordx4 off, v[22:25], off offset:1632 ; 16-byte Folded Spill
	scratch_store_dwordx4 off, v[26:29], off offset:1648 ; 16-byte Folded Spill
	scratch_store_dwordx4 off, v[30:33], off offset:1664 ; 16-byte Folded Spill
	v_mov_b32_e32 v24, v246
	v_mov_b32_e32 v25, v247
	scratch_store_dwordx4 off, v[2:5], off offset:1296 ; 16-byte Folded Spill
	s_nop 0
	scratch_store_dwordx4 off, v[6:9], off offset:1312 ; 16-byte Folded Spill
	scratch_store_dwordx4 off, v[10:13], off offset:1328 ; 16-byte Folded Spill
	;; [unrolled: 1-line block ×7, first 2 shown]
	s_waitcnt vmcnt(60)
	v_mov_b64_e32 v[120:121], v[16:17]
	s_waitcnt vmcnt(57)
	v_mov_b64_e32 v[130:131], v[26:27]
	v_mov_b64_e32 v[118:119], v[14:15]
	;; [unrolled: 1-line block ×12, first 2 shown]
	scratch_store_dwordx4 off, v[2:5], off offset:1040 ; 16-byte Folded Spill
	s_nop 0
	scratch_store_dwordx4 off, v[6:9], off offset:1056 ; 16-byte Folded Spill
	scratch_store_dwordx4 off, v[10:13], off offset:1072 ; 16-byte Folded Spill
	;; [unrolled: 1-line block ×7, first 2 shown]
	v_mov_b64_e32 v[220:221], v[20:21]
	v_mov_b64_e32 v[216:217], v[16:17]
	;; [unrolled: 1-line block ×10, first 2 shown]
	scratch_store_dwordx4 off, v[106:109], off offset:272 ; 16-byte Folded Spill
	s_nop 0
	scratch_store_dwordx4 off, v[110:113], off offset:288 ; 16-byte Folded Spill
	scratch_store_dwordx4 off, v[114:117], off offset:304 ; 16-byte Folded Spill
	scratch_store_dwordx4 off, v[118:121], off offset:320 ; 16-byte Folded Spill
	scratch_store_dwordx4 off, v[122:125], off offset:336 ; 16-byte Folded Spill
	scratch_store_dwordx4 off, v[126:129], off offset:352 ; 16-byte Folded Spill
	scratch_store_dwordx4 off, v[130:133], off offset:368 ; 16-byte Folded Spill
	s_waitcnt vmcnt(62)
	scratch_store_dwordx4 off, v[134:137], off offset:384 ; 16-byte Folded Spill
	scratch_store_dwordx4 off, v[2:5], off offset:144 ; 16-byte Folded Spill
	s_nop 0
	scratch_store_dwordx4 off, v[6:9], off offset:160 ; 16-byte Folded Spill
	scratch_store_dwordx4 off, v[10:13], off offset:176 ; 16-byte Folded Spill
	;; [unrolled: 1-line block ×7, first 2 shown]
	v_mov_b64_e32 v[36:37], v[218:219]
	v_mov_b64_e32 v[132:133], v[68:69]
	scratch_load_dwordx2 v[2:3], off, off offset:132 ; 8-byte Folded Reload
	v_mov_b64_e32 v[60:61], v[78:79]
	v_mov_b64_e32 v[130:131], v[104:105]
	;; [unrolled: 1-line block ×3, first 2 shown]
	v_mov_b32_e32 v10, v88
	v_mov_b32_e32 v11, v89
	v_mov_b64_e32 v[62:63], v[80:81]
	v_mov_b64_e32 v[64:65], v[82:83]
	;; [unrolled: 1-line block ×5, first 2 shown]
	v_mov_b32_e32 v14, v104
	v_mov_b32_e32 v15, v105
	v_mov_b64_e32 v[128:129], v[102:103]
	v_mov_b64_e32 v[126:127], v[100:101]
	v_mov_b64_e32 v[124:125], v[98:99]
	v_mov_b64_e32 v[122:123], v[96:97]
	v_mov_b64_e32 v[120:121], v[94:95]
	v_mov_b64_e32 v[118:119], v[92:93]
	v_mov_b64_e32 v[116:117], v[90:91]
	v_mov_b32_e32 v18, v38
	v_mov_b32_e32 v19, v39
	scratch_load_dwordx4 v[78:81], off, off offset:272 ; 16-byte Folded Reload
	scratch_load_dwordx4 v[82:85], off, off offset:288 ; 16-byte Folded Reload
	scratch_load_dwordx4 v[86:89], off, off offset:304 ; 16-byte Folded Reload
	scratch_load_dwordx4 v[90:93], off, off offset:320 ; 16-byte Folded Reload
	scratch_load_dwordx4 v[94:97], off, off offset:336 ; 16-byte Folded Reload
	scratch_load_dwordx4 v[98:101], off, off offset:352 ; 16-byte Folded Reload
	scratch_load_dwordx4 v[102:105], off, off offset:368 ; 16-byte Folded Reload
	scratch_load_dwordx4 v[106:109], off, off offset:384 ; 16-byte Folded Reload
	scratch_load_dwordx4 v[28:31], off, off offset:144 ; 16-byte Folded Reload
	scratch_load_dwordx4 v[32:35], off, off offset:160 ; 16-byte Folded Reload
	scratch_load_dwordx4 v[36:39], off, off offset:176 ; 16-byte Folded Reload
	scratch_load_dwordx4 v[40:43], off, off offset:192 ; 16-byte Folded Reload
	scratch_load_dwordx4 v[44:47], off, off offset:208 ; 16-byte Folded Reload
	scratch_load_dwordx4 v[48:51], off, off offset:224 ; 16-byte Folded Reload
	scratch_load_dwordx4 v[52:55], off, off offset:240 ; 16-byte Folded Reload
	scratch_load_dwordx4 v[56:59], off, off offset:256 ; 16-byte Folded Reload
	v_mov_b32_e32 v113, v0
	v_mov_b32_e32 v115, v0
	;; [unrolled: 1-line block ×3, first 2 shown]
	s_waitcnt vmcnt(16)
	v_mov_b32_e32 v2, v140
	v_mov_b32_e32 v4, v142
	;; [unrolled: 1-line block ×14, first 2 shown]
	v_mov_b64_e32 v[72:73], v[132:133]
	s_waitcnt vmcnt(0)
	v_mov_b32_e32 v58, v130
	v_mov_b32_e32 v59, v131
	v_mov_b64_e32 v[134:135], v[130:131]
	v_mov_b64_e32 v[132:133], v[128:129]
	;; [unrolled: 1-line block ×8, first 2 shown]
	v_mov_b32_e32 v53, v113
	v_mov_b32_e32 v44, v138
	;; [unrolled: 1-line block ×23, first 2 shown]
	v_fma_f32 v136, -v0, v1, v3
	v_mov_b32_e32 v0, v138
	v_mov_b32_e32 v1, v139
	;; [unrolled: 1-line block ×7, first 2 shown]
	scratch_store_dwordx4 off, v[0:3], off offset:912 ; 16-byte Folded Spill
	s_nop 0
	scratch_store_dwordx4 off, v[4:7], off offset:928 ; 16-byte Folded Spill
	scratch_store_dwordx4 off, v[8:11], off offset:944 ; 16-byte Folded Spill
	;; [unrolled: 1-line block ×7, first 2 shown]
	s_nop 1
	v_mov_b64_e32 v[30:31], v[60:61]
	v_mov_b64_e32 v[32:33], v[62:63]
	;; [unrolled: 1-line block ×6, first 2 shown]
	v_mov_b32_e32 v68, v102
	v_mov_b32_e32 v69, v103
	scratch_load_dwordx4 v[74:77], off, off offset:144 ; 16-byte Folded Reload
	scratch_load_dwordx4 v[78:81], off, off offset:160 ; 16-byte Folded Reload
	;; [unrolled: 1-line block ×8, first 2 shown]
	s_waitcnt vmcnt(4)
	v_mov_b64_e32 v[78:79], v[188:189]
	scratch_store_dwordx4 off, v[120:123], off offset:1680 ; 16-byte Folded Spill
	s_nop 0
	scratch_store_dwordx4 off, v[124:127], off offset:1696 ; 16-byte Folded Spill
	scratch_store_dwordx4 off, v[128:131], off offset:1712 ; 16-byte Folded Spill
	;; [unrolled: 1-line block ×7, first 2 shown]
	v_mov_b32_e32 v60, v186
	v_mov_b32_e32 v61, v187
	;; [unrolled: 1-line block ×4, first 2 shown]
	v_mov_b64_e32 v[80:81], v[190:191]
	v_mov_b64_e32 v[82:83], v[192:193]
	;; [unrolled: 1-line block ×5, first 2 shown]
	v_mov_b32_e32 v122, v186
	v_mov_b32_e32 v123, v187
	v_mov_b32_e32 v124, v220
	v_mov_b32_e32 v125, v221
	v_mov_b32_e32 v64, v168
	v_mov_b32_e32 v65, v169
	v_mov_b32_e32 v66, v246
	v_mov_b32_e32 v67, v247
	v_mov_b64_e32 v[76:77], v[72:73]
	v_mov_b32_e32 v54, v40
	v_mov_b32_e32 v55, v41
	;; [unrolled: 1-line block ×13, first 2 shown]
	s_waitcnt vmcnt(9)
	v_mov_b64_e32 v[16:17], v[90:91]
	v_mov_b64_e32 v[18:19], v[92:93]
	;; [unrolled: 1-line block ×7, first 2 shown]
	scratch_store_dwordx4 off, v[170:173], off offset:1168 ; 16-byte Folded Spill
	s_nop 0
	scratch_store_dwordx4 off, v[174:177], off offset:1184 ; 16-byte Folded Spill
	scratch_store_dwordx4 off, v[178:181], off offset:1200 ; 16-byte Folded Spill
	;; [unrolled: 1-line block ×8, first 2 shown]
	s_nop 0
	scratch_store_dwordx4 off, v[206:209], off offset:544 ; 16-byte Folded Spill
	scratch_store_dwordx4 off, v[210:213], off offset:560 ; 16-byte Folded Spill
	;; [unrolled: 1-line block ×7, first 2 shown]
	scratch_load_dwordx4 v[170:173], off, off offset:272 ; 16-byte Folded Reload
	scratch_load_dwordx4 v[174:177], off, off offset:288 ; 16-byte Folded Reload
	;; [unrolled: 1-line block ×8, first 2 shown]
	v_mov_b32_e32 v70, v26
	v_mov_b32_e32 v71, v27
	;; [unrolled: 1-line block ×4, first 2 shown]
	v_mov_b64_e32 v[74:75], v[70:71]
	v_mov_b32_e32 v222, v136
	v_mov_b64_e32 v[72:73], v[68:69]
	v_mov_b64_e32 v[70:71], v[66:67]
	;; [unrolled: 1-line block ×6, first 2 shown]
	v_mov_b32_e32 v221, v135
	v_mov_b32_e32 v220, v134
	v_mov_b32_e32 v29, v136
	s_waitcnt vmcnt(32)
	v_mov_b64_e32 v[104:105], v[40:41]
	v_mov_b64_e32 v[60:61], v[56:57]
	;; [unrolled: 1-line block ×8, first 2 shown]
	scratch_store_dwordx4 off, v[138:141], s4 ; 16-byte Folded Spill
	s_nop 0
	scratch_store_dwordx4 off, v[142:145], s4 offset:16 ; 16-byte Folded Spill
	scratch_store_dwordx4 off, v[146:149], s4 offset:32 ; 16-byte Folded Spill
	;; [unrolled: 1-line block ×7, first 2 shown]
	v_mov_b64_e32 v[102:103], v[38:39]
	v_mov_b64_e32 v[100:101], v[36:37]
	;; [unrolled: 1-line block ×5, first 2 shown]
	s_waitcnt vmcnt(9)
	v_mov_b32_e32 v130, v194
	v_mov_b32_e32 v131, v195
	s_waitcnt vmcnt(8)
	v_mov_b64_e32 v[206:207], v[120:121]
	v_mov_b64_e32 v[218:219], v[132:133]
	;; [unrolled: 1-line block ×14, first 2 shown]
	scratch_store_dwordx4 off, v[192:195], off offset:4 ; 16-byte Folded Spill
	s_nop 0
	scratch_store_dwordx4 off, v[196:199], off offset:20 ; 16-byte Folded Spill
	scratch_store_dwordx4 off, v[200:203], off offset:36 ; 16-byte Folded Spill
	;; [unrolled: 1-line block ×7, first 2 shown]
	scratch_store_dwordx2 off, v[28:29], off offset:132 ; 8-byte Folded Spill
	v_mov_b32_e32 v28, v104
	scratch_store_dwordx4 off, v[18:21], off offset:1424 ; 16-byte Folded Spill
	s_nop 0
	scratch_store_dwordx4 off, v[22:25], off offset:1440 ; 16-byte Folded Spill
	scratch_store_dwordx4 off, v[26:29], off offset:1456 ; 16-byte Folded Spill
	;; [unrolled: 1-line block ×8, first 2 shown]
	s_nop 0
	scratch_store_dwordx4 off, v[98:101], off offset:2976 ; 16-byte Folded Spill
	scratch_store_dwordx4 off, v[102:105], off offset:2992 ; 16-byte Folded Spill
	;; [unrolled: 1-line block ×7, first 2 shown]
	v_mov_b64_e32 v[106:107], v[90:91]
	v_mov_b32_e32 v144, v106
	v_mov_b32_e32 v182, v168
	;; [unrolled: 1-line block ×4, first 2 shown]
	v_mov_b64_e32 v[104:105], v[88:89]
	v_mov_b64_e32 v[102:103], v[86:87]
	;; [unrolled: 1-line block ×6, first 2 shown]
	scratch_store_dwordx4 off, v[94:97], off offset:2448 ; 16-byte Folded Spill
	s_nop 0
	scratch_store_dwordx4 off, v[98:101], off offset:2464 ; 16-byte Folded Spill
	scratch_store_dwordx4 off, v[102:105], off offset:2480 ; 16-byte Folded Spill
	;; [unrolled: 1-line block ×7, first 2 shown]
	v_mov_b32_e32 v187, v107
	scratch_load_dwordx4 v[78:81], off, off offset:1680 ; 16-byte Folded Reload
	scratch_load_dwordx4 v[82:85], off, off offset:1696 ; 16-byte Folded Reload
	;; [unrolled: 1-line block ×8, first 2 shown]
	s_waitcnt vmcnt(4)
	v_mov_b32_e32 v114, v92
	v_mov_b32_e32 v145, v93
	scratch_load_dwordx4 v[78:81], off, off offset:1168 ; 16-byte Folded Reload
	scratch_load_dwordx4 v[82:85], off, off offset:1184 ; 16-byte Folded Reload
	scratch_load_dwordx4 v[86:89], off, off offset:1200 ; 16-byte Folded Reload
	scratch_load_dwordx4 v[90:93], off, off offset:1216 ; 16-byte Folded Reload
	scratch_load_dwordx4 v[94:97], off, off offset:1232 ; 16-byte Folded Reload
	scratch_load_dwordx4 v[98:101], off, off offset:1248 ; 16-byte Folded Reload
	scratch_load_dwordx4 v[102:105], off, off offset:1264 ; 16-byte Folded Reload
	scratch_load_dwordx4 v[106:109], off, off offset:1280 ; 16-byte Folded Reload
	s_waitcnt vmcnt(3)
	v_mov_b64_e32 v[46:47], v[94:95]
	scratch_load_dwordx4 v[78:81], off, off offset:528 ; 16-byte Folded Reload
	scratch_load_dwordx4 v[82:85], off, off offset:544 ; 16-byte Folded Reload
	;; [unrolled: 1-line block ×8, first 2 shown]
	v_mov_b32_e32 v146, v46
	v_mov_b32_e32 v147, v47
	scratch_store_dwordx4 off, v[148:151], off offset:400 ; 16-byte Folded Spill
	s_nop 0
	scratch_store_dwordx4 off, v[152:155], off offset:416 ; 16-byte Folded Spill
	scratch_store_dwordx4 off, v[156:159], off offset:432 ; 16-byte Folded Spill
	;; [unrolled: 1-line block ×8, first 2 shown]
	s_nop 0
	scratch_store_dwordx4 off, v[228:231], off offset:672 ; 16-byte Folded Spill
	scratch_store_dwordx4 off, v[232:235], off offset:688 ; 16-byte Folded Spill
	scratch_store_dwordx4 off, v[236:239], off offset:704 ; 16-byte Folded Spill
	scratch_store_dwordx4 off, v[240:243], off offset:720 ; 16-byte Folded Spill
	scratch_store_dwordx4 off, v[244:247], off offset:736 ; 16-byte Folded Spill
	scratch_store_dwordx4 off, v[248:251], off offset:752 ; 16-byte Folded Spill
	scratch_store_dwordx4 off, v[252:255], off offset:768 ; 16-byte Folded Spill
	v_mov_b32_e32 v234, v76
	v_mov_b32_e32 v143, v169
	s_waitcnt vmcnt(19)
	v_mov_b64_e32 v[44:45], v[94:95]
	v_mov_b64_e32 v[46:47], v[96:97]
	scratch_load_dwordx4 v[78:81], off, off offset:272 ; 16-byte Folded Reload
	scratch_load_dwordx4 v[82:85], off, off offset:288 ; 16-byte Folded Reload
	;; [unrolled: 1-line block ×8, first 2 shown]
	v_mov_b32_e32 v120, v46
	v_mov_b32_e32 v29, v47
	v_mov_b64_e32 v[36:37], v[48:49]
	v_mov_b64_e32 v[38:39], v[50:51]
	;; [unrolled: 1-line block ×9, first 2 shown]
	v_mov_b32_e32 v181, v247
	v_mov_b64_e32 v[54:55], v[66:67]
	v_mov_b64_e32 v[56:57], v[68:69]
	;; [unrolled: 1-line block ×5, first 2 shown]
	v_mov_b32_e32 v64, v76
	scratch_store_dwordx4 off, v[36:39], off offset:784 ; 16-byte Folded Spill
	s_nop 0
	scratch_store_dwordx4 off, v[40:43], off offset:800 ; 16-byte Folded Spill
	scratch_store_dwordx4 off, v[44:47], off offset:816 ; 16-byte Folded Spill
	;; [unrolled: 1-line block ×7, first 2 shown]
	v_mov_b32_e32 v37, v29
	v_mov_b32_e32 v32, v120
	s_waitcnt vmcnt(9)
	v_mov_b64_e32 v[248:249], v[102:103]
	v_mov_b64_e32 v[246:247], v[100:101]
	;; [unrolled: 1-line block ×6, first 2 shown]
	v_mov_b32_e32 v184, v248
	v_mov_b32_e32 v138, v104
	;; [unrolled: 1-line block ×3, first 2 shown]
	v_mov_b64_e32 v[102:103], v[24:25]
	v_mov_b64_e32 v[100:101], v[22:23]
	;; [unrolled: 1-line block ×5, first 2 shown]
.LBB61_53:
	s_or_b64 exec, exec, s[2:3]
	v_cmp_eq_u32_e32 vcc, 10, v254
	s_waitcnt lgkmcnt(0)
	s_barrier
	s_and_saveexec_b64 s[2:3], vcc
	s_cbranch_execz .LBB61_56
; %bb.54:
	scratch_load_dwordx4 v[38:41], off, off offset:1424 ; 16-byte Folded Reload
	scratch_load_dwordx4 v[42:45], off, off offset:1440 ; 16-byte Folded Reload
	;; [unrolled: 1-line block ×8, first 2 shown]
	s_waitcnt vmcnt(5)
	ds_write_b32 v255, v48
	scratch_load_dwordx4 v[38:41], off, off offset:4 ; 16-byte Folded Reload
	scratch_load_dwordx4 v[42:45], off, off offset:20 ; 16-byte Folded Reload
	;; [unrolled: 1-line block ×8, first 2 shown]
	scratch_load_dword v28, off, off offset:140 ; 4-byte Folded Reload
	s_waitcnt vmcnt(0)
	ds_write2_b32 v28, v49, v50 offset0:11 offset1:12
	ds_write2_b32 v28, v51, v52 offset0:13 offset1:14
	;; [unrolled: 1-line block ×10, first 2 shown]
	ds_read_b32 v28, v255
	s_waitcnt lgkmcnt(0)
	v_cmp_neq_f32_e32 vcc, 0, v28
	s_and_b64 exec, exec, vcc
	s_cbranch_execz .LBB61_56
; %bb.55:
	v_div_scale_f32 v29, s[4:5], v28, v28, 1.0
	v_rcp_f32_e32 v30, v29
	v_div_scale_f32 v31, vcc, 1.0, v28, 1.0
	v_fma_f32 v56, -v29, v30, 1.0
	v_fmac_f32_e32 v30, v56, v30
	v_mul_f32_e32 v56, v31, v30
	v_fma_f32 v57, -v29, v56, v31
	v_fmac_f32_e32 v56, v57, v30
	v_fma_f32 v29, -v29, v56, v31
	v_div_fmas_f32 v29, v29, v30, v56
	v_div_fixup_f32 v28, v29, v28, 1.0
	ds_write_b32 v255, v28
.LBB61_56:
	s_or_b64 exec, exec, s[2:3]
	s_waitcnt lgkmcnt(0)
	s_barrier
	ds_read_b32 v153, v255
	v_cmp_lt_u32_e32 vcc, 10, v254
	s_and_saveexec_b64 s[2:3], vcc
	s_cbranch_execz .LBB61_58
; %bb.57:
	s_movk_i32 s4, 0x1294
	scratch_load_dwordx4 v[32:35], off, s4  ; 16-byte Folded Reload
	scratch_load_dwordx4 v[36:39], off, s4 offset:16 ; 16-byte Folded Reload
	scratch_load_dwordx4 v[40:43], off, s4 offset:32 ; 16-byte Folded Reload
	;; [unrolled: 1-line block ×7, first 2 shown]
	scratch_load_dwordx4 v[0:3], off, off offset:1424 ; 16-byte Folded Reload
	scratch_load_dwordx4 v[4:7], off, off offset:1440 ; 16-byte Folded Reload
	;; [unrolled: 1-line block ×8, first 2 shown]
	s_movk_i32 s4, 0x1010
	s_waitcnt vmcnt(15)
	v_mov_b32_e32 v106, v32
	v_mov_b32_e32 v107, v33
	;; [unrolled: 1-line block ×4, first 2 shown]
	s_waitcnt vmcnt(14)
	v_mov_b32_e32 v110, v36
	v_mov_b32_e32 v111, v37
	;; [unrolled: 1-line block ×4, first 2 shown]
	s_waitcnt vmcnt(13)
	v_mov_b32_e32 v114, v40
	v_mov_b32_e32 v115, v41
	s_waitcnt vmcnt(5) lgkmcnt(0)
	v_mul_f32_e32 v42, v10, v153
	scratch_load_dword v10, off, off offset:140 ; 4-byte Folded Reload
	v_mov_b32_e32 v116, v42
	v_mov_b32_e32 v224, v32
	;; [unrolled: 1-line block ×25, first 2 shown]
	s_waitcnt vmcnt(0)
	ds_read2_b32 v[0:1], v10 offset0:11 offset1:12
	scratch_load_dwordx4 v[44:47], off, off offset:4 ; 16-byte Folded Reload
	scratch_load_dwordx4 v[48:51], off, off offset:20 ; 16-byte Folded Reload
	;; [unrolled: 1-line block ×8, first 2 shown]
	ds_read2_b32 v[4:5], v10 offset0:13 offset1:14
	ds_read2_b32 v[6:7], v10 offset0:15 offset1:16
	ds_read2_b32 v[8:9], v10 offset0:17 offset1:18
	s_waitcnt vmcnt(1)
	v_mov_b32_e32 v218, v70
	v_mov_b32_e32 v204, v56
	;; [unrolled: 1-line block ×9, first 2 shown]
	s_waitcnt lgkmcnt(3)
	v_pk_fma_f32 v[28:29], v[42:43], v[0:1], v[2:3] op_sel_hi:[0,1,1] neg_lo:[1,0,0] neg_hi:[1,0,0]
	v_mov_b32_e32 v0, v205
	v_mov_b32_e32 v1, v206
	v_mov_b32_e32 v210, v62
	v_mov_b32_e32 v209, v61
	s_waitcnt lgkmcnt(2)
	v_pk_fma_f32 v[30:31], v[42:43], v[4:5], v[0:1] op_sel_hi:[0,1,1] neg_lo:[1,0,0] neg_hi:[1,0,0]
	v_mov_b32_e32 v0, v207
	v_mov_b32_e32 v1, v208
	;; [unrolled: 1-line block ×9, first 2 shown]
	s_waitcnt lgkmcnt(1)
	v_pk_fma_f32 v[56:57], v[42:43], v[6:7], v[0:1] op_sel_hi:[0,1,1] neg_lo:[1,0,0] neg_hi:[1,0,0]
	v_mov_b32_e32 v0, v209
	v_mov_b32_e32 v1, v210
	s_waitcnt lgkmcnt(0)
	v_pk_fma_f32 v[58:59], v[42:43], v[8:9], v[0:1] op_sel_hi:[0,1,1] neg_lo:[1,0,0] neg_hi:[1,0,0]
	ds_read2_b32 v[0:1], v10 offset0:19 offset1:20
	ds_read2_b32 v[4:5], v10 offset0:21 offset1:22
	;; [unrolled: 1-line block ×4, first 2 shown]
	v_mov_b32_e32 v2, v211
	v_mov_b32_e32 v3, v212
	s_waitcnt vmcnt(0)
	v_mov_b32_e32 v222, v74
	s_waitcnt lgkmcnt(3)
	v_pk_fma_f32 v[60:61], v[42:43], v[0:1], v[2:3] op_sel_hi:[0,1,1] neg_lo:[1,0,0] neg_hi:[1,0,0]
	v_mov_b32_e32 v0, v213
	v_mov_b32_e32 v1, v214
	ds_read2_b32 v[2:3], v10 offset0:27 offset1:28
	s_waitcnt lgkmcnt(3)
	v_pk_fma_f32 v[62:63], v[42:43], v[4:5], v[0:1] op_sel_hi:[0,1,1] neg_lo:[1,0,0] neg_hi:[1,0,0]
	ds_read2_b32 v[4:5], v10 offset0:29 offset1:30
	v_mov_b32_e32 v0, v215
	v_mov_b32_e32 v1, v216
	;; [unrolled: 1-line block ×4, first 2 shown]
	s_waitcnt lgkmcnt(3)
	v_pk_fma_f32 v[92:93], v[42:43], v[6:7], v[0:1] op_sel_hi:[0,1,1] neg_lo:[1,0,0] neg_hi:[1,0,0]
	v_mov_b32_e32 v0, v217
	v_mov_b32_e32 v1, v218
	;; [unrolled: 1-line block ×3, first 2 shown]
	s_waitcnt lgkmcnt(2)
	v_pk_fma_f32 v[94:95], v[42:43], v[8:9], v[0:1] op_sel_hi:[0,1,1] neg_lo:[1,0,0] neg_hi:[1,0,0]
	v_mov_b32_e32 v0, v219
	v_mov_b32_e32 v1, v220
	s_waitcnt lgkmcnt(1)
	v_pk_fma_f32 v[122:123], v[42:43], v[2:3], v[0:1] op_sel_hi:[0,1,1] neg_lo:[1,0,0] neg_hi:[1,0,0]
	v_mov_b32_e32 v0, v221
	v_mov_b32_e32 v1, v222
	;; [unrolled: 4-line block ×3, first 2 shown]
	v_mov_b32_e32 v0, v32
	v_mov_b32_e32 v1, v33
	v_mov_b32_e32 v2, v34
	v_mov_b32_e32 v3, v35
	v_mov_b32_e32 v4, v36
	v_mov_b32_e32 v5, v37
	v_mov_b32_e32 v6, v38
	v_mov_b32_e32 v7, v39
	v_mov_b32_e32 v8, v40
	v_mov_b32_e32 v9, v41
	v_mov_b32_e32 v10, v42
	v_mov_b32_e32 v11, v28
	v_mov_b32_e32 v12, v29
	v_mov_b32_e32 v13, v30
	v_mov_b32_e32 v43, v28
	scratch_store_dwordx4 off, v[106:109], off offset:2448 ; 16-byte Folded Spill
	s_nop 0
	scratch_store_dwordx4 off, v[110:113], off offset:2464 ; 16-byte Folded Spill
	scratch_store_dwordx4 off, v[114:117], off offset:2480 ; 16-byte Folded Spill
	;; [unrolled: 1-line block ×8, first 2 shown]
	s_nop 0
	scratch_store_dwordx4 off, v[4:7], off offset:3488 ; 16-byte Folded Spill
	scratch_store_dwordx4 off, v[8:11], off offset:3504 ; 16-byte Folded Spill
	;; [unrolled: 1-line block ×7, first 2 shown]
	v_mov_b32_e32 v239, v56
	v_mov_b32_e32 v240, v57
	;; [unrolled: 1-line block ×25, first 2 shown]
	scratch_store_dwordx4 off, v[0:3], off offset:1680 ; 16-byte Folded Spill
	s_nop 0
	scratch_store_dwordx4 off, v[4:7], off offset:1696 ; 16-byte Folded Spill
	scratch_store_dwordx4 off, v[8:11], off offset:1712 ; 16-byte Folded Spill
	;; [unrolled: 1-line block ×7, first 2 shown]
	v_mov_b32_e32 v15, v56
	v_mov_b32_e32 v188, v123
	scratch_store_dwordx4 off, v[0:3], off offset:3088 ; 16-byte Folded Spill
	s_nop 0
	scratch_store_dwordx4 off, v[4:7], off offset:3104 ; 16-byte Folded Spill
	scratch_store_dwordx4 off, v[8:11], off offset:3120 ; 16-byte Folded Spill
	scratch_store_dwordx4 off, v[12:15], off offset:3136 ; 16-byte Folded Spill
	scratch_store_dwordx4 off, v[16:19], off offset:3152 ; 16-byte Folded Spill
	scratch_store_dwordx4 off, v[20:23], off offset:3168 ; 16-byte Folded Spill
	scratch_store_dwordx4 off, v[24:27], off offset:3184 ; 16-byte Folded Spill
	scratch_store_dwordx4 off, v[28:31], off offset:3200 ; 16-byte Folded Spill
	v_mov_b32_e32 v16, v57
	scratch_store_dwordx4 off, v[0:3], off offset:1168 ; 16-byte Folded Spill
	s_nop 0
	scratch_store_dwordx4 off, v[4:7], off offset:1184 ; 16-byte Folded Spill
	scratch_store_dwordx4 off, v[8:11], off offset:1200 ; 16-byte Folded Spill
	scratch_store_dwordx4 off, v[12:15], off offset:1216 ; 16-byte Folded Spill
	scratch_store_dwordx4 off, v[16:19], off offset:1232 ; 16-byte Folded Spill
	scratch_store_dwordx4 off, v[20:23], off offset:1248 ; 16-byte Folded Spill
	scratch_store_dwordx4 off, v[24:27], off offset:1264 ; 16-byte Folded Spill
	scratch_store_dwordx4 off, v[28:31], off offset:1280 ; 16-byte Folded Spill
	;; [unrolled: 10-line block ×9, first 2 shown]
	s_nop 0
	v_mov_b32_e32 v24, v93
	v_mov_b32_e32 v25, v94
	;; [unrolled: 1-line block ×6, first 2 shown]
	scratch_store_dwordx4 off, v[224:227], off offset:272 ; 16-byte Folded Spill
	s_nop 0
	scratch_store_dwordx4 off, v[228:231], off offset:288 ; 16-byte Folded Spill
	scratch_store_dwordx4 off, v[232:235], off offset:304 ; 16-byte Folded Spill
	;; [unrolled: 1-line block ×8, first 2 shown]
	s_nop 0
	scratch_store_dwordx4 off, v[4:7], off offset:1056 ; 16-byte Folded Spill
	scratch_store_dwordx4 off, v[8:11], off offset:1072 ; 16-byte Folded Spill
	;; [unrolled: 1-line block ×7, first 2 shown]
	v_mov_b32_e32 v249, v94
	v_mov_b32_e32 v26, v95
	;; [unrolled: 1-line block ×3, first 2 shown]
	scratch_store_dwordx4 off, v[0:3], off offset:144 ; 16-byte Folded Spill
	s_nop 0
	scratch_store_dwordx4 off, v[4:7], off offset:160 ; 16-byte Folded Spill
	scratch_store_dwordx4 off, v[8:11], off offset:176 ; 16-byte Folded Spill
	;; [unrolled: 1-line block ×7, first 2 shown]
	s_nop 0
	v_mov_b32_e32 v27, v122
	scratch_store_dwordx4 off, v[0:3], off offset:912 ; 16-byte Folded Spill
	s_nop 0
	scratch_store_dwordx4 off, v[4:7], off offset:928 ; 16-byte Folded Spill
	scratch_store_dwordx4 off, v[8:11], off offset:944 ; 16-byte Folded Spill
	;; [unrolled: 1-line block ×7, first 2 shown]
	v_mov_b32_e32 v171, v28
	v_mov_b32_e32 v172, v29
	;; [unrolled: 1-line block ×4, first 2 shown]
	scratch_store_dwordx4 off, v[160:163], off offset:784 ; 16-byte Folded Spill
	s_nop 0
	scratch_store_dwordx4 off, v[164:167], off offset:800 ; 16-byte Folded Spill
	scratch_store_dwordx4 off, v[168:171], off offset:816 ; 16-byte Folded Spill
	;; [unrolled: 1-line block ×7, first 2 shown]
	v_mov_b32_e32 v160, v34
	v_mov_b32_e32 v161, v35
	;; [unrolled: 1-line block ×29, first 2 shown]
	scratch_store_dwordx2 off, v[124:125], off offset:132 ; 8-byte Folded Spill
	scratch_store_dwordx4 off, v[158:161], off offset:4 ; 16-byte Folded Spill
	s_nop 0
	scratch_store_dwordx4 off, v[162:165], off offset:20 ; 16-byte Folded Spill
	scratch_store_dwordx4 off, v[166:169], off offset:36 ; 16-byte Folded Spill
	;; [unrolled: 1-line block ×7, first 2 shown]
	scratch_store_dwordx4 off, v[32:35], s4 ; 16-byte Folded Spill
	s_nop 0
	scratch_store_dwordx4 off, v[36:39], s4 offset:16 ; 16-byte Folded Spill
	scratch_store_dwordx4 off, v[40:43], s4 offset:32 ; 16-byte Folded Spill
	;; [unrolled: 1-line block ×7, first 2 shown]
	scratch_store_dwordx4 off, v[32:35], off offset:2960 ; 16-byte Folded Spill
	s_nop 0
	scratch_store_dwordx4 off, v[36:39], off offset:2976 ; 16-byte Folded Spill
	scratch_store_dwordx4 off, v[40:43], off offset:2992 ; 16-byte Folded Spill
	;; [unrolled: 1-line block ×7, first 2 shown]
	v_mov_b32_e32 v119, v28
	v_mov_b32_e32 v144, v29
	v_mov_b32_e32 v187, v30
	v_mov_b32_e32 v114, v31
	v_mov_b32_e32 v184, v93
	v_mov_b32_e32 v145, v56
	v_mov_b32_e32 v146, v57
	v_mov_b32_e32 v147, v58
	v_mov_b32_e32 v32, v59
	v_mov_b32_e32 v37, v60
	v_mov_b32_e32 v182, v61
	v_mov_b32_e32 v143, v62
	v_mov_b32_e32 v34, v63
.LBB61_58:
	s_or_b64 exec, exec, s[2:3]
	v_cmp_eq_u32_e32 vcc, 11, v254
	s_waitcnt lgkmcnt(0)
	s_barrier
	s_and_saveexec_b64 s[2:3], vcc
	s_cbranch_execz .LBB61_61
; %bb.59:
	ds_write_b32 v255, v119
	scratch_load_dwordx4 v[38:41], off, off offset:4 ; 16-byte Folded Reload
	scratch_load_dwordx4 v[42:45], off, off offset:20 ; 16-byte Folded Reload
	;; [unrolled: 1-line block ×8, first 2 shown]
	scratch_load_dword v30, off, off offset:140 ; 4-byte Folded Reload
	s_waitcnt vmcnt(0)
	ds_write2_b32 v30, v50, v51 offset0:12 offset1:13
	ds_write2_b32 v30, v52, v53 offset0:14 offset1:15
	;; [unrolled: 1-line block ×9, first 2 shown]
	scratch_load_dwordx2 v[28:29], off, off offset:132 ; 8-byte Folded Reload
	s_waitcnt vmcnt(0)
	ds_write_b32 v30, v29 offset:120
	ds_read_b32 v28, v255
	s_waitcnt lgkmcnt(0)
	v_cmp_neq_f32_e32 vcc, 0, v28
	s_and_b64 exec, exec, vcc
	s_cbranch_execz .LBB61_61
; %bb.60:
	v_div_scale_f32 v29, s[4:5], v28, v28, 1.0
	v_rcp_f32_e32 v30, v29
	v_div_scale_f32 v31, vcc, 1.0, v28, 1.0
	v_fma_f32 v56, -v29, v30, 1.0
	v_fmac_f32_e32 v30, v56, v30
	v_mul_f32_e32 v56, v31, v30
	v_fma_f32 v57, -v29, v56, v31
	v_fmac_f32_e32 v56, v57, v30
	v_fma_f32 v29, -v29, v56, v31
	v_div_fmas_f32 v29, v29, v30, v56
	v_div_fixup_f32 v28, v29, v28, 1.0
	ds_write_b32 v255, v28
.LBB61_61:
	s_or_b64 exec, exec, s[2:3]
	s_waitcnt lgkmcnt(0)
	s_barrier
	ds_read_b32 v154, v255
	v_cmp_lt_u32_e32 vcc, 11, v254
	s_and_saveexec_b64 s[2:3], vcc
	s_cbranch_execz .LBB61_63
; %bb.62:
	scratch_load_dword v1, off, off offset:140 ; 4-byte Folded Reload
	s_waitcnt lgkmcnt(0)
	v_mul_f32_e32 v0, v119, v154
	v_mov_b32_e32 v105, v0
	v_mov_b32_e32 v117, v0
	v_mov_b32_e32 v89, v0
	v_mov_b32_e32 v169, v0
	v_mov_b32_e32 v235, v0
	v_mov_b32_e32 v133, v0
	s_movk_i32 s4, 0x1010
	s_waitcnt vmcnt(0)
	ds_read2_b32 v[2:3], v1 offset0:12 offset1:13
	ds_read2_b32 v[4:5], v1 offset0:14 offset1:15
	;; [unrolled: 1-line block ×4, first 2 shown]
	scratch_load_dwordx4 v[10:13], off, off offset:4 ; 16-byte Folded Reload
	scratch_load_dwordx4 v[14:17], off, off offset:20 ; 16-byte Folded Reload
	;; [unrolled: 1-line block ×8, first 2 shown]
	s_waitcnt vmcnt(1)
	v_mov_b64_e32 v[218:219], v[36:37]
	v_mov_b64_e32 v[204:205], v[22:23]
	s_waitcnt lgkmcnt(3)
	v_pk_fma_f32 v[118:119], v[0:1], v[2:3], v[204:205] op_sel_hi:[0,1,1] neg_lo:[1,0,0] neg_hi:[1,0,0]
	ds_read2_b32 v[2:3], v1 offset0:20 offset1:21
	v_mov_b64_e32 v[212:213], v[30:31]
	v_mov_b64_e32 v[210:211], v[28:29]
	;; [unrolled: 1-line block ×6, first 2 shown]
	s_waitcnt lgkmcnt(3)
	v_pk_fma_f32 v[92:93], v[0:1], v[4:5], v[206:207] op_sel_hi:[0,1,1] neg_lo:[1,0,0] neg_hi:[1,0,0]
	s_waitcnt lgkmcnt(2)
	v_pk_fma_f32 v[34:35], v[0:1], v[6:7], v[208:209] op_sel_hi:[0,1,1] neg_lo:[1,0,0] neg_hi:[1,0,0]
	;; [unrolled: 2-line block ×3, first 2 shown]
	ds_read2_b32 v[4:5], v1 offset0:22 offset1:23
	ds_read2_b32 v[6:7], v1 offset0:24 offset1:25
	;; [unrolled: 1-line block ×3, first 2 shown]
	s_waitcnt lgkmcnt(3)
	v_pk_fma_f32 v[48:49], v[0:1], v[2:3], v[212:213] op_sel_hi:[0,1,1] neg_lo:[1,0,0] neg_hi:[1,0,0]
	ds_read2_b32 v[2:3], v1 offset0:28 offset1:29
	ds_read_b32 v1, v1 offset:120
	s_waitcnt vmcnt(0)
	v_mov_b64_e32 v[220:221], v[38:39]
	v_mov_b32_e32 v90, v118
	v_mov_b32_e32 v91, v119
	;; [unrolled: 1-line block ×3, first 2 shown]
	s_waitcnt lgkmcnt(0)
	v_pk_fma_f32 v[180:181], v[0:1], v[4:5], v[214:215] op_sel_hi:[0,1,1] neg_lo:[1,0,0] neg_hi:[1,0,0]
	v_pk_fma_f32 v[248:249], v[0:1], v[6:7], v[216:217] op_sel_hi:[0,1,1] neg_lo:[1,0,0] neg_hi:[1,0,0]
	v_pk_fma_f32 v[50:51], v[0:1], v[8:9], v[218:219] op_sel_hi:[0,1,1] neg_lo:[1,0,0] neg_hi:[1,0,0]
	v_pk_fma_f32 v[76:77], v[0:1], v[2:3], v[220:221] op_sel_hi:[0,1,1] neg_lo:[1,0,0] neg_hi:[1,0,0]
	scratch_load_dwordx4 v[2:5], off, off offset:2960 ; 16-byte Folded Reload
	scratch_load_dwordx4 v[6:9], off, off offset:2976 ; 16-byte Folded Reload
	scratch_load_dwordx4 v[10:13], off, off offset:2992 ; 16-byte Folded Reload
	scratch_load_dwordx4 v[14:17], off, off offset:3008 ; 16-byte Folded Reload
	scratch_load_dwordx4 v[18:21], off, off offset:3024 ; 16-byte Folded Reload
	scratch_load_dwordx4 v[22:25], off, off offset:3040 ; 16-byte Folded Reload
	scratch_load_dwordx4 v[26:29], off, off offset:3056 ; 16-byte Folded Reload
	scratch_load_dwordx4 v[30:33], off, off offset:3072 ; 16-byte Folded Reload
	s_waitcnt vmcnt(5)
	v_mov_b32_e32 v13, v0
	s_waitcnt vmcnt(4)
	v_mov_b32_e32 v14, v118
	v_mov_b32_e32 v15, v119
	;; [unrolled: 1-line block ×22, first 2 shown]
	scratch_store_dwordx4 off, v[2:5], off offset:3472 ; 16-byte Folded Spill
	s_nop 0
	scratch_store_dwordx4 off, v[6:9], off offset:3488 ; 16-byte Folded Spill
	scratch_store_dwordx4 off, v[10:13], off offset:3504 ; 16-byte Folded Spill
	;; [unrolled: 1-line block ×3, first 2 shown]
	s_waitcnt vmcnt(7)
	scratch_store_dwordx4 off, v[18:21], off offset:3536 ; 16-byte Folded Spill
	s_waitcnt vmcnt(7)
	scratch_store_dwordx4 off, v[22:25], off offset:3552 ; 16-byte Folded Spill
	;; [unrolled: 2-line block ×4, first 2 shown]
	v_mov_b32_e32 v16, v92
	v_mov_b32_e32 v17, v93
	;; [unrolled: 1-line block ×52, first 2 shown]
	scratch_store_dwordx4 off, v[2:5], off offset:3088 ; 16-byte Folded Spill
	s_nop 0
	scratch_store_dwordx4 off, v[6:9], off offset:3104 ; 16-byte Folded Spill
	scratch_store_dwordx4 off, v[10:13], off offset:3120 ; 16-byte Folded Spill
	scratch_store_dwordx4 off, v[14:17], off offset:3136 ; 16-byte Folded Spill
	scratch_store_dwordx4 off, v[18:21], off offset:3152 ; 16-byte Folded Spill
	scratch_store_dwordx4 off, v[22:25], off offset:3168 ; 16-byte Folded Spill
	scratch_store_dwordx4 off, v[26:29], off offset:3184 ; 16-byte Folded Spill
	scratch_store_dwordx4 off, v[30:33], off offset:3200 ; 16-byte Folded Spill
	v_mov_b64_e32 v[18:19], v[34:35]
	v_mov_b64_e32 v[46:47], v[18:19]
	v_mov_b32_e32 v174, v46
	v_mov_b32_e32 v175, v47
	;; [unrolled: 1-line block ×9, first 2 shown]
	v_mov_b64_e32 v[44:45], v[16:17]
	v_mov_b64_e32 v[32:33], v[4:5]
	;; [unrolled: 1-line block ×8, first 2 shown]
	scratch_store_dwordx4 off, v[2:5], off offset:2576 ; 16-byte Folded Spill
	s_nop 0
	scratch_store_dwordx4 off, v[6:9], off offset:2592 ; 16-byte Folded Spill
	scratch_store_dwordx4 off, v[10:13], off offset:2608 ; 16-byte Folded Spill
	;; [unrolled: 1-line block ×7, first 2 shown]
	v_mov_b64_e32 v[20:21], v[52:53]
	v_mov_b64_e32 v[196:197], v[16:17]
	v_mov_b64_e32 v[200:201], v[20:21]
	v_mov_b64_e32 v[194:195], v[14:15]
	v_mov_b64_e32 v[192:193], v[12:13]
	v_mov_b64_e32 v[190:191], v[10:11]
	v_mov_b64_e32 v[188:189], v[8:9]
	v_mov_b64_e32 v[186:187], v[6:7]
	v_mov_b64_e32 v[184:185], v[4:5]
	v_mov_b64_e32 v[182:183], v[2:3]
	v_mov_b64_e32 v[198:199], v[18:19]
	scratch_store_dwordx4 off, v[2:5], off offset:1936 ; 16-byte Folded Spill
	s_nop 0
	scratch_store_dwordx4 off, v[6:9], off offset:1952 ; 16-byte Folded Spill
	scratch_store_dwordx4 off, v[10:13], off offset:1968 ; 16-byte Folded Spill
	;; [unrolled: 1-line block ×7, first 2 shown]
	v_mov_b64_e32 v[22:23], v[48:49]
	v_mov_b32_e32 v176, v200
	v_mov_b32_e32 v177, v201
	v_mov_b32_e32 v242, v200
	v_mov_b32_e32 v243, v201
	v_mov_b64_e32 v[66:67], v[16:17]
	v_mov_b64_e32 v[72:73], v[22:23]
	;; [unrolled: 1-line block ×11, first 2 shown]
	scratch_store_dwordx4 off, v[2:5], off offset:1552 ; 16-byte Folded Spill
	s_nop 0
	scratch_store_dwordx4 off, v[6:9], off offset:1568 ; 16-byte Folded Spill
	scratch_store_dwordx4 off, v[10:13], off offset:1584 ; 16-byte Folded Spill
	;; [unrolled: 1-line block ×7, first 2 shown]
	v_mov_b32_e32 v24, v180
	v_mov_b32_e32 v25, v181
	;; [unrolled: 1-line block ×6, first 2 shown]
	scratch_store_dwordx4 off, v[2:5], off offset:1296 ; 16-byte Folded Spill
	s_nop 0
	scratch_store_dwordx4 off, v[6:9], off offset:1312 ; 16-byte Folded Spill
	scratch_store_dwordx4 off, v[10:13], off offset:1328 ; 16-byte Folded Spill
	;; [unrolled: 1-line block ×7, first 2 shown]
	s_nop 0
	v_mov_b32_e32 v26, v248
	v_mov_b32_e32 v27, v249
	scratch_store_dwordx4 off, v[2:5], off offset:1040 ; 16-byte Folded Spill
	s_nop 0
	scratch_store_dwordx4 off, v[6:9], off offset:1056 ; 16-byte Folded Spill
	scratch_store_dwordx4 off, v[10:13], off offset:1072 ; 16-byte Folded Spill
	;; [unrolled: 1-line block ×7, first 2 shown]
	s_nop 0
	v_mov_b64_e32 v[28:29], v[50:51]
	scratch_store_dwordx4 off, v[52:55], off offset:400 ; 16-byte Folded Spill
	s_nop 0
	scratch_store_dwordx4 off, v[56:59], off offset:416 ; 16-byte Folded Spill
	scratch_store_dwordx4 off, v[60:63], off offset:432 ; 16-byte Folded Spill
	;; [unrolled: 1-line block ×8, first 2 shown]
	s_nop 0
	scratch_store_dwordx4 off, v[6:9], off offset:160 ; 16-byte Folded Spill
	scratch_store_dwordx4 off, v[10:13], off offset:176 ; 16-byte Folded Spill
	;; [unrolled: 1-line block ×7, first 2 shown]
	scratch_load_dwordx2 v[2:3], off, off offset:132 ; 8-byte Folded Reload
	v_mov_b32_e32 v16, v46
	v_mov_b32_e32 v17, v47
	;; [unrolled: 1-line block ×4, first 2 shown]
	s_waitcnt vmcnt(0)
	v_mov_b32_e32 v2, v96
	v_mov_b32_e32 v4, v98
	;; [unrolled: 1-line block ×23, first 2 shown]
	v_mov_b64_e32 v[148:149], v[44:45]
	v_mov_b64_e32 v[146:147], v[42:43]
	;; [unrolled: 1-line block ×8, first 2 shown]
	scratch_load_dwordx4 v[20:23], off, off offset:400 ; 16-byte Folded Reload
	scratch_load_dwordx4 v[24:27], off, off offset:416 ; 16-byte Folded Reload
	;; [unrolled: 1-line block ×8, first 2 shown]
	v_fma_f32 v152, -v0, v1, v3
	v_mov_b32_e32 v0, v94
	v_mov_b32_e32 v1, v95
	;; [unrolled: 1-line block ×3, first 2 shown]
	v_mov_b64_e32 v[150:151], v[18:19]
	v_mov_b32_e32 v18, v200
	v_mov_b32_e32 v19, v201
	;; [unrolled: 1-line block ×4, first 2 shown]
	s_waitcnt vmcnt(2)
	v_mov_b64_e32 v[42:43], v[40:41]
	v_mov_b64_e32 v[40:41], v[38:39]
	;; [unrolled: 1-line block ×13, first 2 shown]
	v_mov_b32_e32 v20, v42
	v_mov_b32_e32 v21, v43
	v_mov_b64_e32 v[214:215], v[34:35]
	v_mov_b64_e32 v[212:213], v[32:33]
	;; [unrolled: 1-line block ×9, first 2 shown]
	scratch_load_dwordx4 v[26:29], off, off offset:144 ; 16-byte Folded Reload
	scratch_load_dwordx4 v[30:33], off, off offset:160 ; 16-byte Folded Reload
	scratch_load_dwordx4 v[34:37], off, off offset:176 ; 16-byte Folded Reload
	scratch_load_dwordx4 v[38:41], off, off offset:192 ; 16-byte Folded Reload
	scratch_load_dwordx4 v[42:45], off, off offset:208 ; 16-byte Folded Reload
	scratch_load_dwordx4 v[46:49], off, off offset:224 ; 16-byte Folded Reload
	scratch_load_dwordx4 v[50:53], off, off offset:240 ; 16-byte Folded Reload
	scratch_load_dwordx4 v[54:57], off, off offset:256 ; 16-byte Folded Reload
	v_mov_b32_e32 v22, v180
	v_mov_b32_e32 v23, v181
	;; [unrolled: 1-line block ×4, first 2 shown]
	s_waitcnt vmcnt(0)
	v_mov_b32_e32 v56, v102
	v_mov_b32_e32 v57, v103
	v_mov_b64_e32 v[54:55], v[52:53]
	v_mov_b64_e32 v[52:53], v[50:51]
	;; [unrolled: 1-line block ×14, first 2 shown]
	v_mov_b32_e32 v26, v54
	v_mov_b32_e32 v27, v55
	scratch_store_dwordx4 off, v[0:3], off offset:912 ; 16-byte Folded Spill
	s_nop 0
	scratch_store_dwordx4 off, v[4:7], off offset:928 ; 16-byte Folded Spill
	scratch_store_dwordx4 off, v[8:11], off offset:944 ; 16-byte Folded Spill
	;; [unrolled: 1-line block ×7, first 2 shown]
	v_mov_b64_e32 v[16:17], v[218:219]
	scratch_store_dwordx4 off, v[134:137], off offset:1168 ; 16-byte Folded Spill
	s_nop 0
	scratch_store_dwordx4 off, v[138:141], off offset:1184 ; 16-byte Folded Spill
	scratch_store_dwordx4 off, v[142:145], off offset:1200 ; 16-byte Folded Spill
	;; [unrolled: 1-line block ×7, first 2 shown]
	v_mov_b64_e32 v[18:19], v[220:221]
	v_mov_b64_e32 v[20:21], v[222:223]
	v_mov_b32_e32 v68, v20
	v_mov_b32_e32 v69, v21
	scratch_load_dwordx4 v[0:3], off, off offset:144 ; 16-byte Folded Reload
	scratch_load_dwordx4 v[4:7], off, off offset:160 ; 16-byte Folded Reload
	;; [unrolled: 1-line block ×8, first 2 shown]
	v_mov_b32_e32 v140, v200
	v_mov_b32_e32 v141, v201
	;; [unrolled: 1-line block ×21, first 2 shown]
	s_waitcnt vmcnt(1)
	v_mov_b32_e32 v74, v26
	v_mov_b32_e32 v75, v27
	scratch_load_dwordx4 v[0:3], off, off offset:1168 ; 16-byte Folded Reload
	scratch_load_dwordx4 v[4:7], off, off offset:1184 ; 16-byte Folded Reload
	;; [unrolled: 1-line block ×8, first 2 shown]
	s_nop 0
	scratch_store_dwordx4 off, v[182:185], off offset:528 ; 16-byte Folded Spill
	s_nop 0
	scratch_store_dwordx4 off, v[186:189], off offset:544 ; 16-byte Folded Spill
	scratch_store_dwordx4 off, v[190:193], off offset:560 ; 16-byte Folded Spill
	;; [unrolled: 1-line block ×7, first 2 shown]
	scratch_load_dwordx4 v[182:185], off, off offset:144 ; 16-byte Folded Reload
	s_nop 0
	scratch_load_dwordx4 v[186:189], off, off offset:160 ; 16-byte Folded Reload
	scratch_load_dwordx4 v[190:193], off, off offset:176 ; 16-byte Folded Reload
	;; [unrolled: 1-line block ×7, first 2 shown]
	s_nop 0
	scratch_store_dwordx4 off, v[94:97], s4 ; 16-byte Folded Spill
	s_nop 0
	scratch_store_dwordx4 off, v[98:101], s4 offset:16 ; 16-byte Folded Spill
	scratch_store_dwordx4 off, v[102:105], s4 offset:32 ; 16-byte Folded Spill
	;; [unrolled: 1-line block ×7, first 2 shown]
	s_waitcnt vmcnt(24)
	v_mov_b32_e32 v28, v77
	v_mov_b32_e32 v29, v152
	v_mov_b64_e32 v[120:121], v[122:123]
	v_mov_b64_e32 v[46:47], v[16:17]
	;; [unrolled: 1-line block ×4, first 2 shown]
	v_mov_b32_e32 v138, v46
	v_mov_b32_e32 v139, v47
	;; [unrolled: 1-line block ×4, first 2 shown]
	s_waitcnt vmcnt(9)
	v_mov_b32_e32 v148, v208
	v_mov_b32_e32 v149, v209
	v_mov_b64_e32 v[122:123], v[124:125]
	v_mov_b64_e32 v[124:125], v[126:127]
	;; [unrolled: 1-line block ×13, first 2 shown]
	v_mov_b32_e32 v148, v150
	v_mov_b32_e32 v149, v151
	;; [unrolled: 1-line block ×3, first 2 shown]
	scratch_store_dwordx4 off, v[120:123], off offset:4 ; 16-byte Folded Spill
	s_nop 0
	scratch_store_dwordx4 off, v[124:127], off offset:20 ; 16-byte Folded Spill
	scratch_store_dwordx4 off, v[128:131], off offset:36 ; 16-byte Folded Spill
	;; [unrolled: 1-line block ×7, first 2 shown]
	scratch_store_dwordx2 off, v[28:29], off offset:132 ; 8-byte Folded Spill
	v_mov_b32_e32 v144, v118
	scratch_store_dwordx4 off, v[106:109], off offset:2448 ; 16-byte Folded Spill
	s_nop 0
	scratch_store_dwordx4 off, v[110:113], off offset:2464 ; 16-byte Folded Spill
	scratch_store_dwordx4 off, v[114:117], off offset:2480 ; 16-byte Folded Spill
	;; [unrolled: 1-line block ×7, first 2 shown]
	v_mov_b32_e32 v114, v92
	scratch_store_dwordx4 off, v[78:81], off offset:1680 ; 16-byte Folded Spill
	s_nop 0
	scratch_store_dwordx4 off, v[82:85], off offset:1696 ; 16-byte Folded Spill
	scratch_store_dwordx4 off, v[86:89], off offset:1712 ; 16-byte Folded Spill
	;; [unrolled: 1-line block ×7, first 2 shown]
	v_mov_b32_e32 v146, v46
	v_mov_b32_e32 v147, v47
	;; [unrolled: 1-line block ×3, first 2 shown]
	v_mov_b64_e32 v[18:19], v[220:221]
	v_mov_b32_e32 v145, v93
	scratch_load_dwordx4 v[78:81], off, off offset:528 ; 16-byte Folded Reload
	scratch_load_dwordx4 v[82:85], off, off offset:544 ; 16-byte Folded Reload
	;; [unrolled: 1-line block ×8, first 2 shown]
	s_waitcnt vmcnt(3)
	v_mov_b64_e32 v[44:45], v[94:95]
	v_mov_b64_e32 v[46:47], v[96:97]
	scratch_load_dwordx4 v[78:81], off, off offset:400 ; 16-byte Folded Reload
	scratch_load_dwordx4 v[82:85], off, off offset:416 ; 16-byte Folded Reload
	;; [unrolled: 1-line block ×8, first 2 shown]
	v_mov_b32_e32 v120, v46
	v_mov_b32_e32 v29, v47
	v_mov_b64_e32 v[36:37], v[48:49]
	v_mov_b64_e32 v[38:39], v[50:51]
	;; [unrolled: 1-line block ×14, first 2 shown]
	v_mov_b32_e32 v64, v76
	v_mov_b32_e32 v32, v120
	s_waitcnt vmcnt(2)
	v_mov_b64_e32 v[142:143], v[98:99]
	v_mov_b32_e32 v182, v142
	v_mov_b64_e32 v[140:141], v[96:97]
	v_mov_b64_e32 v[138:139], v[94:95]
	scratch_store_dwordx4 off, v[158:161], off offset:656 ; 16-byte Folded Spill
	s_nop 0
	scratch_store_dwordx4 off, v[162:165], off offset:672 ; 16-byte Folded Spill
	scratch_store_dwordx4 off, v[166:169], off offset:688 ; 16-byte Folded Spill
	;; [unrolled: 1-line block ×7, first 2 shown]
	s_waitcnt vmcnt(9)
	v_mov_b64_e32 v[94:95], v[198:199]
	v_mov_b32_e32 v184, v248
	scratch_store_dwordx4 off, v[224:227], off offset:272 ; 16-byte Folded Spill
	s_nop 0
	scratch_store_dwordx4 off, v[228:231], off offset:288 ; 16-byte Folded Spill
	scratch_store_dwordx4 off, v[232:235], off offset:304 ; 16-byte Folded Spill
	;; [unrolled: 1-line block ×7, first 2 shown]
	v_mov_b64_e32 v[104:105], v[208:209]
	scratch_store_dwordx4 off, v[36:39], off offset:784 ; 16-byte Folded Spill
	s_nop 0
	scratch_store_dwordx4 off, v[40:43], off offset:800 ; 16-byte Folded Spill
	scratch_store_dwordx4 off, v[44:47], off offset:816 ; 16-byte Folded Spill
	;; [unrolled: 1-line block ×7, first 2 shown]
	v_mov_b32_e32 v138, v104
	v_mov_b32_e32 v185, v105
	;; [unrolled: 1-line block ×4, first 2 shown]
	v_mov_b64_e32 v[96:97], v[200:201]
	v_mov_b64_e32 v[98:99], v[202:203]
	;; [unrolled: 1-line block ×4, first 2 shown]
.LBB61_63:
	s_or_b64 exec, exec, s[2:3]
	v_cmp_eq_u32_e32 vcc, 12, v254
	s_waitcnt lgkmcnt(0)
	s_barrier
	s_and_saveexec_b64 s[2:3], vcc
	s_cbranch_execz .LBB61_66
; %bb.64:
	ds_write_b32 v255, v144
	scratch_load_dwordx4 v[38:41], off, off offset:4 ; 16-byte Folded Reload
	scratch_load_dwordx4 v[42:45], off, off offset:20 ; 16-byte Folded Reload
	;; [unrolled: 1-line block ×8, first 2 shown]
	scratch_load_dword v28, off, off offset:140 ; 4-byte Folded Reload
	s_waitcnt vmcnt(0)
	ds_write2_b32 v28, v51, v52 offset0:13 offset1:14
	ds_write2_b32 v28, v53, v54 offset0:15 offset1:16
	;; [unrolled: 1-line block ×9, first 2 shown]
	ds_read_b32 v28, v255
	s_waitcnt lgkmcnt(0)
	v_cmp_neq_f32_e32 vcc, 0, v28
	s_and_b64 exec, exec, vcc
	s_cbranch_execz .LBB61_66
; %bb.65:
	v_div_scale_f32 v29, s[4:5], v28, v28, 1.0
	v_rcp_f32_e32 v30, v29
	v_div_scale_f32 v31, vcc, 1.0, v28, 1.0
	v_fma_f32 v56, -v29, v30, 1.0
	v_fmac_f32_e32 v30, v56, v30
	v_mul_f32_e32 v56, v31, v30
	v_fma_f32 v57, -v29, v56, v31
	v_fmac_f32_e32 v56, v57, v30
	v_fma_f32 v29, -v29, v56, v31
	v_div_fmas_f32 v29, v29, v30, v56
	v_div_fixup_f32 v28, v29, v28, 1.0
	ds_write_b32 v255, v28
.LBB61_66:
	s_or_b64 exec, exec, s[2:3]
	s_waitcnt lgkmcnt(0)
	s_barrier
	ds_read_b32 v150, v255
	v_cmp_lt_u32_e32 vcc, 12, v254
	s_and_saveexec_b64 s[2:3], vcc
	s_cbranch_execz .LBB61_68
; %bb.67:
	s_movk_i32 s4, 0x1010
	scratch_load_dwordx4 v[106:109], off, s4 ; 16-byte Folded Reload
	scratch_load_dwordx4 v[110:113], off, s4 offset:16 ; 16-byte Folded Reload
	scratch_load_dwordx4 v[114:117], off, s4 offset:32 ; 16-byte Folded Reload
	;; [unrolled: 1-line block ×7, first 2 shown]
	scratch_load_dword v34, off, off offset:140 ; 4-byte Folded Reload
	s_waitcnt vmcnt(5) lgkmcnt(0)
	v_mul_f32_e32 v118, v144, v150
	v_mov_b32_e32 v236, v118
	v_mov_b32_e32 v172, v118
	;; [unrolled: 1-line block ×10, first 2 shown]
	s_waitcnt vmcnt(0)
	ds_read2_b32 v[0:1], v34 offset0:13 offset1:14
	scratch_load_dwordx4 v[2:5], off, off offset:4 ; 16-byte Folded Reload
	scratch_load_dwordx4 v[6:9], off, off offset:20 ; 16-byte Folded Reload
	;; [unrolled: 1-line block ×8, first 2 shown]
	s_waitcnt vmcnt(7)
	ds_read2_b32 v[4:5], v34 offset0:15 offset1:16
	s_waitcnt vmcnt(6)
	ds_read2_b32 v[6:7], v34 offset0:17 offset1:18
	ds_read2_b32 v[8:9], v34 offset0:19 offset1:20
	s_waitcnt vmcnt(5)
	v_mov_b32_e32 v10, v116
	v_mov_b32_e32 v11, v117
	;; [unrolled: 1-line block ×21, first 2 shown]
	s_waitcnt vmcnt(0)
	v_mov_b32_e32 v220, v30
	v_mov_b32_e32 v206, v16
	;; [unrolled: 1-line block ×19, first 2 shown]
	s_waitcnt lgkmcnt(3)
	v_pk_fma_f32 v[28:29], v[118:119], v[0:1], v[2:3] op_sel_hi:[0,1,1] neg_lo:[1,0,0] neg_hi:[1,0,0]
	v_mov_b32_e32 v0, v207
	v_mov_b32_e32 v1, v208
	;; [unrolled: 1-line block ×3, first 2 shown]
	s_waitcnt lgkmcnt(2)
	v_pk_fma_f32 v[30:31], v[118:119], v[4:5], v[0:1] op_sel_hi:[0,1,1] neg_lo:[1,0,0] neg_hi:[1,0,0]
	v_mov_b32_e32 v0, v209
	v_mov_b32_e32 v1, v210
	s_waitcnt lgkmcnt(1)
	v_pk_fma_f32 v[56:57], v[118:119], v[6:7], v[0:1] op_sel_hi:[0,1,1] neg_lo:[1,0,0] neg_hi:[1,0,0]
	v_mov_b32_e32 v0, v211
	v_mov_b32_e32 v1, v212
	s_waitcnt lgkmcnt(0)
	v_pk_fma_f32 v[58:59], v[118:119], v[8:9], v[0:1] op_sel_hi:[0,1,1] neg_lo:[1,0,0] neg_hi:[1,0,0]
	ds_read2_b32 v[0:1], v34 offset0:21 offset1:22
	v_mov_b32_e32 v2, v213
	v_mov_b32_e32 v3, v214
	ds_read2_b32 v[4:5], v34 offset0:23 offset1:24
	ds_read2_b32 v[6:7], v34 offset0:25 offset1:26
	;; [unrolled: 1-line block ×3, first 2 shown]
	v_mov_b32_e32 v13, v28
	s_waitcnt lgkmcnt(3)
	v_pk_fma_f32 v[60:61], v[118:119], v[0:1], v[2:3] op_sel_hi:[0,1,1] neg_lo:[1,0,0] neg_hi:[1,0,0]
	ds_read2_b32 v[2:3], v34 offset0:29 offset1:30
	v_mov_b32_e32 v0, v215
	v_mov_b32_e32 v1, v216
	s_waitcnt lgkmcnt(3)
	v_pk_fma_f32 v[62:63], v[118:119], v[4:5], v[0:1] op_sel_hi:[0,1,1] neg_lo:[1,0,0] neg_hi:[1,0,0]
	v_mov_b32_e32 v0, v217
	v_mov_b32_e32 v1, v218
	s_waitcnt lgkmcnt(2)
	v_pk_fma_f32 v[92:93], v[118:119], v[6:7], v[0:1] op_sel_hi:[0,1,1] neg_lo:[1,0,0] neg_hi:[1,0,0]
	;; [unrolled: 4-line block ×4, first 2 shown]
	v_mov_b32_e32 v0, v106
	v_mov_b32_e32 v1, v107
	;; [unrolled: 1-line block ×12, first 2 shown]
	scratch_store_dwordx4 off, v[0:3], off offset:1680 ; 16-byte Folded Spill
	s_nop 0
	scratch_store_dwordx4 off, v[4:7], off offset:1696 ; 16-byte Folded Spill
	scratch_store_dwordx4 off, v[8:11], off offset:1712 ; 16-byte Folded Spill
	;; [unrolled: 1-line block ×7, first 2 shown]
	v_mov_b32_e32 v241, v56
	v_mov_b32_e32 v242, v57
	v_mov_b32_e32 v243, v58
	v_mov_b32_e32 v244, v59
	v_mov_b32_e32 v245, v60
	v_mov_b32_e32 v246, v61
	v_mov_b32_e32 v247, v62
	v_mov_b32_e32 v248, v63
	v_mov_b32_e32 v177, v56
	v_mov_b32_e32 v178, v57
	v_mov_b32_e32 v179, v58
	v_mov_b32_e32 v180, v59
	v_mov_b32_e32 v181, v60
	v_mov_b32_e32 v182, v61
	v_mov_b32_e32 v183, v62
	v_mov_b32_e32 v184, v63
	v_mov_b32_e32 v185, v92
	v_mov_b32_e32 v186, v93
	v_mov_b32_e32 v187, v94
	v_mov_b32_e32 v188, v95
	v_mov_b32_e32 v147, v56
	v_mov_b32_e32 v32, v57
	v_mov_b32_e32 v37, v58
	v_mov_b32_e32 v143, v60
	v_mov_b32_e32 v34, v61
	v_mov_b32_e32 v138, v93
	v_mov_b32_e32 v15, v30
	scratch_store_dwordx4 off, v[0:3], off offset:3088 ; 16-byte Folded Spill
	s_nop 0
	scratch_store_dwordx4 off, v[4:7], off offset:3104 ; 16-byte Folded Spill
	scratch_store_dwordx4 off, v[8:11], off offset:3120 ; 16-byte Folded Spill
	scratch_store_dwordx4 off, v[12:15], off offset:3136 ; 16-byte Folded Spill
	scratch_store_dwordx4 off, v[16:19], off offset:3152 ; 16-byte Folded Spill
	scratch_store_dwordx4 off, v[20:23], off offset:3168 ; 16-byte Folded Spill
	scratch_store_dwordx4 off, v[24:27], off offset:3184 ; 16-byte Folded Spill
	scratch_store_dwordx4 off, v[28:31], off offset:3200 ; 16-byte Folded Spill
	v_mov_b32_e32 v16, v31
	scratch_store_dwordx4 off, v[0:3], off offset:1168 ; 16-byte Folded Spill
	s_nop 0
	scratch_store_dwordx4 off, v[4:7], off offset:1184 ; 16-byte Folded Spill
	scratch_store_dwordx4 off, v[8:11], off offset:1200 ; 16-byte Folded Spill
	scratch_store_dwordx4 off, v[12:15], off offset:1216 ; 16-byte Folded Spill
	scratch_store_dwordx4 off, v[16:19], off offset:1232 ; 16-byte Folded Spill
	scratch_store_dwordx4 off, v[20:23], off offset:1248 ; 16-byte Folded Spill
	scratch_store_dwordx4 off, v[24:27], off offset:1264 ; 16-byte Folded Spill
	scratch_store_dwordx4 off, v[28:31], off offset:1280 ; 16-byte Folded Spill
	v_mov_b32_e32 v17, v56
	;; [unrolled: 10-line block ×8, first 2 shown]
	scratch_store_dwordx4 off, v[0:3], off offset:1296 ; 16-byte Folded Spill
	s_nop 0
	scratch_store_dwordx4 off, v[4:7], off offset:1312 ; 16-byte Folded Spill
	scratch_store_dwordx4 off, v[8:11], off offset:1328 ; 16-byte Folded Spill
	;; [unrolled: 1-line block ×7, first 2 shown]
	s_nop 0
	v_mov_b32_e32 v24, v63
	v_mov_b32_e32 v25, v92
	;; [unrolled: 1-line block ×6, first 2 shown]
	scratch_store_dwordx4 off, v[224:227], off offset:272 ; 16-byte Folded Spill
	s_nop 0
	scratch_store_dwordx4 off, v[228:231], off offset:288 ; 16-byte Folded Spill
	scratch_store_dwordx4 off, v[232:235], off offset:304 ; 16-byte Folded Spill
	;; [unrolled: 1-line block ×8, first 2 shown]
	s_nop 0
	scratch_store_dwordx4 off, v[4:7], off offset:1056 ; 16-byte Folded Spill
	scratch_store_dwordx4 off, v[8:11], off offset:1072 ; 16-byte Folded Spill
	;; [unrolled: 1-line block ×7, first 2 shown]
	v_mov_b32_e32 v249, v92
	v_mov_b32_e32 v26, v93
	;; [unrolled: 1-line block ×3, first 2 shown]
	scratch_store_dwordx4 off, v[0:3], off offset:144 ; 16-byte Folded Spill
	s_nop 0
	scratch_store_dwordx4 off, v[4:7], off offset:160 ; 16-byte Folded Spill
	scratch_store_dwordx4 off, v[8:11], off offset:176 ; 16-byte Folded Spill
	;; [unrolled: 1-line block ×7, first 2 shown]
	s_nop 0
	v_mov_b32_e32 v27, v94
	scratch_store_dwordx4 off, v[0:3], off offset:912 ; 16-byte Folded Spill
	s_nop 0
	scratch_store_dwordx4 off, v[4:7], off offset:928 ; 16-byte Folded Spill
	scratch_store_dwordx4 off, v[8:11], off offset:944 ; 16-byte Folded Spill
	;; [unrolled: 1-line block ×7, first 2 shown]
	v_mov_b32_e32 v173, v28
	v_mov_b32_e32 v174, v29
	;; [unrolled: 1-line block ×4, first 2 shown]
	scratch_store_dwordx4 off, v[160:163], off offset:784 ; 16-byte Folded Spill
	s_nop 0
	scratch_store_dwordx4 off, v[164:167], off offset:800 ; 16-byte Folded Spill
	scratch_store_dwordx4 off, v[168:171], off offset:816 ; 16-byte Folded Spill
	;; [unrolled: 1-line block ×7, first 2 shown]
	v_mov_b32_e32 v160, v108
	v_mov_b32_e32 v161, v109
	;; [unrolled: 1-line block ×29, first 2 shown]
	scratch_store_dwordx2 off, v[122:123], off offset:132 ; 8-byte Folded Spill
	scratch_store_dwordx4 off, v[158:161], off offset:4 ; 16-byte Folded Spill
	s_nop 0
	scratch_store_dwordx4 off, v[162:165], off offset:20 ; 16-byte Folded Spill
	scratch_store_dwordx4 off, v[166:169], off offset:36 ; 16-byte Folded Spill
	scratch_store_dwordx4 off, v[170:173], off offset:52 ; 16-byte Folded Spill
	scratch_store_dwordx4 off, v[174:177], off offset:68 ; 16-byte Folded Spill
	scratch_store_dwordx4 off, v[178:181], off offset:84 ; 16-byte Folded Spill
	scratch_store_dwordx4 off, v[182:185], off offset:100 ; 16-byte Folded Spill
	scratch_store_dwordx4 off, v[186:189], off offset:116 ; 16-byte Folded Spill
	scratch_store_dwordx4 off, v[106:109], off offset:3472 ; 16-byte Folded Spill
	s_nop 0
	scratch_store_dwordx4 off, v[110:113], off offset:3488 ; 16-byte Folded Spill
	scratch_store_dwordx4 off, v[114:117], off offset:3504 ; 16-byte Folded Spill
	scratch_store_dwordx4 off, v[118:121], off offset:3520 ; 16-byte Folded Spill
	scratch_store_dwordx4 off, v[122:125], off offset:3536 ; 16-byte Folded Spill
	scratch_store_dwordx4 off, v[126:129], off offset:3552 ; 16-byte Folded Spill
	scratch_store_dwordx4 off, v[130:133], off offset:3568 ; 16-byte Folded Spill
	scratch_store_dwordx4 off, v[134:137], off offset:3584 ; 16-byte Folded Spill
	scratch_store_dwordx4 off, v[106:109], off offset:2448 ; 16-byte Folded Spill
	s_nop 0
	scratch_store_dwordx4 off, v[110:113], off offset:2464 ; 16-byte Folded Spill
	scratch_store_dwordx4 off, v[114:117], off offset:2480 ; 16-byte Folded Spill
	scratch_store_dwordx4 off, v[118:121], off offset:2496 ; 16-byte Folded Spill
	scratch_store_dwordx4 off, v[122:125], off offset:2512 ; 16-byte Folded Spill
	scratch_store_dwordx4 off, v[126:129], off offset:2528 ; 16-byte Folded Spill
	scratch_store_dwordx4 off, v[130:133], off offset:2544 ; 16-byte Folded Spill
	scratch_store_dwordx4 off, v[134:137], off offset:2560 ; 16-byte Folded Spill
	v_mov_b32_e32 v187, v28
	v_mov_b32_e32 v114, v29
	;; [unrolled: 1-line block ×6, first 2 shown]
.LBB61_68:
	s_or_b64 exec, exec, s[2:3]
	v_cmp_eq_u32_e32 vcc, 13, v254
	s_waitcnt lgkmcnt(0)
	s_barrier
	s_and_saveexec_b64 s[2:3], vcc
	s_cbranch_execz .LBB61_71
; %bb.69:
	ds_write_b32 v255, v187
	scratch_load_dwordx4 v[38:41], off, off offset:4 ; 16-byte Folded Reload
	scratch_load_dwordx4 v[42:45], off, off offset:20 ; 16-byte Folded Reload
	;; [unrolled: 1-line block ×8, first 2 shown]
	scratch_load_dword v30, off, off offset:140 ; 4-byte Folded Reload
	s_waitcnt vmcnt(0)
	ds_write2_b32 v30, v52, v53 offset0:14 offset1:15
	ds_write2_b32 v30, v54, v55 offset0:16 offset1:17
	;; [unrolled: 1-line block ×8, first 2 shown]
	scratch_load_dwordx2 v[28:29], off, off offset:132 ; 8-byte Folded Reload
	s_waitcnt vmcnt(0)
	ds_write_b32 v30, v29 offset:120
	ds_read_b32 v28, v255
	s_waitcnt lgkmcnt(0)
	v_cmp_neq_f32_e32 vcc, 0, v28
	s_and_b64 exec, exec, vcc
	s_cbranch_execz .LBB61_71
; %bb.70:
	v_div_scale_f32 v29, s[4:5], v28, v28, 1.0
	v_rcp_f32_e32 v30, v29
	v_div_scale_f32 v31, vcc, 1.0, v28, 1.0
	v_fma_f32 v56, -v29, v30, 1.0
	v_fmac_f32_e32 v30, v56, v30
	v_mul_f32_e32 v56, v31, v30
	v_fma_f32 v57, -v29, v56, v31
	v_fmac_f32_e32 v56, v57, v30
	v_fma_f32 v29, -v29, v56, v31
	v_div_fmas_f32 v29, v29, v30, v56
	v_div_fixup_f32 v28, v29, v28, 1.0
	ds_write_b32 v255, v28
.LBB61_71:
	s_or_b64 exec, exec, s[2:3]
	s_waitcnt lgkmcnt(0)
	s_barrier
	ds_read_b32 v151, v255
	v_cmp_lt_u32_e32 vcc, 13, v254
	s_and_saveexec_b64 s[2:3], vcc
	s_cbranch_execz .LBB61_73
; %bb.72:
	scratch_load_dword v1, off, off offset:140 ; 4-byte Folded Reload
	s_waitcnt lgkmcnt(0)
	v_mul_f32_e32 v0, v187, v151
	v_mov_b32_e32 v95, v0
	v_mov_b32_e32 v167, v0
	;; [unrolled: 1-line block ×5, first 2 shown]
	s_waitcnt vmcnt(0)
	ds_read2_b32 v[2:3], v1 offset0:14 offset1:15
	ds_read2_b32 v[4:5], v1 offset0:16 offset1:17
	;; [unrolled: 1-line block ×4, first 2 shown]
	scratch_load_dwordx4 v[10:13], off, off offset:4 ; 16-byte Folded Reload
	scratch_load_dwordx4 v[14:17], off, off offset:20 ; 16-byte Folded Reload
	scratch_load_dwordx4 v[18:21], off, off offset:36 ; 16-byte Folded Reload
	scratch_load_dwordx4 v[22:25], off, off offset:52 ; 16-byte Folded Reload
	scratch_load_dwordx4 v[26:29], off, off offset:68 ; 16-byte Folded Reload
	scratch_load_dwordx4 v[30:33], off, off offset:84 ; 16-byte Folded Reload
	scratch_load_dwordx4 v[34:37], off, off offset:100 ; 16-byte Folded Reload
	scratch_load_dwordx4 v[38:41], off, off offset:116 ; 16-byte Folded Reload
	s_waitcnt vmcnt(6)
	v_mov_b32_e32 v15, v0
	s_waitcnt vmcnt(0)
	v_mov_b64_e32 v[220:221], v[38:39]
	v_mov_b64_e32 v[210:211], v[28:29]
	;; [unrolled: 1-line block ×4, first 2 shown]
	s_waitcnt lgkmcnt(3)
	v_pk_fma_f32 v[96:97], v[0:1], v[2:3], v[206:207] op_sel_hi:[0,1,1] neg_lo:[1,0,0] neg_hi:[1,0,0]
	s_waitcnt lgkmcnt(2)
	v_pk_fma_f32 v[18:19], v[0:1], v[4:5], v[208:209] op_sel_hi:[0,1,1] neg_lo:[1,0,0] neg_hi:[1,0,0]
	;; [unrolled: 2-line block ×3, first 2 shown]
	ds_read2_b32 v[2:3], v1 offset0:22 offset1:23
	ds_read2_b32 v[4:5], v1 offset0:24 offset1:25
	;; [unrolled: 1-line block ×4, first 2 shown]
	scratch_load_dwordx4 v[98:101], off, off offset:2448 ; 16-byte Folded Reload
	scratch_load_dwordx4 v[102:105], off, off offset:2464 ; 16-byte Folded Reload
	;; [unrolled: 1-line block ×8, first 2 shown]
	v_mov_b64_e32 v[218:219], v[36:37]
	v_mov_b64_e32 v[216:217], v[34:35]
	;; [unrolled: 1-line block ×4, first 2 shown]
	s_waitcnt lgkmcnt(4)
	v_pk_fma_f32 v[174:175], v[0:1], v[8:9], v[212:213] op_sel_hi:[0,1,1] neg_lo:[1,0,0] neg_hi:[1,0,0]
	s_waitcnt lgkmcnt(3)
	v_pk_fma_f32 v[246:247], v[0:1], v[2:3], v[214:215] op_sel_hi:[0,1,1] neg_lo:[1,0,0] neg_hi:[1,0,0]
	;; [unrolled: 2-line block ×5, first 2 shown]
	v_mov_b32_e32 v16, v96
	v_mov_b32_e32 v17, v97
	s_waitcnt vmcnt(4)
	v_mov_b32_e32 v111, v0
	v_mov_b32_e32 v144, v246
	;; [unrolled: 1-line block ×28, first 2 shown]
	scratch_store_dwordx4 off, v[2:5], off offset:3088 ; 16-byte Folded Spill
	s_nop 0
	scratch_store_dwordx4 off, v[6:9], off offset:3104 ; 16-byte Folded Spill
	scratch_store_dwordx4 off, v[10:13], off offset:3120 ; 16-byte Folded Spill
	;; [unrolled: 1-line block ×7, first 2 shown]
	v_mov_b32_e32 v82, v98
	v_mov_b32_e32 v83, v99
	v_mov_b32_e32 v84, v100
	v_mov_b32_e32 v85, v101
	v_mov_b32_e32 v86, v102
	v_mov_b32_e32 v87, v103
	v_mov_b32_e32 v88, v104
	v_mov_b32_e32 v89, v105
	v_mov_b32_e32 v90, v106
	v_mov_b32_e32 v91, v107
	v_mov_b32_e32 v92, v108
	v_mov_b32_e32 v93, v109
	v_mov_b32_e32 v94, v110
	v_mov_b32_e32 v154, v98
	v_mov_b32_e32 v155, v99
	v_mov_b32_e32 v156, v100
	v_mov_b32_e32 v157, v101
	v_mov_b32_e32 v158, v102
	v_mov_b32_e32 v159, v103
	v_mov_b32_e32 v160, v104
	v_mov_b32_e32 v161, v105
	v_mov_b32_e32 v162, v106
	v_mov_b32_e32 v163, v107
	v_mov_b32_e32 v164, v108
	v_mov_b32_e32 v165, v109
	v_mov_b32_e32 v166, v110
	v_mov_b32_e32 v224, v98
	v_mov_b32_e32 v225, v99
	v_mov_b32_e32 v226, v100
	v_mov_b32_e32 v227, v101
	v_mov_b32_e32 v228, v102
	v_mov_b32_e32 v229, v103
	v_mov_b32_e32 v230, v104
	v_mov_b32_e32 v231, v105
	v_mov_b32_e32 v232, v106
	v_mov_b32_e32 v233, v107
	v_mov_b32_e32 v234, v108
	v_mov_b32_e32 v235, v109
	v_mov_b32_e32 v236, v110
	v_mov_b32_e32 v204, v110
	v_mov_b64_e32 v[44:45], v[16:17]
	v_mov_b64_e32 v[32:33], v[4:5]
	;; [unrolled: 1-line block ×9, first 2 shown]
	scratch_store_dwordx4 off, v[2:5], off offset:2576 ; 16-byte Folded Spill
	s_nop 0
	scratch_store_dwordx4 off, v[6:9], off offset:2592 ; 16-byte Folded Spill
	scratch_store_dwordx4 off, v[10:13], off offset:2608 ; 16-byte Folded Spill
	;; [unrolled: 1-line block ×7, first 2 shown]
	v_mov_b32_e32 v170, v46
	v_mov_b32_e32 v171, v47
	;; [unrolled: 1-line block ×4, first 2 shown]
	v_mov_b64_e32 v[70:71], v[16:17]
	v_mov_b64_e32 v[74:75], v[20:21]
	;; [unrolled: 1-line block ×10, first 2 shown]
	scratch_store_dwordx4 off, v[2:5], off offset:1936 ; 16-byte Folded Spill
	s_nop 0
	scratch_store_dwordx4 off, v[6:9], off offset:1952 ; 16-byte Folded Spill
	scratch_store_dwordx4 off, v[10:13], off offset:1968 ; 16-byte Folded Spill
	;; [unrolled: 1-line block ×7, first 2 shown]
	v_mov_b32_e32 v22, v174
	v_mov_b32_e32 v23, v175
	;; [unrolled: 1-line block ×6, first 2 shown]
	scratch_store_dwordx4 off, v[2:5], off offset:1552 ; 16-byte Folded Spill
	s_nop 0
	scratch_store_dwordx4 off, v[6:9], off offset:1568 ; 16-byte Folded Spill
	scratch_store_dwordx4 off, v[10:13], off offset:1584 ; 16-byte Folded Spill
	;; [unrolled: 1-line block ×7, first 2 shown]
	v_mov_b32_e32 v24, v246
	v_mov_b32_e32 v25, v247
	scratch_store_dwordx4 off, v[2:5], off offset:1296 ; 16-byte Folded Spill
	s_nop 0
	scratch_store_dwordx4 off, v[6:9], off offset:1312 ; 16-byte Folded Spill
	scratch_store_dwordx4 off, v[10:13], off offset:1328 ; 16-byte Folded Spill
	;; [unrolled: 1-line block ×7, first 2 shown]
	s_waitcnt vmcnt(40)
	v_mov_b64_e32 v[126:127], v[16:17]
	v_mov_b64_e32 v[136:137], v[26:27]
	;; [unrolled: 1-line block ×13, first 2 shown]
	scratch_store_dwordx4 off, v[2:5], off offset:1040 ; 16-byte Folded Spill
	s_nop 0
	scratch_store_dwordx4 off, v[6:9], off offset:1056 ; 16-byte Folded Spill
	scratch_store_dwordx4 off, v[10:13], off offset:1072 ; 16-byte Folded Spill
	;; [unrolled: 1-line block ×8, first 2 shown]
	s_nop 0
	scratch_store_dwordx4 off, v[116:119], off offset:288 ; 16-byte Folded Spill
	scratch_store_dwordx4 off, v[120:123], off offset:304 ; 16-byte Folded Spill
	;; [unrolled: 1-line block ×7, first 2 shown]
	ds_read_b32 v1, v1 offset:120
	v_mov_b32_e32 v135, v0
	v_mov_b32_e32 v130, v106
	;; [unrolled: 1-line block ×10, first 2 shown]
	v_mov_b64_e32 v[190:191], v[16:17]
	v_mov_b64_e32 v[202:203], v[28:29]
	;; [unrolled: 1-line block ×15, first 2 shown]
	scratch_load_dwordx2 v[2:3], off, off offset:132 ; 8-byte Folded Reload
	v_mov_b32_e32 v16, v46
	v_mov_b32_e32 v17, v47
	v_mov_b64_e32 v[124:125], v[42:43]
	v_mov_b64_e32 v[122:123], v[40:41]
	;; [unrolled: 1-line block ×7, first 2 shown]
	scratch_load_dwordx4 v[24:27], off, off offset:272 ; 16-byte Folded Reload
	scratch_load_dwordx4 v[28:31], off, off offset:288 ; 16-byte Folded Reload
	;; [unrolled: 1-line block ×8, first 2 shown]
	v_mov_b32_e32 v13, v0
	s_waitcnt vmcnt(8)
	v_mov_b32_e32 v2, v100
	v_mov_b32_e32 v4, v102
	v_mov_b32_e32 v5, v103
	v_mov_b32_e32 v6, v104
	v_mov_b32_e32 v7, v105
	v_mov_b32_e32 v8, v106
	v_mov_b32_e32 v9, v107
	v_mov_b32_e32 v10, v108
	v_mov_b32_e32 v11, v109
	v_mov_b32_e32 v12, v110
	v_mov_b32_e32 v14, v96
	v_mov_b32_e32 v15, v97
	v_mov_b64_e32 v[128:129], v[18:19]
	v_mov_b32_e32 v18, v74
	v_mov_b32_e32 v19, v75
	;; [unrolled: 1-line block ×6, first 2 shown]
	s_waitcnt lgkmcnt(0)
	v_fma_f32 v152, -v0, v1, v3
	v_mov_b32_e32 v0, v98
	v_mov_b32_e32 v1, v99
	;; [unrolled: 1-line block ×3, first 2 shown]
	s_waitcnt vmcnt(1)
	v_mov_b64_e32 v[50:51], v[48:49]
	v_mov_b64_e32 v[48:49], v[46:47]
	;; [unrolled: 1-line block ×13, first 2 shown]
	v_mov_b32_e32 v24, v50
	v_mov_b32_e32 v25, v51
	s_waitcnt vmcnt(0)
	v_mov_b64_e32 v[44:45], v[192:193]
	v_mov_b64_e32 v[28:29], v[176:177]
	v_mov_b64_e32 v[54:55], v[202:203]
	v_mov_b64_e32 v[30:31], v[178:179]
	v_mov_b64_e32 v[32:33], v[180:181]
	v_mov_b64_e32 v[34:35], v[182:183]
	v_mov_b64_e32 v[36:37], v[184:185]
	v_mov_b64_e32 v[38:39], v[186:187]
	v_mov_b64_e32 v[40:41], v[188:189]
	v_mov_b64_e32 v[42:43], v[190:191]
	v_mov_b64_e32 v[46:47], v[194:195]
	v_mov_b64_e32 v[48:49], v[196:197]
	v_mov_b64_e32 v[50:51], v[198:199]
	v_mov_b64_e32 v[52:53], v[200:201]
	v_mov_b32_e32 v26, v54
	v_mov_b32_e32 v27, v55
	scratch_store_dwordx4 off, v[28:31], off offset:144 ; 16-byte Folded Spill
	s_nop 0
	scratch_store_dwordx4 off, v[32:35], off offset:160 ; 16-byte Folded Spill
	scratch_store_dwordx4 off, v[36:39], off offset:176 ; 16-byte Folded Spill
	;; [unrolled: 1-line block ×8, first 2 shown]
	s_nop 0
	scratch_store_dwordx4 off, v[4:7], off offset:928 ; 16-byte Folded Spill
	scratch_store_dwordx4 off, v[8:11], off offset:944 ; 16-byte Folded Spill
	;; [unrolled: 1-line block ×7, first 2 shown]
	v_mov_b64_e32 v[32:33], v[112:113]
	v_mov_b64_e32 v[34:35], v[114:115]
	;; [unrolled: 1-line block ×9, first 2 shown]
	v_mov_b32_e32 v122, v98
	v_mov_b32_e32 v123, v99
	;; [unrolled: 1-line block ×25, first 2 shown]
	v_mov_b64_e32 v[50:51], v[56:57]
	v_mov_b64_e32 v[52:53], v[58:59]
	;; [unrolled: 1-line block ×10, first 2 shown]
	v_mov_b32_e32 v210, v68
	v_mov_b32_e32 v211, v69
	scratch_store_dwordx4 off, v[50:53], off offset:528 ; 16-byte Folded Spill
	s_nop 0
	scratch_store_dwordx4 off, v[54:57], off offset:544 ; 16-byte Folded Spill
	scratch_store_dwordx4 off, v[58:61], off offset:560 ; 16-byte Folded Spill
	;; [unrolled: 1-line block ×7, first 2 shown]
	scratch_load_dwordx4 v[0:3], off, off offset:272 ; 16-byte Folded Reload
	scratch_load_dwordx4 v[4:7], off, off offset:288 ; 16-byte Folded Reload
	scratch_load_dwordx4 v[8:11], off, off offset:304 ; 16-byte Folded Reload
	scratch_load_dwordx4 v[12:15], off, off offset:320 ; 16-byte Folded Reload
	scratch_load_dwordx4 v[16:19], off, off offset:336 ; 16-byte Folded Reload
	scratch_load_dwordx4 v[20:23], off, off offset:352 ; 16-byte Folded Reload
	scratch_load_dwordx4 v[24:27], off, off offset:368 ; 16-byte Folded Reload
	scratch_load_dwordx4 v[28:31], off, off offset:384 ; 16-byte Folded Reload
	s_waitcnt vmcnt(1)
	v_mov_b32_e32 v216, v24
	v_mov_b32_e32 v217, v25
	scratch_load_dwordx4 v[0:3], off, off offset:144 ; 16-byte Folded Reload
	scratch_load_dwordx4 v[4:7], off, off offset:160 ; 16-byte Folded Reload
	;; [unrolled: 1-line block ×8, first 2 shown]
	s_waitcnt vmcnt(1)
	v_mov_b64_e32 v[78:79], v[26:27]
	v_mov_b64_e32 v[76:77], v[24:25]
	;; [unrolled: 1-line block ×6, first 2 shown]
	scratch_load_dwordx4 v[0:3], off, off offset:528 ; 16-byte Folded Reload
	scratch_load_dwordx4 v[4:7], off, off offset:544 ; 16-byte Folded Reload
	;; [unrolled: 1-line block ×8, first 2 shown]
	v_mov_b32_e32 v218, v78
	v_mov_b32_e32 v219, v79
	s_waitcnt vmcnt(4)
	v_mov_b64_e32 v[64:65], v[14:15]
	s_waitcnt vmcnt(3)
	v_mov_b64_e32 v[68:69], v[18:19]
	v_mov_b64_e32 v[62:63], v[12:13]
	;; [unrolled: 1-line block ×9, first 2 shown]
	scratch_load_dwordx4 v[0:3], off, off offset:272 ; 16-byte Folded Reload
	scratch_load_dwordx4 v[4:7], off, off offset:288 ; 16-byte Folded Reload
	;; [unrolled: 1-line block ×8, first 2 shown]
	v_mov_b32_e32 v140, v68
	v_mov_b32_e32 v141, v69
	s_waitcnt vmcnt(1)
	v_mov_b32_e32 v146, v24
	v_mov_b32_e32 v147, v25
	scratch_load_dwordx4 v[0:3], off, off offset:144 ; 16-byte Folded Reload
	scratch_load_dwordx4 v[4:7], off, off offset:160 ; 16-byte Folded Reload
	;; [unrolled: 1-line block ×8, first 2 shown]
	s_nop 0
	scratch_store_dwordx4 off, v[98:101], off offset:3472 ; 16-byte Folded Spill
	s_nop 0
	scratch_store_dwordx4 off, v[102:105], off offset:3488 ; 16-byte Folded Spill
	scratch_store_dwordx4 off, v[106:109], off offset:3504 ; 16-byte Folded Spill
	;; [unrolled: 1-line block ×7, first 2 shown]
	s_waitcnt vmcnt(8)
	v_mov_b32_e32 v29, v150
	v_mov_b32_e32 v150, v220
	;; [unrolled: 1-line block ×5, first 2 shown]
	v_mov_b64_e32 v[98:99], v[122:123]
	v_mov_b64_e32 v[100:101], v[124:125]
	;; [unrolled: 1-line block ×5, first 2 shown]
	v_mov_b32_e32 v148, v26
	v_mov_b32_e32 v149, v27
	v_mov_b64_e32 v[108:109], v[132:133]
	v_mov_b64_e32 v[110:111], v[134:135]
	;; [unrolled: 1-line block ×4, first 2 shown]
	v_mov_b32_e32 v126, v150
	v_mov_b64_e32 v[116:117], v[140:141]
	v_mov_b64_e32 v[118:119], v[142:143]
	;; [unrolled: 1-line block ×5, first 2 shown]
	v_mov_b32_e32 v127, v151
	v_mov_b32_e32 v128, v152
	scratch_store_dwordx4 off, v[98:101], off offset:4 ; 16-byte Folded Spill
	s_nop 0
	scratch_store_dwordx4 off, v[102:105], off offset:20 ; 16-byte Folded Spill
	scratch_store_dwordx4 off, v[106:109], off offset:36 ; 16-byte Folded Spill
	;; [unrolled: 1-line block ×7, first 2 shown]
	v_mov_b32_e32 v150, v29
	v_mov_b32_e32 v29, v152
	scratch_store_dwordx2 off, v[28:29], off offset:132 ; 8-byte Folded Spill
	v_mov_b32_e32 v114, v96
	scratch_store_dwordx4 off, v[82:85], off offset:1680 ; 16-byte Folded Spill
	s_nop 0
	scratch_store_dwordx4 off, v[86:89], off offset:1696 ; 16-byte Folded Spill
	scratch_store_dwordx4 off, v[90:93], off offset:1712 ; 16-byte Folded Spill
	;; [unrolled: 1-line block ×7, first 2 shown]
	v_mov_b32_e32 v146, v48
	scratch_store_dwordx4 off, v[32:35], off offset:1168 ; 16-byte Folded Spill
	s_nop 0
	scratch_store_dwordx4 off, v[36:39], off offset:1184 ; 16-byte Folded Spill
	scratch_store_dwordx4 off, v[40:43], off offset:1200 ; 16-byte Folded Spill
	;; [unrolled: 1-line block ×7, first 2 shown]
	v_mov_b64_e32 v[122:123], v[154:155]
	v_mov_b32_e32 v138, v170
	v_mov_b32_e32 v151, v30
	v_mov_b64_e32 v[124:125], v[156:157]
	v_mov_b64_e32 v[126:127], v[158:159]
	;; [unrolled: 1-line block ×7, first 2 shown]
	v_mov_b32_e32 v139, v171
	v_mov_b32_e32 v140, v172
	;; [unrolled: 1-line block ×5, first 2 shown]
	v_mov_b64_e32 v[108:109], v[26:27]
	v_mov_b32_e32 v154, v80
	v_mov_b32_e32 v185, v109
	v_mov_b64_e32 v[106:107], v[24:25]
	v_mov_b64_e32 v[104:105], v[22:23]
	;; [unrolled: 1-line block ×5, first 2 shown]
	v_mov_b32_e32 v145, v97
	v_mov_b32_e32 v147, v49
	v_mov_b64_e32 v[48:49], v[66:67]
	v_mov_b64_e32 v[50:51], v[68:69]
	scratch_store_dwordx4 off, v[122:125], off offset:400 ; 16-byte Folded Spill
	s_nop 0
	scratch_store_dwordx4 off, v[126:129], off offset:416 ; 16-byte Folded Spill
	scratch_store_dwordx4 off, v[130:133], off offset:432 ; 16-byte Folded Spill
	;; [unrolled: 1-line block ×8, first 2 shown]
	s_nop 0
	scratch_store_dwordx4 off, v[228:231], off offset:672 ; 16-byte Folded Spill
	scratch_store_dwordx4 off, v[232:235], off offset:688 ; 16-byte Folded Spill
	;; [unrolled: 1-line block ×7, first 2 shown]
	v_mov_b32_e32 v28, v50
	v_mov_b32_e32 v29, v51
	scratch_load_dwordx4 v[36:39], off, off offset:272 ; 16-byte Folded Reload
	scratch_load_dwordx4 v[40:43], off, off offset:288 ; 16-byte Folded Reload
	;; [unrolled: 1-line block ×8, first 2 shown]
	s_waitcnt vmcnt(4)
	v_mov_b64_e32 v[36:37], v[192:193]
	v_mov_b64_e32 v[38:39], v[194:195]
	;; [unrolled: 1-line block ×8, first 2 shown]
	s_waitcnt vmcnt(0)
	v_mov_b32_e32 v64, v220
	v_mov_b32_e32 v138, v108
	;; [unrolled: 1-line block ×5, first 2 shown]
	v_mov_b64_e32 v[248:249], v[60:61]
	v_mov_b64_e32 v[246:247], v[58:59]
	;; [unrolled: 1-line block ×11, first 2 shown]
	scratch_store_dwordx4 off, v[36:39], off offset:784 ; 16-byte Folded Spill
	s_nop 0
	scratch_store_dwordx4 off, v[40:43], off offset:800 ; 16-byte Folded Spill
	scratch_store_dwordx4 off, v[44:47], off offset:816 ; 16-byte Folded Spill
	;; [unrolled: 1-line block ×7, first 2 shown]
	v_mov_b32_e32 v184, v248
	v_mov_b32_e32 v37, v29
.LBB61_73:
	s_or_b64 exec, exec, s[2:3]
	v_cmp_eq_u32_e32 vcc, 14, v254
	s_waitcnt lgkmcnt(0)
	s_barrier
	s_and_saveexec_b64 s[2:3], vcc
	s_cbranch_execz .LBB61_76
; %bb.74:
	ds_write_b32 v255, v114
	scratch_load_dwordx4 v[38:41], off, off offset:4 ; 16-byte Folded Reload
	scratch_load_dwordx4 v[42:45], off, off offset:20 ; 16-byte Folded Reload
	;; [unrolled: 1-line block ×8, first 2 shown]
	scratch_load_dword v28, off, off offset:140 ; 4-byte Folded Reload
	s_waitcnt vmcnt(0)
	ds_write2_b32 v28, v53, v54 offset0:15 offset1:16
	ds_write2_b32 v28, v55, v56 offset0:17 offset1:18
	;; [unrolled: 1-line block ×8, first 2 shown]
	ds_read_b32 v28, v255
	s_waitcnt lgkmcnt(0)
	v_cmp_neq_f32_e32 vcc, 0, v28
	s_and_b64 exec, exec, vcc
	s_cbranch_execz .LBB61_76
; %bb.75:
	v_div_scale_f32 v29, s[4:5], v28, v28, 1.0
	v_rcp_f32_e32 v30, v29
	v_div_scale_f32 v31, vcc, 1.0, v28, 1.0
	v_fma_f32 v56, -v29, v30, 1.0
	v_fmac_f32_e32 v30, v56, v30
	v_mul_f32_e32 v56, v31, v30
	v_fma_f32 v57, -v29, v56, v31
	v_fmac_f32_e32 v56, v57, v30
	v_fma_f32 v29, -v29, v56, v31
	v_div_fmas_f32 v29, v29, v30, v56
	v_div_fixup_f32 v28, v29, v28, 1.0
	ds_write_b32 v255, v28
.LBB61_76:
	s_or_b64 exec, exec, s[2:3]
	s_waitcnt lgkmcnt(0)
	s_barrier
	ds_read_b32 v144, v255
	v_cmp_lt_u32_e32 vcc, 14, v254
	s_mov_b64 s[2:3], exec
	scratch_load_dword v28, off, off offset:140 ; 4-byte Folded Reload
	s_and_b64 s[4:5], s[2:3], vcc
	s_waitcnt vmcnt(9)
	v_mov_b32_e32 v108, v146
	v_mov_b32_e32 v33, v145
	s_mov_b64 exec, s[4:5]
	s_cbranch_execz .LBB61_78
; %bb.77:
	scratch_load_dwordx4 v[32:35], off, off offset:3472 ; 16-byte Folded Reload
	scratch_load_dwordx4 v[36:39], off, off offset:3488 ; 16-byte Folded Reload
	;; [unrolled: 1-line block ×8, first 2 shown]
	scratch_load_dword v10, off, off offset:140 ; 4-byte Folded Reload
	s_waitcnt vmcnt(5) lgkmcnt(0)
	v_mul_f32_e32 v46, v114, v144
	v_mov_b32_e32 v14, v46
	v_mov_b32_e32 v238, v46
	;; [unrolled: 1-line block ×12, first 2 shown]
	s_waitcnt vmcnt(0)
	ds_read2_b32 v[0:1], v10 offset0:15 offset1:16
	scratch_load_dwordx4 v[48:51], off, off offset:4 ; 16-byte Folded Reload
	scratch_load_dwordx4 v[52:55], off, off offset:20 ; 16-byte Folded Reload
	;; [unrolled: 1-line block ×8, first 2 shown]
	ds_read2_b32 v[4:5], v10 offset0:17 offset1:18
	ds_read2_b32 v[6:7], v10 offset0:19 offset1:20
	;; [unrolled: 1-line block ×3, first 2 shown]
	v_mov_b32_e32 v229, v37
	v_mov_b32_e32 v230, v38
	v_mov_b32_e32 v231, v39
	v_mov_b32_e32 v232, v40
	v_mov_b32_e32 v233, v41
	v_mov_b32_e32 v234, v42
	v_mov_b32_e32 v235, v43
	v_mov_b32_e32 v236, v44
	v_mov_b32_e32 v237, v45
	v_mov_b32_e32 v160, v32
	v_mov_b32_e32 v161, v33
	v_mov_b32_e32 v162, v34
	v_mov_b32_e32 v163, v35
	v_mov_b32_e32 v164, v36
	v_mov_b32_e32 v165, v37
	v_mov_b32_e32 v166, v38
	v_mov_b32_e32 v167, v39
	v_mov_b32_e32 v168, v40
	v_mov_b32_e32 v169, v41
	v_mov_b32_e32 v170, v42
	v_mov_b32_e32 v171, v43
	v_mov_b32_e32 v172, v44
	v_mov_b32_e32 v173, v45
	v_mov_b32_e32 v192, v32
	v_mov_b32_e32 v193, v33
	v_mov_b32_e32 v194, v34
	v_mov_b32_e32 v195, v35
	v_mov_b32_e32 v196, v36
	v_mov_b32_e32 v197, v37
	v_mov_b32_e32 v198, v38
	v_mov_b32_e32 v199, v39
	v_mov_b32_e32 v200, v40
	v_mov_b32_e32 v201, v41
	v_mov_b32_e32 v202, v42
	v_mov_b32_e32 v203, v43
	v_mov_b32_e32 v204, v44
	v_mov_b32_e32 v205, v45
	s_waitcnt vmcnt(0)
	v_mov_b32_e32 v222, v78
	v_mov_b32_e32 v208, v64
	;; [unrolled: 1-line block ×9, first 2 shown]
	s_waitcnt lgkmcnt(3)
	v_pk_fma_f32 v[28:29], v[46:47], v[0:1], v[2:3] op_sel_hi:[0,1,1] neg_lo:[1,0,0] neg_hi:[1,0,0]
	v_mov_b32_e32 v0, v209
	v_mov_b32_e32 v1, v210
	;; [unrolled: 1-line block ×4, first 2 shown]
	s_waitcnt lgkmcnt(2)
	v_pk_fma_f32 v[30:31], v[46:47], v[4:5], v[0:1] op_sel_hi:[0,1,1] neg_lo:[1,0,0] neg_hi:[1,0,0]
	v_mov_b32_e32 v0, v211
	v_mov_b32_e32 v1, v212
	s_waitcnt lgkmcnt(1)
	v_pk_fma_f32 v[56:57], v[46:47], v[6:7], v[0:1] op_sel_hi:[0,1,1] neg_lo:[1,0,0] neg_hi:[1,0,0]
	v_mov_b32_e32 v0, v213
	v_mov_b32_e32 v1, v214
	s_waitcnt lgkmcnt(0)
	v_pk_fma_f32 v[58:59], v[46:47], v[8:9], v[0:1] op_sel_hi:[0,1,1] neg_lo:[1,0,0] neg_hi:[1,0,0]
	ds_read2_b32 v[0:1], v10 offset0:23 offset1:24
	v_mov_b32_e32 v216, v72
	v_mov_b32_e32 v215, v71
	ds_read2_b32 v[4:5], v10 offset0:25 offset1:26
	ds_read2_b32 v[6:7], v10 offset0:27 offset1:28
	;; [unrolled: 1-line block ×3, first 2 shown]
	v_mov_b32_e32 v218, v74
	v_mov_b32_e32 v217, v73
	;; [unrolled: 1-line block ×6, first 2 shown]
	s_waitcnt lgkmcnt(3)
	v_pk_fma_f32 v[60:61], v[46:47], v[0:1], v[2:3] op_sel_hi:[0,1,1] neg_lo:[1,0,0] neg_hi:[1,0,0]
	v_mov_b32_e32 v0, v217
	v_mov_b32_e32 v1, v218
	;; [unrolled: 1-line block ×3, first 2 shown]
	s_waitcnt lgkmcnt(2)
	v_pk_fma_f32 v[62:63], v[46:47], v[4:5], v[0:1] op_sel_hi:[0,1,1] neg_lo:[1,0,0] neg_hi:[1,0,0]
	v_mov_b32_e32 v0, v219
	v_mov_b32_e32 v1, v220
	s_waitcnt lgkmcnt(1)
	v_pk_fma_f32 v[92:93], v[46:47], v[6:7], v[0:1] op_sel_hi:[0,1,1] neg_lo:[1,0,0] neg_hi:[1,0,0]
	v_mov_b32_e32 v1, v222
	v_mov_b32_e32 v0, v221
	;; [unrolled: 4-line block ×3, first 2 shown]
	v_mov_b32_e32 v2, v34
	v_mov_b32_e32 v3, v35
	;; [unrolled: 1-line block ×12, first 2 shown]
	scratch_store_dwordx4 off, v[0:3], off offset:1168 ; 16-byte Folded Spill
	s_nop 0
	scratch_store_dwordx4 off, v[4:7], off offset:1184 ; 16-byte Folded Spill
	scratch_store_dwordx4 off, v[8:11], off offset:1200 ; 16-byte Folded Spill
	;; [unrolled: 1-line block ×7, first 2 shown]
	v_mov_b32_e32 v243, v56
	v_mov_b32_e32 v244, v57
	;; [unrolled: 1-line block ×29, first 2 shown]
	scratch_store_dwordx4 off, v[0:3], off offset:2576 ; 16-byte Folded Spill
	s_nop 0
	scratch_store_dwordx4 off, v[4:7], off offset:2592 ; 16-byte Folded Spill
	scratch_store_dwordx4 off, v[8:11], off offset:2608 ; 16-byte Folded Spill
	scratch_store_dwordx4 off, v[12:15], off offset:2624 ; 16-byte Folded Spill
	scratch_store_dwordx4 off, v[16:19], off offset:2640 ; 16-byte Folded Spill
	scratch_store_dwordx4 off, v[20:23], off offset:2656 ; 16-byte Folded Spill
	scratch_store_dwordx4 off, v[24:27], off offset:2672 ; 16-byte Folded Spill
	scratch_store_dwordx4 off, v[28:31], off offset:2688 ; 16-byte Folded Spill
	v_mov_b32_e32 v18, v31
	scratch_store_dwordx4 off, v[0:3], off offset:528 ; 16-byte Folded Spill
	s_nop 0
	scratch_store_dwordx4 off, v[4:7], off offset:544 ; 16-byte Folded Spill
	scratch_store_dwordx4 off, v[8:11], off offset:560 ; 16-byte Folded Spill
	scratch_store_dwordx4 off, v[12:15], off offset:576 ; 16-byte Folded Spill
	scratch_store_dwordx4 off, v[16:19], off offset:592 ; 16-byte Folded Spill
	scratch_store_dwordx4 off, v[20:23], off offset:608 ; 16-byte Folded Spill
	scratch_store_dwordx4 off, v[24:27], off offset:624 ; 16-byte Folded Spill
	scratch_store_dwordx4 off, v[28:31], off offset:640 ; 16-byte Folded Spill
	v_mov_b32_e32 v19, v56
	;; [unrolled: 10-line block ×6, first 2 shown]
	scratch_store_dwordx4 off, v[0:3], off offset:1296 ; 16-byte Folded Spill
	s_nop 0
	scratch_store_dwordx4 off, v[4:7], off offset:1312 ; 16-byte Folded Spill
	scratch_store_dwordx4 off, v[8:11], off offset:1328 ; 16-byte Folded Spill
	;; [unrolled: 1-line block ×7, first 2 shown]
	s_nop 0
	v_mov_b32_e32 v24, v61
	v_mov_b32_e32 v25, v62
	;; [unrolled: 1-line block ×6, first 2 shown]
	scratch_store_dwordx4 off, v[224:227], off offset:272 ; 16-byte Folded Spill
	s_nop 0
	scratch_store_dwordx4 off, v[228:231], off offset:288 ; 16-byte Folded Spill
	scratch_store_dwordx4 off, v[232:235], off offset:304 ; 16-byte Folded Spill
	;; [unrolled: 1-line block ×8, first 2 shown]
	s_nop 0
	scratch_store_dwordx4 off, v[4:7], off offset:1056 ; 16-byte Folded Spill
	scratch_store_dwordx4 off, v[8:11], off offset:1072 ; 16-byte Folded Spill
	;; [unrolled: 1-line block ×7, first 2 shown]
	v_mov_b32_e32 v234, v93
	v_mov_b32_e32 v26, v63
	scratch_store_dwordx4 off, v[0:3], off offset:144 ; 16-byte Folded Spill
	s_nop 0
	scratch_store_dwordx4 off, v[4:7], off offset:160 ; 16-byte Folded Spill
	scratch_store_dwordx4 off, v[8:11], off offset:176 ; 16-byte Folded Spill
	;; [unrolled: 1-line block ×7, first 2 shown]
	s_nop 0
	v_mov_b32_e32 v27, v92
	scratch_store_dwordx4 off, v[0:3], off offset:912 ; 16-byte Folded Spill
	s_nop 0
	scratch_store_dwordx4 off, v[4:7], off offset:928 ; 16-byte Folded Spill
	scratch_store_dwordx4 off, v[8:11], off offset:944 ; 16-byte Folded Spill
	;; [unrolled: 1-line block ×7, first 2 shown]
	v_mov_b32_e32 v175, v28
	v_mov_b32_e32 v176, v29
	;; [unrolled: 1-line block ×8, first 2 shown]
	scratch_store_dwordx4 off, v[160:163], off offset:784 ; 16-byte Folded Spill
	s_nop 0
	scratch_store_dwordx4 off, v[164:167], off offset:800 ; 16-byte Folded Spill
	scratch_store_dwordx4 off, v[168:171], off offset:816 ; 16-byte Folded Spill
	;; [unrolled: 1-line block ×7, first 2 shown]
	scratch_store_dwordx2 off, v[94:95], off offset:132 ; 8-byte Folded Spill
	scratch_store_dwordx4 off, v[192:195], off offset:4 ; 16-byte Folded Spill
	s_nop 0
	scratch_store_dwordx4 off, v[196:199], off offset:20 ; 16-byte Folded Spill
	scratch_store_dwordx4 off, v[200:203], off offset:36 ; 16-byte Folded Spill
	scratch_store_dwordx4 off, v[204:207], off offset:52 ; 16-byte Folded Spill
	scratch_store_dwordx4 off, v[208:211], off offset:68 ; 16-byte Folded Spill
	scratch_store_dwordx4 off, v[212:215], off offset:84 ; 16-byte Folded Spill
	scratch_store_dwordx4 off, v[216:219], off offset:100 ; 16-byte Folded Spill
	scratch_store_dwordx4 off, v[220:223], off offset:116 ; 16-byte Folded Spill
	scratch_store_dwordx4 off, v[32:35], off offset:3088 ; 16-byte Folded Spill
	s_nop 0
	scratch_store_dwordx4 off, v[36:39], off offset:3104 ; 16-byte Folded Spill
	scratch_store_dwordx4 off, v[40:43], off offset:3120 ; 16-byte Folded Spill
	scratch_store_dwordx4 off, v[44:47], off offset:3136 ; 16-byte Folded Spill
	scratch_store_dwordx4 off, v[48:51], off offset:3152 ; 16-byte Folded Spill
	scratch_store_dwordx4 off, v[52:55], off offset:3168 ; 16-byte Folded Spill
	scratch_store_dwordx4 off, v[56:59], off offset:3184 ; 16-byte Folded Spill
	scratch_store_dwordx4 off, v[60:63], off offset:3200 ; 16-byte Folded Spill
	;; [unrolled: 9-line block ×3, first 2 shown]
	v_mov_b32_e32 v33, v28
	v_mov_b32_e32 v108, v29
	;; [unrolled: 1-line block ×12, first 2 shown]
.LBB61_78:
	s_or_b64 exec, exec, s[2:3]
	v_cmp_eq_u32_e32 vcc, 15, v254
	s_waitcnt lgkmcnt(0)
	s_barrier
	s_and_saveexec_b64 s[2:3], vcc
	s_cbranch_execz .LBB61_81
; %bb.79:
	ds_write_b32 v255, v33
	scratch_load_dwordx4 v[38:41], off, off offset:4 ; 16-byte Folded Reload
	scratch_load_dwordx4 v[42:45], off, off offset:20 ; 16-byte Folded Reload
	;; [unrolled: 1-line block ×8, first 2 shown]
	scratch_load_dword v30, off, off offset:140 ; 4-byte Folded Reload
	s_waitcnt vmcnt(0)
	ds_write2_b32 v30, v54, v55 offset0:16 offset1:17
	ds_write2_b32 v30, v56, v57 offset0:18 offset1:19
	;; [unrolled: 1-line block ×7, first 2 shown]
	scratch_load_dwordx2 v[28:29], off, off offset:132 ; 8-byte Folded Reload
	s_waitcnt vmcnt(0)
	ds_write_b32 v30, v29 offset:120
	ds_read_b32 v28, v255
	s_waitcnt lgkmcnt(0)
	v_cmp_neq_f32_e32 vcc, 0, v28
	s_and_b64 exec, exec, vcc
	s_cbranch_execz .LBB61_81
; %bb.80:
	v_div_scale_f32 v29, s[4:5], v28, v28, 1.0
	v_rcp_f32_e32 v30, v29
	v_div_scale_f32 v31, vcc, 1.0, v28, 1.0
	v_fma_f32 v56, -v29, v30, 1.0
	v_fmac_f32_e32 v30, v56, v30
	v_mul_f32_e32 v56, v31, v30
	v_fma_f32 v57, -v29, v56, v31
	v_fmac_f32_e32 v56, v57, v30
	v_fma_f32 v29, -v29, v56, v31
	v_div_fmas_f32 v29, v29, v30, v56
	v_div_fixup_f32 v28, v29, v28, 1.0
	ds_write_b32 v255, v28
.LBB61_81:
	s_or_b64 exec, exec, s[2:3]
	s_waitcnt lgkmcnt(0)
	s_barrier
	ds_read_b32 v145, v255
	v_cmp_lt_u32_e32 vcc, 15, v254
	s_and_saveexec_b64 s[2:3], vcc
	s_cbranch_execz .LBB61_83
; %bb.82:
	scratch_load_dword v1, off, off offset:140 ; 4-byte Folded Reload
	s_waitcnt lgkmcnt(0)
	v_mul_f32_e32 v0, v33, v145
	v_mov_b32_e32 v63, v0
	v_mov_b32_e32 v173, v0
	v_mov_b32_e32 v239, v0
	s_waitcnt vmcnt(0)
	ds_read2_b32 v[2:3], v1 offset0:16 offset1:17
	scratch_load_dwordx4 v[4:7], off, off offset:4 ; 16-byte Folded Reload
	scratch_load_dwordx4 v[8:11], off, off offset:20 ; 16-byte Folded Reload
	;; [unrolled: 1-line block ×8, first 2 shown]
	s_waitcnt vmcnt(7)
	ds_read2_b32 v[6:7], v1 offset0:18 offset1:19
	s_waitcnt vmcnt(6)
	ds_read2_b32 v[8:9], v1 offset0:20 offset1:21
	ds_read2_b32 v[10:11], v1 offset0:22 offset1:23
	scratch_load_dwordx4 v[106:109], off, off offset:1680 ; 16-byte Folded Reload
	scratch_load_dwordx4 v[110:113], off, off offset:1696 ; 16-byte Folded Reload
	;; [unrolled: 1-line block ×8, first 2 shown]
	s_waitcnt vmcnt(4)
	v_mov_b32_e32 v121, v0
	v_mov_b32_e32 v12, v106
	;; [unrolled: 1-line block ×5, first 2 shown]
	v_mov_b64_e32 v[218:219], v[30:31]
	v_mov_b64_e32 v[208:209], v[20:21]
	;; [unrolled: 1-line block ×3, first 2 shown]
	v_mov_b32_e32 v4, v208
	v_mov_b32_e32 v5, v209
	v_mov_b64_e32 v[216:217], v[28:29]
	v_mov_b64_e32 v[214:215], v[26:27]
	;; [unrolled: 1-line block ×3, first 2 shown]
	s_waitcnt lgkmcnt(3)
	v_pk_fma_f32 v[28:29], v[0:1], v[2:3], v[4:5] op_sel_hi:[0,1,1] neg_lo:[1,0,0] neg_hi:[1,0,0]
	v_mov_b32_e32 v2, v210
	v_mov_b32_e32 v3, v211
	;; [unrolled: 1-line block ×4, first 2 shown]
	v_mov_b64_e32 v[220:221], v[32:33]
	s_waitcnt lgkmcnt(2)
	v_pk_fma_f32 v[66:67], v[0:1], v[6:7], v[2:3] op_sel_hi:[0,1,1] neg_lo:[1,0,0] neg_hi:[1,0,0]
	v_mov_b32_e32 v2, v212
	v_mov_b32_e32 v3, v213
	;; [unrolled: 1-line block ×13, first 2 shown]
	v_mov_b64_e32 v[44:45], v[26:27]
	v_mov_b64_e32 v[46:47], v[28:29]
	v_mov_b32_e32 v48, v106
	v_mov_b32_e32 v49, v107
	v_mov_b32_e32 v50, v108
	v_mov_b32_e32 v51, v109
	v_mov_b32_e32 v52, v110
	v_mov_b32_e32 v53, v111
	v_mov_b32_e32 v54, v112
	v_mov_b32_e32 v55, v113
	v_mov_b32_e32 v56, v114
	v_mov_b32_e32 v57, v115
	v_mov_b32_e32 v58, v116
	v_mov_b32_e32 v59, v117
	v_mov_b32_e32 v60, v118
	v_mov_b32_e32 v61, v119
	v_mov_b64_e32 v[86:87], v[62:63]
	s_waitcnt lgkmcnt(1)
	v_pk_fma_f32 v[68:69], v[0:1], v[8:9], v[2:3] op_sel_hi:[0,1,1] neg_lo:[1,0,0] neg_hi:[1,0,0]
	v_mov_b64_e32 v[42:43], v[24:25]
	v_mov_b64_e32 v[40:41], v[22:23]
	;; [unrolled: 1-line block ×7, first 2 shown]
	v_mov_b32_e32 v64, v46
	v_mov_b32_e32 v65, v47
	v_mov_b64_e32 v[78:79], v[54:55]
	v_mov_b64_e32 v[76:77], v[52:53]
	;; [unrolled: 1-line block ×5, first 2 shown]
	scratch_store_dwordx4 off, v[12:15], off offset:2576 ; 16-byte Folded Spill
	s_nop 0
	scratch_store_dwordx4 off, v[16:19], off offset:2592 ; 16-byte Folded Spill
	scratch_store_dwordx4 off, v[20:23], off offset:2608 ; 16-byte Folded Spill
	;; [unrolled: 1-line block ×7, first 2 shown]
	v_mov_b64_e32 v[84:85], v[60:61]
	v_mov_b64_e32 v[82:83], v[58:59]
	;; [unrolled: 1-line block ×4, first 2 shown]
	scratch_store_dwordx4 off, v[48:51], off offset:1936 ; 16-byte Folded Spill
	s_nop 0
	scratch_store_dwordx4 off, v[52:55], off offset:1952 ; 16-byte Folded Spill
	scratch_store_dwordx4 off, v[56:59], off offset:1968 ; 16-byte Folded Spill
	scratch_store_dwordx4 off, v[60:63], off offset:1984 ; 16-byte Folded Spill
	scratch_store_dwordx4 off, v[64:67], off offset:2000 ; 16-byte Folded Spill
	scratch_store_dwordx4 off, v[68:71], off offset:2016 ; 16-byte Folded Spill
	scratch_store_dwordx4 off, v[72:75], off offset:2032 ; 16-byte Folded Spill
	scratch_store_dwordx4 off, v[76:79], off offset:2048 ; 16-byte Folded Spill
	v_mov_b32_e32 v6, v214
	v_mov_b32_e32 v7, v215
	s_waitcnt lgkmcnt(0)
	v_pk_fma_f32 v[180:181], v[0:1], v[10:11], v[6:7] op_sel_hi:[0,1,1] neg_lo:[1,0,0] neg_hi:[1,0,0]
	v_mov_b32_e32 v8, v216
	v_mov_b32_e32 v9, v217
	;; [unrolled: 1-line block ×48, first 2 shown]
	v_mov_b64_e32 v[14:15], v[30:31]
	v_mov_b64_e32 v[28:29], v[44:45]
	v_mov_b64_e32 v[16:17], v[32:33]
	v_mov_b64_e32 v[18:19], v[34:35]
	v_mov_b64_e32 v[20:21], v[36:37]
	s_waitcnt vmcnt(16)
	v_mov_b64_e32 v[136:137], v[62:63]
	v_mov_b64_e32 v[142:143], v[68:69]
	v_mov_b64_e32 v[134:135], v[60:61]
	v_mov_b64_e32 v[132:133], v[58:59]
	v_mov_b64_e32 v[130:131], v[56:57]
	v_mov_b64_e32 v[128:129], v[54:55]
	v_mov_b64_e32 v[126:127], v[52:53]
	v_mov_b64_e32 v[124:125], v[50:51]
	v_mov_b64_e32 v[122:123], v[48:49]
	v_mov_b64_e32 v[140:141], v[66:67]
	v_mov_b64_e32 v[138:139], v[64:65]
	scratch_store_dwordx4 off, v[48:51], off offset:1552 ; 16-byte Folded Spill
	s_nop 0
	scratch_store_dwordx4 off, v[52:55], off offset:1568 ; 16-byte Folded Spill
	scratch_store_dwordx4 off, v[56:59], off offset:1584 ; 16-byte Folded Spill
	;; [unrolled: 1-line block ×7, first 2 shown]
	v_mov_b32_e32 v70, v180
	v_mov_b32_e32 v71, v181
	scratch_store_dwordx4 off, v[48:51], off offset:1296 ; 16-byte Folded Spill
	s_nop 0
	scratch_store_dwordx4 off, v[52:55], off offset:1312 ; 16-byte Folded Spill
	scratch_store_dwordx4 off, v[56:59], off offset:1328 ; 16-byte Folded Spill
	;; [unrolled: 1-line block ×7, first 2 shown]
	ds_read2_b32 v[6:7], v1 offset0:24 offset1:25
	ds_read2_b32 v[10:11], v1 offset0:26 offset1:27
	;; [unrolled: 1-line block ×3, first 2 shown]
	v_mov_b32_e32 v178, v142
	v_mov_b32_e32 v179, v143
	s_waitcnt lgkmcnt(2)
	v_pk_fma_f32 v[248:249], v[0:1], v[6:7], v[8:9] op_sel_hi:[0,1,1] neg_lo:[1,0,0] neg_hi:[1,0,0]
	v_mov_b32_e32 v72, v248
	v_mov_b32_e32 v73, v249
	;; [unrolled: 1-line block ×4, first 2 shown]
	v_mov_b64_e32 v[22:23], v[38:39]
	v_mov_b64_e32 v[24:25], v[40:41]
	v_mov_b64_e32 v[26:27], v[42:43]
	v_mov_b64_e32 v[30:31], v[46:47]
	v_mov_b32_e32 v47, v0
	v_mov_b32_e32 v32, v106
	;; [unrolled: 1-line block ×18, first 2 shown]
	v_mov_b64_e32 v[206:207], v[62:63]
	v_mov_b64_e32 v[210:211], v[66:67]
	v_mov_b64_e32 v[204:205], v[60:61]
	v_mov_b64_e32 v[202:203], v[58:59]
	v_mov_b64_e32 v[200:201], v[56:57]
	v_mov_b64_e32 v[198:199], v[54:55]
	v_mov_b64_e32 v[196:197], v[52:53]
	v_mov_b64_e32 v[194:195], v[50:51]
	v_mov_b64_e32 v[192:193], v[48:49]
	v_mov_b64_e32 v[208:209], v[64:65]
	scratch_store_dwordx4 off, v[48:51], off offset:1040 ; 16-byte Folded Spill
	s_nop 0
	scratch_store_dwordx4 off, v[52:55], off offset:1056 ; 16-byte Folded Spill
	scratch_store_dwordx4 off, v[56:59], off offset:1072 ; 16-byte Folded Spill
	scratch_store_dwordx4 off, v[60:63], off offset:1088 ; 16-byte Folded Spill
	scratch_store_dwordx4 off, v[64:67], off offset:1104 ; 16-byte Folded Spill
	scratch_store_dwordx4 off, v[68:71], off offset:1120 ; 16-byte Folded Spill
	scratch_store_dwordx4 off, v[72:75], off offset:1136 ; 16-byte Folded Spill
	scratch_store_dwordx4 off, v[76:79], off offset:1152 ; 16-byte Folded Spill
	scratch_store_dwordx4 off, v[192:195], off offset:528 ; 16-byte Folded Spill
	s_nop 0
	scratch_store_dwordx4 off, v[196:199], off offset:544 ; 16-byte Folded Spill
	scratch_store_dwordx4 off, v[200:203], off offset:560 ; 16-byte Folded Spill
	scratch_store_dwordx4 off, v[204:207], off offset:576 ; 16-byte Folded Spill
	scratch_store_dwordx4 off, v[208:211], off offset:592 ; 16-byte Folded Spill
	scratch_store_dwordx4 off, v[212:215], off offset:608 ; 16-byte Folded Spill
	scratch_store_dwordx4 off, v[216:219], off offset:624 ; 16-byte Folded Spill
	scratch_store_dwordx4 off, v[220:223], off offset:640 ; 16-byte Folded Spill
	;; [unrolled: 9-line block ×3, first 2 shown]
	s_waitcnt lgkmcnt(1)
	v_pk_fma_f32 v[74:75], v[0:1], v[10:11], v[4:5] op_sel_hi:[0,1,1] neg_lo:[1,0,0] neg_hi:[1,0,0]
	v_mov_b32_e32 v72, v248
	v_mov_b32_e32 v73, v249
	scratch_store_dwordx4 off, v[48:51], off offset:144 ; 16-byte Folded Spill
	s_nop 0
	scratch_store_dwordx4 off, v[52:55], off offset:160 ; 16-byte Folded Spill
	scratch_store_dwordx4 off, v[56:59], off offset:176 ; 16-byte Folded Spill
	;; [unrolled: 1-line block ×7, first 2 shown]
	s_waitcnt lgkmcnt(0)
	s_nop 0
	v_pk_fma_f32 v[76:77], v[0:1], v[12:13], v[2:3] op_sel_hi:[0,1,1] neg_lo:[1,0,0] neg_hi:[1,0,0]
	scratch_load_dwordx2 v[2:3], off, off offset:132 ; 8-byte Folded Reload
	ds_read_b32 v1, v1 offset:120
	v_mov_b64_e32 v[136:137], v[28:29]
	scratch_load_dwordx4 v[192:195], off, off offset:528 ; 16-byte Folded Reload
	scratch_load_dwordx4 v[196:199], off, off offset:544 ; 16-byte Folded Reload
	;; [unrolled: 1-line block ×8, first 2 shown]
	v_mov_b32_e32 v75, v0
	v_mov_b64_e32 v[134:135], v[26:27]
	v_mov_b64_e32 v[132:133], v[24:25]
	;; [unrolled: 1-line block ×8, first 2 shown]
	v_mov_b32_e32 v48, v138
	v_mov_b32_e32 v49, v139
	;; [unrolled: 1-line block ×17, first 2 shown]
	s_waitcnt vmcnt(8) lgkmcnt(0)
	v_fma_f32 v90, -v0, v1, v3
	scratch_load_dwordx4 v[0:3], off, off offset:400 ; 16-byte Folded Reload
	scratch_load_dwordx4 v[4:7], off, off offset:416 ; 16-byte Folded Reload
	;; [unrolled: 1-line block ×8, first 2 shown]
	s_waitcnt vmcnt(8)
	v_mov_b64_e32 v[222:223], v[210:211]
	v_mov_b32_e32 v50, v210
	v_mov_b32_e32 v51, v211
	v_mov_b64_e32 v[220:221], v[208:209]
	v_mov_b64_e32 v[218:219], v[206:207]
	;; [unrolled: 1-line block ×9, first 2 shown]
	s_waitcnt vmcnt(2)
	v_mov_b64_e32 v[202:203], v[20:21]
	v_mov_b64_e32 v[200:201], v[18:19]
	;; [unrolled: 1-line block ×3, first 2 shown]
	scratch_load_dwordx4 v[0:3], off, off offset:144 ; 16-byte Folded Reload
	scratch_load_dwordx4 v[4:7], off, off offset:160 ; 16-byte Folded Reload
	;; [unrolled: 1-line block ×8, first 2 shown]
	v_mov_b32_e32 v52, v202
	v_mov_b32_e32 v53, v203
	s_waitcnt vmcnt(2)
	v_mov_b32_e32 v20, v202
	v_mov_b32_e32 v21, v203
	v_mov_b64_e32 v[192:193], v[204:205]
	v_mov_b64_e32 v[194:195], v[206:207]
	;; [unrolled: 1-line block ×9, first 2 shown]
	v_mov_b32_e32 v16, v138
	v_mov_b32_e32 v17, v139
	v_mov_b64_e32 v[210:211], v[222:223]
	v_mov_b32_e32 v78, v210
	v_mov_b32_e32 v79, v211
	;; [unrolled: 1-line block ×4, first 2 shown]
	s_waitcnt vmcnt(1)
	v_mov_b32_e32 v24, v248
	v_mov_b32_e32 v14, v120
	;; [unrolled: 1-line block ×20, first 2 shown]
	scratch_store_dwordx4 off, v[32:35], off offset:912 ; 16-byte Folded Spill
	s_nop 0
	scratch_store_dwordx4 off, v[36:39], off offset:928 ; 16-byte Folded Spill
	scratch_store_dwordx4 off, v[40:43], off offset:944 ; 16-byte Folded Spill
	;; [unrolled: 1-line block ×7, first 2 shown]
	v_mov_b32_e32 v52, v24
	v_mov_b64_e32 v[56:57], v[76:77]
	v_mov_b32_e32 v76, v138
	v_mov_b32_e32 v77, v139
	scratch_store_dwordx4 off, v[122:125], off offset:1168 ; 16-byte Folded Spill
	s_nop 0
	scratch_store_dwordx4 off, v[126:129], off offset:1184 ; 16-byte Folded Spill
	scratch_store_dwordx4 off, v[130:133], off offset:1200 ; 16-byte Folded Spill
	;; [unrolled: 1-line block ×7, first 2 shown]
	scratch_load_dwordx4 v[182:185], off, off offset:400 ; 16-byte Folded Reload
	scratch_load_dwordx4 v[186:189], off, off offset:416 ; 16-byte Folded Reload
	;; [unrolled: 1-line block ×8, first 2 shown]
	v_mov_b32_e32 v51, v23
	v_mov_b32_e32 v50, v22
	;; [unrolled: 1-line block ×14, first 2 shown]
	s_waitcnt vmcnt(24)
	v_mov_b64_e32 v[42:43], v[14:15]
	v_mov_b64_e32 v[40:41], v[12:13]
	;; [unrolled: 1-line block ×8, first 2 shown]
	s_waitcnt vmcnt(4)
	v_mov_b64_e32 v[122:123], v[182:183]
	v_mov_b64_e32 v[124:125], v[184:185]
	s_waitcnt vmcnt(2)
	v_mov_b64_e32 v[138:139], v[198:199]
	v_mov_b64_e32 v[126:127], v[186:187]
	v_mov_b64_e32 v[128:129], v[188:189]
	v_mov_b64_e32 v[130:131], v[190:191]
	v_mov_b64_e32 v[132:133], v[192:193]
	v_mov_b64_e32 v[134:135], v[194:195]
	v_mov_b64_e32 v[136:137], v[196:197]
	v_mov_b64_e32 v[140:141], v[200:201]
	v_mov_b64_e32 v[142:143], v[202:203]
	scratch_load_dwordx4 v[192:195], off, off offset:144 ; 16-byte Folded Reload
	scratch_load_dwordx4 v[196:199], off, off offset:160 ; 16-byte Folded Reload
	;; [unrolled: 1-line block ×8, first 2 shown]
	s_waitcnt vmcnt(4)
	v_mov_b64_e32 v[206:207], v[42:43]
	s_waitcnt vmcnt(0)
	v_mov_b64_e32 v[220:221], v[56:57]
	v_mov_b32_e32 v63, v109
	v_mov_b32_e32 v80, v142
	;; [unrolled: 1-line block ×3, first 2 shown]
	v_mov_b64_e32 v[204:205], v[40:41]
	v_mov_b64_e32 v[202:203], v[38:39]
	;; [unrolled: 1-line block ×7, first 2 shown]
	v_mov_b32_e32 v89, v221
	v_mov_b32_e32 v31, v90
	;; [unrolled: 1-line block ×4, first 2 shown]
	v_mov_b64_e32 v[16:17], v[208:209]
	v_mov_b64_e32 v[26:27], v[218:219]
	v_mov_b32_e32 v86, v26
	v_mov_b32_e32 v87, v27
	;; [unrolled: 1-line block ×3, first 2 shown]
	v_mov_b64_e32 v[18:19], v[210:211]
	v_mov_b64_e32 v[20:21], v[212:213]
	;; [unrolled: 1-line block ×4, first 2 shown]
	v_mov_b32_e32 v218, v54
	scratch_store_dwordx4 off, v[60:63], off offset:4 ; 16-byte Folded Spill
	s_nop 0
	scratch_store_dwordx4 off, v[64:67], off offset:20 ; 16-byte Folded Spill
	scratch_store_dwordx4 off, v[68:71], off offset:36 ; 16-byte Folded Spill
	;; [unrolled: 1-line block ×8, first 2 shown]
	s_nop 0
	scratch_store_dwordx4 off, v[110:113], off offset:3104 ; 16-byte Folded Spill
	scratch_store_dwordx4 off, v[114:117], off offset:3120 ; 16-byte Folded Spill
	;; [unrolled: 1-line block ×7, first 2 shown]
	scratch_store_dwordx2 off, v[30:31], off offset:132 ; 8-byte Folded Spill
	v_mov_b32_e32 v217, v53
	v_mov_b32_e32 v216, v52
	;; [unrolled: 1-line block ×10, first 2 shown]
	scratch_load_dwordx4 v[28:31], off, off offset:1168 ; 16-byte Folded Reload
	scratch_load_dwordx4 v[32:35], off, off offset:1184 ; 16-byte Folded Reload
	;; [unrolled: 1-line block ×8, first 2 shown]
	v_mov_b32_e32 v219, v27
	v_mov_b32_e32 v64, v220
	;; [unrolled: 1-line block ×3, first 2 shown]
	s_waitcnt vmcnt(3)
	v_mov_b64_e32 v[46:47], v[44:45]
	v_mov_b64_e32 v[44:45], v[42:43]
	;; [unrolled: 1-line block ×9, first 2 shown]
	v_mov_b32_e32 v108, v46
	v_mov_b32_e32 v147, v47
	scratch_load_dwordx4 v[28:31], off, off offset:528 ; 16-byte Folded Reload
	scratch_load_dwordx4 v[32:35], off, off offset:544 ; 16-byte Folded Reload
	;; [unrolled: 1-line block ×8, first 2 shown]
	s_waitcnt vmcnt(0)
	v_mov_b64_e32 v[52:53], v[208:209]
	v_mov_b32_e32 v34, v180
	scratch_store_dwordx4 off, v[158:161], off offset:656 ; 16-byte Folded Spill
	s_nop 0
	scratch_store_dwordx4 off, v[162:165], off offset:672 ; 16-byte Folded Spill
	scratch_store_dwordx4 off, v[166:169], off offset:688 ; 16-byte Folded Spill
	;; [unrolled: 1-line block ×7, first 2 shown]
	v_mov_b64_e32 v[54:55], v[210:211]
	v_mov_b64_e32 v[56:57], v[212:213]
	;; [unrolled: 1-line block ×5, first 2 shown]
	v_mov_b32_e32 v184, v248
	scratch_store_dwordx4 off, v[224:227], off offset:272 ; 16-byte Folded Spill
	s_nop 0
	scratch_store_dwordx4 off, v[228:231], off offset:288 ; 16-byte Folded Spill
	scratch_store_dwordx4 off, v[232:235], off offset:304 ; 16-byte Folded Spill
	;; [unrolled: 1-line block ×7, first 2 shown]
	v_mov_b32_e32 v185, v27
	v_mov_b32_e32 v234, v220
	;; [unrolled: 1-line block ×4, first 2 shown]
	v_mov_b64_e32 v[36:37], v[192:193]
	v_mov_b64_e32 v[38:39], v[194:195]
	;; [unrolled: 1-line block ×8, first 2 shown]
	scratch_store_dwordx4 off, v[36:39], off offset:784 ; 16-byte Folded Spill
	s_nop 0
	scratch_store_dwordx4 off, v[40:43], off offset:800 ; 16-byte Folded Spill
	scratch_store_dwordx4 off, v[44:47], off offset:816 ; 16-byte Folded Spill
	scratch_store_dwordx4 off, v[48:51], off offset:832 ; 16-byte Folded Spill
	scratch_store_dwordx4 off, v[52:55], off offset:848 ; 16-byte Folded Spill
	scratch_store_dwordx4 off, v[56:59], off offset:864 ; 16-byte Folded Spill
	scratch_store_dwordx4 off, v[60:63], off offset:880 ; 16-byte Folded Spill
	scratch_store_dwordx4 off, v[64:67], off offset:896 ; 16-byte Folded Spill
	v_mov_b32_e32 v37, v29
	v_mov_b32_e32 v32, v106
.LBB61_83:
	s_or_b64 exec, exec, s[2:3]
	v_cmp_eq_u32_e32 vcc, 16, v254
	s_waitcnt lgkmcnt(0)
	s_barrier
	s_and_saveexec_b64 s[2:3], vcc
	s_cbranch_execz .LBB61_86
; %bb.84:
	ds_write_b32 v255, v108
	scratch_load_dwordx4 v[38:41], off, off offset:4 ; 16-byte Folded Reload
	scratch_load_dwordx4 v[42:45], off, off offset:20 ; 16-byte Folded Reload
	;; [unrolled: 1-line block ×8, first 2 shown]
	scratch_load_dword v28, off, off offset:140 ; 4-byte Folded Reload
	s_waitcnt vmcnt(0)
	ds_write2_b32 v28, v55, v56 offset0:17 offset1:18
	ds_write2_b32 v28, v57, v58 offset0:19 offset1:20
	;; [unrolled: 1-line block ×7, first 2 shown]
	ds_read_b32 v28, v255
	s_waitcnt lgkmcnt(0)
	v_cmp_neq_f32_e32 vcc, 0, v28
	s_and_b64 exec, exec, vcc
	s_cbranch_execz .LBB61_86
; %bb.85:
	v_div_scale_f32 v29, s[4:5], v28, v28, 1.0
	v_rcp_f32_e32 v30, v29
	v_div_scale_f32 v31, vcc, 1.0, v28, 1.0
	v_fma_f32 v56, -v29, v30, 1.0
	v_fmac_f32_e32 v30, v56, v30
	v_mul_f32_e32 v56, v31, v30
	v_fma_f32 v57, -v29, v56, v31
	v_fmac_f32_e32 v56, v57, v30
	v_fma_f32 v29, -v29, v56, v31
	v_div_fmas_f32 v29, v29, v30, v56
	v_div_fixup_f32 v28, v29, v28, 1.0
	ds_write_b32 v255, v28
.LBB61_86:
	s_or_b64 exec, exec, s[2:3]
	s_waitcnt lgkmcnt(0)
	s_barrier
	ds_read_b32 v146, v255
	v_cmp_lt_u32_e32 vcc, 16, v254
	s_mov_b64 s[2:3], exec
	s_and_b64 s[4:5], s[2:3], vcc
	v_mov_b32_e32 v33, v147
	s_mov_b64 exec, s[4:5]
	s_cbranch_execz .LBB61_88
; %bb.87:
	scratch_load_dwordx4 v[32:35], off, off offset:3088 ; 16-byte Folded Reload
	scratch_load_dwordx4 v[36:39], off, off offset:3104 ; 16-byte Folded Reload
	;; [unrolled: 1-line block ×8, first 2 shown]
	scratch_load_dword v10, off, off offset:140 ; 4-byte Folded Reload
	s_waitcnt vmcnt(4) lgkmcnt(0)
	v_mul_f32_e32 v48, v108, v146
	v_mov_b32_e32 v16, v48
	v_mov_b32_e32 v240, v48
	;; [unrolled: 1-line block ×12, first 2 shown]
	s_waitcnt vmcnt(0)
	ds_read2_b32 v[0:1], v10 offset0:17 offset1:18
	scratch_load_dwordx4 v[50:53], off, off offset:4 ; 16-byte Folded Reload
	scratch_load_dwordx4 v[54:57], off, off offset:20 ; 16-byte Folded Reload
	;; [unrolled: 1-line block ×8, first 2 shown]
	ds_read2_b32 v[4:5], v10 offset0:19 offset1:20
	ds_read2_b32 v[6:7], v10 offset0:21 offset1:22
	;; [unrolled: 1-line block ×3, first 2 shown]
	v_mov_b32_e32 v227, v35
	v_mov_b32_e32 v228, v36
	;; [unrolled: 1-line block ×45, first 2 shown]
	s_waitcnt vmcnt(0)
	v_mov_b32_e32 v220, v78
	v_mov_b32_e32 v210, v68
	;; [unrolled: 1-line block ×9, first 2 shown]
	s_waitcnt lgkmcnt(3)
	v_pk_fma_f32 v[28:29], v[48:49], v[0:1], v[2:3] op_sel_hi:[0,1,1] neg_lo:[1,0,0] neg_hi:[1,0,0]
	v_mov_b32_e32 v1, v212
	v_mov_b32_e32 v0, v211
	;; [unrolled: 1-line block ×4, first 2 shown]
	s_waitcnt lgkmcnt(2)
	v_pk_fma_f32 v[30:31], v[48:49], v[4:5], v[0:1] op_sel_hi:[0,1,1] neg_lo:[1,0,0] neg_hi:[1,0,0]
	v_mov_b32_e32 v1, v214
	v_mov_b32_e32 v0, v213
	s_waitcnt lgkmcnt(1)
	v_pk_fma_f32 v[56:57], v[48:49], v[6:7], v[0:1] op_sel_hi:[0,1,1] neg_lo:[1,0,0] neg_hi:[1,0,0]
	v_mov_b32_e32 v1, v216
	v_mov_b32_e32 v0, v215
	s_waitcnt lgkmcnt(0)
	v_pk_fma_f32 v[58:59], v[48:49], v[8:9], v[0:1] op_sel_hi:[0,1,1] neg_lo:[1,0,0] neg_hi:[1,0,0]
	ds_read2_b32 v[0:1], v10 offset0:25 offset1:26
	ds_read2_b32 v[4:5], v10 offset0:27 offset1:28
	;; [unrolled: 1-line block ×3, first 2 shown]
	v_mov_b32_e32 v218, v76
	v_mov_b32_e32 v217, v75
	;; [unrolled: 1-line block ×7, first 2 shown]
	s_waitcnt lgkmcnt(2)
	v_pk_fma_f32 v[60:61], v[48:49], v[0:1], v[2:3] op_sel_hi:[0,1,1] neg_lo:[1,0,0] neg_hi:[1,0,0]
	v_mov_b32_e32 v1, v220
	v_mov_b32_e32 v0, v219
	s_waitcnt lgkmcnt(1)
	v_pk_fma_f32 v[62:63], v[48:49], v[4:5], v[0:1] op_sel_hi:[0,1,1] neg_lo:[1,0,0] neg_hi:[1,0,0]
	v_mov_b32_e32 v1, v222
	v_mov_b32_e32 v0, v221
	;; [unrolled: 4-line block ×3, first 2 shown]
	v_mov_b32_e32 v2, v34
	v_mov_b32_e32 v3, v35
	;; [unrolled: 1-line block ×12, first 2 shown]
	scratch_store_dwordx4 off, v[0:3], off offset:528 ; 16-byte Folded Spill
	s_nop 0
	scratch_store_dwordx4 off, v[4:7], off offset:544 ; 16-byte Folded Spill
	scratch_store_dwordx4 off, v[8:11], off offset:560 ; 16-byte Folded Spill
	;; [unrolled: 1-line block ×7, first 2 shown]
	v_mov_b32_e32 v245, v56
	v_mov_b32_e32 v246, v57
	;; [unrolled: 1-line block ×23, first 2 shown]
	scratch_store_dwordx4 off, v[0:3], off offset:1936 ; 16-byte Folded Spill
	s_nop 0
	scratch_store_dwordx4 off, v[4:7], off offset:1952 ; 16-byte Folded Spill
	scratch_store_dwordx4 off, v[8:11], off offset:1968 ; 16-byte Folded Spill
	scratch_store_dwordx4 off, v[12:15], off offset:1984 ; 16-byte Folded Spill
	scratch_store_dwordx4 off, v[16:19], off offset:2000 ; 16-byte Folded Spill
	scratch_store_dwordx4 off, v[20:23], off offset:2016 ; 16-byte Folded Spill
	scratch_store_dwordx4 off, v[24:27], off offset:2032 ; 16-byte Folded Spill
	scratch_store_dwordx4 off, v[28:31], off offset:2048 ; 16-byte Folded Spill
	v_mov_b32_e32 v20, v31
	scratch_store_dwordx4 off, v[0:3], off offset:400 ; 16-byte Folded Spill
	s_nop 0
	scratch_store_dwordx4 off, v[4:7], off offset:416 ; 16-byte Folded Spill
	scratch_store_dwordx4 off, v[8:11], off offset:432 ; 16-byte Folded Spill
	scratch_store_dwordx4 off, v[12:15], off offset:448 ; 16-byte Folded Spill
	scratch_store_dwordx4 off, v[16:19], off offset:464 ; 16-byte Folded Spill
	scratch_store_dwordx4 off, v[20:23], off offset:480 ; 16-byte Folded Spill
	scratch_store_dwordx4 off, v[24:27], off offset:496 ; 16-byte Folded Spill
	scratch_store_dwordx4 off, v[28:31], off offset:512 ; 16-byte Folded Spill
	v_mov_b32_e32 v21, v56
	scratch_store_dwordx4 off, v[0:3], off offset:1552 ; 16-byte Folded Spill
	s_nop 0
	scratch_store_dwordx4 off, v[4:7], off offset:1568 ; 16-byte Folded Spill
	scratch_store_dwordx4 off, v[8:11], off offset:1584 ; 16-byte Folded Spill
	scratch_store_dwordx4 off, v[12:15], off offset:1600 ; 16-byte Folded Spill
	scratch_store_dwordx4 off, v[16:19], off offset:1616 ; 16-byte Folded Spill
	scratch_store_dwordx4 off, v[20:23], off offset:1632 ; 16-byte Folded Spill
	scratch_store_dwordx4 off, v[24:27], off offset:1648 ; 16-byte Folded Spill
	scratch_store_dwordx4 off, v[28:31], off offset:1664 ; 16-byte Folded Spill
	v_mov_b32_e32 v22, v57
	scratch_store_dwordx4 off, v[0:3], off offset:656 ; 16-byte Folded Spill
	s_nop 0
	scratch_store_dwordx4 off, v[4:7], off offset:672 ; 16-byte Folded Spill
	scratch_store_dwordx4 off, v[8:11], off offset:688 ; 16-byte Folded Spill
	scratch_store_dwordx4 off, v[12:15], off offset:704 ; 16-byte Folded Spill
	scratch_store_dwordx4 off, v[16:19], off offset:720 ; 16-byte Folded Spill
	scratch_store_dwordx4 off, v[20:23], off offset:736 ; 16-byte Folded Spill
	scratch_store_dwordx4 off, v[24:27], off offset:752 ; 16-byte Folded Spill
	scratch_store_dwordx4 off, v[28:31], off offset:768 ; 16-byte Folded Spill
	v_mov_b32_e32 v23, v58
	scratch_store_dwordx4 off, v[0:3], off offset:1296 ; 16-byte Folded Spill
	s_nop 0
	scratch_store_dwordx4 off, v[4:7], off offset:1312 ; 16-byte Folded Spill
	scratch_store_dwordx4 off, v[8:11], off offset:1328 ; 16-byte Folded Spill
	;; [unrolled: 1-line block ×7, first 2 shown]
	s_nop 0
	v_mov_b32_e32 v24, v59
	v_mov_b32_e32 v25, v60
	;; [unrolled: 1-line block ×6, first 2 shown]
	scratch_store_dwordx4 off, v[224:227], off offset:272 ; 16-byte Folded Spill
	s_nop 0
	scratch_store_dwordx4 off, v[228:231], off offset:288 ; 16-byte Folded Spill
	scratch_store_dwordx4 off, v[232:235], off offset:304 ; 16-byte Folded Spill
	;; [unrolled: 1-line block ×8, first 2 shown]
	s_nop 0
	scratch_store_dwordx4 off, v[4:7], off offset:1056 ; 16-byte Folded Spill
	scratch_store_dwordx4 off, v[8:11], off offset:1072 ; 16-byte Folded Spill
	;; [unrolled: 1-line block ×7, first 2 shown]
	s_nop 0
	v_mov_b32_e32 v26, v61
	scratch_store_dwordx4 off, v[0:3], off offset:144 ; 16-byte Folded Spill
	s_nop 0
	scratch_store_dwordx4 off, v[4:7], off offset:160 ; 16-byte Folded Spill
	scratch_store_dwordx4 off, v[8:11], off offset:176 ; 16-byte Folded Spill
	;; [unrolled: 1-line block ×7, first 2 shown]
	s_nop 0
	v_mov_b32_e32 v27, v62
	scratch_store_dwordx4 off, v[0:3], off offset:912 ; 16-byte Folded Spill
	s_nop 0
	scratch_store_dwordx4 off, v[4:7], off offset:928 ; 16-byte Folded Spill
	scratch_store_dwordx4 off, v[8:11], off offset:944 ; 16-byte Folded Spill
	;; [unrolled: 1-line block ×7, first 2 shown]
	v_mov_b32_e32 v177, v28
	v_mov_b32_e32 v178, v29
	;; [unrolled: 1-line block ×8, first 2 shown]
	scratch_store_dwordx4 off, v[160:163], off offset:784 ; 16-byte Folded Spill
	s_nop 0
	scratch_store_dwordx4 off, v[164:167], off offset:800 ; 16-byte Folded Spill
	scratch_store_dwordx4 off, v[168:171], off offset:816 ; 16-byte Folded Spill
	;; [unrolled: 1-line block ×7, first 2 shown]
	scratch_store_dwordx2 off, v[92:93], off offset:132 ; 8-byte Folded Spill
	scratch_store_dwordx4 off, v[192:195], off offset:4 ; 16-byte Folded Spill
	s_nop 0
	scratch_store_dwordx4 off, v[196:199], off offset:20 ; 16-byte Folded Spill
	scratch_store_dwordx4 off, v[200:203], off offset:36 ; 16-byte Folded Spill
	scratch_store_dwordx4 off, v[204:207], off offset:52 ; 16-byte Folded Spill
	scratch_store_dwordx4 off, v[208:211], off offset:68 ; 16-byte Folded Spill
	scratch_store_dwordx4 off, v[212:215], off offset:84 ; 16-byte Folded Spill
	scratch_store_dwordx4 off, v[216:219], off offset:100 ; 16-byte Folded Spill
	scratch_store_dwordx4 off, v[220:223], off offset:116 ; 16-byte Folded Spill
	scratch_store_dwordx4 off, v[32:35], off offset:2576 ; 16-byte Folded Spill
	s_nop 0
	scratch_store_dwordx4 off, v[36:39], off offset:2592 ; 16-byte Folded Spill
	scratch_store_dwordx4 off, v[40:43], off offset:2608 ; 16-byte Folded Spill
	scratch_store_dwordx4 off, v[44:47], off offset:2624 ; 16-byte Folded Spill
	scratch_store_dwordx4 off, v[48:51], off offset:2640 ; 16-byte Folded Spill
	scratch_store_dwordx4 off, v[52:55], off offset:2656 ; 16-byte Folded Spill
	scratch_store_dwordx4 off, v[56:59], off offset:2672 ; 16-byte Folded Spill
	scratch_store_dwordx4 off, v[60:63], off offset:2688 ; 16-byte Folded Spill
	;; [unrolled: 9-line block ×3, first 2 shown]
	v_mov_b32_e32 v33, v28
	v_mov_b32_e32 v32, v29
	;; [unrolled: 1-line block ×11, first 2 shown]
.LBB61_88:
	s_or_b64 exec, exec, s[2:3]
	v_cmp_eq_u32_e32 vcc, 17, v254
	s_waitcnt lgkmcnt(0)
	s_barrier
	s_and_saveexec_b64 s[2:3], vcc
	s_cbranch_execz .LBB61_91
; %bb.89:
	ds_write_b32 v255, v33
	scratch_load_dwordx4 v[38:41], off, off offset:4 ; 16-byte Folded Reload
	scratch_load_dwordx4 v[42:45], off, off offset:20 ; 16-byte Folded Reload
	;; [unrolled: 1-line block ×8, first 2 shown]
	scratch_load_dword v30, off, off offset:140 ; 4-byte Folded Reload
	s_waitcnt vmcnt(0)
	ds_write2_b32 v30, v56, v57 offset0:18 offset1:19
	ds_write2_b32 v30, v58, v59 offset0:20 offset1:21
	;; [unrolled: 1-line block ×6, first 2 shown]
	scratch_load_dwordx2 v[28:29], off, off offset:132 ; 8-byte Folded Reload
	s_waitcnt vmcnt(0)
	ds_write_b32 v30, v29 offset:120
	ds_read_b32 v28, v255
	s_waitcnt lgkmcnt(0)
	v_cmp_neq_f32_e32 vcc, 0, v28
	s_and_b64 exec, exec, vcc
	s_cbranch_execz .LBB61_91
; %bb.90:
	v_div_scale_f32 v29, s[4:5], v28, v28, 1.0
	v_rcp_f32_e32 v30, v29
	v_div_scale_f32 v31, vcc, 1.0, v28, 1.0
	v_fma_f32 v56, -v29, v30, 1.0
	v_fmac_f32_e32 v30, v56, v30
	v_mul_f32_e32 v56, v31, v30
	v_fma_f32 v57, -v29, v56, v31
	v_fmac_f32_e32 v56, v57, v30
	v_fma_f32 v29, -v29, v56, v31
	v_div_fmas_f32 v29, v29, v30, v56
	v_div_fixup_f32 v28, v29, v28, 1.0
	ds_write_b32 v255, v28
.LBB61_91:
	s_or_b64 exec, exec, s[2:3]
	s_waitcnt lgkmcnt(0)
	s_barrier
	ds_read_b32 v147, v255
	v_cmp_lt_u32_e32 vcc, 17, v254
	s_and_saveexec_b64 s[2:3], vcc
	s_cbranch_execz .LBB61_93
; %bb.92:
	scratch_load_dword v1, off, off offset:140 ; 4-byte Folded Reload
	s_waitcnt lgkmcnt(0)
	v_mul_f32_e32 v0, v33, v147
	v_mov_b32_e32 v65, v0
	v_mov_b32_e32 v139, v0
	;; [unrolled: 1-line block ×6, first 2 shown]
	s_waitcnt vmcnt(0)
	ds_read2_b32 v[2:3], v1 offset0:18 offset1:19
	scratch_load_dwordx4 v[4:7], off, off offset:4 ; 16-byte Folded Reload
	scratch_load_dwordx4 v[8:11], off, off offset:20 ; 16-byte Folded Reload
	;; [unrolled: 1-line block ×8, first 2 shown]
	s_waitcnt vmcnt(7)
	ds_read2_b32 v[6:7], v1 offset0:20 offset1:21
	s_waitcnt vmcnt(6)
	ds_read2_b32 v[8:9], v1 offset0:22 offset1:23
	ds_read2_b32 v[10:11], v1 offset0:24 offset1:25
	s_waitcnt vmcnt(4)
	v_mov_b32_e32 v17, v0
	s_waitcnt vmcnt(0)
	v_mov_b64_e32 v[220:221], v[32:33]
	v_mov_b64_e32 v[218:219], v[30:31]
	;; [unrolled: 1-line block ×6, first 2 shown]
	scratch_load_dwordx4 v[30:33], off, off offset:1168 ; 16-byte Folded Reload
	scratch_load_dwordx4 v[34:37], off, off offset:1184 ; 16-byte Folded Reload
	;; [unrolled: 1-line block ×8, first 2 shown]
	v_mov_b32_e32 v4, v210
	v_mov_b32_e32 v5, v211
	s_waitcnt lgkmcnt(3)
	v_pk_fma_f32 v[66:67], v[0:1], v[2:3], v[4:5] op_sel_hi:[0,1,1] neg_lo:[1,0,0] neg_hi:[1,0,0]
	v_mov_b32_e32 v2, v212
	v_mov_b32_e32 v3, v213
	s_waitcnt lgkmcnt(2)
	v_pk_fma_f32 v[142:143], v[0:1], v[6:7], v[2:3] op_sel_hi:[0,1,1] neg_lo:[1,0,0] neg_hi:[1,0,0]
	v_mov_b32_e32 v2, v214
	v_mov_b32_e32 v3, v215
	s_waitcnt lgkmcnt(1)
	v_pk_fma_f32 v[180:181], v[0:1], v[8:9], v[2:3] op_sel_hi:[0,1,1] neg_lo:[1,0,0] neg_hi:[1,0,0]
	v_mov_b32_e32 v4, v216
	v_mov_b32_e32 v5, v217
	s_waitcnt lgkmcnt(0)
	v_pk_fma_f32 v[118:119], v[0:1], v[10:11], v[4:5] op_sel_hi:[0,1,1] neg_lo:[1,0,0] neg_hi:[1,0,0]
	v_mov_b32_e32 v2, v220
	v_mov_b32_e32 v3, v221
	;; [unrolled: 1-line block ×4, first 2 shown]
	s_waitcnt vmcnt(3)
	v_mov_b32_e32 v47, v0
	v_mov_b32_e32 v20, v142
	v_mov_b32_e32 v21, v143
	v_mov_b32_e32 v22, v180
	v_mov_b32_e32 v23, v181
	v_mov_b32_e32 v24, v118
	v_mov_b32_e32 v25, v119
	v_mov_b32_e32 v212, v142
	v_mov_b32_e32 v213, v143
	v_mov_b32_e32 v214, v180
	v_mov_b32_e32 v215, v181
	v_mov_b32_e32 v216, v118
	v_mov_b32_e32 v217, v119
	v_mov_b32_e32 v178, v142
	v_mov_b32_e32 v179, v143
	v_mov_b32_e32 v114, v142
	v_mov_b32_e32 v115, v143
	v_mov_b32_e32 v244, v142
	v_mov_b32_e32 v245, v143
	v_mov_b32_e32 v116, v180
	v_mov_b32_e32 v117, v181
	v_mov_b32_e32 v246, v180
	v_mov_b32_e32 v247, v181
	v_mov_b32_e32 v248, v118
	v_mov_b32_e32 v249, v119
	v_mov_b32_e32 v48, v30
	v_mov_b32_e32 v49, v31
	s_waitcnt vmcnt(2)
	v_mov_b32_e32 v50, v32
	v_mov_b32_e32 v62, v44
	;; [unrolled: 1-line block ×6, first 2 shown]
	s_waitcnt vmcnt(1)
	v_mov_b32_e32 v54, v36
	v_mov_b32_e32 v55, v37
	;; [unrolled: 1-line block ×4, first 2 shown]
	s_waitcnt vmcnt(0)
	v_mov_b32_e32 v58, v40
	v_mov_b32_e32 v59, v41
	v_mov_b32_e32 v60, v42
	v_mov_b32_e32 v61, v43
	v_mov_b64_e32 v[84:85], v[62:63]
	v_mov_b32_e32 v64, v46
	v_mov_b64_e32 v[78:79], v[56:57]
	v_mov_b64_e32 v[76:77], v[54:55]
	;; [unrolled: 1-line block ×9, first 2 shown]
	scratch_store_dwordx4 off, v[48:51], off offset:1936 ; 16-byte Folded Spill
	s_nop 0
	scratch_store_dwordx4 off, v[52:55], off offset:1952 ; 16-byte Folded Spill
	scratch_store_dwordx4 off, v[56:59], off offset:1968 ; 16-byte Folded Spill
	;; [unrolled: 1-line block ×7, first 2 shown]
	v_mov_b32_e32 v68, v142
	v_mov_b32_e32 v69, v143
	;; [unrolled: 1-line block ×45, first 2 shown]
	scratch_store_dwordx4 off, v[48:51], off offset:1552 ; 16-byte Folded Spill
	s_nop 0
	scratch_store_dwordx4 off, v[52:55], off offset:1568 ; 16-byte Folded Spill
	scratch_store_dwordx4 off, v[56:59], off offset:1584 ; 16-byte Folded Spill
	;; [unrolled: 1-line block ×7, first 2 shown]
	v_mov_b32_e32 v70, v180
	v_mov_b32_e32 v71, v181
	;; [unrolled: 1-line block ×45, first 2 shown]
	v_mov_b64_e32 v[88:89], v[62:63]
	v_mov_b64_e32 v[92:93], v[66:67]
	;; [unrolled: 1-line block ×10, first 2 shown]
	scratch_store_dwordx4 off, v[48:51], off offset:1296 ; 16-byte Folded Spill
	s_nop 0
	scratch_store_dwordx4 off, v[52:55], off offset:1312 ; 16-byte Folded Spill
	scratch_store_dwordx4 off, v[56:59], off offset:1328 ; 16-byte Folded Spill
	;; [unrolled: 1-line block ×7, first 2 shown]
	v_mov_b32_e32 v70, v180
	v_mov_b32_e32 v72, v118
	;; [unrolled: 1-line block ×7, first 2 shown]
	scratch_store_dwordx4 off, v[48:51], off offset:1040 ; 16-byte Folded Spill
	s_nop 0
	scratch_store_dwordx4 off, v[52:55], off offset:1056 ; 16-byte Folded Spill
	scratch_store_dwordx4 off, v[56:59], off offset:1072 ; 16-byte Folded Spill
	scratch_store_dwordx4 off, v[60:63], off offset:1088 ; 16-byte Folded Spill
	scratch_store_dwordx4 off, v[64:67], off offset:1104 ; 16-byte Folded Spill
	scratch_store_dwordx4 off, v[68:71], off offset:1120 ; 16-byte Folded Spill
	scratch_store_dwordx4 off, v[72:75], off offset:1136 ; 16-byte Folded Spill
	scratch_store_dwordx4 off, v[76:79], off offset:1152 ; 16-byte Folded Spill
	ds_read2_b32 v[4:5], v1 offset0:26 offset1:27
	ds_read2_b32 v[8:9], v1 offset0:28 offset1:29
	v_mov_b32_e32 v68, v34
	v_mov_b32_e32 v69, v35
	v_mov_b32_e32 v70, v36
	s_waitcnt lgkmcnt(1)
	v_pk_fma_f32 v[250:251], v[0:1], v[4:5], v[6:7] op_sel_hi:[0,1,1] neg_lo:[1,0,0] neg_hi:[1,0,0]
	s_waitcnt lgkmcnt(0)
	v_pk_fma_f32 v[92:93], v[0:1], v[8:9], v[2:3] op_sel_hi:[0,1,1] neg_lo:[1,0,0] neg_hi:[1,0,0]
	scratch_load_dwordx2 v[2:3], off, off offset:132 ; 8-byte Folded Reload
	ds_read_b32 v1, v1 offset:120
	s_waitcnt vmcnt(0)
	v_mov_b32_e32 v2, v32
	v_mov_b32_e32 v4, v34
	;; [unrolled: 1-line block ×18, first 2 shown]
	v_mov_b64_e32 v[48:49], v[74:75]
	v_mov_b64_e32 v[50:51], v[76:77]
	;; [unrolled: 1-line block ×8, first 2 shown]
	v_mov_b32_e32 v81, v0
	v_mov_b32_e32 v18, v66
	;; [unrolled: 1-line block ×3, first 2 shown]
	v_mov_b64_e32 v[200:201], v[66:67]
	v_mov_b64_e32 v[198:199], v[64:65]
	;; [unrolled: 1-line block ×3, first 2 shown]
	s_waitcnt lgkmcnt(0)
	v_fma_f32 v222, -v0, v1, v3
	v_mov_b32_e32 v0, v30
	v_mov_b32_e32 v1, v31
	;; [unrolled: 1-line block ×3, first 2 shown]
	scratch_store_dwordx4 off, v[0:3], off offset:912 ; 16-byte Folded Spill
	s_nop 0
	scratch_store_dwordx4 off, v[4:7], off offset:928 ; 16-byte Folded Spill
	scratch_store_dwordx4 off, v[8:11], off offset:944 ; 16-byte Folded Spill
	;; [unrolled: 1-line block ×7, first 2 shown]
	v_mov_b64_e32 v[16:17], v[198:199]
	v_mov_b64_e32 v[194:195], v[60:61]
	v_mov_b64_e32 v[192:193], v[58:59]
	v_mov_b64_e32 v[18:19], v[200:201]
	v_mov_b32_e32 v194, v32
	v_mov_b32_e32 v195, v33
	;; [unrolled: 1-line block ×10, first 2 shown]
	v_mov_b64_e32 v[190:191], v[56:57]
	v_mov_b64_e32 v[188:189], v[54:55]
	;; [unrolled: 1-line block ×5, first 2 shown]
	v_mov_b32_e32 v66, v32
	v_mov_b32_e32 v67, v33
	;; [unrolled: 1-line block ×24, first 2 shown]
	scratch_store_dwordx4 off, v[192:195], off offset:4 ; 16-byte Folded Spill
	s_nop 0
	scratch_store_dwordx4 off, v[196:199], off offset:20 ; 16-byte Folded Spill
	scratch_store_dwordx4 off, v[200:203], off offset:36 ; 16-byte Folded Spill
	;; [unrolled: 1-line block ×8, first 2 shown]
	s_nop 0
	scratch_store_dwordx4 off, v[34:37], off offset:2592 ; 16-byte Folded Spill
	scratch_store_dwordx4 off, v[38:41], off offset:2608 ; 16-byte Folded Spill
	;; [unrolled: 1-line block ×7, first 2 shown]
	scratch_store_dwordx2 off, v[28:29], off offset:132 ; 8-byte Folded Spill
	v_mov_b64_e32 v[46:47], v[18:19]
	v_mov_b64_e32 v[44:45], v[16:17]
	v_mov_b32_e32 v120, v46
	v_mov_b64_e32 v[28:29], v[48:49]
	v_mov_b64_e32 v[30:31], v[50:51]
	v_mov_b64_e32 v[32:33], v[52:53]
	v_mov_b64_e32 v[34:35], v[54:55]
	v_mov_b64_e32 v[36:37], v[56:57]
	v_mov_b64_e32 v[38:39], v[58:59]
	v_mov_b64_e32 v[40:41], v[60:61]
	v_mov_b64_e32 v[42:43], v[62:63]
	scratch_store_dwordx4 off, v[28:31], off offset:528 ; 16-byte Folded Spill
	s_nop 0
	scratch_store_dwordx4 off, v[32:35], off offset:544 ; 16-byte Folded Spill
	scratch_store_dwordx4 off, v[36:39], off offset:560 ; 16-byte Folded Spill
	;; [unrolled: 1-line block ×8, first 2 shown]
	s_nop 0
	scratch_store_dwordx4 off, v[126:129], off offset:416 ; 16-byte Folded Spill
	scratch_store_dwordx4 off, v[130:133], off offset:432 ; 16-byte Folded Spill
	;; [unrolled: 1-line block ×7, first 2 shown]
	v_mov_b32_e32 v34, v180
	scratch_store_dwordx4 off, v[158:161], off offset:656 ; 16-byte Folded Spill
	s_nop 0
	scratch_store_dwordx4 off, v[162:165], off offset:672 ; 16-byte Folded Spill
	scratch_store_dwordx4 off, v[166:169], off offset:688 ; 16-byte Folded Spill
	;; [unrolled: 1-line block ×7, first 2 shown]
	v_mov_b32_e32 v138, v250
	v_mov_b32_e32 v184, v118
	v_mov_b64_e32 v[52:53], v[80:81]
	v_mov_b64_e32 v[54:55], v[82:83]
	;; [unrolled: 1-line block ×6, first 2 shown]
	scratch_store_dwordx4 off, v[94:97], off offset:272 ; 16-byte Folded Spill
	s_nop 0
	scratch_store_dwordx4 off, v[98:101], off offset:288 ; 16-byte Folded Spill
	scratch_store_dwordx4 off, v[102:105], off offset:304 ; 16-byte Folded Spill
	;; [unrolled: 1-line block ×8, first 2 shown]
	s_nop 0
	scratch_store_dwordx4 off, v[228:231], off offset:160 ; 16-byte Folded Spill
	scratch_store_dwordx4 off, v[232:235], off offset:176 ; 16-byte Folded Spill
	scratch_store_dwordx4 off, v[236:239], off offset:192 ; 16-byte Folded Spill
	scratch_store_dwordx4 off, v[240:243], off offset:208 ; 16-byte Folded Spill
	scratch_store_dwordx4 off, v[244:247], off offset:224 ; 16-byte Folded Spill
	scratch_store_dwordx4 off, v[248:251], off offset:240 ; 16-byte Folded Spill
	scratch_store_dwordx4 off, v[252:255], off offset:256 ; 16-byte Folded Spill
	v_mov_b32_e32 v29, v47
	v_mov_b64_e32 v[36:37], v[64:65]
	v_mov_b64_e32 v[38:39], v[66:67]
	v_mov_b64_e32 v[40:41], v[68:69]
	v_mov_b64_e32 v[42:43], v[70:71]
	v_mov_b64_e32 v[44:45], v[72:73]
	v_mov_b64_e32 v[46:47], v[74:75]
	v_mov_b64_e32 v[48:49], v[76:77]
	v_mov_b64_e32 v[50:51], v[78:79]
	v_mov_b32_e32 v64, v92
	scratch_store_dwordx4 off, v[36:39], off offset:784 ; 16-byte Folded Spill
	s_nop 0
	scratch_store_dwordx4 off, v[40:43], off offset:800 ; 16-byte Folded Spill
	scratch_store_dwordx4 off, v[44:47], off offset:816 ; 16-byte Folded Spill
	;; [unrolled: 1-line block ×7, first 2 shown]
	v_mov_b32_e32 v37, v29
	v_mov_b32_e32 v234, v92
	;; [unrolled: 1-line block ×4, first 2 shown]
.LBB61_93:
	s_or_b64 exec, exec, s[2:3]
	v_cmp_eq_u32_e32 vcc, 18, v254
	s_waitcnt lgkmcnt(0)
	s_barrier
	s_and_saveexec_b64 s[2:3], vcc
	s_cbranch_execz .LBB61_96
; %bb.94:
	ds_write_b32 v255, v32
	scratch_load_dwordx4 v[38:41], off, off offset:4 ; 16-byte Folded Reload
	scratch_load_dwordx4 v[42:45], off, off offset:20 ; 16-byte Folded Reload
	;; [unrolled: 1-line block ×8, first 2 shown]
	scratch_load_dword v28, off, off offset:140 ; 4-byte Folded Reload
	s_waitcnt vmcnt(0)
	ds_write2_b32 v28, v57, v58 offset0:19 offset1:20
	ds_write2_b32 v28, v59, v60 offset0:21 offset1:22
	;; [unrolled: 1-line block ×6, first 2 shown]
	ds_read_b32 v28, v255
	s_waitcnt lgkmcnt(0)
	v_cmp_neq_f32_e32 vcc, 0, v28
	s_and_b64 exec, exec, vcc
	s_cbranch_execz .LBB61_96
; %bb.95:
	v_div_scale_f32 v29, s[4:5], v28, v28, 1.0
	v_rcp_f32_e32 v30, v29
	v_div_scale_f32 v31, vcc, 1.0, v28, 1.0
	v_fma_f32 v56, -v29, v30, 1.0
	v_fmac_f32_e32 v30, v56, v30
	v_mul_f32_e32 v56, v31, v30
	v_fma_f32 v57, -v29, v56, v31
	v_fmac_f32_e32 v56, v57, v30
	v_fma_f32 v29, -v29, v56, v31
	v_div_fmas_f32 v29, v29, v30, v56
	v_div_fixup_f32 v28, v29, v28, 1.0
	ds_write_b32 v255, v28
.LBB61_96:
	s_or_b64 exec, exec, s[2:3]
	s_waitcnt lgkmcnt(0)
	s_barrier
	ds_read_b32 v148, v255
	v_cmp_lt_u32_e32 vcc, 18, v254
	s_mov_b64 s[2:3], exec
	s_and_b64 s[4:5], s[2:3], vcc
	v_mov_b32_e32 v106, v34
	s_mov_b64 exec, s[4:5]
	s_cbranch_execz .LBB61_98
; %bb.97:
	v_mov_b32_e32 v18, v32
	scratch_load_dwordx4 v[32:35], off, off offset:2576 ; 16-byte Folded Reload
	scratch_load_dwordx4 v[36:39], off, off offset:2592 ; 16-byte Folded Reload
	;; [unrolled: 1-line block ×8, first 2 shown]
	scratch_load_dword v10, off, off offset:140 ; 4-byte Folded Reload
	s_waitcnt vmcnt(4) lgkmcnt(0)
	v_mul_f32_e32 v50, v18, v148
	v_mov_b32_e32 v18, v50
	v_mov_b32_e32 v242, v50
	;; [unrolled: 1-line block ×12, first 2 shown]
	s_waitcnt vmcnt(0)
	ds_read2_b32 v[0:1], v10 offset0:19 offset1:20
	scratch_load_dwordx4 v[52:55], off, off offset:4 ; 16-byte Folded Reload
	scratch_load_dwordx4 v[56:59], off, off offset:20 ; 16-byte Folded Reload
	;; [unrolled: 1-line block ×8, first 2 shown]
	ds_read2_b32 v[4:5], v10 offset0:21 offset1:22
	ds_read2_b32 v[6:7], v10 offset0:23 offset1:24
	;; [unrolled: 1-line block ×3, first 2 shown]
	v_mov_b32_e32 v17, v49
	v_mov_b32_e32 v226, v34
	;; [unrolled: 1-line block ×53, first 2 shown]
	s_waitcnt vmcnt(0)
	v_mov_b32_e32 v222, v82
	v_mov_b32_e32 v212, v72
	;; [unrolled: 1-line block ×7, first 2 shown]
	s_waitcnt lgkmcnt(3)
	v_pk_fma_f32 v[28:29], v[50:51], v[0:1], v[2:3] op_sel_hi:[0,1,1] neg_lo:[1,0,0] neg_hi:[1,0,0]
	v_mov_b32_e32 v1, v214
	v_mov_b32_e32 v0, v213
	ds_read2_b32 v[2:3], v10 offset0:27 offset1:28
	v_mov_b32_e32 v216, v76
	v_mov_b32_e32 v215, v75
	s_waitcnt lgkmcnt(3)
	v_pk_fma_f32 v[30:31], v[50:51], v[4:5], v[0:1] op_sel_hi:[0,1,1] neg_lo:[1,0,0] neg_hi:[1,0,0]
	ds_read2_b32 v[4:5], v10 offset0:29 offset1:30
	v_mov_b32_e32 v218, v78
	v_mov_b32_e32 v217, v77
	;; [unrolled: 1-line block ×6, first 2 shown]
	s_waitcnt lgkmcnt(3)
	v_pk_fma_f32 v[56:57], v[50:51], v[6:7], v[0:1] op_sel_hi:[0,1,1] neg_lo:[1,0,0] neg_hi:[1,0,0]
	v_mov_b32_e32 v1, v218
	v_mov_b32_e32 v0, v217
	;; [unrolled: 1-line block ×3, first 2 shown]
	s_waitcnt lgkmcnt(2)
	v_pk_fma_f32 v[58:59], v[50:51], v[8:9], v[0:1] op_sel_hi:[0,1,1] neg_lo:[1,0,0] neg_hi:[1,0,0]
	v_mov_b32_e32 v1, v220
	v_mov_b32_e32 v0, v219
	s_waitcnt lgkmcnt(1)
	v_pk_fma_f32 v[60:61], v[50:51], v[2:3], v[0:1] op_sel_hi:[0,1,1] neg_lo:[1,0,0] neg_hi:[1,0,0]
	v_mov_b32_e32 v1, v222
	v_mov_b32_e32 v0, v221
	;; [unrolled: 4-line block ×3, first 2 shown]
	v_mov_b32_e32 v2, v34
	v_mov_b32_e32 v3, v35
	;; [unrolled: 1-line block ×12, first 2 shown]
	scratch_store_dwordx4 off, v[0:3], off offset:400 ; 16-byte Folded Spill
	s_nop 0
	scratch_store_dwordx4 off, v[4:7], off offset:416 ; 16-byte Folded Spill
	scratch_store_dwordx4 off, v[8:11], off offset:432 ; 16-byte Folded Spill
	;; [unrolled: 1-line block ×7, first 2 shown]
	v_mov_b32_e32 v247, v56
	v_mov_b32_e32 v248, v57
	;; [unrolled: 1-line block ×17, first 2 shown]
	scratch_store_dwordx4 off, v[0:3], off offset:1552 ; 16-byte Folded Spill
	s_nop 0
	scratch_store_dwordx4 off, v[4:7], off offset:1568 ; 16-byte Folded Spill
	scratch_store_dwordx4 off, v[8:11], off offset:1584 ; 16-byte Folded Spill
	;; [unrolled: 1-line block ×7, first 2 shown]
	v_mov_b32_e32 v22, v31
	scratch_store_dwordx4 off, v[0:3], off offset:656 ; 16-byte Folded Spill
	s_nop 0
	scratch_store_dwordx4 off, v[4:7], off offset:672 ; 16-byte Folded Spill
	scratch_store_dwordx4 off, v[8:11], off offset:688 ; 16-byte Folded Spill
	;; [unrolled: 1-line block ×7, first 2 shown]
	v_mov_b32_e32 v23, v56
	scratch_store_dwordx4 off, v[0:3], off offset:1296 ; 16-byte Folded Spill
	s_nop 0
	scratch_store_dwordx4 off, v[4:7], off offset:1312 ; 16-byte Folded Spill
	scratch_store_dwordx4 off, v[8:11], off offset:1328 ; 16-byte Folded Spill
	;; [unrolled: 1-line block ×7, first 2 shown]
	s_nop 0
	v_mov_b32_e32 v24, v57
	v_mov_b32_e32 v25, v58
	;; [unrolled: 1-line block ×6, first 2 shown]
	scratch_store_dwordx4 off, v[224:227], off offset:272 ; 16-byte Folded Spill
	s_nop 0
	scratch_store_dwordx4 off, v[228:231], off offset:288 ; 16-byte Folded Spill
	scratch_store_dwordx4 off, v[232:235], off offset:304 ; 16-byte Folded Spill
	;; [unrolled: 1-line block ×8, first 2 shown]
	s_nop 0
	scratch_store_dwordx4 off, v[4:7], off offset:1056 ; 16-byte Folded Spill
	scratch_store_dwordx4 off, v[8:11], off offset:1072 ; 16-byte Folded Spill
	;; [unrolled: 1-line block ×7, first 2 shown]
	s_nop 0
	v_mov_b32_e32 v26, v59
	scratch_store_dwordx4 off, v[0:3], off offset:144 ; 16-byte Folded Spill
	s_nop 0
	scratch_store_dwordx4 off, v[4:7], off offset:160 ; 16-byte Folded Spill
	scratch_store_dwordx4 off, v[8:11], off offset:176 ; 16-byte Folded Spill
	;; [unrolled: 1-line block ×7, first 2 shown]
	s_nop 0
	v_mov_b32_e32 v27, v60
	scratch_store_dwordx4 off, v[0:3], off offset:912 ; 16-byte Folded Spill
	s_nop 0
	scratch_store_dwordx4 off, v[4:7], off offset:928 ; 16-byte Folded Spill
	scratch_store_dwordx4 off, v[8:11], off offset:944 ; 16-byte Folded Spill
	;; [unrolled: 1-line block ×7, first 2 shown]
	v_mov_b32_e32 v179, v28
	v_mov_b32_e32 v180, v29
	;; [unrolled: 1-line block ×8, first 2 shown]
	scratch_store_dwordx4 off, v[160:163], off offset:784 ; 16-byte Folded Spill
	s_nop 0
	scratch_store_dwordx4 off, v[164:167], off offset:800 ; 16-byte Folded Spill
	scratch_store_dwordx4 off, v[168:171], off offset:816 ; 16-byte Folded Spill
	;; [unrolled: 1-line block ×7, first 2 shown]
	scratch_store_dwordx2 off, v[62:63], off offset:132 ; 8-byte Folded Spill
	scratch_store_dwordx4 off, v[192:195], off offset:4 ; 16-byte Folded Spill
	s_nop 0
	scratch_store_dwordx4 off, v[196:199], off offset:20 ; 16-byte Folded Spill
	scratch_store_dwordx4 off, v[200:203], off offset:36 ; 16-byte Folded Spill
	scratch_store_dwordx4 off, v[204:207], off offset:52 ; 16-byte Folded Spill
	scratch_store_dwordx4 off, v[208:211], off offset:68 ; 16-byte Folded Spill
	scratch_store_dwordx4 off, v[212:215], off offset:84 ; 16-byte Folded Spill
	scratch_store_dwordx4 off, v[216:219], off offset:100 ; 16-byte Folded Spill
	scratch_store_dwordx4 off, v[220:223], off offset:116 ; 16-byte Folded Spill
	scratch_store_dwordx4 off, v[32:35], off offset:1936 ; 16-byte Folded Spill
	s_nop 0
	scratch_store_dwordx4 off, v[36:39], off offset:1952 ; 16-byte Folded Spill
	scratch_store_dwordx4 off, v[40:43], off offset:1968 ; 16-byte Folded Spill
	scratch_store_dwordx4 off, v[44:47], off offset:1984 ; 16-byte Folded Spill
	scratch_store_dwordx4 off, v[48:51], off offset:2000 ; 16-byte Folded Spill
	scratch_store_dwordx4 off, v[52:55], off offset:2016 ; 16-byte Folded Spill
	scratch_store_dwordx4 off, v[56:59], off offset:2032 ; 16-byte Folded Spill
	scratch_store_dwordx4 off, v[60:63], off offset:2048 ; 16-byte Folded Spill
	;; [unrolled: 9-line block ×3, first 2 shown]
	v_mov_b32_e32 v37, v28
	v_mov_b32_e32 v182, v29
	v_mov_b32_e32 v143, v30
	v_mov_b32_e32 v106, v31
	v_mov_b32_e32 v181, v56
	v_mov_b32_e32 v249, v58
	v_mov_b32_e32 v138, v59
	v_mov_b32_e32 v185, v60
	v_mov_b32_e32 v234, v61
.LBB61_98:
	s_or_b64 exec, exec, s[2:3]
	v_mov_b32_e32 v105, v249
	v_cmp_eq_u32_e32 vcc, 19, v254
	s_waitcnt lgkmcnt(0)
	s_barrier
	s_and_saveexec_b64 s[2:3], vcc
	s_cbranch_execz .LBB61_101
; %bb.99:
	ds_write_b32 v255, v37
	scratch_load_dwordx4 v[38:41], off, off offset:4 ; 16-byte Folded Reload
	scratch_load_dwordx4 v[42:45], off, off offset:20 ; 16-byte Folded Reload
	;; [unrolled: 1-line block ×8, first 2 shown]
	scratch_load_dword v30, off, off offset:140 ; 4-byte Folded Reload
	s_waitcnt vmcnt(0)
	ds_write2_b32 v30, v58, v59 offset0:20 offset1:21
	ds_write2_b32 v30, v60, v61 offset0:22 offset1:23
	;; [unrolled: 1-line block ×5, first 2 shown]
	scratch_load_dwordx2 v[28:29], off, off offset:132 ; 8-byte Folded Reload
	s_waitcnt vmcnt(0)
	ds_write_b32 v30, v29 offset:120
	ds_read_b32 v28, v255
	s_waitcnt lgkmcnt(0)
	v_cmp_neq_f32_e32 vcc, 0, v28
	s_and_b64 exec, exec, vcc
	s_cbranch_execz .LBB61_101
; %bb.100:
	v_div_scale_f32 v29, s[4:5], v28, v28, 1.0
	v_rcp_f32_e32 v30, v29
	v_div_scale_f32 v31, vcc, 1.0, v28, 1.0
	v_fma_f32 v56, -v29, v30, 1.0
	v_fmac_f32_e32 v30, v56, v30
	v_mul_f32_e32 v56, v31, v30
	v_fma_f32 v57, -v29, v56, v31
	v_fmac_f32_e32 v56, v57, v30
	v_fma_f32 v29, -v29, v56, v31
	v_div_fmas_f32 v29, v29, v30, v56
	v_div_fixup_f32 v28, v29, v28, 1.0
	ds_write_b32 v255, v28
.LBB61_101:
	s_or_b64 exec, exec, s[2:3]
	s_waitcnt lgkmcnt(0)
	s_barrier
	ds_read_b32 v149, v255
	v_cmp_lt_u32_e32 vcc, 19, v254
	s_and_saveexec_b64 s[2:3], vcc
	s_cbranch_execz .LBB61_103
; %bb.102:
	scratch_load_dword v1, off, off offset:140 ; 4-byte Folded Reload
	s_waitcnt lgkmcnt(0)
	v_mul_f32_e32 v0, v37, v149
	v_mov_b32_e32 v69, v0
	v_mov_b32_e32 v141, v0
	;; [unrolled: 1-line block ×6, first 2 shown]
	s_waitcnt vmcnt(0)
	ds_read2_b32 v[2:3], v1 offset0:20 offset1:21
	scratch_load_dwordx4 v[4:7], off, off offset:4 ; 16-byte Folded Reload
	scratch_load_dwordx4 v[8:11], off, off offset:20 ; 16-byte Folded Reload
	;; [unrolled: 1-line block ×8, first 2 shown]
	s_waitcnt vmcnt(7)
	ds_read2_b32 v[6:7], v1 offset0:22 offset1:23
	s_waitcnt vmcnt(6)
	ds_read2_b32 v[8:9], v1 offset0:24 offset1:25
	ds_read2_b32 v[10:11], v1 offset0:26 offset1:27
	s_waitcnt vmcnt(4)
	v_mov_b32_e32 v19, v0
	s_waitcnt vmcnt(0)
	v_mov_b64_e32 v[220:221], v[32:33]
	v_mov_b64_e32 v[218:219], v[30:31]
	;; [unrolled: 1-line block ×5, first 2 shown]
	scratch_load_dwordx4 v[30:33], off, off offset:528 ; 16-byte Folded Reload
	scratch_load_dwordx4 v[34:37], off, off offset:544 ; 16-byte Folded Reload
	;; [unrolled: 1-line block ×8, first 2 shown]
	v_mov_b32_e32 v4, v212
	v_mov_b32_e32 v5, v213
	s_waitcnt lgkmcnt(3)
	v_pk_fma_f32 v[142:143], v[0:1], v[2:3], v[4:5] op_sel_hi:[0,1,1] neg_lo:[1,0,0] neg_hi:[1,0,0]
	v_mov_b32_e32 v70, v142
	v_mov_b32_e32 v71, v143
	;; [unrolled: 1-line block ×4, first 2 shown]
	s_waitcnt lgkmcnt(2)
	v_pk_fma_f32 v[180:181], v[0:1], v[6:7], v[2:3] op_sel_hi:[0,1,1] neg_lo:[1,0,0] neg_hi:[1,0,0]
	v_mov_b32_e32 v2, v216
	v_mov_b32_e32 v3, v217
	s_waitcnt lgkmcnt(1)
	v_pk_fma_f32 v[104:105], v[0:1], v[8:9], v[2:3] op_sel_hi:[0,1,1] neg_lo:[1,0,0] neg_hi:[1,0,0]
	v_mov_b32_e32 v2, v218
	v_mov_b32_e32 v3, v219
	;; [unrolled: 4-line block ×3, first 2 shown]
	s_waitcnt vmcnt(3)
	v_mov_b32_e32 v49, v0
	v_mov_b32_e32 v20, v142
	;; [unrolled: 1-line block ×31, first 2 shown]
	s_waitcnt vmcnt(2)
	v_mov_b32_e32 v50, v30
	v_mov_b32_e32 v51, v31
	v_mov_b32_e32 v52, v32
	v_mov_b32_e32 v53, v33
	s_waitcnt vmcnt(1)
	v_mov_b32_e32 v54, v34
	v_mov_b32_e32 v55, v35
	v_mov_b32_e32 v56, v36
	v_mov_b32_e32 v57, v37
	;; [unrolled: 5-line block ×3, first 2 shown]
	v_mov_b32_e32 v62, v42
	v_mov_b32_e32 v63, v43
	;; [unrolled: 1-line block ×7, first 2 shown]
	scratch_store_dwordx4 off, v[50:53], off offset:1552 ; 16-byte Folded Spill
	s_nop 0
	scratch_store_dwordx4 off, v[54:57], off offset:1568 ; 16-byte Folded Spill
	scratch_store_dwordx4 off, v[58:61], off offset:1584 ; 16-byte Folded Spill
	;; [unrolled: 1-line block ×7, first 2 shown]
	v_mov_b32_e32 v72, v180
	v_mov_b32_e32 v73, v181
	;; [unrolled: 1-line block ×53, first 2 shown]
	scratch_store_dwordx4 off, v[50:53], off offset:1296 ; 16-byte Folded Spill
	s_nop 0
	scratch_store_dwordx4 off, v[54:57], off offset:1312 ; 16-byte Folded Spill
	scratch_store_dwordx4 off, v[58:61], off offset:1328 ; 16-byte Folded Spill
	;; [unrolled: 1-line block ×7, first 2 shown]
	s_nop 1
	v_mov_b32_e32 v80, v30
	v_mov_b32_e32 v81, v31
	;; [unrolled: 1-line block ×53, first 2 shown]
	scratch_store_dwordx4 off, v[50:53], off offset:1040 ; 16-byte Folded Spill
	s_nop 0
	scratch_store_dwordx4 off, v[54:57], off offset:1056 ; 16-byte Folded Spill
	scratch_store_dwordx4 off, v[58:61], off offset:1072 ; 16-byte Folded Spill
	;; [unrolled: 1-line block ×7, first 2 shown]
	ds_read2_b32 v[2:3], v1 offset0:28 offset1:29
	v_mov_b32_e32 v239, v45
	v_mov_b32_e32 v240, v46
	;; [unrolled: 1-line block ×4, first 2 shown]
	s_waitcnt lgkmcnt(0)
	v_pk_fma_f32 v[78:79], v[0:1], v[2:3], v[4:5] op_sel_hi:[0,1,1] neg_lo:[1,0,0] neg_hi:[1,0,0]
	scratch_load_dwordx2 v[2:3], off, off offset:132 ; 8-byte Folded Reload
	ds_read_b32 v1, v1 offset:120
	s_waitcnt vmcnt(0)
	v_mov_b32_e32 v2, v32
	v_mov_b32_e32 v4, v34
	;; [unrolled: 1-line block ×7, first 2 shown]
	s_waitcnt lgkmcnt(0)
	v_fma_f32 v222, -v0, v1, v3
	v_mov_b32_e32 v0, v30
	v_mov_b32_e32 v1, v31
	;; [unrolled: 1-line block ×3, first 2 shown]
	scratch_store_dwordx4 off, v[0:3], off offset:912 ; 16-byte Folded Spill
	s_nop 0
	scratch_store_dwordx4 off, v[4:7], off offset:928 ; 16-byte Folded Spill
	scratch_store_dwordx4 off, v[8:11], off offset:944 ; 16-byte Folded Spill
	;; [unrolled: 1-line block ×7, first 2 shown]
	v_mov_b32_e32 v192, v30
	v_mov_b32_e32 v193, v31
	;; [unrolled: 1-line block ×3, first 2 shown]
	scratch_store_dwordx4 off, v[192:195], off offset:4 ; 16-byte Folded Spill
	s_nop 0
	scratch_store_dwordx4 off, v[196:199], off offset:20 ; 16-byte Folded Spill
	scratch_store_dwordx4 off, v[200:203], off offset:36 ; 16-byte Folded Spill
	;; [unrolled: 1-line block ×8, first 2 shown]
	s_nop 0
	scratch_store_dwordx4 off, v[34:37], off offset:1952 ; 16-byte Folded Spill
	scratch_store_dwordx4 off, v[38:41], off offset:1968 ; 16-byte Folded Spill
	;; [unrolled: 1-line block ×7, first 2 shown]
	v_mov_b32_e32 v28, v79
	scratch_store_dwordx2 off, v[28:29], off offset:132 ; 8-byte Folded Spill
	scratch_store_dwordx4 off, v[122:125], off offset:400 ; 16-byte Folded Spill
	s_nop 0
	scratch_store_dwordx4 off, v[126:129], off offset:416 ; 16-byte Folded Spill
	scratch_store_dwordx4 off, v[130:133], off offset:432 ; 16-byte Folded Spill
	;; [unrolled: 1-line block ×8, first 2 shown]
	s_nop 0
	scratch_store_dwordx4 off, v[162:165], off offset:672 ; 16-byte Folded Spill
	scratch_store_dwordx4 off, v[166:169], off offset:688 ; 16-byte Folded Spill
	;; [unrolled: 1-line block ×7, first 2 shown]
	v_mov_b32_e32 v138, v250
	v_mov_b32_e32 v184, v104
	scratch_store_dwordx4 off, v[80:83], off offset:272 ; 16-byte Folded Spill
	s_nop 0
	scratch_store_dwordx4 off, v[84:87], off offset:288 ; 16-byte Folded Spill
	scratch_store_dwordx4 off, v[88:91], off offset:304 ; 16-byte Folded Spill
	;; [unrolled: 1-line block ×8, first 2 shown]
	s_nop 0
	scratch_store_dwordx4 off, v[228:231], off offset:160 ; 16-byte Folded Spill
	scratch_store_dwordx4 off, v[232:235], off offset:176 ; 16-byte Folded Spill
	;; [unrolled: 1-line block ×7, first 2 shown]
	v_mov_b32_e32 v234, v78
	v_mov_b64_e32 v[28:29], v[50:51]
	v_mov_b64_e32 v[30:31], v[52:53]
	;; [unrolled: 1-line block ×9, first 2 shown]
	v_mov_b32_e32 v185, v251
	v_mov_b64_e32 v[46:47], v[68:69]
	v_mov_b64_e32 v[48:49], v[70:71]
	;; [unrolled: 1-line block ×5, first 2 shown]
	v_mov_b32_e32 v56, v78
	scratch_store_dwordx4 off, v[28:31], off offset:784 ; 16-byte Folded Spill
	s_nop 0
	scratch_store_dwordx4 off, v[32:35], off offset:800 ; 16-byte Folded Spill
	scratch_store_dwordx4 off, v[36:39], off offset:816 ; 16-byte Folded Spill
	;; [unrolled: 1-line block ×7, first 2 shown]
.LBB61_103:
	s_or_b64 exec, exec, s[2:3]
	v_cmp_eq_u32_e32 vcc, 20, v254
	s_waitcnt lgkmcnt(0)
	s_barrier
	s_and_saveexec_b64 s[2:3], vcc
	s_cbranch_execz .LBB61_106
; %bb.104:
	ds_write_b32 v255, v182
	scratch_load_dwordx4 v[28:31], off, off offset:4 ; 16-byte Folded Reload
	scratch_load_dwordx4 v[32:35], off, off offset:20 ; 16-byte Folded Reload
	;; [unrolled: 1-line block ×8, first 2 shown]
	scratch_load_dword v28, off, off offset:140 ; 4-byte Folded Reload
	s_waitcnt vmcnt(0)
	ds_write2_b32 v28, v49, v50 offset0:21 offset1:22
	ds_write2_b32 v28, v51, v52 offset0:23 offset1:24
	;; [unrolled: 1-line block ×5, first 2 shown]
	ds_read_b32 v28, v255
	s_waitcnt lgkmcnt(0)
	v_cmp_neq_f32_e32 vcc, 0, v28
	s_and_b64 exec, exec, vcc
	s_cbranch_execz .LBB61_106
; %bb.105:
	v_div_scale_f32 v29, s[4:5], v28, v28, 1.0
	v_rcp_f32_e32 v30, v29
	v_div_scale_f32 v31, vcc, 1.0, v28, 1.0
	v_fma_f32 v56, -v29, v30, 1.0
	v_fmac_f32_e32 v30, v56, v30
	v_mul_f32_e32 v56, v31, v30
	v_fma_f32 v57, -v29, v56, v31
	v_fmac_f32_e32 v56, v57, v30
	v_fma_f32 v29, -v29, v56, v31
	v_div_fmas_f32 v29, v29, v30, v56
	v_div_fixup_f32 v28, v29, v28, 1.0
	ds_write_b32 v255, v28
.LBB61_106:
	s_or_b64 exec, exec, s[2:3]
	s_waitcnt lgkmcnt(0)
	s_barrier
	ds_read_b32 v126, v255
	v_cmp_lt_u32_e32 vcc, 20, v254
	s_and_saveexec_b64 s[2:3], vcc
	s_cbranch_execz .LBB61_108
; %bb.107:
	scratch_load_dwordx4 v[32:35], off, off offset:1936 ; 16-byte Folded Reload
	scratch_load_dwordx4 v[36:39], off, off offset:1952 ; 16-byte Folded Reload
	;; [unrolled: 1-line block ×8, first 2 shown]
	scratch_load_dword v10, off, off offset:140 ; 4-byte Folded Reload
	s_waitcnt vmcnt(3) lgkmcnt(0)
	v_mul_f32_e32 v52, v182, v126
	v_mov_b32_e32 v20, v52
	v_mov_b32_e32 v244, v52
	;; [unrolled: 1-line block ×12, first 2 shown]
	s_waitcnt vmcnt(0)
	ds_read2_b32 v[0:1], v10 offset0:21 offset1:22
	scratch_load_dwordx4 v[54:57], off, off offset:4 ; 16-byte Folded Reload
	scratch_load_dwordx4 v[58:61], off, off offset:20 ; 16-byte Folded Reload
	;; [unrolled: 1-line block ×8, first 2 shown]
	ds_read2_b32 v[4:5], v10 offset0:23 offset1:24
	ds_read2_b32 v[6:7], v10 offset0:25 offset1:26
	;; [unrolled: 1-line block ×3, first 2 shown]
	v_mov_b32_e32 v17, v49
	v_mov_b32_e32 v18, v50
	v_mov_b32_e32 v19, v51
	v_mov_b32_e32 v226, v34
	v_mov_b32_e32 v227, v35
	v_mov_b32_e32 v228, v36
	v_mov_b32_e32 v229, v37
	v_mov_b32_e32 v230, v38
	v_mov_b32_e32 v231, v39
	v_mov_b32_e32 v232, v40
	v_mov_b32_e32 v233, v41
	v_mov_b32_e32 v234, v42
	v_mov_b32_e32 v235, v43
	v_mov_b32_e32 v236, v44
	v_mov_b32_e32 v237, v45
	v_mov_b32_e32 v238, v46
	v_mov_b32_e32 v239, v47
	v_mov_b32_e32 v240, v48
	v_mov_b32_e32 v241, v49
	v_mov_b32_e32 v242, v50
	v_mov_b32_e32 v243, v51
	v_mov_b32_e32 v160, v32
	v_mov_b32_e32 v161, v33
	v_mov_b32_e32 v162, v34
	v_mov_b32_e32 v163, v35
	v_mov_b32_e32 v164, v36
	v_mov_b32_e32 v165, v37
	v_mov_b32_e32 v166, v38
	v_mov_b32_e32 v167, v39
	v_mov_b32_e32 v168, v40
	v_mov_b32_e32 v169, v41
	v_mov_b32_e32 v170, v42
	v_mov_b32_e32 v171, v43
	v_mov_b32_e32 v172, v44
	v_mov_b32_e32 v173, v45
	v_mov_b32_e32 v174, v46
	v_mov_b32_e32 v175, v47
	v_mov_b32_e32 v176, v48
	v_mov_b32_e32 v177, v49
	v_mov_b32_e32 v178, v50
	v_mov_b32_e32 v179, v51
	v_mov_b32_e32 v192, v32
	v_mov_b32_e32 v193, v33
	v_mov_b32_e32 v194, v34
	v_mov_b32_e32 v195, v35
	v_mov_b32_e32 v196, v36
	v_mov_b32_e32 v197, v37
	v_mov_b32_e32 v198, v38
	v_mov_b32_e32 v199, v39
	v_mov_b32_e32 v200, v40
	v_mov_b32_e32 v201, v41
	v_mov_b32_e32 v202, v42
	v_mov_b32_e32 v203, v43
	v_mov_b32_e32 v204, v44
	v_mov_b32_e32 v205, v45
	v_mov_b32_e32 v206, v46
	v_mov_b32_e32 v207, v47
	v_mov_b32_e32 v208, v48
	v_mov_b32_e32 v209, v49
	v_mov_b32_e32 v210, v50
	v_mov_b32_e32 v211, v51
	s_waitcnt vmcnt(0)
	v_mov_b32_e32 v222, v84
	v_mov_b32_e32 v214, v76
	;; [unrolled: 1-line block ×7, first 2 shown]
	s_waitcnt lgkmcnt(3)
	v_pk_fma_f32 v[28:29], v[52:53], v[0:1], v[2:3] op_sel_hi:[0,1,1] neg_lo:[1,0,0] neg_hi:[1,0,0]
	ds_read2_b32 v[2:3], v10 offset0:29 offset1:30
	v_mov_b32_e32 v218, v80
	v_mov_b32_e32 v217, v79
	;; [unrolled: 1-line block ×6, first 2 shown]
	s_waitcnt lgkmcnt(3)
	v_pk_fma_f32 v[30:31], v[52:53], v[4:5], v[0:1] op_sel_hi:[0,1,1] neg_lo:[1,0,0] neg_hi:[1,0,0]
	v_mov_b32_e32 v1, v218
	v_mov_b32_e32 v0, v217
	;; [unrolled: 1-line block ×3, first 2 shown]
	s_waitcnt lgkmcnt(2)
	v_pk_fma_f32 v[56:57], v[52:53], v[6:7], v[0:1] op_sel_hi:[0,1,1] neg_lo:[1,0,0] neg_hi:[1,0,0]
	v_mov_b32_e32 v1, v220
	v_mov_b32_e32 v0, v219
	s_waitcnt lgkmcnt(1)
	v_pk_fma_f32 v[58:59], v[52:53], v[8:9], v[0:1] op_sel_hi:[0,1,1] neg_lo:[1,0,0] neg_hi:[1,0,0]
	v_mov_b32_e32 v1, v222
	v_mov_b32_e32 v0, v221
	;; [unrolled: 4-line block ×3, first 2 shown]
	v_mov_b32_e32 v2, v34
	v_mov_b32_e32 v3, v35
	;; [unrolled: 1-line block ×12, first 2 shown]
	scratch_store_dwordx4 off, v[0:3], off offset:656 ; 16-byte Folded Spill
	s_nop 0
	scratch_store_dwordx4 off, v[4:7], off offset:672 ; 16-byte Folded Spill
	scratch_store_dwordx4 off, v[8:11], off offset:688 ; 16-byte Folded Spill
	;; [unrolled: 1-line block ×7, first 2 shown]
	v_mov_b32_e32 v185, v56
	v_mov_b32_e32 v186, v57
	v_mov_b32_e32 v187, v58
	v_mov_b32_e32 v188, v59
	v_mov_b32_e32 v217, v56
	v_mov_b32_e32 v218, v57
	v_mov_b32_e32 v219, v58
	v_mov_b32_e32 v220, v59
	v_mov_b32_e32 v221, v60
	v_mov_b32_e32 v222, v61
	v_mov_b32_e32 v23, v30
	scratch_store_dwordx4 off, v[0:3], off offset:1296 ; 16-byte Folded Spill
	s_nop 0
	scratch_store_dwordx4 off, v[4:7], off offset:1312 ; 16-byte Folded Spill
	scratch_store_dwordx4 off, v[8:11], off offset:1328 ; 16-byte Folded Spill
	;; [unrolled: 1-line block ×7, first 2 shown]
	v_mov_b32_e32 v245, v28
	v_mov_b32_e32 v246, v29
	;; [unrolled: 1-line block ×6, first 2 shown]
	scratch_store_dwordx4 off, v[224:227], off offset:272 ; 16-byte Folded Spill
	s_nop 0
	scratch_store_dwordx4 off, v[228:231], off offset:288 ; 16-byte Folded Spill
	scratch_store_dwordx4 off, v[232:235], off offset:304 ; 16-byte Folded Spill
	;; [unrolled: 1-line block ×8, first 2 shown]
	s_nop 0
	scratch_store_dwordx4 off, v[4:7], off offset:1056 ; 16-byte Folded Spill
	scratch_store_dwordx4 off, v[8:11], off offset:1072 ; 16-byte Folded Spill
	scratch_store_dwordx4 off, v[12:15], off offset:1088 ; 16-byte Folded Spill
	scratch_store_dwordx4 off, v[16:19], off offset:1104 ; 16-byte Folded Spill
	scratch_store_dwordx4 off, v[20:23], off offset:1120 ; 16-byte Folded Spill
	scratch_store_dwordx4 off, v[24:27], off offset:1136 ; 16-byte Folded Spill
	scratch_store_dwordx4 off, v[28:31], off offset:1152 ; 16-byte Folded Spill
	s_nop 0
	v_mov_b32_e32 v26, v57
	scratch_store_dwordx4 off, v[0:3], off offset:144 ; 16-byte Folded Spill
	s_nop 0
	scratch_store_dwordx4 off, v[4:7], off offset:160 ; 16-byte Folded Spill
	scratch_store_dwordx4 off, v[8:11], off offset:176 ; 16-byte Folded Spill
	;; [unrolled: 1-line block ×7, first 2 shown]
	s_nop 0
	v_mov_b32_e32 v27, v58
	scratch_store_dwordx4 off, v[0:3], off offset:912 ; 16-byte Folded Spill
	s_nop 0
	scratch_store_dwordx4 off, v[4:7], off offset:928 ; 16-byte Folded Spill
	scratch_store_dwordx4 off, v[8:11], off offset:944 ; 16-byte Folded Spill
	;; [unrolled: 1-line block ×7, first 2 shown]
	v_mov_b32_e32 v181, v28
	v_mov_b32_e32 v182, v29
	;; [unrolled: 1-line block ×8, first 2 shown]
	scratch_store_dwordx4 off, v[160:163], off offset:784 ; 16-byte Folded Spill
	s_nop 0
	scratch_store_dwordx4 off, v[164:167], off offset:800 ; 16-byte Folded Spill
	scratch_store_dwordx4 off, v[168:171], off offset:816 ; 16-byte Folded Spill
	;; [unrolled: 1-line block ×7, first 2 shown]
	scratch_store_dwordx2 off, v[60:61], off offset:132 ; 8-byte Folded Spill
	scratch_store_dwordx4 off, v[192:195], off offset:4 ; 16-byte Folded Spill
	s_nop 0
	scratch_store_dwordx4 off, v[196:199], off offset:20 ; 16-byte Folded Spill
	scratch_store_dwordx4 off, v[200:203], off offset:36 ; 16-byte Folded Spill
	scratch_store_dwordx4 off, v[204:207], off offset:52 ; 16-byte Folded Spill
	scratch_store_dwordx4 off, v[208:211], off offset:68 ; 16-byte Folded Spill
	scratch_store_dwordx4 off, v[212:215], off offset:84 ; 16-byte Folded Spill
	scratch_store_dwordx4 off, v[216:219], off offset:100 ; 16-byte Folded Spill
	scratch_store_dwordx4 off, v[220:223], off offset:116 ; 16-byte Folded Spill
	scratch_store_dwordx4 off, v[32:35], off offset:1552 ; 16-byte Folded Spill
	s_nop 0
	scratch_store_dwordx4 off, v[36:39], off offset:1568 ; 16-byte Folded Spill
	scratch_store_dwordx4 off, v[40:43], off offset:1584 ; 16-byte Folded Spill
	scratch_store_dwordx4 off, v[44:47], off offset:1600 ; 16-byte Folded Spill
	scratch_store_dwordx4 off, v[48:51], off offset:1616 ; 16-byte Folded Spill
	scratch_store_dwordx4 off, v[52:55], off offset:1632 ; 16-byte Folded Spill
	scratch_store_dwordx4 off, v[56:59], off offset:1648 ; 16-byte Folded Spill
	scratch_store_dwordx4 off, v[60:63], off offset:1664 ; 16-byte Folded Spill
	;; [unrolled: 9-line block ×3, first 2 shown]
	v_mov_b32_e32 v143, v28
	v_mov_b32_e32 v106, v29
	;; [unrolled: 1-line block ×7, first 2 shown]
.LBB61_108:
	s_or_b64 exec, exec, s[2:3]
	v_cmp_eq_u32_e32 vcc, 21, v254
	s_waitcnt lgkmcnt(0)
	s_barrier
	s_and_saveexec_b64 s[2:3], vcc
	s_cbranch_execz .LBB61_111
; %bb.109:
	ds_write_b32 v255, v143
	scratch_load_dwordx4 v[28:31], off, off offset:4 ; 16-byte Folded Reload
	scratch_load_dwordx4 v[32:35], off, off offset:20 ; 16-byte Folded Reload
	;; [unrolled: 1-line block ×8, first 2 shown]
	scratch_load_dword v30, off, off offset:140 ; 4-byte Folded Reload
	s_waitcnt vmcnt(0)
	ds_write2_b32 v30, v50, v51 offset0:22 offset1:23
	ds_write2_b32 v30, v52, v53 offset0:24 offset1:25
	;; [unrolled: 1-line block ×4, first 2 shown]
	scratch_load_dwordx2 v[28:29], off, off offset:132 ; 8-byte Folded Reload
	s_waitcnt vmcnt(0)
	ds_write_b32 v30, v29 offset:120
	ds_read_b32 v28, v255
	s_waitcnt lgkmcnt(0)
	v_cmp_neq_f32_e32 vcc, 0, v28
	s_and_b64 exec, exec, vcc
	s_cbranch_execz .LBB61_111
; %bb.110:
	v_div_scale_f32 v29, s[4:5], v28, v28, 1.0
	v_rcp_f32_e32 v30, v29
	v_div_scale_f32 v31, vcc, 1.0, v28, 1.0
	v_fma_f32 v56, -v29, v30, 1.0
	v_fmac_f32_e32 v30, v56, v30
	v_mul_f32_e32 v56, v31, v30
	v_fma_f32 v57, -v29, v56, v31
	v_fmac_f32_e32 v56, v57, v30
	v_fma_f32 v29, -v29, v56, v31
	v_div_fmas_f32 v29, v29, v30, v56
	v_div_fixup_f32 v28, v29, v28, 1.0
	ds_write_b32 v255, v28
.LBB61_111:
	s_or_b64 exec, exec, s[2:3]
	s_waitcnt lgkmcnt(0)
	s_barrier
	ds_read_b32 v127, v255
	v_cmp_lt_u32_e32 vcc, 21, v254
	s_and_saveexec_b64 s[2:3], vcc
	s_cbranch_execz .LBB61_113
; %bb.112:
	scratch_load_dword v1, off, off offset:140 ; 4-byte Folded Reload
	s_waitcnt lgkmcnt(0)
	v_mul_f32_e32 v0, v143, v127
	v_mov_b32_e32 v88, v145
	v_mov_b32_e32 v89, v146
	;; [unrolled: 1-line block ×11, first 2 shown]
	s_waitcnt vmcnt(0)
	ds_read2_b32 v[2:3], v1 offset0:22 offset1:23
	scratch_load_dwordx4 v[4:7], off, off offset:4 ; 16-byte Folded Reload
	scratch_load_dwordx4 v[8:11], off, off offset:20 ; 16-byte Folded Reload
	;; [unrolled: 1-line block ×8, first 2 shown]
	s_waitcnt vmcnt(7)
	ds_read2_b32 v[6:7], v1 offset0:24 offset1:25
	s_waitcnt vmcnt(6)
	ds_read2_b32 v[8:9], v1 offset0:26 offset1:27
	ds_read2_b32 v[10:11], v1 offset0:28 offset1:29
	s_waitcnt vmcnt(0)
	v_mov_b64_e32 v[220:221], v[32:33]
	v_mov_b64_e32 v[214:215], v[26:27]
	;; [unrolled: 1-line block ×3, first 2 shown]
	v_mov_b32_e32 v4, v214
	v_mov_b32_e32 v5, v215
	v_mov_b64_e32 v[218:219], v[30:31]
	s_waitcnt lgkmcnt(3)
	v_pk_fma_f32 v[182:183], v[0:1], v[2:3], v[4:5] op_sel_hi:[0,1,1] neg_lo:[1,0,0] neg_hi:[1,0,0]
	v_mov_b32_e32 v2, v216
	v_mov_b32_e32 v3, v217
	s_waitcnt lgkmcnt(2)
	v_pk_fma_f32 v[248:249], v[0:1], v[6:7], v[2:3] op_sel_hi:[0,1,1] neg_lo:[1,0,0] neg_hi:[1,0,0]
	v_mov_b32_e32 v2, v218
	v_mov_b32_e32 v3, v219
	;; [unrolled: 4-line block ×3, first 2 shown]
	s_waitcnt lgkmcnt(0)
	v_pk_fma_f32 v[58:59], v[0:1], v[10:11], v[2:3] op_sel_hi:[0,1,1] neg_lo:[1,0,0] neg_hi:[1,0,0]
	ds_read_b32 v1, v1 offset:120
	scratch_load_dwordx4 v[2:5], off, off offset:400 ; 16-byte Folded Reload
	scratch_load_dwordx4 v[6:9], off, off offset:416 ; 16-byte Folded Reload
	;; [unrolled: 1-line block ×8, first 2 shown]
	s_waitcnt vmcnt(1)
	v_mov_b32_e32 v28, v144
	v_mov_b32_e32 v23, v0
	;; [unrolled: 1-line block ×25, first 2 shown]
	v_mov_b64_e32 v[142:143], v[16:17]
	v_mov_b64_e32 v[140:141], v[14:15]
	v_mov_b32_e32 v148, v22
	v_mov_b64_e32 v[138:139], v[12:13]
	v_mov_b64_e32 v[136:137], v[10:11]
	;; [unrolled: 1-line block ×6, first 2 shown]
	v_mov_b32_e32 v147, v21
	v_mov_b32_e32 v146, v20
	;; [unrolled: 1-line block ×4, first 2 shown]
	scratch_store_dwordx4 off, v[2:5], off offset:1296 ; 16-byte Folded Spill
	s_nop 0
	scratch_store_dwordx4 off, v[6:9], off offset:1312 ; 16-byte Folded Spill
	scratch_store_dwordx4 off, v[10:13], off offset:1328 ; 16-byte Folded Spill
	;; [unrolled: 1-line block ×6, first 2 shown]
	s_waitcnt vmcnt(7)
	scratch_store_dwordx4 off, v[30:33], off offset:1408 ; 16-byte Folded Spill
	v_mov_b32_e32 v192, v128
	v_mov_b32_e32 v26, v248
	;; [unrolled: 1-line block ×51, first 2 shown]
	scratch_store_dwordx4 off, v[2:5], off offset:1040 ; 16-byte Folded Spill
	s_nop 0
	scratch_store_dwordx4 off, v[6:9], off offset:1056 ; 16-byte Folded Spill
	scratch_store_dwordx4 off, v[10:13], off offset:1072 ; 16-byte Folded Spill
	;; [unrolled: 1-line block ×7, first 2 shown]
	scratch_load_dwordx2 v[2:3], off, off offset:132 ; 8-byte Folded Reload
	v_mov_b32_e32 v21, v0
	s_waitcnt vmcnt(0)
	v_mov_b32_e32 v2, v130
	v_mov_b32_e32 v4, v132
	;; [unrolled: 1-line block ×78, first 2 shown]
	s_waitcnt lgkmcnt(0)
	v_fma_f32 v222, -v0, v1, v3
	v_mov_b32_e32 v0, v128
	v_mov_b32_e32 v1, v129
	;; [unrolled: 1-line block ×3, first 2 shown]
	scratch_store_dwordx4 off, v[0:3], off offset:912 ; 16-byte Folded Spill
	s_nop 0
	scratch_store_dwordx4 off, v[4:7], off offset:928 ; 16-byte Folded Spill
	scratch_store_dwordx4 off, v[8:11], off offset:944 ; 16-byte Folded Spill
	;; [unrolled: 1-line block ×7, first 2 shown]
	s_nop 1
	v_mov_b32_e32 v30, v128
	v_mov_b32_e32 v31, v129
	;; [unrolled: 1-line block ×3, first 2 shown]
	scratch_store_dwordx4 off, v[192:195], off offset:4 ; 16-byte Folded Spill
	s_nop 0
	scratch_store_dwordx4 off, v[196:199], off offset:20 ; 16-byte Folded Spill
	scratch_store_dwordx4 off, v[200:203], off offset:36 ; 16-byte Folded Spill
	;; [unrolled: 1-line block ×8, first 2 shown]
	s_nop 0
	scratch_store_dwordx4 off, v[132:135], off offset:1568 ; 16-byte Folded Spill
	scratch_store_dwordx4 off, v[136:139], off offset:1584 ; 16-byte Folded Spill
	;; [unrolled: 1-line block ×7, first 2 shown]
	v_mov_b32_e32 v148, v91
	v_mov_b32_e32 v147, v90
	;; [unrolled: 1-line block ×8, first 2 shown]
	scratch_store_dwordx2 off, v[28:29], off offset:132 ; 8-byte Folded Spill
	v_mov_b64_e32 v[28:29], v[30:31]
	v_mov_b64_e32 v[30:31], v[32:33]
	;; [unrolled: 1-line block ×9, first 2 shown]
	scratch_store_dwordx4 off, v[160:163], off offset:656 ; 16-byte Folded Spill
	s_nop 0
	scratch_store_dwordx4 off, v[164:167], off offset:672 ; 16-byte Folded Spill
	scratch_store_dwordx4 off, v[168:171], off offset:688 ; 16-byte Folded Spill
	;; [unrolled: 1-line block ×7, first 2 shown]
	v_mov_b64_e32 v[46:47], v[48:49]
	v_mov_b64_e32 v[48:49], v[50:51]
	;; [unrolled: 1-line block ×5, first 2 shown]
	v_mov_b32_e32 v56, v58
	v_mov_b32_e32 v184, v248
	scratch_store_dwordx4 off, v[224:227], off offset:272 ; 16-byte Folded Spill
	s_nop 0
	scratch_store_dwordx4 off, v[228:231], off offset:288 ; 16-byte Folded Spill
	scratch_store_dwordx4 off, v[232:235], off offset:304 ; 16-byte Folded Spill
	scratch_store_dwordx4 off, v[236:239], off offset:320 ; 16-byte Folded Spill
	scratch_store_dwordx4 off, v[240:243], off offset:336 ; 16-byte Folded Spill
	scratch_store_dwordx4 off, v[244:247], off offset:352 ; 16-byte Folded Spill
	scratch_store_dwordx4 off, v[248:251], off offset:368 ; 16-byte Folded Spill
	scratch_store_dwordx4 off, v[252:255], off offset:384 ; 16-byte Folded Spill
	scratch_store_dwordx4 off, v[60:63], off offset:144 ; 16-byte Folded Spill
	s_nop 0
	scratch_store_dwordx4 off, v[64:67], off offset:160 ; 16-byte Folded Spill
	scratch_store_dwordx4 off, v[68:71], off offset:176 ; 16-byte Folded Spill
	scratch_store_dwordx4 off, v[72:75], off offset:192 ; 16-byte Folded Spill
	scratch_store_dwordx4 off, v[76:79], off offset:208 ; 16-byte Folded Spill
	scratch_store_dwordx4 off, v[80:83], off offset:224 ; 16-byte Folded Spill
	scratch_store_dwordx4 off, v[84:87], off offset:240 ; 16-byte Folded Spill
	scratch_store_dwordx4 off, v[88:91], off offset:256 ; 16-byte Folded Spill
	;; [unrolled: 9-line block ×3, first 2 shown]
	v_mov_b32_e32 v181, v183
	v_mov_b32_e32 v105, v249
	;; [unrolled: 1-line block ×4, first 2 shown]
.LBB61_113:
	s_or_b64 exec, exec, s[2:3]
	v_cmp_eq_u32_e32 vcc, 22, v254
	s_waitcnt lgkmcnt(0)
	s_barrier
	s_and_saveexec_b64 s[2:3], vcc
	s_cbranch_execz .LBB61_116
; %bb.114:
	ds_write_b32 v255, v106
	scratch_load_dwordx4 v[28:31], off, off offset:4 ; 16-byte Folded Reload
	scratch_load_dwordx4 v[32:35], off, off offset:20 ; 16-byte Folded Reload
	;; [unrolled: 1-line block ×8, first 2 shown]
	scratch_load_dword v28, off, off offset:140 ; 4-byte Folded Reload
	s_waitcnt vmcnt(0)
	ds_write2_b32 v28, v51, v52 offset0:23 offset1:24
	ds_write2_b32 v28, v53, v54 offset0:25 offset1:26
	;; [unrolled: 1-line block ×4, first 2 shown]
	ds_read_b32 v28, v255
	s_waitcnt lgkmcnt(0)
	v_cmp_neq_f32_e32 vcc, 0, v28
	s_and_b64 exec, exec, vcc
	s_cbranch_execz .LBB61_116
; %bb.115:
	v_div_scale_f32 v29, s[4:5], v28, v28, 1.0
	v_rcp_f32_e32 v30, v29
	v_div_scale_f32 v31, vcc, 1.0, v28, 1.0
	v_fma_f32 v56, -v29, v30, 1.0
	v_fmac_f32_e32 v30, v56, v30
	v_mul_f32_e32 v56, v31, v30
	v_fma_f32 v57, -v29, v56, v31
	v_fmac_f32_e32 v56, v57, v30
	v_fma_f32 v29, -v29, v56, v31
	v_div_fmas_f32 v29, v29, v30, v56
	v_div_fixup_f32 v28, v29, v28, 1.0
	ds_write_b32 v255, v28
.LBB61_116:
	s_or_b64 exec, exec, s[2:3]
	s_waitcnt lgkmcnt(0)
	s_barrier
	ds_read_b32 v129, v255
	v_cmp_lt_u32_e32 vcc, 22, v254
	s_mov_b64 s[2:3], exec
	s_and_b64 s[4:5], s[2:3], vcc
	v_mov_b32_e32 v33, v181
	s_mov_b64 exec, s[4:5]
	s_cbranch_execz .LBB61_118
; %bb.117:
	scratch_load_dwordx4 v[58:61], off, off offset:1552 ; 16-byte Folded Reload
	scratch_load_dwordx4 v[62:65], off, off offset:1568 ; 16-byte Folded Reload
	;; [unrolled: 1-line block ×8, first 2 shown]
	scratch_load_dword v34, off, off offset:140 ; 4-byte Folded Reload
	s_waitcnt vmcnt(3) lgkmcnt(0)
	v_mul_f32_e32 v80, v106, v129
	v_mov_b32_e32 v246, v80
	v_mov_b32_e32 v182, v80
	;; [unrolled: 1-line block ×11, first 2 shown]
	s_waitcnt vmcnt(0)
	ds_read2_b32 v[0:1], v34 offset0:23 offset1:24
	scratch_load_dwordx4 v[2:5], off, off offset:4 ; 16-byte Folded Reload
	scratch_load_dwordx4 v[6:9], off, off offset:20 ; 16-byte Folded Reload
	;; [unrolled: 1-line block ×8, first 2 shown]
	s_waitcnt vmcnt(7)
	ds_read2_b32 v[4:5], v34 offset0:25 offset1:26
	s_waitcnt vmcnt(6)
	ds_read2_b32 v[6:7], v34 offset0:27 offset1:28
	ds_read2_b32 v[8:9], v34 offset0:29 offset1:30
	v_mov_b32_e32 v232, v66
	v_mov_b32_e32 v233, v67
	;; [unrolled: 1-line block ×14, first 2 shown]
	s_waitcnt vmcnt(5)
	v_mov_b32_e32 v10, v68
	v_mov_b32_e32 v11, v69
	v_mov_b32_e32 v12, v70
	v_mov_b32_e32 v13, v71
	s_waitcnt vmcnt(4)
	v_mov_b32_e32 v14, v72
	v_mov_b32_e32 v15, v73
	v_mov_b32_e32 v16, v74
	v_mov_b32_e32 v17, v75
	;; [unrolled: 5-line block ×4, first 2 shown]
	v_mov_b32_e32 v163, v61
	v_mov_b32_e32 v164, v62
	;; [unrolled: 1-line block ×41, first 2 shown]
	s_waitcnt vmcnt(0)
	v_mov_b32_e32 v222, v32
	v_mov_b32_e32 v216, v26
	;; [unrolled: 1-line block ×10, first 2 shown]
	s_waitcnt lgkmcnt(3)
	v_pk_fma_f32 v[28:29], v[80:81], v[0:1], v[2:3] op_sel_hi:[0,1,1] neg_lo:[1,0,0] neg_hi:[1,0,0]
	v_mov_b32_e32 v1, v218
	v_mov_b32_e32 v0, v217
	s_waitcnt lgkmcnt(2)
	v_pk_fma_f32 v[30:31], v[80:81], v[4:5], v[0:1] op_sel_hi:[0,1,1] neg_lo:[1,0,0] neg_hi:[1,0,0]
	v_mov_b32_e32 v1, v220
	v_mov_b32_e32 v0, v219
	;; [unrolled: 4-line block ×4, first 2 shown]
	v_mov_b32_e32 v0, v58
	v_mov_b32_e32 v1, v59
	;; [unrolled: 1-line block ×14, first 2 shown]
	scratch_store_dwordx4 off, v[224:227], off offset:272 ; 16-byte Folded Spill
	s_nop 0
	scratch_store_dwordx4 off, v[228:231], off offset:288 ; 16-byte Folded Spill
	scratch_store_dwordx4 off, v[232:235], off offset:304 ; 16-byte Folded Spill
	;; [unrolled: 1-line block ×8, first 2 shown]
	s_nop 0
	scratch_store_dwordx4 off, v[4:7], off offset:1056 ; 16-byte Folded Spill
	scratch_store_dwordx4 off, v[8:11], off offset:1072 ; 16-byte Folded Spill
	;; [unrolled: 1-line block ×7, first 2 shown]
	v_mov_b32_e32 v187, v92
	v_mov_b32_e32 v188, v93
	;; [unrolled: 1-line block ×8, first 2 shown]
	scratch_store_dwordx4 off, v[0:3], off offset:144 ; 16-byte Folded Spill
	s_nop 0
	scratch_store_dwordx4 off, v[4:7], off offset:160 ; 16-byte Folded Spill
	scratch_store_dwordx4 off, v[8:11], off offset:176 ; 16-byte Folded Spill
	;; [unrolled: 1-line block ×7, first 2 shown]
	s_nop 0
	v_mov_b32_e32 v27, v92
	scratch_store_dwordx4 off, v[0:3], off offset:912 ; 16-byte Folded Spill
	s_nop 0
	scratch_store_dwordx4 off, v[4:7], off offset:928 ; 16-byte Folded Spill
	scratch_store_dwordx4 off, v[8:11], off offset:944 ; 16-byte Folded Spill
	;; [unrolled: 1-line block ×7, first 2 shown]
	v_mov_b32_e32 v183, v28
	v_mov_b32_e32 v184, v29
	;; [unrolled: 1-line block ×4, first 2 shown]
	scratch_store_dwordx4 off, v[160:163], off offset:784 ; 16-byte Folded Spill
	s_nop 0
	scratch_store_dwordx4 off, v[164:167], off offset:800 ; 16-byte Folded Spill
	scratch_store_dwordx4 off, v[168:171], off offset:816 ; 16-byte Folded Spill
	;; [unrolled: 1-line block ×7, first 2 shown]
	v_mov_b32_e32 v215, v28
	v_mov_b32_e32 v216, v29
	;; [unrolled: 1-line block ×4, first 2 shown]
	scratch_store_dwordx2 off, v[32:33], off offset:132 ; 8-byte Folded Spill
	v_mov_b32_e32 v33, v28
	v_mov_b32_e32 v105, v30
	;; [unrolled: 1-line block ×4, first 2 shown]
	scratch_store_dwordx4 off, v[192:195], off offset:4 ; 16-byte Folded Spill
	s_nop 0
	scratch_store_dwordx4 off, v[196:199], off offset:20 ; 16-byte Folded Spill
	scratch_store_dwordx4 off, v[200:203], off offset:36 ; 16-byte Folded Spill
	scratch_store_dwordx4 off, v[204:207], off offset:52 ; 16-byte Folded Spill
	scratch_store_dwordx4 off, v[208:211], off offset:68 ; 16-byte Folded Spill
	scratch_store_dwordx4 off, v[212:215], off offset:84 ; 16-byte Folded Spill
	scratch_store_dwordx4 off, v[216:219], off offset:100 ; 16-byte Folded Spill
	scratch_store_dwordx4 off, v[220:223], off offset:116 ; 16-byte Folded Spill
	scratch_store_dwordx4 off, v[58:61], off offset:1296 ; 16-byte Folded Spill
	s_nop 0
	scratch_store_dwordx4 off, v[62:65], off offset:1312 ; 16-byte Folded Spill
	scratch_store_dwordx4 off, v[66:69], off offset:1328 ; 16-byte Folded Spill
	scratch_store_dwordx4 off, v[70:73], off offset:1344 ; 16-byte Folded Spill
	scratch_store_dwordx4 off, v[74:77], off offset:1360 ; 16-byte Folded Spill
	scratch_store_dwordx4 off, v[78:81], off offset:1376 ; 16-byte Folded Spill
	scratch_store_dwordx4 off, v[82:85], off offset:1392 ; 16-byte Folded Spill
	scratch_store_dwordx4 off, v[86:89], off offset:1408 ; 16-byte Folded Spill
	;; [unrolled: 9-line block ×3, first 2 shown]
.LBB61_118:
	s_or_b64 exec, exec, s[2:3]
	v_cmp_eq_u32_e32 vcc, 23, v254
	s_waitcnt lgkmcnt(0)
	s_barrier
	s_and_saveexec_b64 s[2:3], vcc
	s_cbranch_execz .LBB61_121
; %bb.119:
	ds_write_b32 v255, v33
	scratch_load_dwordx4 v[34:37], off, off offset:4 ; 16-byte Folded Reload
	scratch_load_dwordx4 v[38:41], off, off offset:20 ; 16-byte Folded Reload
	;; [unrolled: 1-line block ×8, first 2 shown]
	scratch_load_dword v30, off, off offset:140 ; 4-byte Folded Reload
	s_waitcnt vmcnt(0)
	ds_write2_b32 v30, v58, v59 offset0:24 offset1:25
	ds_write2_b32 v30, v60, v61 offset0:26 offset1:27
	;; [unrolled: 1-line block ×3, first 2 shown]
	scratch_load_dwordx2 v[28:29], off, off offset:132 ; 8-byte Folded Reload
	s_waitcnt vmcnt(0)
	ds_write_b32 v30, v29 offset:120
	ds_read_b32 v28, v255
	s_waitcnt lgkmcnt(0)
	v_cmp_neq_f32_e32 vcc, 0, v28
	s_and_b64 exec, exec, vcc
	s_cbranch_execz .LBB61_121
; %bb.120:
	v_div_scale_f32 v29, s[4:5], v28, v28, 1.0
	v_rcp_f32_e32 v30, v29
	v_div_scale_f32 v31, vcc, 1.0, v28, 1.0
	v_fma_f32 v56, -v29, v30, 1.0
	v_fmac_f32_e32 v30, v56, v30
	v_mul_f32_e32 v56, v31, v30
	v_fma_f32 v57, -v29, v56, v31
	v_fmac_f32_e32 v56, v57, v30
	v_fma_f32 v29, -v29, v56, v31
	v_div_fmas_f32 v29, v29, v30, v56
	v_div_fixup_f32 v28, v29, v28, 1.0
	ds_write_b32 v255, v28
.LBB61_121:
	s_or_b64 exec, exec, s[2:3]
	s_waitcnt lgkmcnt(0)
	s_barrier
	ds_read_b32 v128, v255
	v_cmp_lt_u32_e32 vcc, 23, v254
	s_and_saveexec_b64 s[2:3], vcc
	s_cbranch_execz .LBB61_123
; %bb.122:
	scratch_load_dword v8, off, off offset:140 ; 4-byte Folded Reload
	s_waitcnt vmcnt(1) lgkmcnt(0)
	v_mul_f32_e32 v28, v33, v128
	v_mov_b32_e32 v23, v28
	v_mov_b32_e32 v181, v28
	s_waitcnt vmcnt(0)
	ds_read2_b32 v[0:1], v8 offset0:24 offset1:25
	scratch_load_dwordx4 v[30:33], off, off offset:4 ; 16-byte Folded Reload
	scratch_load_dwordx4 v[34:37], off, off offset:20 ; 16-byte Folded Reload
	;; [unrolled: 1-line block ×8, first 2 shown]
	ds_read2_b32 v[4:5], v8 offset0:26 offset1:27
	ds_read2_b32 v[6:7], v8 offset0:28 offset1:29
	ds_read_b32 v8, v8 offset:120
	s_waitcnt vmcnt(0)
	v_mov_b64_e32 v[220:221], v[58:59]
	v_mov_b64_e32 v[216:217], v[54:55]
	;; [unrolled: 1-line block ×3, first 2 shown]
	v_mov_b32_e32 v2, v216
	v_mov_b32_e32 v3, v217
	s_waitcnt lgkmcnt(3)
	v_pk_fma_f32 v[182:183], v[28:29], v[0:1], v[2:3] op_sel_hi:[0,1,1] neg_lo:[1,0,0] neg_hi:[1,0,0]
	v_mov_b32_e32 v0, v218
	v_mov_b32_e32 v1, v219
	s_waitcnt lgkmcnt(2)
	v_pk_fma_f32 v[250:251], v[28:29], v[4:5], v[0:1] op_sel_hi:[0,1,1] neg_lo:[1,0,0] neg_hi:[1,0,0]
	;; [unrolled: 4-line block ×3, first 2 shown]
	scratch_load_dwordx2 v[0:1], off, off offset:132 ; 8-byte Folded Reload
	scratch_load_dwordx4 v[32:35], off, off offset:656 ; 16-byte Folded Reload
	scratch_load_dwordx4 v[36:39], off, off offset:672 ; 16-byte Folded Reload
	;; [unrolled: 1-line block ×8, first 2 shown]
	v_mov_b32_e32 v24, v182
	v_mov_b32_e32 v25, v183
	s_waitcnt vmcnt(2)
	v_mov_b32_e32 v55, v28
	v_mov_b32_e32 v216, v182
	;; [unrolled: 1-line block ×21, first 2 shown]
	s_waitcnt lgkmcnt(0)
	v_fma_f32 v222, -v28, v8, v1
	v_mov_b32_e32 v1, v33
	v_mov_b32_e32 v7, v39
	;; [unrolled: 1-line block ×17, first 2 shown]
	scratch_store_dwordx4 off, v[0:3], off offset:1040 ; 16-byte Folded Spill
	s_nop 0
	scratch_store_dwordx4 off, v[4:7], off offset:1056 ; 16-byte Folded Spill
	scratch_store_dwordx4 off, v[8:11], off offset:1072 ; 16-byte Folded Spill
	;; [unrolled: 1-line block ×7, first 2 shown]
	s_waitcnt vmcnt(9)
	v_mov_b32_e32 v56, v32
	v_mov_b32_e32 v26, v250
	v_mov_b32_e32 v27, v251
	v_mov_b32_e32 v57, v33
	v_mov_b32_e32 v58, v34
	v_mov_b32_e32 v59, v35
	s_waitcnt vmcnt(8)
	v_mov_b32_e32 v60, v36
	v_mov_b32_e32 v61, v37
	;; [unrolled: 1-line block ×67, first 2 shown]
	scratch_store_dwordx4 off, v[0:3], off offset:912 ; 16-byte Folded Spill
	s_nop 0
	scratch_store_dwordx4 off, v[4:7], off offset:928 ; 16-byte Folded Spill
	scratch_store_dwordx4 off, v[8:11], off offset:944 ; 16-byte Folded Spill
	;; [unrolled: 1-line block ×7, first 2 shown]
	v_mov_b32_e32 v240, v48
	v_mov_b32_e32 v241, v49
	;; [unrolled: 1-line block ×25, first 2 shown]
	scratch_store_dwordx4 off, v[192:195], off offset:4 ; 16-byte Folded Spill
	s_nop 0
	scratch_store_dwordx4 off, v[196:199], off offset:20 ; 16-byte Folded Spill
	scratch_store_dwordx4 off, v[200:203], off offset:36 ; 16-byte Folded Spill
	;; [unrolled: 1-line block ×8, first 2 shown]
	s_nop 0
	scratch_store_dwordx4 off, v[36:39], off offset:1312 ; 16-byte Folded Spill
	scratch_store_dwordx4 off, v[40:43], off offset:1328 ; 16-byte Folded Spill
	;; [unrolled: 1-line block ×7, first 2 shown]
	v_mov_b32_e32 v28, v85
	scratch_store_dwordx2 off, v[28:29], off offset:132 ; 8-byte Folded Spill
	scratch_store_dwordx4 off, v[158:161], off offset:272 ; 16-byte Folded Spill
	s_nop 0
	scratch_store_dwordx4 off, v[162:165], off offset:288 ; 16-byte Folded Spill
	scratch_store_dwordx4 off, v[166:169], off offset:304 ; 16-byte Folded Spill
	;; [unrolled: 1-line block ×8, first 2 shown]
	s_nop 0
	scratch_store_dwordx4 off, v[228:231], off offset:160 ; 16-byte Folded Spill
	scratch_store_dwordx4 off, v[232:235], off offset:176 ; 16-byte Folded Spill
	;; [unrolled: 1-line block ×7, first 2 shown]
	v_mov_b64_e32 v[44:45], v[72:73]
	v_mov_b64_e32 v[46:47], v[74:75]
	;; [unrolled: 1-line block ×6, first 2 shown]
	v_mov_b32_e32 v234, v84
	v_mov_b64_e32 v[28:29], v[56:57]
	v_mov_b64_e32 v[30:31], v[58:59]
	;; [unrolled: 1-line block ×3, first 2 shown]
	v_mov_b32_e32 v105, v183
	v_mov_b32_e32 v185, v251
	v_mov_b64_e32 v[34:35], v[62:63]
	v_mov_b64_e32 v[36:37], v[64:65]
	;; [unrolled: 1-line block ×5, first 2 shown]
	v_mov_b32_e32 v56, v84
	scratch_store_dwordx4 off, v[28:31], off offset:784 ; 16-byte Folded Spill
	s_nop 0
	scratch_store_dwordx4 off, v[32:35], off offset:800 ; 16-byte Folded Spill
	scratch_store_dwordx4 off, v[36:39], off offset:816 ; 16-byte Folded Spill
	;; [unrolled: 1-line block ×7, first 2 shown]
.LBB61_123:
	s_or_b64 exec, exec, s[2:3]
	v_cmp_eq_u32_e32 vcc, 24, v254
	s_waitcnt lgkmcnt(0)
	s_barrier
	s_and_saveexec_b64 s[2:3], vcc
	s_cbranch_execz .LBB61_126
; %bb.124:
	ds_write_b32 v255, v184
	scratch_load_dwordx4 v[28:31], off, off offset:4 ; 16-byte Folded Reload
	scratch_load_dwordx4 v[32:35], off, off offset:20 ; 16-byte Folded Reload
	;; [unrolled: 1-line block ×8, first 2 shown]
	scratch_load_dword v28, off, off offset:140 ; 4-byte Folded Reload
	s_waitcnt vmcnt(0)
	ds_write2_b32 v28, v53, v54 offset0:25 offset1:26
	ds_write2_b32 v28, v55, v56 offset0:27 offset1:28
	;; [unrolled: 1-line block ×3, first 2 shown]
	ds_read_b32 v28, v255
	s_waitcnt lgkmcnt(0)
	v_cmp_neq_f32_e32 vcc, 0, v28
	s_and_b64 exec, exec, vcc
	s_cbranch_execz .LBB61_126
; %bb.125:
	v_div_scale_f32 v29, s[4:5], v28, v28, 1.0
	v_rcp_f32_e32 v30, v29
	v_div_scale_f32 v31, vcc, 1.0, v28, 1.0
	v_fma_f32 v56, -v29, v30, 1.0
	v_fmac_f32_e32 v30, v56, v30
	v_mul_f32_e32 v56, v31, v30
	v_fma_f32 v57, -v29, v56, v31
	v_fmac_f32_e32 v56, v57, v30
	v_fma_f32 v29, -v29, v56, v31
	v_div_fmas_f32 v29, v29, v30, v56
	v_div_fixup_f32 v28, v29, v28, 1.0
	ds_write_b32 v255, v28
.LBB61_126:
	s_or_b64 exec, exec, s[2:3]
	s_waitcnt lgkmcnt(0)
	s_barrier
	ds_read_b32 v59, v255
	v_cmp_lt_u32_e32 vcc, 24, v254
	s_and_saveexec_b64 s[2:3], vcc
	s_cbranch_execz .LBB61_128
; %bb.127:
	scratch_load_dwordx4 v[62:65], off, off offset:1296 ; 16-byte Folded Reload
	scratch_load_dwordx4 v[66:69], off, off offset:1312 ; 16-byte Folded Reload
	;; [unrolled: 1-line block ×8, first 2 shown]
	scratch_load_dword v34, off, off offset:140 ; 4-byte Folded Reload
	s_waitcnt vmcnt(2) lgkmcnt(0)
	v_mul_f32_e32 v86, v184, v59
	v_mov_b32_e32 v184, v86
	v_mov_b32_e32 v216, v86
	s_movk_i32 s4, 0x1290
	v_mov_b32_e32 v160, v62
	v_mov_b32_e32 v161, v63
	;; [unrolled: 1-line block ×8, first 2 shown]
	s_waitcnt vmcnt(0)
	ds_read2_b32 v[0:1], v34 offset0:25 offset1:26
	scratch_load_dwordx4 v[2:5], off, off offset:4 ; 16-byte Folded Reload
	scratch_load_dwordx4 v[6:9], off, off offset:20 ; 16-byte Folded Reload
	;; [unrolled: 1-line block ×8, first 2 shown]
	s_waitcnt vmcnt(7)
	ds_read2_b32 v[4:5], v34 offset0:27 offset1:28
	s_waitcnt vmcnt(6)
	ds_read2_b32 v[6:7], v34 offset0:29 offset1:30
	v_mov_b32_e32 v8, v70
	v_mov_b32_e32 v9, v71
	s_waitcnt vmcnt(5)
	v_mov_b32_e32 v10, v72
	v_mov_b32_e32 v11, v73
	v_mov_b32_e32 v12, v74
	v_mov_b32_e32 v13, v75
	s_waitcnt vmcnt(4)
	v_mov_b32_e32 v14, v76
	v_mov_b32_e32 v15, v77
	;; [unrolled: 5-line block ×4, first 2 shown]
	v_mov_b32_e32 v24, v86
	v_mov_b32_e32 v168, v70
	;; [unrolled: 1-line block ×41, first 2 shown]
	s_waitcnt vmcnt(0)
	v_mov_b32_e32 v222, v32
	v_mov_b32_e32 v218, v28
	;; [unrolled: 1-line block ×8, first 2 shown]
	s_waitcnt lgkmcnt(2)
	v_pk_fma_f32 v[28:29], v[86:87], v[0:1], v[2:3] op_sel_hi:[0,1,1] neg_lo:[1,0,0] neg_hi:[1,0,0]
	v_mov_b32_e32 v1, v220
	v_mov_b32_e32 v0, v219
	s_waitcnt lgkmcnt(1)
	v_pk_fma_f32 v[30:31], v[86:87], v[4:5], v[0:1] op_sel_hi:[0,1,1] neg_lo:[1,0,0] neg_hi:[1,0,0]
	v_mov_b32_e32 v1, v222
	v_mov_b32_e32 v0, v221
	;; [unrolled: 4-line block ×3, first 2 shown]
	v_mov_b32_e32 v2, v64
	v_mov_b32_e32 v3, v65
	;; [unrolled: 1-line block ×9, first 2 shown]
	scratch_store_dwordx4 off, v[0:3], off offset:144 ; 16-byte Folded Spill
	s_nop 0
	scratch_store_dwordx4 off, v[4:7], off offset:160 ; 16-byte Folded Spill
	scratch_store_dwordx4 off, v[8:11], off offset:176 ; 16-byte Folded Spill
	;; [unrolled: 1-line block ×7, first 2 shown]
	v_mov_b32_e32 v221, v60
	v_mov_b32_e32 v222, v61
	;; [unrolled: 1-line block ×3, first 2 shown]
	scratch_store_dwordx4 off, v[0:3], off offset:912 ; 16-byte Folded Spill
	s_nop 0
	scratch_store_dwordx4 off, v[4:7], off offset:928 ; 16-byte Folded Spill
	scratch_store_dwordx4 off, v[8:11], off offset:944 ; 16-byte Folded Spill
	;; [unrolled: 1-line block ×7, first 2 shown]
	v_mov_b32_e32 v185, v28
	v_mov_b32_e32 v186, v29
	;; [unrolled: 1-line block ×8, first 2 shown]
	scratch_store_dwordx4 off, v[160:163], off offset:784 ; 16-byte Folded Spill
	s_nop 0
	scratch_store_dwordx4 off, v[164:167], off offset:800 ; 16-byte Folded Spill
	scratch_store_dwordx4 off, v[168:171], off offset:816 ; 16-byte Folded Spill
	;; [unrolled: 1-line block ×7, first 2 shown]
	scratch_store_dwordx2 off, v[60:61], off offset:132 ; 8-byte Folded Spill
	scratch_store_dwordx4 off, v[192:195], off offset:4 ; 16-byte Folded Spill
	s_nop 0
	scratch_store_dwordx4 off, v[196:199], off offset:20 ; 16-byte Folded Spill
	scratch_store_dwordx4 off, v[200:203], off offset:36 ; 16-byte Folded Spill
	scratch_store_dwordx4 off, v[204:207], off offset:52 ; 16-byte Folded Spill
	scratch_store_dwordx4 off, v[208:211], off offset:68 ; 16-byte Folded Spill
	scratch_store_dwordx4 off, v[212:215], off offset:84 ; 16-byte Folded Spill
	scratch_store_dwordx4 off, v[216:219], off offset:100 ; 16-byte Folded Spill
	scratch_store_dwordx4 off, v[220:223], off offset:116 ; 16-byte Folded Spill
	scratch_store_dwordx4 off, v[62:65], off offset:1040 ; 16-byte Folded Spill
	s_nop 0
	scratch_store_dwordx4 off, v[66:69], off offset:1056 ; 16-byte Folded Spill
	scratch_store_dwordx4 off, v[70:73], off offset:1072 ; 16-byte Folded Spill
	scratch_store_dwordx4 off, v[74:77], off offset:1088 ; 16-byte Folded Spill
	scratch_store_dwordx4 off, v[78:81], off offset:1104 ; 16-byte Folded Spill
	scratch_store_dwordx4 off, v[82:85], off offset:1120 ; 16-byte Folded Spill
	scratch_store_dwordx4 off, v[86:89], off offset:1136 ; 16-byte Folded Spill
	scratch_store_dwordx4 off, v[90:93], off offset:1152 ; 16-byte Folded Spill
	;; [unrolled: 9-line block ×3, first 2 shown]
	scratch_load_dword v255, off, s4        ; 4-byte Folded Reload
	s_movk_i32 s4, 0x1894
	scratch_load_dword v254, off, s4        ; 4-byte Folded Reload
	v_mov_b32_e32 v105, v28
	v_mov_b32_e32 v138, v29
	v_mov_b32_e32 v185, v30
	v_mov_b32_e32 v234, v31
.LBB61_128:
	s_or_b64 exec, exec, s[2:3]
	s_waitcnt vmcnt(0)
	v_cmp_eq_u32_e32 vcc, 25, v254
	s_waitcnt lgkmcnt(0)
	s_barrier
	s_and_saveexec_b64 s[2:3], vcc
	s_cbranch_execz .LBB61_131
; %bb.129:
	ds_write_b32 v255, v105
	scratch_load_dwordx4 v[60:63], off, off offset:4 ; 16-byte Folded Reload
	scratch_load_dwordx4 v[64:67], off, off offset:20 ; 16-byte Folded Reload
	;; [unrolled: 1-line block ×8, first 2 shown]
	scratch_load_dword v30, off, off offset:140 ; 4-byte Folded Reload
	s_waitcnt vmcnt(2)
	v_mov_b64_e32 v[44:45], v[76:77]
	v_mov_b64_e32 v[54:55], v[86:87]
	s_waitcnt vmcnt(1)
	v_mov_b32_e32 v56, v88
	v_mov_b32_e32 v57, v89
	s_waitcnt vmcnt(0)
	ds_write2_b32 v30, v54, v55 offset0:26 offset1:27
	ds_write2_b32 v30, v56, v57 offset0:28 offset1:29
	scratch_load_dwordx2 v[28:29], off, off offset:132 ; 8-byte Folded Reload
	v_mov_b64_e32 v[46:47], v[78:79]
	v_mov_b64_e32 v[48:49], v[80:81]
	;; [unrolled: 1-line block ×4, first 2 shown]
	v_mov_b32_e32 v58, v90
	s_waitcnt vmcnt(0)
	ds_write_b32 v30, v29 offset:120
	ds_read_b32 v28, v255
	s_waitcnt lgkmcnt(0)
	v_cmp_neq_f32_e32 vcc, 0, v28
	s_and_b64 exec, exec, vcc
	s_cbranch_execz .LBB61_131
; %bb.130:
	v_div_scale_f32 v29, s[4:5], v28, v28, 1.0
	v_rcp_f32_e32 v30, v29
	v_div_scale_f32 v31, vcc, 1.0, v28, 1.0
	v_fma_f32 v32, -v29, v30, 1.0
	v_fmac_f32_e32 v30, v32, v30
	v_mul_f32_e32 v32, v31, v30
	v_fma_f32 v33, -v29, v32, v31
	v_fmac_f32_e32 v32, v33, v30
	v_fma_f32 v29, -v29, v32, v31
	v_div_fmas_f32 v29, v29, v30, v32
	v_div_fixup_f32 v28, v29, v28, 1.0
	ds_write_b32 v255, v28
.LBB61_131:
	s_or_b64 exec, exec, s[2:3]
	s_waitcnt lgkmcnt(0)
	s_barrier
	ds_read_b32 v60, v255
	v_cmp_lt_u32_e32 vcc, 25, v254
	s_and_saveexec_b64 s[2:3], vcc
	s_cbranch_execz .LBB61_133
; %bb.132:
	scratch_load_dword v34, off, off offset:140 ; 4-byte Folded Reload
	s_waitcnt lgkmcnt(0)
	v_mul_f32_e32 v54, v105, v60
	v_mov_b32_e32 v183, v54
	v_mov_b32_e32 v87, v54
	;; [unrolled: 1-line block ×3, first 2 shown]
	s_waitcnt vmcnt(0)
	ds_read2_b32 v[0:1], v34 offset0:26 offset1:27
	scratch_load_dwordx4 v[2:5], off, off offset:4 ; 16-byte Folded Reload
	scratch_load_dwordx4 v[6:9], off, off offset:20 ; 16-byte Folded Reload
	;; [unrolled: 1-line block ×8, first 2 shown]
	s_waitcnt vmcnt(7)
	ds_read2_b32 v[4:5], v34 offset0:28 offset1:29
	s_waitcnt vmcnt(6)
	ds_read_b32 v6, v34 offset:120
	s_waitcnt vmcnt(2)
	v_mov_b32_e32 v25, v54
	s_waitcnt vmcnt(0)
	v_mov_b64_e32 v[220:221], v[30:31]
	v_mov_b64_e32 v[218:219], v[28:29]
	v_mov_b32_e32 v2, v218
	v_mov_b32_e32 v3, v219
	s_waitcnt lgkmcnt(2)
	v_pk_fma_f32 v[184:185], v[54:55], v[0:1], v[2:3] op_sel_hi:[0,1,1] neg_lo:[1,0,0] neg_hi:[1,0,0]
	v_mov_b32_e32 v0, v220
	v_mov_b32_e32 v1, v221
	s_waitcnt lgkmcnt(1)
	v_pk_fma_f32 v[90:91], v[54:55], v[4:5], v[0:1] op_sel_hi:[0,1,1] neg_lo:[1,0,0] neg_hi:[1,0,0]
	scratch_load_dwordx2 v[0:1], off, off offset:132 ; 8-byte Folded Reload
	s_waitcnt vmcnt(0)
	v_mov_b32_e32 v0, v126
	v_mov_b32_e32 v26, v184
	;; [unrolled: 1-line block ×10, first 2 shown]
	s_waitcnt lgkmcnt(0)
	v_fma_f32 v58, -v54, v6, v1
	v_mov_b32_e32 v1, v127
	scratch_load_dwordx4 v[96:99], off, off offset:272 ; 16-byte Folded Reload
	scratch_load_dwordx4 v[100:103], off, off offset:288 ; 16-byte Folded Reload
	;; [unrolled: 1-line block ×8, first 2 shown]
	s_waitcnt vmcnt(0)
	v_mov_b32_e32 v127, v1
	v_mov_b32_e32 v126, v0
	;; [unrolled: 1-line block ×29, first 2 shown]
	scratch_store_dwordx4 off, v[0:3], off offset:912 ; 16-byte Folded Spill
	s_nop 0
	scratch_store_dwordx4 off, v[4:7], off offset:928 ; 16-byte Folded Spill
	scratch_store_dwordx4 off, v[8:11], off offset:944 ; 16-byte Folded Spill
	;; [unrolled: 1-line block ×7, first 2 shown]
	v_mov_b32_e32 v32, v100
	v_mov_b32_e32 v33, v101
	;; [unrolled: 1-line block ×75, first 2 shown]
	scratch_store_dwordx4 off, v[28:31], off offset:4 ; 16-byte Folded Spill
	s_nop 0
	scratch_store_dwordx4 off, v[32:35], off offset:20 ; 16-byte Folded Spill
	scratch_store_dwordx4 off, v[36:39], off offset:36 ; 16-byte Folded Spill
	scratch_store_dwordx4 off, v[40:43], off offset:52 ; 16-byte Folded Spill
	scratch_store_dwordx4 off, v[44:47], off offset:68 ; 16-byte Folded Spill
	scratch_store_dwordx4 off, v[48:51], off offset:84 ; 16-byte Folded Spill
	scratch_store_dwordx4 off, v[52:55], off offset:100 ; 16-byte Folded Spill
	scratch_store_dwordx4 off, v[56:59], off offset:116 ; 16-byte Folded Spill
	scratch_store_dwordx4 off, v[96:99], off offset:1040 ; 16-byte Folded Spill
	s_nop 0
	scratch_store_dwordx4 off, v[100:103], off offset:1056 ; 16-byte Folded Spill
	scratch_store_dwordx4 off, v[104:107], off offset:1072 ; 16-byte Folded Spill
	;; [unrolled: 1-line block ×7, first 2 shown]
	v_mov_b32_e32 v28, v91
	scratch_store_dwordx4 off, v[158:161], off offset:144 ; 16-byte Folded Spill
	s_nop 0
	scratch_store_dwordx4 off, v[162:165], off offset:160 ; 16-byte Folded Spill
	scratch_store_dwordx4 off, v[166:169], off offset:176 ; 16-byte Folded Spill
	;; [unrolled: 1-line block ×7, first 2 shown]
	v_mov_b64_e32 v[44:45], v[78:79]
	v_mov_b64_e32 v[46:47], v[80:81]
	;; [unrolled: 1-line block ×6, first 2 shown]
	v_mov_b32_e32 v29, v58
	scratch_store_dwordx2 off, v[28:29], off offset:132 ; 8-byte Folded Spill
	v_mov_b64_e32 v[28:29], v[62:63]
	v_mov_b64_e32 v[30:31], v[64:65]
	;; [unrolled: 1-line block ×8, first 2 shown]
	scratch_store_dwordx4 off, v[28:31], off offset:784 ; 16-byte Folded Spill
	s_nop 0
	scratch_store_dwordx4 off, v[32:35], off offset:800 ; 16-byte Folded Spill
	scratch_store_dwordx4 off, v[36:39], off offset:816 ; 16-byte Folded Spill
	;; [unrolled: 1-line block ×7, first 2 shown]
.LBB61_133:
	s_or_b64 exec, exec, s[2:3]
	v_cmp_eq_u32_e32 vcc, 26, v254
	s_waitcnt lgkmcnt(0)
	s_barrier
	s_and_saveexec_b64 s[2:3], vcc
	s_cbranch_execz .LBB61_136
; %bb.134:
	ds_write_b32 v255, v138
	scratch_load_dwordx4 v[62:65], off, off offset:4 ; 16-byte Folded Reload
	scratch_load_dwordx4 v[66:69], off, off offset:20 ; 16-byte Folded Reload
	;; [unrolled: 1-line block ×8, first 2 shown]
	scratch_load_dword v28, off, off offset:140 ; 4-byte Folded Reload
	s_waitcnt vmcnt(2)
	v_mov_b64_e32 v[44:45], v[78:79]
	v_mov_b64_e32 v[54:55], v[88:89]
	s_waitcnt vmcnt(1)
	v_mov_b32_e32 v56, v90
	v_mov_b32_e32 v57, v91
	;; [unrolled: 1-line block ×3, first 2 shown]
	s_waitcnt vmcnt(0)
	ds_write2_b32 v28, v55, v56 offset0:27 offset1:28
	ds_write2_b32 v28, v57, v58 offset0:29 offset1:30
	ds_read_b32 v28, v255
	v_mov_b64_e32 v[46:47], v[80:81]
	v_mov_b64_e32 v[48:49], v[82:83]
	;; [unrolled: 1-line block ×4, first 2 shown]
	s_waitcnt lgkmcnt(0)
	v_cmp_neq_f32_e32 vcc, 0, v28
	s_and_b64 exec, exec, vcc
	s_cbranch_execz .LBB61_136
; %bb.135:
	v_div_scale_f32 v29, s[4:5], v28, v28, 1.0
	v_rcp_f32_e32 v30, v29
	v_div_scale_f32 v31, vcc, 1.0, v28, 1.0
	v_fma_f32 v32, -v29, v30, 1.0
	v_fmac_f32_e32 v30, v32, v30
	v_mul_f32_e32 v32, v31, v30
	v_fma_f32 v33, -v29, v32, v31
	v_fmac_f32_e32 v32, v33, v30
	v_fma_f32 v29, -v29, v32, v31
	v_div_fmas_f32 v29, v29, v30, v32
	v_div_fixup_f32 v28, v29, v28, 1.0
	ds_write_b32 v255, v28
.LBB61_136:
	s_or_b64 exec, exec, s[2:3]
	s_waitcnt lgkmcnt(0)
	s_barrier
	ds_read_b32 v33, v255
	v_cmp_lt_u32_e32 vcc, 26, v254
	s_and_saveexec_b64 s[2:3], vcc
	s_cbranch_execz .LBB61_138
; %bb.137:
	scratch_load_dword v2, off, off offset:140 ; 4-byte Folded Reload
	s_waitcnt vmcnt(0)
	ds_read2_b32 v[0:1], v2 offset0:27 offset1:28
	scratch_load_dwordx4 v[62:65], off, off offset:1040 ; 16-byte Folded Reload
	scratch_load_dwordx4 v[66:69], off, off offset:1056 ; 16-byte Folded Reload
	;; [unrolled: 1-line block ×16, first 2 shown]
	ds_read2_b32 v[4:5], v2 offset0:29 offset1:30
	s_waitcnt vmcnt(9) lgkmcnt(2)
	v_mul_f32_e32 v88, v138, v33
	v_mov_b32_e32 v28, v88
	v_mov_b32_e32 v218, v88
	;; [unrolled: 1-line block ×10, first 2 shown]
	s_waitcnt vmcnt(0)
	v_mov_b32_e32 v222, v120
	v_mov_b32_e32 v220, v118
	;; [unrolled: 1-line block ×6, first 2 shown]
	s_waitcnt lgkmcnt(1)
	v_pk_fma_f32 v[34:35], v[88:89], v[0:1], v[2:3] op_sel_hi:[0,1,1] neg_lo:[1,0,0] neg_hi:[1,0,0]
	v_mov_b32_e32 v1, v222
	v_mov_b32_e32 v0, v221
	s_waitcnt lgkmcnt(0)
	v_pk_fma_f32 v[0:1], v[88:89], v[4:5], v[0:1] op_sel_hi:[0,1,1] neg_lo:[1,0,0] neg_hi:[1,0,0]
	v_mov_b32_e32 v89, v34
	v_mov_b32_e32 v2, v62
	;; [unrolled: 1-line block ×53, first 2 shown]
	scratch_store_dwordx4 off, v[2:5], off offset:784 ; 16-byte Folded Spill
	s_nop 0
	scratch_store_dwordx4 off, v[6:9], off offset:800 ; 16-byte Folded Spill
	scratch_store_dwordx4 off, v[10:13], off offset:816 ; 16-byte Folded Spill
	;; [unrolled: 1-line block ×7, first 2 shown]
	scratch_store_dwordx2 off, v[0:1], off offset:132 ; 8-byte Folded Spill
	scratch_store_dwordx4 off, v[192:195], off offset:4 ; 16-byte Folded Spill
	s_nop 0
	scratch_store_dwordx4 off, v[196:199], off offset:20 ; 16-byte Folded Spill
	scratch_store_dwordx4 off, v[200:203], off offset:36 ; 16-byte Folded Spill
	scratch_store_dwordx4 off, v[204:207], off offset:52 ; 16-byte Folded Spill
	scratch_store_dwordx4 off, v[208:211], off offset:68 ; 16-byte Folded Spill
	scratch_store_dwordx4 off, v[212:215], off offset:84 ; 16-byte Folded Spill
	scratch_store_dwordx4 off, v[216:219], off offset:100 ; 16-byte Folded Spill
	scratch_store_dwordx4 off, v[220:223], off offset:116 ; 16-byte Folded Spill
	scratch_store_dwordx4 off, v[62:65], off offset:912 ; 16-byte Folded Spill
	s_nop 0
	scratch_store_dwordx4 off, v[66:69], off offset:928 ; 16-byte Folded Spill
	scratch_store_dwordx4 off, v[70:73], off offset:944 ; 16-byte Folded Spill
	scratch_store_dwordx4 off, v[74:77], off offset:960 ; 16-byte Folded Spill
	scratch_store_dwordx4 off, v[78:81], off offset:976 ; 16-byte Folded Spill
	scratch_store_dwordx4 off, v[82:85], off offset:992 ; 16-byte Folded Spill
	scratch_store_dwordx4 off, v[86:89], off offset:1008 ; 16-byte Folded Spill
	scratch_store_dwordx4 off, v[90:93], off offset:1024 ; 16-byte Folded Spill
	;; [unrolled: 9-line block ×3, first 2 shown]
.LBB61_138:
	s_or_b64 exec, exec, s[2:3]
	v_cmp_eq_u32_e32 vcc, 27, v254
	s_waitcnt lgkmcnt(0)
	s_barrier
	s_and_saveexec_b64 s[2:3], vcc
	s_cbranch_execz .LBB61_141
; %bb.139:
	ds_write_b32 v255, v185
	scratch_load_dwordx4 v[62:65], off, off offset:4 ; 16-byte Folded Reload
	scratch_load_dwordx4 v[66:69], off, off offset:20 ; 16-byte Folded Reload
	;; [unrolled: 1-line block ×8, first 2 shown]
	scratch_load_dword v30, off, off offset:140 ; 4-byte Folded Reload
	scratch_load_dwordx2 v[28:29], off, off offset:132 ; 8-byte Folded Reload
	s_waitcnt vmcnt(1)
	ds_write2_b32 v30, v90, v91 offset0:28 offset1:29
	s_waitcnt vmcnt(0)
	ds_write_b32 v30, v29 offset:120
	ds_read_b32 v28, v255
	s_waitcnt lgkmcnt(0)
	v_cmp_neq_f32_e32 vcc, 0, v28
	s_and_b64 exec, exec, vcc
	s_cbranch_execz .LBB61_141
; %bb.140:
	v_div_scale_f32 v29, s[4:5], v28, v28, 1.0
	v_rcp_f32_e32 v30, v29
	v_div_scale_f32 v31, vcc, 1.0, v28, 1.0
	v_fma_f32 v32, -v29, v30, 1.0
	v_fmac_f32_e32 v30, v32, v30
	v_mul_f32_e32 v32, v31, v30
	v_fma_f32 v34, -v29, v32, v31
	v_fmac_f32_e32 v32, v34, v30
	v_fma_f32 v29, -v29, v32, v31
	v_div_fmas_f32 v29, v29, v30, v32
	v_div_fixup_f32 v28, v29, v28, 1.0
	ds_write_b32 v255, v28
.LBB61_141:
	s_or_b64 exec, exec, s[2:3]
	s_waitcnt lgkmcnt(0)
	s_barrier
	ds_read_b32 v34, v255
	v_cmp_lt_u32_e32 vcc, 27, v254
	s_mov_b64 s[2:3], exec
	scratch_load_dwordx4 v[94:97], off, off offset:784 ; 16-byte Folded Reload
	scratch_load_dwordx4 v[98:101], off, off offset:800 ; 16-byte Folded Reload
	;; [unrolled: 1-line block ×8, first 2 shown]
	s_and_b64 s[4:5], s[2:3], vcc
	s_waitcnt vmcnt(4)
	v_mov_b64_e32 v[62:63], v[94:95]
	v_mov_b64_e32 v[64:65], v[96:97]
	;; [unrolled: 1-line block ×3, first 2 shown]
	s_waitcnt vmcnt(1)
	v_mov_b64_e32 v[78:79], v[110:111]
	v_mov_b64_e32 v[68:69], v[100:101]
	;; [unrolled: 1-line block ×11, first 2 shown]
	s_waitcnt vmcnt(0)
	v_mov_b32_e32 v90, v122
	s_mov_b64 exec, s[4:5]
	s_cbranch_execz .LBB61_143
; %bb.142:
	scratch_load_dword v2, off, off offset:140 ; 4-byte Folded Reload
	s_waitcnt lgkmcnt(0)
	v_mul_f32_e32 v30, v185, v34
	v_mov_b32_e32 v89, v30
	v_mov_b32_e32 v29, v30
	s_waitcnt vmcnt(0)
	ds_read2_b32 v[0:1], v2 offset0:28 offset1:29
	ds_read_b32 v4, v2 offset:120
	scratch_load_dwordx4 v[192:195], off, off offset:4 ; 16-byte Folded Reload
	scratch_load_dwordx4 v[196:199], off, off offset:20 ; 16-byte Folded Reload
	;; [unrolled: 1-line block ×8, first 2 shown]
	s_waitcnt vmcnt(0)
	v_mov_b32_e32 v2, v220
	v_mov_b32_e32 v3, v221
	s_waitcnt lgkmcnt(1)
	v_pk_fma_f32 v[90:91], v[30:31], v[0:1], v[2:3] op_sel_hi:[0,1,1] neg_lo:[1,0,0] neg_hi:[1,0,0]
	scratch_load_dwordx2 v[0:1], off, off offset:132 ; 8-byte Folded Reload
	scratch_load_dwordx4 v[92:95], off, off offset:144 ; 16-byte Folded Reload
	scratch_load_dwordx4 v[96:99], off, off offset:160 ; 16-byte Folded Reload
	;; [unrolled: 1-line block ×8, first 2 shown]
	s_waitcnt vmcnt(1)
	v_mov_b32_e32 v119, v30
	v_mov_b32_e32 v31, v91
	;; [unrolled: 1-line block ×9, first 2 shown]
	s_waitcnt lgkmcnt(0)
	v_fma_f32 v32, -v30, v4, v1
	v_mov_b32_e32 v4, v94
	v_mov_b32_e32 v9, v99
	;; [unrolled: 1-line block ×49, first 2 shown]
	scratch_store_dwordx4 off, v[2:5], off offset:4 ; 16-byte Folded Spill
	s_nop 0
	scratch_store_dwordx4 off, v[6:9], off offset:20 ; 16-byte Folded Spill
	scratch_store_dwordx4 off, v[10:13], off offset:36 ; 16-byte Folded Spill
	;; [unrolled: 1-line block ×8, first 2 shown]
	s_nop 0
	scratch_store_dwordx4 off, v[96:99], off offset:928 ; 16-byte Folded Spill
	scratch_store_dwordx4 off, v[100:103], off offset:944 ; 16-byte Folded Spill
	;; [unrolled: 1-line block ×6, first 2 shown]
	s_waitcnt vmcnt(15)
	scratch_store_dwordx4 off, v[120:123], off offset:1024 ; 16-byte Folded Spill
	v_mov_b32_e32 v28, v91
	v_mov_b32_e32 v29, v32
	scratch_store_dwordx2 off, v[28:29], off offset:132 ; 8-byte Folded Spill
.LBB61_143:
	s_or_b64 exec, exec, s[2:3]
	v_cmp_eq_u32_e32 vcc, 28, v254
	s_waitcnt lgkmcnt(0)
	s_barrier
	s_and_saveexec_b64 s[2:3], vcc
	s_cbranch_execz .LBB61_146
; %bb.144:
	ds_write_b32 v255, v234
	scratch_load_dwordx4 v[92:95], off, off offset:4 ; 16-byte Folded Reload
	scratch_load_dwordx4 v[96:99], off, off offset:20 ; 16-byte Folded Reload
	;; [unrolled: 1-line block ×8, first 2 shown]
	scratch_load_dword v28, off, off offset:140 ; 4-byte Folded Reload
	s_waitcnt vmcnt(0)
	ds_write2_b32 v28, v121, v122 offset0:29 offset1:30
	ds_read_b32 v28, v255
	s_waitcnt lgkmcnt(0)
	v_cmp_neq_f32_e32 vcc, 0, v28
	s_and_b64 exec, exec, vcc
	s_cbranch_execz .LBB61_146
; %bb.145:
	v_div_scale_f32 v29, s[4:5], v28, v28, 1.0
	v_rcp_f32_e32 v30, v29
	v_div_scale_f32 v31, vcc, 1.0, v28, 1.0
	v_fma_f32 v32, -v29, v30, 1.0
	v_fmac_f32_e32 v30, v32, v30
	v_mul_f32_e32 v32, v31, v30
	v_fma_f32 v35, -v29, v32, v31
	v_fmac_f32_e32 v32, v35, v30
	v_fma_f32 v29, -v29, v32, v31
	v_div_fmas_f32 v29, v29, v30, v32
	v_div_fixup_f32 v28, v29, v28, 1.0
	ds_write_b32 v255, v28
.LBB61_146:
	s_or_b64 exec, exec, s[2:3]
	s_waitcnt lgkmcnt(0)
	s_barrier
	ds_read_b32 v31, v255
	v_cmp_lt_u32_e32 vcc, 28, v254
	s_and_saveexec_b64 s[2:3], vcc
	s_cbranch_execz .LBB61_148
; %bb.147:
	scratch_load_dword v28, off, off offset:140 ; 4-byte Folded Reload
	s_waitcnt vmcnt(0)
	ds_read2_b32 v[36:37], v28 offset0:29 offset1:30
	scratch_load_dwordx4 v[62:65], off, off offset:912 ; 16-byte Folded Reload
	scratch_load_dwordx4 v[66:69], off, off offset:928 ; 16-byte Folded Reload
	;; [unrolled: 1-line block ×16, first 2 shown]
	s_waitcnt vmcnt(8) lgkmcnt(1)
	v_mul_f32_e32 v90, v234, v31
	s_waitcnt vmcnt(0)
	v_mov_b32_e32 v39, v222
	v_mov_b32_e32 v38, v221
	s_waitcnt lgkmcnt(0)
	v_pk_fma_f32 v[36:37], v[90:91], v[36:37], v[38:39] op_sel_hi:[0,1,1] neg_lo:[1,0,0] neg_hi:[1,0,0]
	v_mov_b32_e32 v91, v36
	v_mov_b32_e32 v92, v37
	scratch_store_dwordx2 off, v[36:37], off offset:132 ; 8-byte Folded Spill
	scratch_store_dwordx4 off, v[62:65], off offset:4 ; 16-byte Folded Spill
	s_nop 0
	scratch_store_dwordx4 off, v[66:69], off offset:20 ; 16-byte Folded Spill
	scratch_store_dwordx4 off, v[70:73], off offset:36 ; 16-byte Folded Spill
	;; [unrolled: 1-line block ×7, first 2 shown]
.LBB61_148:
	s_or_b64 exec, exec, s[2:3]
	v_cmp_eq_u32_e32 vcc, 29, v254
	s_waitcnt lgkmcnt(0)
	s_barrier
	s_and_saveexec_b64 s[2:3], vcc
	s_cbranch_execz .LBB61_151
; %bb.149:
	scratch_load_dwordx2 v[0:1], off, off offset:132 ; 8-byte Folded Reload
	s_waitcnt vmcnt(0)
	ds_write_b32 v255, v0
	scratch_load_dword v0, off, off offset:140 ; 4-byte Folded Reload
	s_waitcnt vmcnt(0)
	ds_write_b32 v0, v1 offset:120
	ds_read_b32 v0, v255
	s_waitcnt lgkmcnt(0)
	v_cmp_neq_f32_e32 vcc, 0, v0
	s_and_b64 exec, exec, vcc
	s_cbranch_execz .LBB61_151
; %bb.150:
	v_div_scale_f32 v1, s[4:5], v0, v0, 1.0
	v_rcp_f32_e32 v2, v1
	v_div_scale_f32 v3, vcc, 1.0, v0, 1.0
	v_fma_f32 v4, -v1, v2, 1.0
	v_fmac_f32_e32 v2, v4, v2
	v_mul_f32_e32 v4, v3, v2
	v_fma_f32 v5, -v1, v4, v3
	v_fmac_f32_e32 v4, v5, v2
	v_fma_f32 v1, -v1, v4, v3
	v_div_fmas_f32 v1, v1, v2, v4
	v_div_fixup_f32 v0, v1, v0, 1.0
	ds_write_b32 v255, v0
.LBB61_151:
	s_or_b64 exec, exec, s[2:3]
	s_waitcnt lgkmcnt(0)
	s_barrier
	ds_read_b32 v2, v255
	v_cmp_lt_u32_e32 vcc, 29, v254
	s_and_saveexec_b64 s[2:3], vcc
	s_cbranch_execz .LBB61_153
; %bb.152:
	scratch_load_dword v0, off, off offset:140 ; 4-byte Folded Reload
	scratch_load_dwordx2 v[4:5], off, off offset:132 ; 8-byte Folded Reload
	s_waitcnt vmcnt(1)
	ds_read_b32 v0, v0 offset:120
	s_waitcnt vmcnt(0) lgkmcnt(1)
	v_mul_f32_e32 v91, v4, v2
	s_waitcnt lgkmcnt(0)
	v_fma_f32 v92, -v91, v0, v5
	scratch_store_dwordx4 off, v[62:65], off offset:4 ; 16-byte Folded Spill
	s_nop 0
	scratch_store_dwordx4 off, v[66:69], off offset:20 ; 16-byte Folded Spill
	scratch_store_dwordx4 off, v[70:73], off offset:36 ; 16-byte Folded Spill
	;; [unrolled: 1-line block ×7, first 2 shown]
	v_mov_b32_e32 v1, v92
	scratch_store_dwordx2 off, v[0:1], off offset:132 ; 8-byte Folded Spill
.LBB61_153:
	s_or_b64 exec, exec, s[2:3]
	v_cmp_eq_u32_e32 vcc, 30, v254
	s_waitcnt lgkmcnt(0)
	s_barrier
	s_and_saveexec_b64 s[2:3], vcc
	s_cbranch_execz .LBB61_156
; %bb.154:
	scratch_load_dwordx2 v[0:1], off, off offset:132 ; 8-byte Folded Reload
	s_waitcnt vmcnt(0)
	v_cmp_neq_f32_e32 vcc, 0, v1
	ds_write_b32 v255, v1
	s_and_b64 exec, exec, vcc
	s_cbranch_execz .LBB61_156
; %bb.155:
	scratch_load_dwordx2 v[0:1], off, off offset:132 ; 8-byte Folded Reload
	s_waitcnt vmcnt(0)
	v_mov_b32_e32 v7, v1
	v_div_scale_f32 v0, s[4:5], v7, v7, 1.0
	v_rcp_f32_e32 v1, v0
	v_div_scale_f32 v3, vcc, 1.0, v7, 1.0
	v_fma_f32 v4, -v0, v1, 1.0
	v_fmac_f32_e32 v1, v4, v1
	v_mul_f32_e32 v4, v3, v1
	v_fma_f32 v5, -v0, v4, v3
	v_fmac_f32_e32 v4, v5, v1
	v_fma_f32 v0, -v0, v4, v3
	v_div_fmas_f32 v0, v0, v1, v4
	v_div_fixup_f32 v0, v0, v7, 1.0
	ds_write_b32 v255, v0
.LBB61_156:
	s_or_b64 exec, exec, s[2:3]
	s_waitcnt lgkmcnt(0)
	s_barrier
	ds_read_b32 v3, v255
	s_waitcnt lgkmcnt(0)
	s_barrier
	s_and_saveexec_b64 s[2:3], s[0:1]
	s_cbranch_execz .LBB61_159
; %bb.157:
	s_movk_i32 s0, 0x1a90
	scratch_load_dword v0, off, s0          ; 4-byte Folded Reload
	s_movk_i32 s0, 0x1a94
	scratch_load_dword v1, off, s0          ; 4-byte Folded Reload
	s_waitcnt vmcnt(1)
	v_cmp_eq_f32_e32 vcc, 0, v0
	s_nop 1
	v_cndmask_b32_e64 v0, 0, 1, vcc
	s_waitcnt vmcnt(0)
	v_cmp_neq_f32_e64 s[0:1], 0, v1
	scratch_load_dword v1, off, off offset:1808 ; 4-byte Folded Reload
	s_or_b64 vcc, s[0:1], vcc
	v_cndmask_b32_e32 v0, 2, v0, vcc
	v_cmp_eq_u32_e64 s[0:1], 0, v0
	s_waitcnt vmcnt(0)
	v_cmp_eq_f32_e32 vcc, 0, v1
	scratch_load_dword v1, off, off offset:2320 ; 4-byte Folded Reload
	s_and_b64 s[0:1], vcc, s[0:1]
	v_cndmask_b32_e64 v0, v0, 3, s[0:1]
	v_cmp_eq_u32_e64 s[0:1], 0, v0
	s_waitcnt vmcnt(0)
	v_cmp_eq_f32_e32 vcc, 0, v1
	scratch_load_dword v1, off, off offset:2064 ; 4-byte Folded Reload
	s_and_b64 s[0:1], vcc, s[0:1]
	v_cndmask_b32_e64 v0, v0, 4, s[0:1]
	;; [unrolled: 6-line block ×5, first 2 shown]
	v_cmp_eq_u32_e64 s[0:1], 0, v0
	s_waitcnt vmcnt(0)
	v_cmp_eq_f32_e32 vcc, 0, v1
	s_and_b64 s[0:1], vcc, s[0:1]
	v_cndmask_b32_e64 v0, v0, 8, s[0:1]
	v_cmp_eq_f32_e32 vcc, 0, v252
	v_cmp_eq_u32_e64 s[0:1], 0, v0
	s_and_b64 s[0:1], vcc, s[0:1]
	v_cmp_eq_f32_e32 vcc, 0, v253
	v_cndmask_b32_e64 v0, v0, 9, s[0:1]
	v_cmp_eq_u32_e64 s[0:1], 0, v0
	s_and_b64 s[0:1], vcc, s[0:1]
	v_cmp_eq_f32_e32 vcc, 0, v153
	v_cndmask_b32_e64 v0, v0, 10, s[0:1]
	v_cmp_eq_u32_e64 s[0:1], 0, v0
	s_and_b64 s[0:1], vcc, s[0:1]
	v_mov_b32_e32 v1, s7
	v_cndmask_b32_e64 v4, v0, 11, s[0:1]
	s_movk_i32 s0, 0x1a98
	v_mov_b32_e32 v0, s6
	scratch_load_dwordx2 v[6:7], off, s0    ; 8-byte Folded Reload
	v_cmp_eq_f32_e32 vcc, 0, v154
	v_cmp_eq_u32_e64 s[0:1], 0, v4
	s_and_b64 s[0:1], vcc, s[0:1]
	v_cmp_eq_f32_e32 vcc, 0, v150
	v_cndmask_b32_e64 v4, v4, 12, s[0:1]
	v_cmp_eq_u32_e64 s[0:1], 0, v4
	s_and_b64 s[0:1], vcc, s[0:1]
	v_cmp_eq_f32_e32 vcc, 0, v151
	v_cndmask_b32_e64 v4, v4, 13, s[0:1]
	v_cmp_eq_u32_e64 s[0:1], 0, v4
	s_and_b64 s[0:1], vcc, s[0:1]
	v_cmp_eq_f32_e32 vcc, 0, v144
	v_cndmask_b32_e64 v4, v4, 14, s[0:1]
	v_cmp_eq_u32_e64 s[0:1], 0, v4
	s_and_b64 s[0:1], vcc, s[0:1]
	v_cmp_eq_f32_e32 vcc, 0, v145
	v_cndmask_b32_e64 v4, v4, 15, s[0:1]
	v_cmp_eq_u32_e64 s[0:1], 0, v4
	s_and_b64 s[0:1], vcc, s[0:1]
	v_cmp_eq_f32_e32 vcc, 0, v146
	v_cndmask_b32_e64 v4, v4, 16, s[0:1]
	v_cmp_eq_u32_e64 s[0:1], 0, v4
	s_and_b64 s[0:1], vcc, s[0:1]
	v_cmp_eq_f32_e32 vcc, 0, v147
	v_cndmask_b32_e64 v4, v4, 17, s[0:1]
	v_cmp_eq_u32_e64 s[0:1], 0, v4
	s_and_b64 s[0:1], vcc, s[0:1]
	v_cmp_eq_f32_e32 vcc, 0, v148
	v_cndmask_b32_e64 v4, v4, 18, s[0:1]
	v_cmp_eq_u32_e64 s[0:1], 0, v4
	s_and_b64 s[0:1], vcc, s[0:1]
	v_cmp_eq_f32_e32 vcc, 0, v149
	v_cndmask_b32_e64 v4, v4, 19, s[0:1]
	v_cmp_eq_u32_e64 s[0:1], 0, v4
	s_and_b64 s[0:1], vcc, s[0:1]
	v_cmp_eq_f32_e32 vcc, 0, v126
	v_cndmask_b32_e64 v4, v4, 20, s[0:1]
	v_cmp_eq_u32_e64 s[0:1], 0, v4
	s_and_b64 s[0:1], vcc, s[0:1]
	v_cmp_eq_f32_e32 vcc, 0, v127
	v_cndmask_b32_e64 v4, v4, 21, s[0:1]
	v_cmp_eq_u32_e64 s[0:1], 0, v4
	s_and_b64 s[0:1], vcc, s[0:1]
	v_cmp_eq_f32_e32 vcc, 0, v129
	v_cndmask_b32_e64 v4, v4, 22, s[0:1]
	v_cmp_eq_u32_e64 s[0:1], 0, v4
	s_and_b64 s[0:1], vcc, s[0:1]
	v_cmp_eq_f32_e32 vcc, 0, v128
	v_cndmask_b32_e64 v4, v4, 23, s[0:1]
	v_cmp_eq_u32_e64 s[0:1], 0, v4
	s_and_b64 s[0:1], vcc, s[0:1]
	v_cmp_eq_f32_e32 vcc, 0, v59
	v_cndmask_b32_e64 v4, v4, 24, s[0:1]
	v_cmp_eq_u32_e64 s[0:1], 0, v4
	s_and_b64 s[0:1], vcc, s[0:1]
	v_cmp_eq_f32_e32 vcc, 0, v60
	v_cndmask_b32_e64 v4, v4, 25, s[0:1]
	v_cmp_eq_u32_e64 s[0:1], 0, v4
	s_and_b64 s[0:1], vcc, s[0:1]
	v_cmp_eq_f32_e32 vcc, 0, v33
	v_cndmask_b32_e64 v4, v4, 26, s[0:1]
	v_cmp_eq_u32_e64 s[0:1], 0, v4
	s_and_b64 s[0:1], vcc, s[0:1]
	v_cmp_eq_f32_e32 vcc, 0, v34
	v_cndmask_b32_e64 v4, v4, 27, s[0:1]
	v_cmp_eq_u32_e64 s[0:1], 0, v4
	s_and_b64 s[0:1], vcc, s[0:1]
	v_cmp_eq_f32_e32 vcc, 0, v31
	v_cndmask_b32_e64 v4, v4, 28, s[0:1]
	v_cmp_eq_u32_e64 s[0:1], 0, v4
	s_and_b64 s[0:1], vcc, s[0:1]
	v_cmp_eq_f32_e32 vcc, 0, v2
	v_cndmask_b32_e64 v4, v4, 29, s[0:1]
	v_cmp_eq_u32_e64 s[0:1], 0, v4
	s_and_b64 s[0:1], vcc, s[0:1]
	v_cmp_eq_f32_e32 vcc, 0, v3
	v_cndmask_b32_e64 v2, v4, 30, s[0:1]
	v_cmp_eq_u32_e64 s[0:1], 0, v2
	s_and_b64 s[0:1], vcc, s[0:1]
	s_waitcnt vmcnt(0)
	v_lshl_add_u64 v[0:1], v[6:7], 2, v[0:1]
	global_load_dword v5, v[0:1], off
	v_cndmask_b32_e64 v2, v2, 31, s[0:1]
	v_cmp_ne_u32_e64 s[0:1], 0, v2
	s_waitcnt vmcnt(0)
	v_cmp_eq_u32_e32 vcc, 0, v5
	s_and_b64 s[0:1], vcc, s[0:1]
	s_and_b64 exec, exec, s[0:1]
	s_cbranch_execz .LBB61_159
; %bb.158:
	v_add_u32_e32 v2, s9, v2
	global_store_dword v[0:1], v2, off
.LBB61_159:
	s_or_b64 exec, exec, s[2:3]
	scratch_load_dwordx2 v[0:1], off, off offset:132 ; 8-byte Folded Reload
	s_movk_i32 s0, 0x1998
	scratch_load_dwordx4 v[192:195], off, off offset:4 ; 16-byte Folded Reload
	scratch_load_dwordx4 v[196:199], off, off offset:20 ; 16-byte Folded Reload
	;; [unrolled: 1-line block ×8, first 2 shown]
	v_cmp_lt_u32_e32 vcc, 30, v254
	s_waitcnt vmcnt(8)
	v_mul_f32_e32 v0, v1, v3
	scratch_load_dwordx2 v[2:3], off, s0    ; 8-byte Folded Reload
	s_movk_i32 s0, 0x1a88
	s_waitcnt vmcnt(1)
	v_cndmask_b32_e32 v0, v222, v0, vcc
	s_waitcnt vmcnt(0)
	global_store_dword v[2:3], v192, off
	scratch_load_dwordx2 v[2:3], off, s0    ; 8-byte Folded Reload
	s_movk_i32 s0, 0x19a0
	s_waitcnt vmcnt(0)
	global_store_dword v[2:3], v193, off
	scratch_load_dwordx2 v[2:3], off, s0    ; 8-byte Folded Reload
	s_movk_i32 s0, 0x19a8
	;; [unrolled: 4-line block ×29, first 2 shown]
	s_waitcnt vmcnt(0)
	global_store_dword v[2:3], v221, off
	scratch_load_dwordx2 v[2:3], off, s0    ; 8-byte Folded Reload
	s_waitcnt vmcnt(0)
	global_store_dword v[2:3], v0, off
.LBB61_160:
	s_endpgm
	.section	.rodata,"a",@progbits
	.p2align	6, 0x0
	.amdhsa_kernel _ZN9rocsolver6v33100L23getf2_npvt_small_kernelILi31EfiiPfEEvT1_T3_lS3_lPT2_S3_S3_
		.amdhsa_group_segment_fixed_size 0
		.amdhsa_private_segment_fixed_size 6816
		.amdhsa_kernarg_size 312
		.amdhsa_user_sgpr_count 2
		.amdhsa_user_sgpr_dispatch_ptr 0
		.amdhsa_user_sgpr_queue_ptr 0
		.amdhsa_user_sgpr_kernarg_segment_ptr 1
		.amdhsa_user_sgpr_dispatch_id 0
		.amdhsa_user_sgpr_kernarg_preload_length 0
		.amdhsa_user_sgpr_kernarg_preload_offset 0
		.amdhsa_user_sgpr_private_segment_size 0
		.amdhsa_uses_dynamic_stack 0
		.amdhsa_enable_private_segment 1
		.amdhsa_system_sgpr_workgroup_id_x 1
		.amdhsa_system_sgpr_workgroup_id_y 1
		.amdhsa_system_sgpr_workgroup_id_z 0
		.amdhsa_system_sgpr_workgroup_info 0
		.amdhsa_system_vgpr_workitem_id 1
		.amdhsa_next_free_vgpr 256
		.amdhsa_next_free_sgpr 16
		.amdhsa_accum_offset 256
		.amdhsa_reserve_vcc 1
		.amdhsa_float_round_mode_32 0
		.amdhsa_float_round_mode_16_64 0
		.amdhsa_float_denorm_mode_32 3
		.amdhsa_float_denorm_mode_16_64 3
		.amdhsa_dx10_clamp 1
		.amdhsa_ieee_mode 1
		.amdhsa_fp16_overflow 0
		.amdhsa_tg_split 0
		.amdhsa_exception_fp_ieee_invalid_op 0
		.amdhsa_exception_fp_denorm_src 0
		.amdhsa_exception_fp_ieee_div_zero 0
		.amdhsa_exception_fp_ieee_overflow 0
		.amdhsa_exception_fp_ieee_underflow 0
		.amdhsa_exception_fp_ieee_inexact 0
		.amdhsa_exception_int_div_zero 0
	.end_amdhsa_kernel
	.section	.text._ZN9rocsolver6v33100L23getf2_npvt_small_kernelILi31EfiiPfEEvT1_T3_lS3_lPT2_S3_S3_,"axG",@progbits,_ZN9rocsolver6v33100L23getf2_npvt_small_kernelILi31EfiiPfEEvT1_T3_lS3_lPT2_S3_S3_,comdat
.Lfunc_end61:
	.size	_ZN9rocsolver6v33100L23getf2_npvt_small_kernelILi31EfiiPfEEvT1_T3_lS3_lPT2_S3_S3_, .Lfunc_end61-_ZN9rocsolver6v33100L23getf2_npvt_small_kernelILi31EfiiPfEEvT1_T3_lS3_lPT2_S3_S3_
                                        ; -- End function
	.set _ZN9rocsolver6v33100L23getf2_npvt_small_kernelILi31EfiiPfEEvT1_T3_lS3_lPT2_S3_S3_.num_vgpr, 256
	.set _ZN9rocsolver6v33100L23getf2_npvt_small_kernelILi31EfiiPfEEvT1_T3_lS3_lPT2_S3_S3_.num_agpr, 0
	.set _ZN9rocsolver6v33100L23getf2_npvt_small_kernelILi31EfiiPfEEvT1_T3_lS3_lPT2_S3_S3_.numbered_sgpr, 16
	.set _ZN9rocsolver6v33100L23getf2_npvt_small_kernelILi31EfiiPfEEvT1_T3_lS3_lPT2_S3_S3_.num_named_barrier, 0
	.set _ZN9rocsolver6v33100L23getf2_npvt_small_kernelILi31EfiiPfEEvT1_T3_lS3_lPT2_S3_S3_.private_seg_size, 6816
	.set _ZN9rocsolver6v33100L23getf2_npvt_small_kernelILi31EfiiPfEEvT1_T3_lS3_lPT2_S3_S3_.uses_vcc, 1
	.set _ZN9rocsolver6v33100L23getf2_npvt_small_kernelILi31EfiiPfEEvT1_T3_lS3_lPT2_S3_S3_.uses_flat_scratch, 0
	.set _ZN9rocsolver6v33100L23getf2_npvt_small_kernelILi31EfiiPfEEvT1_T3_lS3_lPT2_S3_S3_.has_dyn_sized_stack, 0
	.set _ZN9rocsolver6v33100L23getf2_npvt_small_kernelILi31EfiiPfEEvT1_T3_lS3_lPT2_S3_S3_.has_recursion, 0
	.set _ZN9rocsolver6v33100L23getf2_npvt_small_kernelILi31EfiiPfEEvT1_T3_lS3_lPT2_S3_S3_.has_indirect_call, 0
	.section	.AMDGPU.csdata,"",@progbits
; Kernel info:
; codeLenInByte = 106096
; TotalNumSgprs: 22
; NumVgprs: 256
; NumAgprs: 0
; TotalNumVgprs: 256
; ScratchSize: 6816
; MemoryBound: 0
; FloatMode: 240
; IeeeMode: 1
; LDSByteSize: 0 bytes/workgroup (compile time only)
; SGPRBlocks: 2
; VGPRBlocks: 31
; NumSGPRsForWavesPerEU: 22
; NumVGPRsForWavesPerEU: 256
; AccumOffset: 256
; Occupancy: 2
; WaveLimiterHint : 0
; COMPUTE_PGM_RSRC2:SCRATCH_EN: 1
; COMPUTE_PGM_RSRC2:USER_SGPR: 2
; COMPUTE_PGM_RSRC2:TRAP_HANDLER: 0
; COMPUTE_PGM_RSRC2:TGID_X_EN: 1
; COMPUTE_PGM_RSRC2:TGID_Y_EN: 1
; COMPUTE_PGM_RSRC2:TGID_Z_EN: 0
; COMPUTE_PGM_RSRC2:TIDIG_COMP_CNT: 1
; COMPUTE_PGM_RSRC3_GFX90A:ACCUM_OFFSET: 63
; COMPUTE_PGM_RSRC3_GFX90A:TG_SPLIT: 0
	.section	.text._ZN9rocsolver6v33100L18getf2_small_kernelILi32EfiiPfEEvT1_T3_lS3_lPS3_llPT2_S3_S3_S5_l,"axG",@progbits,_ZN9rocsolver6v33100L18getf2_small_kernelILi32EfiiPfEEvT1_T3_lS3_lPS3_llPT2_S3_S3_S5_l,comdat
	.globl	_ZN9rocsolver6v33100L18getf2_small_kernelILi32EfiiPfEEvT1_T3_lS3_lPS3_llPT2_S3_S3_S5_l ; -- Begin function _ZN9rocsolver6v33100L18getf2_small_kernelILi32EfiiPfEEvT1_T3_lS3_lPS3_llPT2_S3_S3_S5_l
	.p2align	8
	.type	_ZN9rocsolver6v33100L18getf2_small_kernelILi32EfiiPfEEvT1_T3_lS3_lPS3_llPT2_S3_S3_S5_l,@function
_ZN9rocsolver6v33100L18getf2_small_kernelILi32EfiiPfEEvT1_T3_lS3_lPS3_llPT2_S3_S3_S5_l: ; @_ZN9rocsolver6v33100L18getf2_small_kernelILi32EfiiPfEEvT1_T3_lS3_lPS3_llPT2_S3_S3_S5_l
; %bb.0:
	s_load_dword s2, s[0:1], 0x6c
	s_load_dwordx2 s[14:15], s[0:1], 0x48
	v_bfe_u32 v3, v0, 10, 10
	s_waitcnt lgkmcnt(0)
	s_lshr_b32 s2, s2, 16
	s_mul_i32 s3, s3, s2
	v_add_u32_e32 v6, s3, v3
	v_cmp_gt_i32_e32 vcc, s14, v6
	s_and_saveexec_b64 s[2:3], vcc
	s_cbranch_execz .LBB62_548
; %bb.1:
	s_load_dwordx4 s[4:7], s[0:1], 0x50
	v_ashrrev_i32_e32 v7, 31, v6
	v_mov_b64_e32 v[4:5], 0
	scratch_store_dwordx2 off, v[4:5], off offset:2076 ; 8-byte Folded Spill
	s_waitcnt lgkmcnt(0)
	s_cmp_eq_u64 s[4:5], 0
	s_cselect_b64 s[16:17], -1, 0
	s_and_b64 vcc, exec, s[16:17]
	s_cbranch_vccnz .LBB62_3
; %bb.2:
	v_mul_lo_u32 v1, s7, v6
	v_mul_lo_u32 v2, s6, v7
	v_mad_u64_u32 v[4:5], s[2:3], s6, v6, 0
	v_add3_u32 v5, v5, v2, v1
	v_lshl_add_u64 v[4:5], v[4:5], 2, s[4:5]
	scratch_store_dwordx2 off, v[4:5], off offset:2076 ; 8-byte Folded Spill
.LBB62_3:
	s_load_dwordx4 s[24:27], s[0:1], 0x8
	s_load_dwordx8 s[4:11], s[0:1], 0x20
	s_load_dword s12, s[0:1], 0x18
	s_load_dword s22, s[0:1], 0x0
	scratch_store_dwordx2 off, v[6:7], off offset:3116 ; 8-byte Folded Spill
	s_waitcnt lgkmcnt(0)
	v_mov_b32_e32 v4, s24
	v_mul_lo_u32 v1, s5, v6
	v_mul_lo_u32 v2, s4, v7
	v_mad_u64_u32 v[6:7], s[2:3], s4, v6, 0
	v_mov_b32_e32 v5, s25
	v_add3_u32 v7, v7, v2, v1
	v_and_b32_e32 v2, 0x3ff, v0
	s_add_i32 s14, s12, s12
	v_lshl_add_u64 v[4:5], v[6:7], 2, v[4:5]
	v_add_u32_e32 v8, s14, v2
	v_lshl_add_u64 v[40:41], s[26:27], 2, v[4:5]
	v_ashrrev_i32_e32 v9, 31, v8
	v_lshl_add_u64 v[10:11], v[8:9], 2, v[40:41]
	v_add_u32_e32 v8, s12, v8
	v_ashrrev_i32_e32 v9, 31, v8
	v_lshl_add_u64 v[12:13], v[8:9], 2, v[40:41]
	v_add_u32_e32 v8, s12, v8
	;; [unrolled: 3-line block ×12, first 2 shown]
	v_ashrrev_i32_e32 v9, 31, v8
	v_lshl_add_u64 v[34:35], v[8:9], 2, v[40:41]
	global_load_dword v43, v[22:23], off
	global_load_dword v122, v[24:25], off
	;; [unrolled: 1-line block ×7, first 2 shown]
	v_add_u32_e32 v8, s12, v8
	v_ashrrev_i32_e32 v9, 31, v8
	v_lshl_add_u64 v[36:37], v[8:9], 2, v[40:41]
	v_add_u32_e32 v8, s12, v8
	v_ashrrev_i32_e32 v9, 31, v8
                                        ; kill: killed $vgpr22_vgpr23
	v_lshl_add_u64 v[22:23], v[8:9], 2, v[40:41]
	v_add_u32_e32 v8, s12, v8
	v_ashrrev_i32_e32 v9, 31, v8
                                        ; kill: killed $vgpr24_vgpr25
	v_lshl_add_u64 v[24:25], v[8:9], 2, v[40:41]
	v_add_u32_e32 v8, s12, v8
	v_ashrrev_i32_e32 v9, 31, v8
                                        ; kill: killed $vgpr26_vgpr27
	v_lshl_add_u64 v[26:27], v[8:9], 2, v[40:41]
	v_add_u32_e32 v8, s12, v8
	v_ashrrev_i32_e32 v9, 31, v8
                                        ; kill: killed $vgpr28_vgpr29
	v_lshl_add_u64 v[28:29], v[8:9], 2, v[40:41]
	v_add_u32_e32 v8, s12, v8
	v_ashrrev_i32_e32 v9, 31, v8
                                        ; kill: killed $vgpr30_vgpr31
	v_lshl_add_u64 v[30:31], v[8:9], 2, v[40:41]
	v_add_u32_e32 v8, s12, v8
	v_ashrrev_i32_e32 v9, 31, v8
                                        ; kill: killed $vgpr32_vgpr33
	v_lshl_add_u64 v[32:33], v[8:9], 2, v[40:41]
	v_add_u32_e32 v8, s12, v8
	v_lshlrev_b32_e32 v0, 2, v2
	v_mov_b32_e32 v1, 0
	v_ashrrev_i32_e32 v9, 31, v8
	v_lshl_add_u64 v[4:5], v[40:41], 0, v[0:1]
	s_ashr_i32 s13, s12, 31
                                        ; kill: killed $vgpr34_vgpr35
	v_lshl_add_u64 v[34:35], v[8:9], 2, v[40:41]
	v_add_u32_e32 v8, s12, v8
	v_lshl_add_u64 v[6:7], s[12:13], 2, v[4:5]
	v_ashrrev_i32_e32 v9, 31, v8
                                        ; kill: killed $vgpr36_vgpr37
                                        ; kill: killed $vgpr22_vgpr23
                                        ; kill: killed $vgpr24_vgpr25
                                        ; kill: killed $vgpr4_vgpr5
	s_max_i32 s2, s22, 32
	v_mul_lo_u32 v3, s2, v3
	v_lshl_add_u32 v214, v3, 2, 0
	v_add_u32_e32 v0, v214, v0
	s_load_dwordx2 s[4:5], s[0:1], 0x40
	s_cmp_lt_i32 s22, 2
	v_lshlrev_b32_e32 v215, 2, v3
                                        ; kill: killed $vgpr10_vgpr11
                                        ; kill: killed $vgpr6_vgpr7
                                        ; kill: killed $vgpr12_vgpr13
                                        ; kill: killed $vgpr14_vgpr15
                                        ; kill: killed $vgpr16_vgpr17
                                        ; kill: killed $vgpr18_vgpr19
                                        ; kill: killed $vgpr20_vgpr21
	s_waitcnt vmcnt(0)
	scratch_store_dwordx2 off, v[38:39], off offset:520 ; 8-byte Folded Spill
	global_load_dword v38, v[36:37], off
	s_nop 0
	global_load_dword v39, v[22:23], off
	v_lshl_add_u64 v[36:37], v[8:9], 2, v[40:41]
	v_add_u32_e32 v8, s12, v8
	v_ashrrev_i32_e32 v9, 31, v8
	v_lshl_add_u64 v[22:23], v[8:9], 2, v[40:41]
	v_add_u32_e32 v8, s12, v8
	v_ashrrev_i32_e32 v9, 31, v8
	s_waitcnt vmcnt(0)
	scratch_store_dwordx2 off, v[38:39], off offset:256 ; 8-byte Folded Spill
	global_load_dword v100, v[24:25], off
	global_load_dword v101, v[26:27], off
	;; [unrolled: 1-line block ×14, first 2 shown]
	v_lshl_add_u64 v[24:25], v[8:9], 2, v[40:41]
	v_add_u32_e32 v8, s12, v8
	v_ashrrev_i32_e32 v9, 31, v8
	v_lshl_add_u64 v[26:27], v[8:9], 2, v[40:41]
	v_add_u32_e32 v8, s12, v8
	v_ashrrev_i32_e32 v9, 31, v8
	;; [unrolled: 3-line block ×4, first 2 shown]
	v_lshl_add_u64 v[32:33], v[8:9], 2, v[40:41]
	v_add_u32_e32 v8, s12, v8
	global_load_dword v192, v[4:5], off
	v_add_u32_e32 v4, s12, v8
	v_ashrrev_i32_e32 v9, 31, v8
	v_ashrrev_i32_e32 v5, 31, v4
	scratch_store_dwordx2 off, v[40:41], off offset:3108 ; 8-byte Folded Spill
	v_lshl_add_u64 v[34:35], v[8:9], 2, v[40:41]
	v_lshl_add_u64 v[4:5], v[4:5], 2, v[40:41]
	s_waitcnt vmcnt(2)
	scratch_store_dwordx2 off, v[42:43], off offset:1296 ; 8-byte Folded Spill
	global_load_dword v205, v[22:23], off
	global_load_dword v210, v[24:25], off
	;; [unrolled: 1-line block ×8, first 2 shown]
	s_waitcnt vmcnt(10)
	ds_write_b32 v0, v192
	s_waitcnt lgkmcnt(0)
	s_barrier
	ds_read_b32 v0, v214
	s_cbranch_scc1 .LBB62_6
; %bb.4:
	v_add3_u32 v3, v215, 0, 4
	v_mov_b32_e32 v1, 0
	s_mov_b32 s0, 1
.LBB62_5:                               ; =>This Inner Loop Header: Depth=1
	ds_read_b32 v4, v3
	v_mov_b32_e32 v5, s0
	s_add_i32 s0, s0, 1
	v_add_u32_e32 v3, 4, v3
	s_cmp_eq_u32 s22, s0
	s_waitcnt lgkmcnt(0)
	v_cmp_lt_f32_e64 vcc, |v0|, |v4|
	s_nop 1
	v_cndmask_b32_e32 v0, v0, v4, vcc
	v_cndmask_b32_e32 v1, v1, v5, vcc
	s_cbranch_scc0 .LBB62_5
.LBB62_6:
	v_cmp_ne_u32_e32 vcc, v2, v1
                                        ; implicit-def: $vgpr221
	s_and_saveexec_b64 s[0:1], vcc
	s_xor_b64 s[0:1], exec, s[0:1]
	s_cbranch_execz .LBB62_12
; %bb.7:
	v_cmp_eq_u32_e32 vcc, 0, v2
	s_and_saveexec_b64 s[2:3], vcc
	s_cbranch_execz .LBB62_11
; %bb.8:
	v_cmp_ne_u32_e32 vcc, 0, v1
	s_xor_b64 s[18:19], s[16:17], -1
	s_and_b64 s[20:21], s[18:19], vcc
	s_and_saveexec_b64 s[18:19], s[20:21]
	s_cbranch_execz .LBB62_10
; %bb.9:
	scratch_load_dwordx2 v[6:7], off, off offset:2076 ; 8-byte Folded Reload
	v_ashrrev_i32_e32 v3, 31, v1
	v_mov_b32_e32 v2, v1
	s_waitcnt vmcnt(0)
	v_lshl_add_u64 v[2:3], v[2:3], 2, v[6:7]
	global_load_dword v4, v[2:3], off
	global_load_dword v5, v[6:7], off
	s_waitcnt vmcnt(1)
	global_store_dword v[6:7], v4, off
	s_waitcnt vmcnt(1)
	global_store_dword v[2:3], v5, off
.LBB62_10:
	s_or_b64 exec, exec, s[18:19]
	v_mov_b32_e32 v2, v1
.LBB62_11:
	s_or_b64 exec, exec, s[2:3]
	v_mov_b32_e32 v221, v2
                                        ; implicit-def: $vgpr2
.LBB62_12:
	s_or_saveexec_b64 s[0:1], s[0:1]
	scratch_store_dword off, v221, off offset:1304 ; 4-byte Folded Spill
	s_xor_b64 exec, exec, s[0:1]
	s_cbranch_execz .LBB62_14
; %bb.13:
	ds_write2_b32 v214, v216, v217 offset0:1 offset1:2
	ds_write2_b32 v214, v198, v199 offset0:3 offset1:4
	;; [unrolled: 1-line block ×3, first 2 shown]
	scratch_load_dwordx2 v[4:5], off, off offset:1296 ; 8-byte Folded Reload
	v_mov_b32_e32 v221, 0
	s_waitcnt vmcnt(0)
	ds_write2_b32 v214, v4, v5 offset0:7 offset1:8
	ds_write2_b32 v214, v122, v123 offset0:9 offset1:10
	;; [unrolled: 1-line block ×3, first 2 shown]
	scratch_load_dwordx2 v[4:5], off, off offset:520 ; 8-byte Folded Reload
	s_waitcnt vmcnt(0)
	ds_write2_b32 v214, v4, v5 offset0:13 offset1:14
	scratch_load_dwordx2 v[4:5], off, off offset:256 ; 8-byte Folded Reload
	s_waitcnt vmcnt(0)
	ds_write2_b32 v214, v4, v5 offset0:15 offset1:16
	ds_write2_b32 v214, v100, v101 offset0:17 offset1:18
	;; [unrolled: 1-line block ×8, first 2 shown]
	ds_write_b32 v214, v255 offset:124
	scratch_store_dword off, v2, off offset:1304 ; 4-byte Folded Spill
.LBB62_14:
	s_or_b64 exec, exec, s[0:1]
	s_waitcnt lgkmcnt(0)
	v_cmp_eq_f32_e64 s[0:1], 0, v0
	v_cmp_gt_i32_e32 vcc, 1, v221
	s_barrier
	s_and_saveexec_b64 s[2:3], vcc
	s_xor_b64 s[2:3], exec, s[2:3]
; %bb.15:
                                        ; implicit-def: $vgpr0
; %bb.16:
	s_andn2_saveexec_b64 s[2:3], s[2:3]
	s_cbranch_execz .LBB62_18
; %bb.17:
	v_div_scale_f32 v1, s[18:19], v0, v0, 1.0
	v_rcp_f32_e32 v2, v1
	v_div_scale_f32 v3, vcc, 1.0, v0, 1.0
	v_fma_f32 v4, -v1, v2, 1.0
	v_fmac_f32_e32 v2, v4, v2
	v_mul_f32_e32 v4, v3, v2
	v_fma_f32 v5, -v1, v4, v3
	v_fmac_f32_e32 v4, v5, v2
	v_fma_f32 v1, -v1, v4, v3
	v_div_fmas_f32 v1, v1, v2, v4
	v_div_fixup_f32 v1, v1, v0, 1.0
	v_cndmask_b32_e64 v6, v1, v0, s[0:1]
	ds_read2_b32 v[0:1], v214 offset0:1 offset1:2
	ds_read2_b32 v[2:3], v214 offset0:3 offset1:4
	;; [unrolled: 1-line block ×3, first 2 shown]
	v_mul_f32_e32 v192, v192, v6
	ds_read2_b32 v[6:7], v214 offset0:7 offset1:8
	s_waitcnt lgkmcnt(3)
	v_pk_fma_f32 v[216:217], v[192:193], v[0:1], v[216:217] op_sel_hi:[0,1,1] neg_lo:[1,0,0] neg_hi:[1,0,0]
	s_waitcnt lgkmcnt(2)
	v_pk_fma_f32 v[198:199], v[192:193], v[2:3], v[198:199] op_sel_hi:[0,1,1] neg_lo:[1,0,0] neg_hi:[1,0,0]
	;; [unrolled: 2-line block ×3, first 2 shown]
	ds_read2_b32 v[0:1], v214 offset0:9 offset1:10
	ds_read2_b32 v[2:3], v214 offset0:11 offset1:12
	;; [unrolled: 1-line block ×3, first 2 shown]
	scratch_load_dwordx2 v[8:9], off, off offset:1296 ; 8-byte Folded Reload
	s_waitcnt lgkmcnt(2)
	v_pk_fma_f32 v[122:123], v[192:193], v[0:1], v[122:123] op_sel_hi:[0,1,1] neg_lo:[1,0,0] neg_hi:[1,0,0]
	scratch_load_dwordx2 v[0:1], off, off offset:520 ; 8-byte Folded Reload
	s_waitcnt lgkmcnt(1)
	v_pk_fma_f32 v[106:107], v[192:193], v[2:3], v[106:107] op_sel_hi:[0,1,1] neg_lo:[1,0,0] neg_hi:[1,0,0]
	s_waitcnt vmcnt(1)
	v_pk_fma_f32 v[8:9], v[192:193], v[6:7], v[8:9] op_sel_hi:[0,1,1] neg_lo:[1,0,0] neg_hi:[1,0,0]
	scratch_store_dwordx2 off, v[8:9], off offset:1296 ; 8-byte Folded Spill
	ds_read2_b32 v[6:7], v214 offset0:15 offset1:16
	s_waitcnt vmcnt(1) lgkmcnt(1)
	v_pk_fma_f32 v[0:1], v[192:193], v[4:5], v[0:1] op_sel_hi:[0,1,1] neg_lo:[1,0,0] neg_hi:[1,0,0]
	scratch_store_dwordx2 off, v[0:1], off offset:520 ; 8-byte Folded Spill
	ds_read2_b32 v[0:1], v214 offset0:17 offset1:18
	ds_read2_b32 v[2:3], v214 offset0:19 offset1:20
	scratch_load_dwordx2 v[4:5], off, off offset:256 ; 8-byte Folded Reload
	s_waitcnt lgkmcnt(1)
	v_pk_fma_f32 v[100:101], v[192:193], v[0:1], v[100:101] op_sel_hi:[0,1,1] neg_lo:[1,0,0] neg_hi:[1,0,0]
	s_waitcnt lgkmcnt(0)
	v_pk_fma_f32 v[98:99], v[192:193], v[2:3], v[98:99] op_sel_hi:[0,1,1] neg_lo:[1,0,0] neg_hi:[1,0,0]
	s_waitcnt vmcnt(0)
	v_pk_fma_f32 v[4:5], v[192:193], v[6:7], v[4:5] op_sel_hi:[0,1,1] neg_lo:[1,0,0] neg_hi:[1,0,0]
	scratch_store_dwordx2 off, v[4:5], off offset:256 ; 8-byte Folded Spill
	ds_read2_b32 v[4:5], v214 offset0:21 offset1:22
	ds_read2_b32 v[6:7], v214 offset0:23 offset1:24
	ds_read_b32 v10, v214 offset:124
	ds_read2_b32 v[0:1], v214 offset0:25 offset1:26
	ds_read2_b32 v[2:3], v214 offset0:27 offset1:28
	;; [unrolled: 1-line block ×3, first 2 shown]
	s_waitcnt lgkmcnt(3)
	v_fma_f32 v255, -v192, v10, v255
	v_pk_fma_f32 v[206:207], v[192:193], v[4:5], v[206:207] op_sel_hi:[0,1,1] neg_lo:[1,0,0] neg_hi:[1,0,0]
	v_pk_fma_f32 v[204:205], v[192:193], v[6:7], v[204:205] op_sel_hi:[0,1,1] neg_lo:[1,0,0] neg_hi:[1,0,0]
	s_waitcnt lgkmcnt(2)
	v_pk_fma_f32 v[210:211], v[192:193], v[0:1], v[210:211] op_sel_hi:[0,1,1] neg_lo:[1,0,0] neg_hi:[1,0,0]
	s_waitcnt lgkmcnt(1)
	;; [unrolled: 2-line block ×3, first 2 shown]
	v_pk_fma_f32 v[218:219], v[192:193], v[8:9], v[218:219] op_sel_hi:[0,1,1] neg_lo:[1,0,0] neg_hi:[1,0,0]
.LBB62_18:
	s_or_b64 exec, exec, s[2:3]
	v_lshl_add_u32 v0, v221, 2, v214
	s_barrier
	ds_write_b32 v0, v216
	s_waitcnt lgkmcnt(0)
	s_barrier
	ds_read_b32 v194, v214 offset:4
	s_mov_b32 s2, 2
	s_cmp_lt_i32 s22, 3
	v_mov_b32_e32 v220, 1
	s_cbranch_scc1 .LBB62_21
; %bb.19:
	v_add3_u32 v0, v215, 0, 8
	v_mov_b32_e32 v220, 1
.LBB62_20:                              ; =>This Inner Loop Header: Depth=1
	ds_read_b32 v1, v0
	v_mov_b32_e32 v2, s2
	s_add_i32 s2, s2, 1
	v_add_u32_e32 v0, 4, v0
	s_cmp_lg_u32 s22, s2
	s_waitcnt lgkmcnt(0)
	v_cmp_lt_f32_e64 vcc, |v194|, |v1|
	s_nop 1
	v_cndmask_b32_e32 v194, v194, v1, vcc
	v_cndmask_b32_e32 v220, v220, v2, vcc
	s_cbranch_scc1 .LBB62_20
.LBB62_21:
	v_mov_b32_e32 v193, v216
	s_waitcnt vmcnt(2) lgkmcnt(0)
	v_mov_b64_e32 v[64:65], v[192:193]
	v_mov_b64_e32 v[66:67], v[194:195]
	;; [unrolled: 1-line block ×16, first 2 shown]
	v_mov_b32_e32 v66, v217
	v_mov_b32_e32 v67, v198
	;; [unrolled: 1-line block ×4, first 2 shown]
	v_mov_b64_e32 v[0:1], v[64:65]
	v_mov_b32_e32 v6, v70
	v_mov_b32_e32 v7, v71
	;; [unrolled: 1-line block ×25, first 2 shown]
	v_mov_b64_e32 v[2:3], v[66:67]
	scratch_store_dwordx4 off, v[0:3], off offset:2980 ; 16-byte Folded Spill
	s_nop 0
	scratch_store_dwordx4 off, v[4:7], off offset:2996 ; 16-byte Folded Spill
	scratch_store_dwordx4 off, v[8:11], off offset:3012 ; 16-byte Folded Spill
	;; [unrolled: 1-line block ×7, first 2 shown]
	v_mov_b64_e32 v[178:179], v[82:83]
	v_mov_b64_e32 v[176:177], v[80:81]
	;; [unrolled: 1-line block ×8, first 2 shown]
	v_mov_b32_e32 v68, v199
	v_mov_b64_e32 v[6:7], v[70:71]
	v_mov_b64_e32 v[22:23], v[86:87]
	v_mov_b32_e32 v0, v64
	v_mov_b64_e32 v[8:9], v[72:73]
	v_mov_b64_e32 v[10:11], v[74:75]
	v_mov_b64_e32 v[12:13], v[76:77]
	v_mov_b64_e32 v[14:15], v[78:79]
	v_mov_b64_e32 v[16:17], v[80:81]
	v_mov_b64_e32 v[18:19], v[82:83]
	v_mov_b64_e32 v[20:21], v[84:85]
	v_mov_b64_e32 v[24:25], v[88:89]
	v_mov_b64_e32 v[26:27], v[90:91]
	v_mov_b64_e32 v[28:29], v[92:93]
	v_mov_b64_e32 v[30:31], v[94:95]
	v_mov_b32_e32 v1, v65
	v_mov_b32_e32 v2, v66
	v_mov_b32_e32 v3, v67
	v_mov_b32_e32 v4, v68
	v_mov_b32_e32 v69, v200
	v_mov_b32_e32 v70, v201
	scratch_store_dwordx4 off, v[0:3], off offset:2852 ; 16-byte Folded Spill
	s_nop 0
	scratch_store_dwordx4 off, v[4:7], off offset:2868 ; 16-byte Folded Spill
	scratch_store_dwordx4 off, v[8:11], off offset:2884 ; 16-byte Folded Spill
	;; [unrolled: 1-line block ×7, first 2 shown]
	v_mov_b32_e32 v7, v71
	v_mov_b32_e32 v23, v87
	v_mov_b64_e32 v[0:1], v[64:65]
	v_mov_b32_e32 v8, v72
	v_mov_b32_e32 v9, v73
	;; [unrolled: 1-line block ×23, first 2 shown]
	v_mov_b64_e32 v[2:3], v[66:67]
	v_mov_b64_e32 v[4:5], v[68:69]
	v_mov_b32_e32 v162, v66
	scratch_store_dwordx4 off, v[0:3], off offset:2724 ; 16-byte Folded Spill
	s_nop 0
	scratch_store_dwordx4 off, v[4:7], off offset:2740 ; 16-byte Folded Spill
	scratch_store_dwordx4 off, v[8:11], off offset:2756 ; 16-byte Folded Spill
	;; [unrolled: 1-line block ×7, first 2 shown]
	v_mov_b64_e32 v[8:9], v[72:73]
	v_mov_b64_e32 v[24:25], v[88:89]
	v_mov_b32_e32 v0, v64
	v_mov_b64_e32 v[10:11], v[74:75]
	v_mov_b64_e32 v[12:13], v[76:77]
	;; [unrolled: 1-line block ×10, first 2 shown]
	v_mov_b32_e32 v1, v65
	v_mov_b32_e32 v2, v66
	;; [unrolled: 1-line block ×8, first 2 shown]
	v_mov_b64_e32 v[190:191], v[94:95]
	v_mov_b64_e32 v[188:189], v[92:93]
	;; [unrolled: 1-line block ×8, first 2 shown]
	scratch_store_dwordx4 off, v[0:3], off offset:2596 ; 16-byte Folded Spill
	s_nop 0
	scratch_store_dwordx4 off, v[4:7], off offset:2612 ; 16-byte Folded Spill
	scratch_store_dwordx4 off, v[8:11], off offset:2628 ; 16-byte Folded Spill
	;; [unrolled: 1-line block ×7, first 2 shown]
	scratch_load_dwordx2 v[32:33], off, off offset:1296 ; 8-byte Folded Reload
	v_mov_b32_e32 v9, v73
	v_mov_b32_e32 v25, v89
	;; [unrolled: 1-line block ×24, first 2 shown]
	v_cmp_ne_u32_e32 vcc, v221, v220
	s_waitcnt vmcnt(0)
	v_mov_b32_e32 v71, v32
	v_mov_b64_e32 v[0:1], v[64:65]
	v_mov_b64_e32 v[2:3], v[66:67]
	;; [unrolled: 1-line block ×4, first 2 shown]
	scratch_store_dwordx4 off, v[0:3], off offset:2468 ; 16-byte Folded Spill
	s_nop 0
	scratch_store_dwordx4 off, v[4:7], off offset:2484 ; 16-byte Folded Spill
	scratch_store_dwordx4 off, v[8:11], off offset:2500 ; 16-byte Folded Spill
	;; [unrolled: 1-line block ×7, first 2 shown]
	v_mov_b32_e32 v72, v33
	v_mov_b64_e32 v[10:11], v[74:75]
	v_mov_b32_e32 v0, v64
	v_mov_b64_e32 v[26:27], v[90:91]
	v_mov_b64_e32 v[12:13], v[76:77]
	v_mov_b64_e32 v[14:15], v[78:79]
	v_mov_b64_e32 v[16:17], v[80:81]
	v_mov_b64_e32 v[18:19], v[82:83]
	v_mov_b64_e32 v[20:21], v[84:85]
	v_mov_b64_e32 v[22:23], v[86:87]
	v_mov_b64_e32 v[24:25], v[88:89]
	v_mov_b32_e32 v1, v65
	v_mov_b32_e32 v2, v66
	;; [unrolled: 1-line block ×8, first 2 shown]
	v_mov_b64_e32 v[28:29], v[92:93]
	v_mov_b64_e32 v[30:31], v[94:95]
	;; [unrolled: 1-line block ×7, first 2 shown]
	scratch_store_dwordx4 off, v[0:3], off offset:2340 ; 16-byte Folded Spill
	s_nop 0
	scratch_store_dwordx4 off, v[4:7], off offset:2356 ; 16-byte Folded Spill
	scratch_store_dwordx4 off, v[8:11], off offset:2372 ; 16-byte Folded Spill
	;; [unrolled: 1-line block ×7, first 2 shown]
	v_mov_b64_e32 v[36:37], v[68:69]
	v_mov_b64_e32 v[38:39], v[70:71]
	v_mov_b64_e32 v[44:45], v[76:77]
	v_mov_b64_e32 v[46:47], v[78:79]
	v_mov_b64_e32 v[48:49], v[80:81]
	v_mov_b64_e32 v[50:51], v[82:83]
	v_mov_b64_e32 v[52:53], v[84:85]
	v_mov_b64_e32 v[54:55], v[86:87]
	v_mov_b64_e32 v[56:57], v[88:89]
	v_mov_b64_e32 v[60:61], v[92:93]
	v_mov_b64_e32 v[62:63], v[94:95]
	v_mov_b32_e32 v41, v122
	v_mov_b32_e32 v11, v43
	v_mov_b64_e32 v[0:1], v[32:33]
	v_mov_b32_e32 v27, v59
	v_mov_b32_e32 v12, v44
	;; [unrolled: 1-line block ×16, first 2 shown]
	v_mov_b64_e32 v[2:3], v[34:35]
	v_mov_b64_e32 v[4:5], v[36:37]
	v_mov_b64_e32 v[6:7], v[38:39]
	v_mov_b64_e32 v[8:9], v[40:41]
	v_mov_b32_e32 v28, v60
	v_mov_b32_e32 v29, v61
	;; [unrolled: 1-line block ×4, first 2 shown]
	scratch_store_dwordx4 off, v[0:3], off offset:2212 ; 16-byte Folded Spill
	s_nop 0
	scratch_store_dwordx4 off, v[4:7], off offset:2228 ; 16-byte Folded Spill
	scratch_store_dwordx4 off, v[8:11], off offset:2244 ; 16-byte Folded Spill
	scratch_store_dwordx4 off, v[12:15], off offset:2260 ; 16-byte Folded Spill
	scratch_store_dwordx4 off, v[16:19], off offset:2276 ; 16-byte Folded Spill
	scratch_store_dwordx4 off, v[20:23], off offset:2292 ; 16-byte Folded Spill
	scratch_store_dwordx4 off, v[24:27], off offset:2308 ; 16-byte Folded Spill
	scratch_store_dwordx4 off, v[28:31], off offset:2324 ; 16-byte Folded Spill
	v_mov_b32_e32 v42, v123
	v_mov_b64_e32 v[12:13], v[44:45]
	v_mov_b32_e32 v0, v32
	v_mov_b64_e32 v[28:29], v[60:61]
	v_mov_b64_e32 v[14:15], v[46:47]
	;; [unrolled: 1-line block ×8, first 2 shown]
	v_mov_b32_e32 v1, v33
	v_mov_b32_e32 v2, v34
	v_mov_b32_e32 v3, v35
	v_mov_b32_e32 v4, v36
	v_mov_b32_e32 v5, v37
	v_mov_b32_e32 v6, v38
	v_mov_b32_e32 v7, v39
	v_mov_b32_e32 v8, v40
	v_mov_b32_e32 v9, v41
	v_mov_b32_e32 v10, v42
	v_mov_b64_e32 v[30:31], v[62:63]
	v_mov_b32_e32 v43, v106
	v_mov_b32_e32 v44, v107
	;; [unrolled: 1-line block ×4, first 2 shown]
	scratch_store_dwordx4 off, v[0:3], off offset:2084 ; 16-byte Folded Spill
	s_nop 0
	scratch_store_dwordx4 off, v[4:7], off offset:2100 ; 16-byte Folded Spill
	scratch_store_dwordx4 off, v[8:11], off offset:2116 ; 16-byte Folded Spill
	;; [unrolled: 1-line block ×7, first 2 shown]
	v_mov_b32_e32 v13, v45
	v_mov_b64_e32 v[0:1], v[32:33]
	v_mov_b32_e32 v29, v61
	v_mov_b32_e32 v14, v46
	;; [unrolled: 1-line block ×16, first 2 shown]
	v_mov_b64_e32 v[2:3], v[34:35]
	v_mov_b64_e32 v[4:5], v[36:37]
	;; [unrolled: 1-line block ×5, first 2 shown]
	v_mov_b32_e32 v30, v62
	v_mov_b32_e32 v31, v63
	;; [unrolled: 1-line block ×3, first 2 shown]
	scratch_store_dwordx4 off, v[0:3], off offset:1948 ; 16-byte Folded Spill
	s_nop 0
	scratch_store_dwordx4 off, v[4:7], off offset:1964 ; 16-byte Folded Spill
	scratch_store_dwordx4 off, v[8:11], off offset:1980 ; 16-byte Folded Spill
	;; [unrolled: 1-line block ×7, first 2 shown]
	v_mov_b64_e32 v[14:15], v[46:47]
	v_mov_b64_e32 v[16:17], v[48:49]
	;; [unrolled: 1-line block ×9, first 2 shown]
	v_mov_b32_e32 v12, v107
	v_mov_b64_e32 v[252:253], v[62:63]
	scratch_store_dwordx4 off, v[0:3], off offset:1820 ; 16-byte Folded Spill
	s_nop 0
	scratch_store_dwordx4 off, v[4:7], off offset:1836 ; 16-byte Folded Spill
	scratch_store_dwordx4 off, v[8:11], off offset:1852 ; 16-byte Folded Spill
	;; [unrolled: 1-line block ×7, first 2 shown]
	scratch_load_dwordx2 v[96:97], off, off offset:520 ; 8-byte Folded Reload
	v_mov_b32_e32 v15, v47
	v_mov_b32_e32 v16, v48
	;; [unrolled: 1-line block ×17, first 2 shown]
	s_waitcnt vmcnt(0)
	v_mov_b32_e32 v45, v96
	v_mov_b64_e32 v[12:13], v[44:45]
	scratch_store_dwordx4 off, v[0:3], off offset:1692 ; 16-byte Folded Spill
	s_nop 0
	scratch_store_dwordx4 off, v[4:7], off offset:1708 ; 16-byte Folded Spill
	scratch_store_dwordx4 off, v[8:11], off offset:1724 ; 16-byte Folded Spill
	;; [unrolled: 1-line block ×7, first 2 shown]
	v_mov_b32_e32 v46, v97
	v_mov_b64_e32 v[16:17], v[48:49]
	v_mov_b32_e32 v12, v44
	v_mov_b64_e32 v[18:19], v[50:51]
	v_mov_b64_e32 v[20:21], v[52:53]
	;; [unrolled: 1-line block ×7, first 2 shown]
	v_mov_b32_e32 v13, v45
	v_mov_b32_e32 v14, v46
	scratch_store_dwordx4 off, v[0:3], off offset:1564 ; 16-byte Folded Spill
	s_nop 0
	scratch_store_dwordx4 off, v[4:7], off offset:1580 ; 16-byte Folded Spill
	scratch_store_dwordx4 off, v[8:11], off offset:1596 ; 16-byte Folded Spill
	;; [unrolled: 1-line block ×7, first 2 shown]
	scratch_load_dwordx2 v[64:65], off, off offset:256 ; 8-byte Folded Reload
	v_mov_b32_e32 v17, v49
	v_mov_b32_e32 v29, v61
	;; [unrolled: 1-line block ×16, first 2 shown]
	s_waitcnt vmcnt(0)
	v_mov_b32_e32 v47, v64
	v_mov_b64_e32 v[0:1], v[32:33]
	v_mov_b64_e32 v[2:3], v[34:35]
	;; [unrolled: 1-line block ×8, first 2 shown]
	scratch_store_dwordx4 off, v[0:3], off offset:1436 ; 16-byte Folded Spill
	s_nop 0
	scratch_store_dwordx4 off, v[4:7], off offset:1452 ; 16-byte Folded Spill
	scratch_store_dwordx4 off, v[8:11], off offset:1468 ; 16-byte Folded Spill
	;; [unrolled: 1-line block ×7, first 2 shown]
	v_mov_b64_e32 v[18:19], v[50:51]
	v_mov_b64_e32 v[20:21], v[52:53]
	;; [unrolled: 1-line block ×7, first 2 shown]
	v_mov_b32_e32 v16, v65
	v_mov_b32_e32 v48, v65
	;; [unrolled: 1-line block ×3, first 2 shown]
	v_mov_b64_e32 v[142:143], v[46:47]
	v_mov_b64_e32 v[236:237], v[46:47]
	;; [unrolled: 1-line block ×9, first 2 shown]
	scratch_store_dwordx4 off, v[0:3], off offset:1308 ; 16-byte Folded Spill
	s_nop 0
	scratch_store_dwordx4 off, v[4:7], off offset:1324 ; 16-byte Folded Spill
	scratch_store_dwordx4 off, v[8:11], off offset:1340 ; 16-byte Folded Spill
	;; [unrolled: 1-line block ×7, first 2 shown]
	v_mov_b32_e32 v19, v51
	v_mov_b32_e32 v20, v52
	;; [unrolled: 1-line block ×12, first 2 shown]
	v_mov_b64_e32 v[16:17], v[48:49]
	v_mov_b32_e32 v31, v63
	v_mov_b32_e32 v51, v98
	v_mov_b64_e32 v[234:235], v[44:45]
	v_mov_b64_e32 v[232:233], v[42:43]
	;; [unrolled: 1-line block ×4, first 2 shown]
	scratch_store_dwordx4 off, v[0:3], off offset:1168 ; 16-byte Folded Spill
	s_nop 0
	scratch_store_dwordx4 off, v[4:7], off offset:1184 ; 16-byte Folded Spill
	scratch_store_dwordx4 off, v[8:11], off offset:1200 ; 16-byte Folded Spill
	;; [unrolled: 1-line block ×7, first 2 shown]
	v_mov_b64_e32 v[20:21], v[52:53]
	v_mov_b32_e32 v16, v48
	v_mov_b64_e32 v[22:23], v[54:55]
	v_mov_b64_e32 v[24:25], v[56:57]
	;; [unrolled: 1-line block ×5, first 2 shown]
	v_mov_b32_e32 v17, v49
	v_mov_b32_e32 v18, v50
	v_mov_b32_e32 v52, v99
	v_mov_b64_e32 v[226:227], v[36:37]
	v_mov_b64_e32 v[224:225], v[34:35]
	;; [unrolled: 1-line block ×3, first 2 shown]
	scratch_store_dwordx4 off, v[0:3], off offset:1040 ; 16-byte Folded Spill
	s_nop 0
	scratch_store_dwordx4 off, v[4:7], off offset:1056 ; 16-byte Folded Spill
	scratch_store_dwordx4 off, v[8:11], off offset:1072 ; 16-byte Folded Spill
	scratch_store_dwordx4 off, v[12:15], off offset:1088 ; 16-byte Folded Spill
	scratch_store_dwordx4 off, v[16:19], off offset:1104 ; 16-byte Folded Spill
	scratch_store_dwordx4 off, v[20:23], off offset:1120 ; 16-byte Folded Spill
	scratch_store_dwordx4 off, v[24:27], off offset:1136 ; 16-byte Folded Spill
	scratch_store_dwordx4 off, v[28:31], off offset:1152 ; 16-byte Folded Spill
	v_mov_b32_e32 v21, v53
	v_mov_b64_e32 v[16:17], v[48:49]
	v_mov_b32_e32 v22, v54
	v_mov_b32_e32 v23, v55
	v_mov_b32_e32 v24, v56
	v_mov_b32_e32 v25, v57
	v_mov_b32_e32 v26, v58
	v_mov_b32_e32 v27, v59
	v_mov_b32_e32 v28, v60
	v_mov_b32_e32 v29, v61
	v_mov_b32_e32 v30, v62
	v_mov_b32_e32 v31, v63
	v_mov_b64_e32 v[18:19], v[50:51]
	v_mov_b32_e32 v53, v206
	scratch_store_dwordx4 off, v[0:3], off offset:912 ; 16-byte Folded Spill
	s_nop 0
	scratch_store_dwordx4 off, v[4:7], off offset:928 ; 16-byte Folded Spill
	scratch_store_dwordx4 off, v[8:11], off offset:944 ; 16-byte Folded Spill
	scratch_store_dwordx4 off, v[12:15], off offset:960 ; 16-byte Folded Spill
	scratch_store_dwordx4 off, v[16:19], off offset:976 ; 16-byte Folded Spill
	scratch_store_dwordx4 off, v[20:23], off offset:992 ; 16-byte Folded Spill
	scratch_store_dwordx4 off, v[24:27], off offset:1008 ; 16-byte Folded Spill
	scratch_store_dwordx4 off, v[28:31], off offset:1024 ; 16-byte Folded Spill
	v_mov_b64_e32 v[22:23], v[54:55]
	v_mov_b32_e32 v16, v48
	v_mov_b64_e32 v[24:25], v[56:57]
	v_mov_b64_e32 v[26:27], v[58:59]
	;; [unrolled: 1-line block ×4, first 2 shown]
	v_mov_b32_e32 v17, v49
	v_mov_b32_e32 v18, v50
	;; [unrolled: 1-line block ×5, first 2 shown]
	scratch_store_dwordx4 off, v[0:3], off offset:784 ; 16-byte Folded Spill
	s_nop 0
	scratch_store_dwordx4 off, v[4:7], off offset:800 ; 16-byte Folded Spill
	scratch_store_dwordx4 off, v[8:11], off offset:816 ; 16-byte Folded Spill
	;; [unrolled: 1-line block ×7, first 2 shown]
	v_mov_b32_e32 v23, v55
	v_mov_b64_e32 v[16:17], v[48:49]
	v_mov_b32_e32 v24, v56
	v_mov_b32_e32 v25, v57
	v_mov_b32_e32 v26, v58
	v_mov_b32_e32 v27, v59
	v_mov_b32_e32 v28, v60
	v_mov_b32_e32 v29, v61
	v_mov_b32_e32 v30, v62
	v_mov_b32_e32 v31, v63
	v_mov_b64_e32 v[18:19], v[50:51]
	v_mov_b64_e32 v[20:21], v[52:53]
	v_mov_b32_e32 v55, v204
	scratch_store_dwordx4 off, v[0:3], off offset:656 ; 16-byte Folded Spill
	s_nop 0
	scratch_store_dwordx4 off, v[4:7], off offset:672 ; 16-byte Folded Spill
	scratch_store_dwordx4 off, v[8:11], off offset:688 ; 16-byte Folded Spill
	;; [unrolled: 1-line block ×7, first 2 shown]
	s_nop 0
	v_mov_b64_e32 v[24:25], v[56:57]
	v_mov_b32_e32 v16, v48
	v_mov_b64_e32 v[26:27], v[58:59]
	v_mov_b64_e32 v[28:29], v[60:61]
	;; [unrolled: 1-line block ×3, first 2 shown]
	v_mov_b32_e32 v17, v49
	v_mov_b32_e32 v18, v50
	;; [unrolled: 1-line block ×7, first 2 shown]
	scratch_store_dwordx4 off, v[0:3], off offset:528 ; 16-byte Folded Spill
	s_nop 0
	scratch_store_dwordx4 off, v[4:7], off offset:544 ; 16-byte Folded Spill
	scratch_store_dwordx4 off, v[8:11], off offset:560 ; 16-byte Folded Spill
	;; [unrolled: 1-line block ×7, first 2 shown]
	v_mov_b64_e32 v[16:17], v[48:49]
	v_mov_b32_e32 v25, v57
	v_mov_b64_e32 v[18:19], v[50:51]
	v_mov_b64_e32 v[20:21], v[52:53]
	;; [unrolled: 1-line block ×3, first 2 shown]
	v_mov_b32_e32 v26, v58
	v_mov_b32_e32 v27, v59
	;; [unrolled: 1-line block ×7, first 2 shown]
	scratch_store_dwordx4 off, v[0:3], off offset:392 ; 16-byte Folded Spill
	s_nop 0
	scratch_store_dwordx4 off, v[4:7], off offset:408 ; 16-byte Folded Spill
	scratch_store_dwordx4 off, v[8:11], off offset:424 ; 16-byte Folded Spill
	;; [unrolled: 1-line block ×7, first 2 shown]
	v_mov_b32_e32 v16, v48
	v_mov_b64_e32 v[26:27], v[58:59]
	v_mov_b32_e32 v17, v49
	v_mov_b32_e32 v18, v50
	;; [unrolled: 1-line block ×8, first 2 shown]
	v_mov_b64_e32 v[28:29], v[60:61]
	v_mov_b64_e32 v[30:31], v[62:63]
	v_mov_b32_e32 v58, v211
	scratch_store_dwordx4 off, v[0:3], off offset:264 ; 16-byte Folded Spill
	s_nop 0
	scratch_store_dwordx4 off, v[4:7], off offset:280 ; 16-byte Folded Spill
	scratch_store_dwordx4 off, v[8:11], off offset:296 ; 16-byte Folded Spill
	;; [unrolled: 1-line block ×7, first 2 shown]
	v_mov_b64_e32 v[16:17], v[48:49]
	v_mov_b32_e32 v27, v59
	v_mov_b64_e32 v[18:19], v[50:51]
	v_mov_b64_e32 v[20:21], v[52:53]
	;; [unrolled: 1-line block ×4, first 2 shown]
	v_mov_b32_e32 v28, v60
	v_mov_b32_e32 v29, v61
	;; [unrolled: 1-line block ×5, first 2 shown]
	v_mov_b64_e32 v[154:155], v[58:59]
	v_mov_b64_e32 v[248:249], v[58:59]
	;; [unrolled: 1-line block ×8, first 2 shown]
	scratch_store_dwordx4 off, v[0:3], off offset:128 ; 16-byte Folded Spill
	s_nop 0
	scratch_store_dwordx4 off, v[4:7], off offset:144 ; 16-byte Folded Spill
	scratch_store_dwordx4 off, v[8:11], off offset:160 ; 16-byte Folded Spill
	;; [unrolled: 1-line block ×7, first 2 shown]
	v_mov_b32_e32 v16, v48
	s_nop 0
	v_mov_b64_e32 v[28:29], v[60:61]
	v_mov_b32_e32 v17, v49
	v_mov_b32_e32 v18, v50
	;; [unrolled: 1-line block ×10, first 2 shown]
	v_mov_b64_e32 v[30:31], v[62:63]
	v_mov_b32_e32 v60, v209
	v_mov_b64_e32 v[244:245], v[54:55]
	v_mov_b64_e32 v[242:243], v[52:53]
	;; [unrolled: 1-line block ×4, first 2 shown]
	scratch_store_dwordx4 off, v[0:3], off  ; 16-byte Folded Spill
	s_nop 0
	scratch_store_dwordx4 off, v[4:7], off offset:16 ; 16-byte Folded Spill
	scratch_store_dwordx4 off, v[8:11], off offset:32 ; 16-byte Folded Spill
	;; [unrolled: 1-line block ×7, first 2 shown]
	v_mov_b64_e32 v[0:1], v[32:33]
	v_mov_b64_e32 v[14:15], v[46:47]
	;; [unrolled: 1-line block ×16, first 2 shown]
	v_mov_b32_e32 v29, v218
	v_mov_b64_e32 v[46:47], v[14:15]
	v_mov_b64_e32 v[58:59], v[26:27]
	;; [unrolled: 1-line block ×15, first 2 shown]
	v_mov_b32_e32 v30, v219
	s_and_saveexec_b64 s[2:3], vcc
	s_xor_b64 s[2:3], exec, s[2:3]
	s_cbranch_execz .LBB62_27
; %bb.22:
	v_cmp_eq_u32_e32 vcc, 1, v221
	s_and_saveexec_b64 s[18:19], vcc
	s_cbranch_execz .LBB62_26
; %bb.23:
	v_cmp_ne_u32_e32 vcc, 1, v220
	s_xor_b64 s[20:21], s[16:17], -1
	s_and_b64 s[24:25], s[20:21], vcc
	s_and_saveexec_b64 s[20:21], s[24:25]
	s_cbranch_execz .LBB62_25
; %bb.24:
	scratch_load_dwordx2 v[96:97], off, off offset:2076 ; 8-byte Folded Reload
	v_ashrrev_i32_e32 v221, 31, v220
	s_waitcnt vmcnt(0)
	v_lshl_add_u64 v[62:63], v[220:221], 2, v[96:97]
	global_load_dword v31, v[62:63], off
	global_load_dword v74, v[96:97], off offset:4
	s_waitcnt vmcnt(1)
	global_store_dword v[96:97], v31, off offset:4
	s_waitcnt vmcnt(1)
	global_store_dword v[62:63], v74, off
.LBB62_25:
	s_or_b64 exec, exec, s[20:21]
	v_mov_b32_e32 v31, v220
	v_mov_b32_e32 v221, v220
	scratch_store_dword off, v31, off offset:1304 ; 4-byte Folded Spill
.LBB62_26:
	s_or_b64 exec, exec, s[18:19]
.LBB62_27:
	s_or_saveexec_b64 s[2:3], s[2:3]
	v_mov_b32_e32 v31, v255
	s_xor_b64 exec, exec, s[2:3]
	s_cbranch_execz .LBB62_29
; %bb.28:
	v_mov_b32_e32 v221, 1
	ds_write2_b32 v214, v2, v3 offset0:2 offset1:3
	ds_write2_b32 v214, v4, v5 offset0:4 offset1:5
	;; [unrolled: 1-line block ×15, first 2 shown]
.LBB62_29:
	s_or_b64 exec, exec, s[2:3]
	v_cmp_neq_f32_e64 s[2:3], 0, v194
	v_cmp_lt_i32_e32 vcc, 1, v221
	s_waitcnt lgkmcnt(0)
	s_barrier
	s_and_saveexec_b64 s[18:19], vcc
	s_cbranch_execz .LBB62_31
; %bb.30:
	v_div_scale_f32 v0, s[20:21], v194, v194, 1.0
	v_rcp_f32_e32 v1, v0
	v_div_scale_f32 v31, vcc, 1.0, v194, 1.0
	v_fma_f32 v32, -v0, v1, 1.0
	v_fmac_f32_e32 v1, v32, v1
	v_mul_f32_e32 v32, v31, v1
	v_fma_f32 v33, -v0, v32, v31
	v_fmac_f32_e32 v32, v33, v1
	v_fma_f32 v0, -v0, v32, v31
	v_div_fmas_f32 v0, v0, v1, v32
	v_div_fixup_f32 v0, v0, v194, 1.0
	v_cndmask_b32_e64 v31, v194, v0, s[2:3]
	ds_read2_b32 v[0:1], v214 offset0:2 offset1:3
	ds_read2_b32 v[32:33], v214 offset0:4 offset1:5
	;; [unrolled: 1-line block ×3, first 2 shown]
	v_mul_f32_e32 v36, v216, v31
	ds_read2_b32 v[38:39], v214 offset0:8 offset1:9
	s_waitcnt lgkmcnt(3)
	v_pk_fma_f32 v[198:199], v[36:37], v[0:1], v[2:3] op_sel_hi:[0,1,1] neg_lo:[1,0,0] neg_hi:[1,0,0]
	s_waitcnt lgkmcnt(2)
	v_pk_fma_f32 v[200:201], v[36:37], v[32:33], v[4:5] op_sel_hi:[0,1,1] neg_lo:[1,0,0] neg_hi:[1,0,0]
	;; [unrolled: 2-line block ×3, first 2 shown]
	ds_read2_b32 v[0:1], v214 offset0:10 offset1:11
	ds_read2_b32 v[2:3], v214 offset0:12 offset1:13
	ds_read2_b32 v[4:5], v214 offset0:14 offset1:15
	ds_read2_b32 v[6:7], v214 offset0:16 offset1:17
	v_mov_b32_e32 v193, v36
	s_waitcnt lgkmcnt(3)
	v_pk_fma_f32 v[206:207], v[36:37], v[0:1], v[10:11] op_sel_hi:[0,1,1] neg_lo:[1,0,0] neg_hi:[1,0,0]
	s_waitcnt lgkmcnt(2)
	v_pk_fma_f32 v[208:209], v[36:37], v[2:3], v[12:13] op_sel_hi:[0,1,1] neg_lo:[1,0,0] neg_hi:[1,0,0]
	ds_read2_b32 v[0:1], v214 offset0:18 offset1:19
	ds_read2_b32 v[2:3], v214 offset0:20 offset1:21
	s_waitcnt lgkmcnt(3)
	v_pk_fma_f32 v[210:211], v[36:37], v[4:5], v[14:15] op_sel_hi:[0,1,1] neg_lo:[1,0,0] neg_hi:[1,0,0]
	s_waitcnt lgkmcnt(2)
	v_pk_fma_f32 v[212:213], v[36:37], v[6:7], v[16:17] op_sel_hi:[0,1,1] neg_lo:[1,0,0] neg_hi:[1,0,0]
	ds_read2_b32 v[4:5], v214 offset0:22 offset1:23
	ds_read2_b32 v[6:7], v214 offset0:24 offset1:25
	;; [unrolled: 6-line block ×3, first 2 shown]
	s_waitcnt lgkmcnt(3)
	v_pk_fma_f32 v[194:195], v[36:37], v[4:5], v[22:23] op_sel_hi:[0,1,1] neg_lo:[1,0,0] neg_hi:[1,0,0]
	ds_read2_b32 v[4:5], v214 offset0:30 offset1:31
	v_pk_fma_f32 v[204:205], v[36:37], v[38:39], v[8:9] op_sel_hi:[0,1,1] neg_lo:[1,0,0] neg_hi:[1,0,0]
	s_waitcnt lgkmcnt(3)
	v_pk_fma_f32 v[218:219], v[36:37], v[6:7], v[24:25] op_sel_hi:[0,1,1] neg_lo:[1,0,0] neg_hi:[1,0,0]
	v_mov_b64_e32 v[64:65], v[192:193]
	v_mov_b32_e32 v31, v255
	v_mov_b64_e32 v[66:67], v[194:195]
	v_mov_b64_e32 v[68:69], v[196:197]
	;; [unrolled: 1-line block ×3, first 2 shown]
	s_waitcnt lgkmcnt(2)
	v_pk_fma_f32 v[96:97], v[36:37], v[0:1], v[26:27] op_sel_hi:[0,1,1] neg_lo:[1,0,0] neg_hi:[1,0,0]
	s_waitcnt lgkmcnt(1)
	v_pk_fma_f32 v[98:99], v[36:37], v[2:3], v[28:29] op_sel_hi:[0,1,1] neg_lo:[1,0,0] neg_hi:[1,0,0]
	;; [unrolled: 2-line block ×3, first 2 shown]
	v_mov_b64_e32 v[70:71], v[198:199]
	v_mov_b64_e32 v[72:73], v[200:201]
	;; [unrolled: 1-line block ×12, first 2 shown]
	v_mov_b32_e32 v66, v198
	v_mov_b32_e32 v67, v199
	;; [unrolled: 1-line block ×4, first 2 shown]
	v_mov_b64_e32 v[0:1], v[64:65]
	v_mov_b32_e32 v6, v70
	v_mov_b32_e32 v7, v71
	;; [unrolled: 1-line block ×25, first 2 shown]
	v_mov_b64_e32 v[2:3], v[66:67]
	scratch_store_dwordx4 off, v[0:3], off offset:2980 ; 16-byte Folded Spill
	s_nop 0
	scratch_store_dwordx4 off, v[4:7], off offset:2996 ; 16-byte Folded Spill
	scratch_store_dwordx4 off, v[8:11], off offset:3012 ; 16-byte Folded Spill
	;; [unrolled: 1-line block ×7, first 2 shown]
	v_mov_b64_e32 v[178:179], v[82:83]
	v_mov_b64_e32 v[176:177], v[80:81]
	;; [unrolled: 1-line block ×8, first 2 shown]
	v_mov_b32_e32 v68, v200
	v_mov_b64_e32 v[6:7], v[70:71]
	v_mov_b64_e32 v[22:23], v[86:87]
	v_mov_b32_e32 v0, v64
	v_mov_b64_e32 v[8:9], v[72:73]
	v_mov_b64_e32 v[10:11], v[74:75]
	;; [unrolled: 1-line block ×11, first 2 shown]
	v_mov_b32_e32 v1, v65
	v_mov_b32_e32 v2, v66
	;; [unrolled: 1-line block ×4, first 2 shown]
	scratch_store_dwordx4 off, v[0:3], off offset:2852 ; 16-byte Folded Spill
	s_nop 0
	scratch_store_dwordx4 off, v[4:7], off offset:2868 ; 16-byte Folded Spill
	scratch_store_dwordx4 off, v[8:11], off offset:2884 ; 16-byte Folded Spill
	;; [unrolled: 1-line block ×7, first 2 shown]
	v_mov_b32_e32 v69, v201
	v_mov_b32_e32 v7, v71
	;; [unrolled: 1-line block ×3, first 2 shown]
	v_mov_b64_e32 v[0:1], v[64:65]
	v_mov_b32_e32 v8, v72
	v_mov_b32_e32 v9, v73
	;; [unrolled: 1-line block ×23, first 2 shown]
	v_mov_b64_e32 v[2:3], v[66:67]
	v_mov_b64_e32 v[4:5], v[68:69]
	scratch_store_dwordx4 off, v[0:3], off offset:2724 ; 16-byte Folded Spill
	s_nop 0
	scratch_store_dwordx4 off, v[4:7], off offset:2740 ; 16-byte Folded Spill
	scratch_store_dwordx4 off, v[8:11], off offset:2756 ; 16-byte Folded Spill
	;; [unrolled: 1-line block ×7, first 2 shown]
	v_mov_b32_e32 v70, v202
	v_mov_b64_e32 v[8:9], v[72:73]
	v_mov_b64_e32 v[24:25], v[88:89]
	v_mov_b32_e32 v0, v64
	v_mov_b64_e32 v[10:11], v[74:75]
	v_mov_b64_e32 v[12:13], v[76:77]
	;; [unrolled: 1-line block ×10, first 2 shown]
	v_mov_b32_e32 v1, v65
	v_mov_b32_e32 v2, v66
	;; [unrolled: 1-line block ×6, first 2 shown]
	scratch_store_dwordx4 off, v[0:3], off offset:2596 ; 16-byte Folded Spill
	s_nop 0
	scratch_store_dwordx4 off, v[4:7], off offset:2612 ; 16-byte Folded Spill
	scratch_store_dwordx4 off, v[8:11], off offset:2628 ; 16-byte Folded Spill
	;; [unrolled: 1-line block ×7, first 2 shown]
	v_mov_b32_e32 v71, v203
	v_mov_b32_e32 v9, v73
	v_mov_b64_e32 v[0:1], v[64:65]
	v_mov_b32_e32 v25, v89
	v_mov_b32_e32 v10, v74
	;; [unrolled: 1-line block ×16, first 2 shown]
	v_mov_b64_e32 v[2:3], v[66:67]
	v_mov_b64_e32 v[4:5], v[68:69]
	;; [unrolled: 1-line block ×3, first 2 shown]
	v_mov_b32_e32 v26, v90
	v_mov_b32_e32 v27, v91
	;; [unrolled: 1-line block ×6, first 2 shown]
	scratch_store_dwordx4 off, v[0:3], off offset:2468 ; 16-byte Folded Spill
	s_nop 0
	scratch_store_dwordx4 off, v[4:7], off offset:2484 ; 16-byte Folded Spill
	scratch_store_dwordx4 off, v[8:11], off offset:2500 ; 16-byte Folded Spill
	;; [unrolled: 1-line block ×7, first 2 shown]
	v_mov_b32_e32 v72, v204
	v_mov_b64_e32 v[10:11], v[74:75]
	v_mov_b32_e32 v0, v64
	v_mov_b64_e32 v[26:27], v[90:91]
	v_mov_b64_e32 v[12:13], v[76:77]
	;; [unrolled: 1-line block ×8, first 2 shown]
	v_mov_b32_e32 v1, v65
	v_mov_b32_e32 v2, v66
	v_mov_b32_e32 v3, v67
	v_mov_b32_e32 v4, v68
	v_mov_b32_e32 v5, v69
	v_mov_b32_e32 v6, v70
	v_mov_b32_e32 v7, v71
	v_mov_b32_e32 v8, v72
	v_mov_b64_e32 v[28:29], v[92:93]
	v_mov_b64_e32 v[30:31], v[94:95]
	scratch_store_dwordx4 off, v[0:3], off offset:2340 ; 16-byte Folded Spill
	s_nop 0
	scratch_store_dwordx4 off, v[4:7], off offset:2356 ; 16-byte Folded Spill
	scratch_store_dwordx4 off, v[8:11], off offset:2372 ; 16-byte Folded Spill
	;; [unrolled: 1-line block ×7, first 2 shown]
	v_mov_b64_e32 v[32:33], v[64:65]
	v_mov_b64_e32 v[40:41], v[72:73]
	;; [unrolled: 1-line block ×16, first 2 shown]
	v_mov_b32_e32 v41, v205
	v_mov_b32_e32 v11, v43
	v_mov_b64_e32 v[0:1], v[32:33]
	v_mov_b32_e32 v27, v59
	v_mov_b32_e32 v12, v44
	;; [unrolled: 1-line block ×16, first 2 shown]
	v_mov_b64_e32 v[2:3], v[34:35]
	v_mov_b64_e32 v[4:5], v[36:37]
	;; [unrolled: 1-line block ×4, first 2 shown]
	v_mov_b32_e32 v28, v60
	v_mov_b32_e32 v29, v61
	;; [unrolled: 1-line block ×4, first 2 shown]
	scratch_store_dwordx4 off, v[0:3], off offset:2212 ; 16-byte Folded Spill
	s_nop 0
	scratch_store_dwordx4 off, v[4:7], off offset:2228 ; 16-byte Folded Spill
	scratch_store_dwordx4 off, v[8:11], off offset:2244 ; 16-byte Folded Spill
	scratch_store_dwordx4 off, v[12:15], off offset:2260 ; 16-byte Folded Spill
	scratch_store_dwordx4 off, v[16:19], off offset:2276 ; 16-byte Folded Spill
	scratch_store_dwordx4 off, v[20:23], off offset:2292 ; 16-byte Folded Spill
	scratch_store_dwordx4 off, v[24:27], off offset:2308 ; 16-byte Folded Spill
	scratch_store_dwordx4 off, v[28:31], off offset:2324 ; 16-byte Folded Spill
	v_mov_b32_e32 v42, v206
	v_mov_b64_e32 v[12:13], v[44:45]
	v_mov_b32_e32 v0, v32
	v_mov_b64_e32 v[28:29], v[60:61]
	v_mov_b64_e32 v[14:15], v[46:47]
	;; [unrolled: 1-line block ×8, first 2 shown]
	v_mov_b32_e32 v1, v33
	v_mov_b32_e32 v2, v34
	;; [unrolled: 1-line block ×10, first 2 shown]
	v_mov_b64_e32 v[30:31], v[62:63]
	scratch_store_dwordx4 off, v[0:3], off offset:2084 ; 16-byte Folded Spill
	s_nop 0
	scratch_store_dwordx4 off, v[4:7], off offset:2100 ; 16-byte Folded Spill
	scratch_store_dwordx4 off, v[8:11], off offset:2116 ; 16-byte Folded Spill
	;; [unrolled: 1-line block ×7, first 2 shown]
	v_mov_b32_e32 v43, v207
	v_mov_b32_e32 v13, v45
	v_mov_b64_e32 v[0:1], v[32:33]
	v_mov_b32_e32 v29, v61
	v_mov_b32_e32 v14, v46
	;; [unrolled: 1-line block ×16, first 2 shown]
	v_mov_b64_e32 v[2:3], v[34:35]
	v_mov_b64_e32 v[4:5], v[36:37]
	;; [unrolled: 1-line block ×5, first 2 shown]
	v_mov_b32_e32 v30, v62
	v_mov_b32_e32 v31, v63
	scratch_store_dwordx4 off, v[0:3], off offset:1948 ; 16-byte Folded Spill
	s_nop 0
	scratch_store_dwordx4 off, v[4:7], off offset:1964 ; 16-byte Folded Spill
	scratch_store_dwordx4 off, v[8:11], off offset:1980 ; 16-byte Folded Spill
	;; [unrolled: 1-line block ×7, first 2 shown]
	v_mov_b64_e32 v[14:15], v[46:47]
	v_mov_b64_e32 v[16:17], v[48:49]
	;; [unrolled: 1-line block ×9, first 2 shown]
	v_mov_b32_e32 v12, v208
	v_mov_b32_e32 v44, v208
	;; [unrolled: 1-line block ×7, first 2 shown]
	v_mov_b64_e32 v[252:253], v[62:63]
	v_mov_b64_e32 v[190:191], v[94:95]
	scratch_store_dwordx4 off, v[0:3], off offset:1820 ; 16-byte Folded Spill
	s_nop 0
	scratch_store_dwordx4 off, v[4:7], off offset:1836 ; 16-byte Folded Spill
	scratch_store_dwordx4 off, v[8:11], off offset:1852 ; 16-byte Folded Spill
	;; [unrolled: 1-line block ×7, first 2 shown]
	v_mov_b32_e32 v15, v47
	v_mov_b32_e32 v16, v48
	;; [unrolled: 1-line block ×16, first 2 shown]
	v_mov_b64_e32 v[12:13], v[44:45]
	v_mov_b32_e32 v31, v63
	scratch_store_dwordx4 off, v[0:3], off offset:1692 ; 16-byte Folded Spill
	s_nop 0
	scratch_store_dwordx4 off, v[4:7], off offset:1708 ; 16-byte Folded Spill
	scratch_store_dwordx4 off, v[8:11], off offset:1724 ; 16-byte Folded Spill
	scratch_store_dwordx4 off, v[12:15], off offset:1740 ; 16-byte Folded Spill
	scratch_store_dwordx4 off, v[16:19], off offset:1756 ; 16-byte Folded Spill
	scratch_store_dwordx4 off, v[20:23], off offset:1772 ; 16-byte Folded Spill
	scratch_store_dwordx4 off, v[24:27], off offset:1788 ; 16-byte Folded Spill
	scratch_store_dwordx4 off, v[28:31], off offset:1804 ; 16-byte Folded Spill
	v_mov_b64_e32 v[16:17], v[48:49]
	v_mov_b32_e32 v12, v44
	v_mov_b64_e32 v[18:19], v[50:51]
	v_mov_b64_e32 v[20:21], v[52:53]
	;; [unrolled: 1-line block ×7, first 2 shown]
	v_mov_b32_e32 v13, v45
	v_mov_b32_e32 v14, v46
	v_mov_b32_e32 v47, v211
	v_mov_b32_e32 v48, v212
	v_mov_b64_e32 v[142:143], v[46:47]
	v_mov_b64_e32 v[236:237], v[46:47]
	v_mov_b32_e32 v162, v66
	v_mov_b64_e32 v[140:141], v[44:45]
	v_mov_b64_e32 v[138:139], v[42:43]
	scratch_store_dwordx4 off, v[0:3], off offset:1564 ; 16-byte Folded Spill
	s_nop 0
	scratch_store_dwordx4 off, v[4:7], off offset:1580 ; 16-byte Folded Spill
	scratch_store_dwordx4 off, v[8:11], off offset:1596 ; 16-byte Folded Spill
	;; [unrolled: 1-line block ×7, first 2 shown]
	v_mov_b64_e32 v[0:1], v[32:33]
	v_mov_b32_e32 v17, v49
	v_mov_b32_e32 v29, v61
	v_mov_b64_e32 v[2:3], v[34:35]
	v_mov_b64_e32 v[4:5], v[36:37]
	;; [unrolled: 1-line block ×7, first 2 shown]
	v_mov_b32_e32 v18, v50
	v_mov_b32_e32 v19, v51
	;; [unrolled: 1-line block ×13, first 2 shown]
	scratch_store_dwordx4 off, v[0:3], off offset:1436 ; 16-byte Folded Spill
	s_nop 0
	scratch_store_dwordx4 off, v[4:7], off offset:1452 ; 16-byte Folded Spill
	scratch_store_dwordx4 off, v[8:11], off offset:1468 ; 16-byte Folded Spill
	;; [unrolled: 1-line block ×7, first 2 shown]
	v_mov_b64_e32 v[18:19], v[50:51]
	v_mov_b64_e32 v[20:21], v[52:53]
	;; [unrolled: 1-line block ×7, first 2 shown]
	v_mov_b32_e32 v16, v212
	v_mov_b32_e32 v49, v213
	;; [unrolled: 1-line block ×3, first 2 shown]
	v_mov_b64_e32 v[136:137], v[40:41]
	v_mov_b64_e32 v[134:135], v[38:39]
	;; [unrolled: 1-line block ×8, first 2 shown]
	scratch_store_dwordx4 off, v[0:3], off offset:1308 ; 16-byte Folded Spill
	s_nop 0
	scratch_store_dwordx4 off, v[4:7], off offset:1324 ; 16-byte Folded Spill
	scratch_store_dwordx4 off, v[8:11], off offset:1340 ; 16-byte Folded Spill
	;; [unrolled: 1-line block ×7, first 2 shown]
	v_mov_b32_e32 v19, v51
	v_mov_b32_e32 v20, v52
	;; [unrolled: 1-line block ×12, first 2 shown]
	v_mov_b64_e32 v[16:17], v[48:49]
	v_mov_b32_e32 v31, v63
	v_mov_b32_e32 v51, v103
	v_mov_b64_e32 v[228:229], v[38:39]
	v_mov_b64_e32 v[226:227], v[36:37]
	;; [unrolled: 1-line block ×3, first 2 shown]
	scratch_store_dwordx4 off, v[0:3], off offset:1168 ; 16-byte Folded Spill
	s_nop 0
	scratch_store_dwordx4 off, v[4:7], off offset:1184 ; 16-byte Folded Spill
	scratch_store_dwordx4 off, v[8:11], off offset:1200 ; 16-byte Folded Spill
	;; [unrolled: 1-line block ×7, first 2 shown]
	v_mov_b64_e32 v[20:21], v[52:53]
	v_mov_b32_e32 v16, v48
	v_mov_b64_e32 v[22:23], v[54:55]
	v_mov_b64_e32 v[24:25], v[56:57]
	;; [unrolled: 1-line block ×5, first 2 shown]
	v_mov_b32_e32 v17, v49
	v_mov_b32_e32 v18, v50
	;; [unrolled: 1-line block ×3, first 2 shown]
	v_mov_b64_e32 v[222:223], v[32:33]
	v_mov_b64_e32 v[188:189], v[92:93]
	;; [unrolled: 1-line block ×6, first 2 shown]
	v_mov_b32_e32 v161, v65
	v_mov_b32_e32 v160, v64
	scratch_store_dwordx4 off, v[0:3], off offset:1040 ; 16-byte Folded Spill
	s_nop 0
	scratch_store_dwordx4 off, v[4:7], off offset:1056 ; 16-byte Folded Spill
	scratch_store_dwordx4 off, v[8:11], off offset:1072 ; 16-byte Folded Spill
	;; [unrolled: 1-line block ×7, first 2 shown]
	v_mov_b32_e32 v21, v53
	v_mov_b64_e32 v[16:17], v[48:49]
	v_mov_b32_e32 v22, v54
	v_mov_b32_e32 v23, v55
	;; [unrolled: 1-line block ×10, first 2 shown]
	v_mov_b64_e32 v[18:19], v[50:51]
	v_mov_b32_e32 v53, v197
	v_mov_b32_e32 v250, v98
	;; [unrolled: 1-line block ×5, first 2 shown]
	scratch_store_dwordx4 off, v[0:3], off offset:912 ; 16-byte Folded Spill
	s_nop 0
	scratch_store_dwordx4 off, v[4:7], off offset:928 ; 16-byte Folded Spill
	scratch_store_dwordx4 off, v[8:11], off offset:944 ; 16-byte Folded Spill
	;; [unrolled: 1-line block ×7, first 2 shown]
	v_mov_b64_e32 v[22:23], v[54:55]
	v_mov_b32_e32 v16, v48
	v_mov_b64_e32 v[24:25], v[56:57]
	v_mov_b64_e32 v[26:27], v[58:59]
	;; [unrolled: 1-line block ×4, first 2 shown]
	v_mov_b32_e32 v17, v49
	v_mov_b32_e32 v18, v50
	;; [unrolled: 1-line block ×12, first 2 shown]
	scratch_store_dwordx4 off, v[0:3], off offset:784 ; 16-byte Folded Spill
	s_nop 0
	scratch_store_dwordx4 off, v[4:7], off offset:800 ; 16-byte Folded Spill
	scratch_store_dwordx4 off, v[8:11], off offset:816 ; 16-byte Folded Spill
	;; [unrolled: 1-line block ×7, first 2 shown]
	v_mov_b32_e32 v23, v55
	v_mov_b64_e32 v[16:17], v[48:49]
	v_mov_b32_e32 v24, v56
	v_mov_b32_e32 v25, v57
	;; [unrolled: 1-line block ×8, first 2 shown]
	v_mov_b64_e32 v[18:19], v[50:51]
	v_mov_b64_e32 v[20:21], v[52:53]
	v_mov_b32_e32 v55, v195
	v_mov_b32_e32 v109, v102
	;; [unrolled: 1-line block ×6, first 2 shown]
	scratch_store_dwordx4 off, v[0:3], off offset:656 ; 16-byte Folded Spill
	s_nop 0
	scratch_store_dwordx4 off, v[4:7], off offset:672 ; 16-byte Folded Spill
	scratch_store_dwordx4 off, v[8:11], off offset:688 ; 16-byte Folded Spill
	;; [unrolled: 1-line block ×7, first 2 shown]
	s_nop 0
	v_mov_b64_e32 v[24:25], v[56:57]
	v_mov_b32_e32 v16, v48
	v_mov_b64_e32 v[26:27], v[58:59]
	v_mov_b64_e32 v[28:29], v[60:61]
	;; [unrolled: 1-line block ×3, first 2 shown]
	v_mov_b32_e32 v17, v49
	v_mov_b32_e32 v18, v50
	;; [unrolled: 1-line block ×10, first 2 shown]
	scratch_store_dwordx4 off, v[0:3], off offset:528 ; 16-byte Folded Spill
	s_nop 0
	scratch_store_dwordx4 off, v[4:7], off offset:544 ; 16-byte Folded Spill
	scratch_store_dwordx4 off, v[8:11], off offset:560 ; 16-byte Folded Spill
	;; [unrolled: 1-line block ×7, first 2 shown]
	v_mov_b64_e32 v[16:17], v[48:49]
	v_mov_b32_e32 v25, v57
	v_mov_b64_e32 v[18:19], v[50:51]
	v_mov_b64_e32 v[20:21], v[52:53]
	;; [unrolled: 1-line block ×3, first 2 shown]
	v_mov_b32_e32 v26, v58
	v_mov_b32_e32 v27, v59
	;; [unrolled: 1-line block ×7, first 2 shown]
	scratch_store_dwordx4 off, v[0:3], off offset:392 ; 16-byte Folded Spill
	s_nop 0
	scratch_store_dwordx4 off, v[4:7], off offset:408 ; 16-byte Folded Spill
	scratch_store_dwordx4 off, v[8:11], off offset:424 ; 16-byte Folded Spill
	;; [unrolled: 1-line block ×7, first 2 shown]
	v_mov_b32_e32 v16, v48
	v_mov_b64_e32 v[26:27], v[58:59]
	v_mov_b32_e32 v17, v49
	v_mov_b32_e32 v18, v50
	v_mov_b32_e32 v19, v51
	v_mov_b32_e32 v20, v52
	v_mov_b32_e32 v21, v53
	v_mov_b32_e32 v22, v54
	v_mov_b32_e32 v23, v55
	v_mov_b32_e32 v24, v56
	v_mov_b64_e32 v[28:29], v[60:61]
	v_mov_b64_e32 v[30:31], v[62:63]
	v_mov_b32_e32 v58, v96
	scratch_store_dwordx4 off, v[0:3], off offset:264 ; 16-byte Folded Spill
	s_nop 0
	scratch_store_dwordx4 off, v[4:7], off offset:280 ; 16-byte Folded Spill
	scratch_store_dwordx4 off, v[8:11], off offset:296 ; 16-byte Folded Spill
	scratch_store_dwordx4 off, v[12:15], off offset:312 ; 16-byte Folded Spill
	scratch_store_dwordx4 off, v[16:19], off offset:328 ; 16-byte Folded Spill
	scratch_store_dwordx4 off, v[20:23], off offset:344 ; 16-byte Folded Spill
	scratch_store_dwordx4 off, v[24:27], off offset:360 ; 16-byte Folded Spill
	scratch_store_dwordx4 off, v[28:31], off offset:376 ; 16-byte Folded Spill
	v_mov_b64_e32 v[16:17], v[48:49]
	v_mov_b32_e32 v27, v59
	v_mov_b64_e32 v[18:19], v[50:51]
	v_mov_b64_e32 v[20:21], v[52:53]
	;; [unrolled: 1-line block ×4, first 2 shown]
	v_mov_b32_e32 v28, v60
	v_mov_b32_e32 v29, v61
	;; [unrolled: 1-line block ×5, first 2 shown]
	v_mov_b64_e32 v[154:155], v[58:59]
	v_mov_b64_e32 v[248:249], v[58:59]
	;; [unrolled: 1-line block ×7, first 2 shown]
	scratch_store_dwordx4 off, v[0:3], off offset:128 ; 16-byte Folded Spill
	s_nop 0
	scratch_store_dwordx4 off, v[4:7], off offset:144 ; 16-byte Folded Spill
	scratch_store_dwordx4 off, v[8:11], off offset:160 ; 16-byte Folded Spill
	;; [unrolled: 1-line block ×7, first 2 shown]
	v_mov_b32_e32 v16, v48
	s_nop 0
	v_mov_b64_e32 v[28:29], v[60:61]
	v_mov_b32_e32 v17, v49
	v_mov_b32_e32 v18, v50
	;; [unrolled: 1-line block ×10, first 2 shown]
	v_mov_b64_e32 v[30:31], v[62:63]
	v_mov_b32_e32 v60, v98
	v_mov_b64_e32 v[246:247], v[56:57]
	v_mov_b64_e32 v[244:245], v[54:55]
	;; [unrolled: 1-line block ×4, first 2 shown]
	scratch_store_dwordx4 off, v[0:3], off  ; 16-byte Folded Spill
	s_nop 0
	scratch_store_dwordx4 off, v[4:7], off offset:16 ; 16-byte Folded Spill
	scratch_store_dwordx4 off, v[8:11], off offset:32 ; 16-byte Folded Spill
	;; [unrolled: 1-line block ×7, first 2 shown]
	v_mov_b64_e32 v[0:1], v[32:33]
	v_mov_b64_e32 v[2:3], v[34:35]
	;; [unrolled: 1-line block ×16, first 2 shown]
	v_mov_b32_e32 v62, v203
	v_mov_b32_e32 v63, v204
	v_mov_b64_e32 v[238:239], v[48:49]
	v_mov_b32_e32 v29, v99
	v_mov_b64_e32 v[46:47], v[14:15]
	v_mov_b64_e32 v[58:59], v[26:27]
	scratch_store_dwordx2 off, v[62:63], off offset:1296 ; 8-byte Folded Spill
	v_mov_b32_e32 v62, v209
	v_mov_b32_e32 v63, v210
	v_mov_b64_e32 v[44:45], v[12:13]
	v_mov_b64_e32 v[42:43], v[10:11]
	;; [unrolled: 1-line block ×13, first 2 shown]
	v_mov_b32_e32 v30, v254
	v_mov_b32_e32 v31, v255
	scratch_store_dwordx2 off, v[62:63], off offset:520 ; 8-byte Folded Spill
	v_mov_b32_e32 v62, v211
	v_mov_b32_e32 v63, v212
	;; [unrolled: 1-line block ×7, first 2 shown]
	scratch_store_dwordx2 off, v[62:63], off offset:256 ; 8-byte Folded Spill
.LBB62_31:
	s_or_b64 exec, exec, s[18:19]
	v_lshl_add_u32 v62, v221, 2, v214
	s_waitcnt vmcnt(63) expcnt(7) lgkmcnt(15)
	s_barrier
	ds_write_b32 v62, v217
	s_waitcnt lgkmcnt(0)
	s_barrier
	ds_read_b32 v74, v214 offset:8
	s_cmp_lt_i32 s22, 4
	v_mov_b32_e32 v62, 2
	s_cbranch_scc1 .LBB62_34
; %bb.32:
	v_mov_b32_e32 v62, 2
	v_add3_u32 v63, v215, 0, 12
	s_mov_b32 s18, 3
.LBB62_33:                              ; =>This Inner Loop Header: Depth=1
	ds_read_b32 v96, v63
	v_add_u32_e32 v63, 4, v63
	s_waitcnt lgkmcnt(0)
	v_cmp_lt_f32_e64 vcc, |v74|, |v96|
	s_nop 1
	v_cndmask_b32_e32 v74, v74, v96, vcc
	v_mov_b32_e32 v96, s18
	s_add_i32 s18, s18, 1
	v_cndmask_b32_e32 v62, v62, v96, vcc
	s_cmp_lg_u32 s22, s18
	s_cbranch_scc1 .LBB62_33
.LBB62_34:
	v_cndmask_b32_e64 v63, 2, 1, s[0:1]
	v_cndmask_b32_e64 v96, 0, 1, s[0:1]
	;; [unrolled: 1-line block ×3, first 2 shown]
	s_waitcnt lgkmcnt(0)
	v_cmp_eq_f32_e32 vcc, 0, v74
	s_and_saveexec_b64 s[0:1], vcc
	s_xor_b64 s[0:1], exec, s[0:1]
; %bb.35:
	v_cmp_ne_u32_e32 vcc, 0, v220
	s_nop 1
	v_cndmask_b32_e32 v220, 3, v220, vcc
; %bb.36:
	s_andn2_saveexec_b64 s[0:1], s[0:1]
	s_cbranch_execz .LBB62_38
; %bb.37:
	v_div_scale_f32 v63, s[2:3], v74, v74, 1.0
	v_rcp_f32_e32 v96, v63
	v_div_scale_f32 v97, vcc, 1.0, v74, 1.0
	v_fma_f32 v98, -v63, v96, 1.0
	v_fmac_f32_e32 v96, v98, v96
	v_mul_f32_e32 v98, v97, v96
	v_fma_f32 v99, -v63, v98, v97
	v_fmac_f32_e32 v98, v99, v96
	v_fma_f32 v63, -v63, v98, v97
	v_div_fmas_f32 v63, v63, v96, v98
	v_div_fixup_f32 v74, v63, v74, 1.0
.LBB62_38:
	s_or_b64 exec, exec, s[0:1]
	v_cmp_ne_u32_e32 vcc, v221, v62
	s_and_saveexec_b64 s[0:1], vcc
	s_xor_b64 s[0:1], exec, s[0:1]
	s_cbranch_execz .LBB62_44
; %bb.39:
	v_cmp_eq_u32_e32 vcc, 2, v221
	s_and_saveexec_b64 s[2:3], vcc
	s_cbranch_execz .LBB62_43
; %bb.40:
	v_cmp_ne_u32_e32 vcc, 2, v62
	s_xor_b64 s[18:19], s[16:17], -1
	s_and_b64 s[20:21], s[18:19], vcc
	s_and_saveexec_b64 s[18:19], s[20:21]
	s_cbranch_execz .LBB62_42
; %bb.41:
	scratch_load_dwordx2 v[100:101], off, off offset:2076 ; 8-byte Folded Reload
	v_ashrrev_i32_e32 v63, 31, v62
	s_waitcnt vmcnt(0)
	v_lshl_add_u64 v[96:97], v[62:63], 2, v[100:101]
	global_load_dword v63, v[96:97], off
	global_load_dword v98, v[100:101], off offset:8
	s_waitcnt vmcnt(1)
	global_store_dword v[100:101], v63, off offset:8
	s_waitcnt vmcnt(1)
	global_store_dword v[96:97], v98, off
.LBB62_42:
	s_or_b64 exec, exec, s[18:19]
	v_mov_b32_e32 v63, v62
	v_mov_b32_e32 v221, v62
	scratch_store_dword off, v63, off offset:1304 ; 4-byte Folded Spill
.LBB62_43:
	s_or_b64 exec, exec, s[2:3]
.LBB62_44:
	s_andn2_saveexec_b64 s[0:1], s[0:1]
	s_cbranch_execz .LBB62_46
; %bb.45:
	v_mov_b32_e32 v221, 2
	ds_write2_b32 v214, v3, v4 offset0:3 offset1:4
	ds_write2_b32 v214, v5, v6 offset0:5 offset1:6
	;; [unrolled: 1-line block ×14, first 2 shown]
	ds_write_b32 v214, v255 offset:124
.LBB62_46:
	s_or_b64 exec, exec, s[0:1]
	v_cmp_lt_i32_e32 vcc, 2, v221
	s_waitcnt lgkmcnt(0)
	s_barrier
	s_and_saveexec_b64 s[0:1], vcc
	s_cbranch_execz .LBB62_48
; %bb.47:
	ds_read2_b32 v[0:1], v214 offset0:3 offset1:4
	ds_read2_b32 v[32:33], v214 offset0:5 offset1:6
	;; [unrolled: 1-line block ×4, first 2 shown]
	v_mul_f32_e32 v194, v217, v74
	v_mov_b32_e32 v2, v3
	v_mov_b32_e32 v3, v4
	s_waitcnt lgkmcnt(3)
	v_pk_fma_f32 v[198:199], v[194:195], v[0:1], v[2:3] op_sel_hi:[0,1,1] neg_lo:[1,0,0] neg_hi:[1,0,0]
	v_mov_b32_e32 v0, v5
	v_mov_b32_e32 v1, v6
	s_waitcnt lgkmcnt(2)
	v_pk_fma_f32 v[200:201], v[194:195], v[32:33], v[0:1] op_sel_hi:[0,1,1] neg_lo:[1,0,0] neg_hi:[1,0,0]
	;; [unrolled: 4-line block ×4, first 2 shown]
	ds_read2_b32 v[0:1], v214 offset0:11 offset1:12
	ds_read2_b32 v[4:5], v214 offset0:13 offset1:14
	;; [unrolled: 1-line block ×4, first 2 shown]
	v_mov_b32_e32 v2, v11
	v_mov_b32_e32 v3, v12
	s_waitcnt lgkmcnt(3)
	v_pk_fma_f32 v[106:107], v[194:195], v[0:1], v[2:3] op_sel_hi:[0,1,1] neg_lo:[1,0,0] neg_hi:[1,0,0]
	v_mov_b32_e32 v0, v13
	v_mov_b32_e32 v1, v14
	s_waitcnt lgkmcnt(2)
	v_pk_fma_f32 v[96:97], v[194:195], v[4:5], v[0:1] op_sel_hi:[0,1,1] neg_lo:[1,0,0] neg_hi:[1,0,0]
	v_mov_b32_e32 v0, v15
	v_mov_b32_e32 v1, v16
	s_waitcnt lgkmcnt(1)
	v_pk_fma_f32 v[102:103], v[194:195], v[6:7], v[0:1] op_sel_hi:[0,1,1] neg_lo:[1,0,0] neg_hi:[1,0,0]
	v_mov_b32_e32 v0, v17
	v_mov_b32_e32 v1, v18
	s_waitcnt lgkmcnt(0)
	v_pk_fma_f32 v[100:101], v[194:195], v[8:9], v[0:1] op_sel_hi:[0,1,1] neg_lo:[1,0,0] neg_hi:[1,0,0]
	ds_read2_b32 v[0:1], v214 offset0:19 offset1:20
	ds_read2_b32 v[4:5], v214 offset0:21 offset1:22
	;; [unrolled: 1-line block ×4, first 2 shown]
	v_mov_b32_e32 v2, v19
	v_mov_b32_e32 v3, v20
	v_mov_b64_e32 v[108:109], v[100:101]
	s_waitcnt lgkmcnt(3)
	v_pk_fma_f32 v[98:99], v[194:195], v[0:1], v[2:3] op_sel_hi:[0,1,1] neg_lo:[1,0,0] neg_hi:[1,0,0]
	v_mov_b32_e32 v0, v21
	v_mov_b32_e32 v1, v22
	s_waitcnt lgkmcnt(2)
	v_pk_fma_f32 v[206:207], v[194:195], v[4:5], v[0:1] op_sel_hi:[0,1,1] neg_lo:[1,0,0] neg_hi:[1,0,0]
	v_mov_b32_e32 v0, v23
	v_mov_b32_e32 v1, v24
	;; [unrolled: 4-line block ×3, first 2 shown]
	s_waitcnt lgkmcnt(0)
	v_pk_fma_f32 v[210:211], v[194:195], v[8:9], v[0:1] op_sel_hi:[0,1,1] neg_lo:[1,0,0] neg_hi:[1,0,0]
	ds_read2_b32 v[0:1], v214 offset0:27 offset1:28
	ds_read2_b32 v[4:5], v214 offset0:29 offset1:30
	ds_read_b32 v6, v214 offset:124
	v_mov_b32_e32 v2, v27
	v_mov_b32_e32 v3, v28
	s_waitcnt lgkmcnt(2)
	v_pk_fma_f32 v[208:209], v[194:195], v[0:1], v[2:3] op_sel_hi:[0,1,1] neg_lo:[1,0,0] neg_hi:[1,0,0]
	v_mov_b32_e32 v0, v29
	v_mov_b32_e32 v1, v30
	s_waitcnt lgkmcnt(1)
	v_pk_fma_f32 v[218:219], v[194:195], v[4:5], v[0:1] op_sel_hi:[0,1,1] neg_lo:[1,0,0] neg_hi:[1,0,0]
	v_mov_b64_e32 v[64:65], v[192:193]
	v_mov_b64_e32 v[66:67], v[194:195]
	;; [unrolled: 1-line block ×4, first 2 shown]
	s_waitcnt lgkmcnt(0)
	v_fma_f32 v255, -v194, v6, v255
	v_mov_b64_e32 v[70:71], v[198:199]
	v_mov_b64_e32 v[72:73], v[200:201]
	;; [unrolled: 1-line block ×12, first 2 shown]
	v_mov_b32_e32 v67, v198
	v_mov_b32_e32 v5, v69
	;; [unrolled: 1-line block ×3, first 2 shown]
	v_mov_b64_e32 v[0:1], v[64:65]
	v_mov_b32_e32 v6, v70
	v_mov_b32_e32 v7, v71
	;; [unrolled: 1-line block ×25, first 2 shown]
	v_mov_b64_e32 v[2:3], v[66:67]
	scratch_store_dwordx4 off, v[0:3], off offset:2980 ; 16-byte Folded Spill
	s_nop 0
	scratch_store_dwordx4 off, v[4:7], off offset:2996 ; 16-byte Folded Spill
	scratch_store_dwordx4 off, v[8:11], off offset:3012 ; 16-byte Folded Spill
	;; [unrolled: 1-line block ×7, first 2 shown]
	v_mov_b32_e32 v68, v199
	v_mov_b64_e32 v[6:7], v[70:71]
	v_mov_b64_e32 v[22:23], v[86:87]
	v_mov_b32_e32 v0, v64
	v_mov_b64_e32 v[8:9], v[72:73]
	v_mov_b64_e32 v[10:11], v[74:75]
	;; [unrolled: 1-line block ×11, first 2 shown]
	v_mov_b32_e32 v1, v65
	v_mov_b32_e32 v2, v66
	;; [unrolled: 1-line block ×4, first 2 shown]
	scratch_store_dwordx4 off, v[0:3], off offset:2852 ; 16-byte Folded Spill
	s_nop 0
	scratch_store_dwordx4 off, v[4:7], off offset:2868 ; 16-byte Folded Spill
	scratch_store_dwordx4 off, v[8:11], off offset:2884 ; 16-byte Folded Spill
	;; [unrolled: 1-line block ×7, first 2 shown]
	v_mov_b32_e32 v69, v200
	v_mov_b32_e32 v7, v71
	;; [unrolled: 1-line block ×3, first 2 shown]
	v_mov_b64_e32 v[0:1], v[64:65]
	v_mov_b32_e32 v8, v72
	v_mov_b32_e32 v9, v73
	;; [unrolled: 1-line block ×23, first 2 shown]
	v_mov_b64_e32 v[2:3], v[66:67]
	v_mov_b64_e32 v[4:5], v[68:69]
	scratch_store_dwordx4 off, v[0:3], off offset:2724 ; 16-byte Folded Spill
	s_nop 0
	scratch_store_dwordx4 off, v[4:7], off offset:2740 ; 16-byte Folded Spill
	scratch_store_dwordx4 off, v[8:11], off offset:2756 ; 16-byte Folded Spill
	;; [unrolled: 1-line block ×7, first 2 shown]
	v_mov_b32_e32 v70, v201
	v_mov_b64_e32 v[8:9], v[72:73]
	v_mov_b64_e32 v[24:25], v[88:89]
	v_mov_b32_e32 v0, v64
	v_mov_b64_e32 v[10:11], v[74:75]
	v_mov_b64_e32 v[12:13], v[76:77]
	;; [unrolled: 1-line block ×10, first 2 shown]
	v_mov_b32_e32 v1, v65
	v_mov_b32_e32 v2, v66
	;; [unrolled: 1-line block ×6, first 2 shown]
	scratch_store_dwordx4 off, v[0:3], off offset:2596 ; 16-byte Folded Spill
	s_nop 0
	scratch_store_dwordx4 off, v[4:7], off offset:2612 ; 16-byte Folded Spill
	scratch_store_dwordx4 off, v[8:11], off offset:2628 ; 16-byte Folded Spill
	scratch_store_dwordx4 off, v[12:15], off offset:2644 ; 16-byte Folded Spill
	scratch_store_dwordx4 off, v[16:19], off offset:2660 ; 16-byte Folded Spill
	scratch_store_dwordx4 off, v[20:23], off offset:2676 ; 16-byte Folded Spill
	scratch_store_dwordx4 off, v[24:27], off offset:2692 ; 16-byte Folded Spill
	scratch_store_dwordx4 off, v[28:31], off offset:2708 ; 16-byte Folded Spill
	v_mov_b32_e32 v71, v32
	v_mov_b32_e32 v9, v73
	v_mov_b64_e32 v[0:1], v[64:65]
	v_mov_b32_e32 v25, v89
	v_mov_b32_e32 v10, v74
	;; [unrolled: 1-line block ×16, first 2 shown]
	v_mov_b64_e32 v[2:3], v[66:67]
	v_mov_b64_e32 v[4:5], v[68:69]
	v_mov_b64_e32 v[6:7], v[70:71]
	v_mov_b32_e32 v26, v90
	v_mov_b32_e32 v27, v91
	;; [unrolled: 1-line block ×6, first 2 shown]
	scratch_store_dwordx4 off, v[0:3], off offset:2468 ; 16-byte Folded Spill
	s_nop 0
	scratch_store_dwordx4 off, v[4:7], off offset:2484 ; 16-byte Folded Spill
	scratch_store_dwordx4 off, v[8:11], off offset:2500 ; 16-byte Folded Spill
	;; [unrolled: 1-line block ×7, first 2 shown]
	scratch_store_dwordx2 off, v[32:33], off offset:1296 ; 8-byte Folded Spill
	v_mov_b32_e32 v72, v33
	v_mov_b64_e32 v[10:11], v[74:75]
	v_mov_b32_e32 v0, v64
	v_mov_b64_e32 v[26:27], v[90:91]
	v_mov_b64_e32 v[12:13], v[76:77]
	;; [unrolled: 1-line block ×8, first 2 shown]
	v_mov_b32_e32 v1, v65
	v_mov_b32_e32 v2, v66
	v_mov_b32_e32 v3, v67
	v_mov_b32_e32 v4, v68
	v_mov_b32_e32 v5, v69
	v_mov_b32_e32 v6, v70
	v_mov_b32_e32 v7, v71
	v_mov_b32_e32 v8, v72
	v_mov_b64_e32 v[28:29], v[92:93]
	v_mov_b64_e32 v[30:31], v[94:95]
	scratch_store_dwordx4 off, v[0:3], off offset:2340 ; 16-byte Folded Spill
	s_nop 0
	scratch_store_dwordx4 off, v[4:7], off offset:2356 ; 16-byte Folded Spill
	scratch_store_dwordx4 off, v[8:11], off offset:2372 ; 16-byte Folded Spill
	;; [unrolled: 1-line block ×7, first 2 shown]
	v_mov_b64_e32 v[32:33], v[64:65]
	v_mov_b64_e32 v[40:41], v[72:73]
	;; [unrolled: 1-line block ×16, first 2 shown]
	v_mov_b32_e32 v41, v122
	v_mov_b32_e32 v11, v43
	v_mov_b64_e32 v[0:1], v[32:33]
	v_mov_b32_e32 v27, v59
	v_mov_b32_e32 v12, v44
	;; [unrolled: 1-line block ×16, first 2 shown]
	v_mov_b64_e32 v[2:3], v[34:35]
	v_mov_b64_e32 v[4:5], v[36:37]
	;; [unrolled: 1-line block ×4, first 2 shown]
	v_mov_b32_e32 v28, v60
	v_mov_b32_e32 v29, v61
	v_mov_b32_e32 v30, v62
	v_mov_b32_e32 v31, v63
	scratch_store_dwordx4 off, v[0:3], off offset:2212 ; 16-byte Folded Spill
	s_nop 0
	scratch_store_dwordx4 off, v[4:7], off offset:2228 ; 16-byte Folded Spill
	scratch_store_dwordx4 off, v[8:11], off offset:2244 ; 16-byte Folded Spill
	;; [unrolled: 1-line block ×7, first 2 shown]
	v_mov_b32_e32 v42, v123
	v_mov_b64_e32 v[12:13], v[44:45]
	v_mov_b32_e32 v0, v32
	v_mov_b64_e32 v[28:29], v[60:61]
	v_mov_b64_e32 v[14:15], v[46:47]
	;; [unrolled: 1-line block ×8, first 2 shown]
	v_mov_b32_e32 v1, v33
	v_mov_b32_e32 v2, v34
	;; [unrolled: 1-line block ×10, first 2 shown]
	v_mov_b64_e32 v[30:31], v[62:63]
	scratch_store_dwordx4 off, v[0:3], off offset:2084 ; 16-byte Folded Spill
	s_nop 0
	scratch_store_dwordx4 off, v[4:7], off offset:2100 ; 16-byte Folded Spill
	scratch_store_dwordx4 off, v[8:11], off offset:2116 ; 16-byte Folded Spill
	;; [unrolled: 1-line block ×7, first 2 shown]
	v_mov_b32_e32 v43, v106
	v_mov_b32_e32 v13, v45
	v_mov_b64_e32 v[0:1], v[32:33]
	v_mov_b32_e32 v29, v61
	v_mov_b32_e32 v14, v46
	;; [unrolled: 1-line block ×16, first 2 shown]
	v_mov_b64_e32 v[2:3], v[34:35]
	v_mov_b64_e32 v[4:5], v[36:37]
	;; [unrolled: 1-line block ×5, first 2 shown]
	v_mov_b32_e32 v30, v62
	v_mov_b32_e32 v31, v63
	scratch_store_dwordx4 off, v[0:3], off offset:1948 ; 16-byte Folded Spill
	s_nop 0
	scratch_store_dwordx4 off, v[4:7], off offset:1964 ; 16-byte Folded Spill
	scratch_store_dwordx4 off, v[8:11], off offset:1980 ; 16-byte Folded Spill
	;; [unrolled: 1-line block ×7, first 2 shown]
	v_mov_b64_e32 v[14:15], v[46:47]
	v_mov_b64_e32 v[16:17], v[48:49]
	;; [unrolled: 1-line block ×9, first 2 shown]
	v_mov_b32_e32 v12, v107
	scratch_store_dwordx4 off, v[0:3], off offset:1820 ; 16-byte Folded Spill
	s_nop 0
	scratch_store_dwordx4 off, v[4:7], off offset:1836 ; 16-byte Folded Spill
	scratch_store_dwordx4 off, v[8:11], off offset:1852 ; 16-byte Folded Spill
	;; [unrolled: 1-line block ×7, first 2 shown]
	v_mov_b32_e32 v44, v107
	v_mov_b32_e32 v45, v96
	;; [unrolled: 1-line block ×18, first 2 shown]
	v_mov_b64_e32 v[12:13], v[44:45]
	v_mov_b32_e32 v31, v63
	scratch_store_dwordx4 off, v[0:3], off offset:1692 ; 16-byte Folded Spill
	s_nop 0
	scratch_store_dwordx4 off, v[4:7], off offset:1708 ; 16-byte Folded Spill
	scratch_store_dwordx4 off, v[8:11], off offset:1724 ; 16-byte Folded Spill
	;; [unrolled: 1-line block ×7, first 2 shown]
	scratch_store_dwordx2 off, v[96:97], off offset:520 ; 8-byte Folded Spill
	v_mov_b32_e32 v46, v97
	v_mov_b64_e32 v[16:17], v[48:49]
	v_mov_b32_e32 v12, v44
	v_mov_b64_e32 v[18:19], v[50:51]
	v_mov_b64_e32 v[20:21], v[52:53]
	v_mov_b64_e32 v[22:23], v[54:55]
	v_mov_b64_e32 v[24:25], v[56:57]
	v_mov_b64_e32 v[26:27], v[58:59]
	v_mov_b64_e32 v[28:29], v[60:61]
	v_mov_b64_e32 v[30:31], v[62:63]
	v_mov_b32_e32 v13, v45
	v_mov_b32_e32 v14, v46
	scratch_store_dwordx4 off, v[0:3], off offset:1564 ; 16-byte Folded Spill
	s_nop 0
	scratch_store_dwordx4 off, v[4:7], off offset:1580 ; 16-byte Folded Spill
	scratch_store_dwordx4 off, v[8:11], off offset:1596 ; 16-byte Folded Spill
	;; [unrolled: 1-line block ×7, first 2 shown]
	v_mov_b32_e32 v47, v102
	v_mov_b64_e32 v[0:1], v[32:33]
	v_mov_b32_e32 v17, v49
	v_mov_b32_e32 v29, v61
	v_mov_b64_e32 v[2:3], v[34:35]
	v_mov_b64_e32 v[4:5], v[36:37]
	;; [unrolled: 1-line block ×7, first 2 shown]
	v_mov_b32_e32 v18, v50
	v_mov_b32_e32 v19, v51
	;; [unrolled: 1-line block ×13, first 2 shown]
	scratch_store_dwordx4 off, v[0:3], off offset:1436 ; 16-byte Folded Spill
	s_nop 0
	scratch_store_dwordx4 off, v[4:7], off offset:1452 ; 16-byte Folded Spill
	scratch_store_dwordx4 off, v[8:11], off offset:1468 ; 16-byte Folded Spill
	;; [unrolled: 1-line block ×7, first 2 shown]
	scratch_store_dwordx2 off, v[102:103], off offset:256 ; 8-byte Folded Spill
	v_mov_b64_e32 v[18:19], v[50:51]
	v_mov_b64_e32 v[20:21], v[52:53]
	;; [unrolled: 1-line block ×7, first 2 shown]
	v_mov_b32_e32 v16, v103
	scratch_store_dwordx4 off, v[0:3], off offset:1308 ; 16-byte Folded Spill
	s_nop 0
	scratch_store_dwordx4 off, v[4:7], off offset:1324 ; 16-byte Folded Spill
	scratch_store_dwordx4 off, v[8:11], off offset:1340 ; 16-byte Folded Spill
	;; [unrolled: 1-line block ×7, first 2 shown]
	v_mov_b32_e32 v48, v103
	v_mov_b32_e32 v49, v100
	;; [unrolled: 1-line block ×14, first 2 shown]
	v_mov_b64_e32 v[16:17], v[48:49]
	v_mov_b32_e32 v31, v63
	scratch_store_dwordx4 off, v[0:3], off offset:1168 ; 16-byte Folded Spill
	s_nop 0
	scratch_store_dwordx4 off, v[4:7], off offset:1184 ; 16-byte Folded Spill
	scratch_store_dwordx4 off, v[8:11], off offset:1200 ; 16-byte Folded Spill
	;; [unrolled: 1-line block ×7, first 2 shown]
	v_mov_b32_e32 v50, v101
	v_mov_b64_e32 v[20:21], v[52:53]
	v_mov_b32_e32 v16, v48
	v_mov_b64_e32 v[22:23], v[54:55]
	v_mov_b64_e32 v[24:25], v[56:57]
	;; [unrolled: 1-line block ×5, first 2 shown]
	v_mov_b32_e32 v17, v49
	v_mov_b32_e32 v18, v50
	scratch_store_dwordx4 off, v[0:3], off offset:1040 ; 16-byte Folded Spill
	s_nop 0
	scratch_store_dwordx4 off, v[4:7], off offset:1056 ; 16-byte Folded Spill
	scratch_store_dwordx4 off, v[8:11], off offset:1072 ; 16-byte Folded Spill
	;; [unrolled: 1-line block ×7, first 2 shown]
	v_mov_b32_e32 v51, v98
	v_mov_b32_e32 v21, v53
	v_mov_b64_e32 v[16:17], v[48:49]
	v_mov_b32_e32 v22, v54
	v_mov_b32_e32 v23, v55
	;; [unrolled: 1-line block ×10, first 2 shown]
	v_mov_b64_e32 v[18:19], v[50:51]
	scratch_store_dwordx4 off, v[0:3], off offset:912 ; 16-byte Folded Spill
	s_nop 0
	scratch_store_dwordx4 off, v[4:7], off offset:928 ; 16-byte Folded Spill
	scratch_store_dwordx4 off, v[8:11], off offset:944 ; 16-byte Folded Spill
	;; [unrolled: 1-line block ×7, first 2 shown]
	v_mov_b32_e32 v52, v99
	v_mov_b64_e32 v[22:23], v[54:55]
	v_mov_b32_e32 v16, v48
	v_mov_b64_e32 v[24:25], v[56:57]
	v_mov_b64_e32 v[26:27], v[58:59]
	;; [unrolled: 1-line block ×4, first 2 shown]
	v_mov_b32_e32 v17, v49
	v_mov_b32_e32 v18, v50
	;; [unrolled: 1-line block ×4, first 2 shown]
	scratch_store_dwordx4 off, v[0:3], off offset:784 ; 16-byte Folded Spill
	s_nop 0
	scratch_store_dwordx4 off, v[4:7], off offset:800 ; 16-byte Folded Spill
	scratch_store_dwordx4 off, v[8:11], off offset:816 ; 16-byte Folded Spill
	;; [unrolled: 1-line block ×7, first 2 shown]
	v_mov_b32_e32 v53, v206
	v_mov_b32_e32 v23, v55
	v_mov_b64_e32 v[16:17], v[48:49]
	v_mov_b32_e32 v24, v56
	v_mov_b32_e32 v25, v57
	;; [unrolled: 1-line block ×8, first 2 shown]
	v_mov_b64_e32 v[18:19], v[50:51]
	v_mov_b64_e32 v[20:21], v[52:53]
	scratch_store_dwordx4 off, v[0:3], off offset:656 ; 16-byte Folded Spill
	s_nop 0
	scratch_store_dwordx4 off, v[4:7], off offset:672 ; 16-byte Folded Spill
	scratch_store_dwordx4 off, v[8:11], off offset:688 ; 16-byte Folded Spill
	scratch_store_dwordx4 off, v[12:15], off offset:704 ; 16-byte Folded Spill
	scratch_store_dwordx4 off, v[16:19], off offset:720 ; 16-byte Folded Spill
	scratch_store_dwordx4 off, v[20:23], off offset:736 ; 16-byte Folded Spill
	scratch_store_dwordx4 off, v[24:27], off offset:752 ; 16-byte Folded Spill
	scratch_store_dwordx4 off, v[28:31], off offset:768 ; 16-byte Folded Spill
	v_mov_b32_e32 v54, v207
	v_mov_b64_e32 v[24:25], v[56:57]
	v_mov_b32_e32 v16, v48
	v_mov_b64_e32 v[26:27], v[58:59]
	v_mov_b64_e32 v[28:29], v[60:61]
	;; [unrolled: 1-line block ×3, first 2 shown]
	v_mov_b32_e32 v17, v49
	v_mov_b32_e32 v18, v50
	;; [unrolled: 1-line block ×6, first 2 shown]
	scratch_store_dwordx4 off, v[0:3], off offset:528 ; 16-byte Folded Spill
	s_nop 0
	scratch_store_dwordx4 off, v[4:7], off offset:544 ; 16-byte Folded Spill
	scratch_store_dwordx4 off, v[8:11], off offset:560 ; 16-byte Folded Spill
	scratch_store_dwordx4 off, v[12:15], off offset:576 ; 16-byte Folded Spill
	scratch_store_dwordx4 off, v[16:19], off offset:592 ; 16-byte Folded Spill
	scratch_store_dwordx4 off, v[20:23], off offset:608 ; 16-byte Folded Spill
	scratch_store_dwordx4 off, v[24:27], off offset:624 ; 16-byte Folded Spill
	scratch_store_dwordx4 off, v[28:31], off offset:640 ; 16-byte Folded Spill
	v_mov_b32_e32 v55, v204
	v_mov_b64_e32 v[16:17], v[48:49]
	v_mov_b32_e32 v25, v57
	v_mov_b64_e32 v[18:19], v[50:51]
	v_mov_b64_e32 v[20:21], v[52:53]
	;; [unrolled: 1-line block ×3, first 2 shown]
	v_mov_b32_e32 v26, v58
	v_mov_b32_e32 v27, v59
	;; [unrolled: 1-line block ×6, first 2 shown]
	scratch_store_dwordx4 off, v[0:3], off offset:392 ; 16-byte Folded Spill
	s_nop 0
	scratch_store_dwordx4 off, v[4:7], off offset:408 ; 16-byte Folded Spill
	scratch_store_dwordx4 off, v[8:11], off offset:424 ; 16-byte Folded Spill
	;; [unrolled: 1-line block ×7, first 2 shown]
	v_mov_b32_e32 v56, v205
	v_mov_b32_e32 v16, v48
	v_mov_b64_e32 v[26:27], v[58:59]
	v_mov_b32_e32 v17, v49
	v_mov_b32_e32 v18, v50
	;; [unrolled: 1-line block ×8, first 2 shown]
	v_mov_b64_e32 v[28:29], v[60:61]
	v_mov_b64_e32 v[30:31], v[62:63]
	scratch_store_dwordx4 off, v[0:3], off offset:264 ; 16-byte Folded Spill
	s_nop 0
	scratch_store_dwordx4 off, v[4:7], off offset:280 ; 16-byte Folded Spill
	scratch_store_dwordx4 off, v[8:11], off offset:296 ; 16-byte Folded Spill
	;; [unrolled: 1-line block ×7, first 2 shown]
	v_mov_b32_e32 v57, v210
	v_mov_b64_e32 v[16:17], v[48:49]
	v_mov_b32_e32 v27, v59
	v_mov_b64_e32 v[18:19], v[50:51]
	v_mov_b64_e32 v[20:21], v[52:53]
	;; [unrolled: 1-line block ×4, first 2 shown]
	v_mov_b32_e32 v28, v60
	v_mov_b32_e32 v29, v61
	;; [unrolled: 1-line block ×4, first 2 shown]
	scratch_store_dwordx4 off, v[0:3], off offset:128 ; 16-byte Folded Spill
	s_nop 0
	scratch_store_dwordx4 off, v[4:7], off offset:144 ; 16-byte Folded Spill
	scratch_store_dwordx4 off, v[8:11], off offset:160 ; 16-byte Folded Spill
	;; [unrolled: 1-line block ×7, first 2 shown]
	v_mov_b32_e32 v58, v211
	v_mov_b32_e32 v16, v48
	v_mov_b64_e32 v[28:29], v[60:61]
	v_mov_b32_e32 v17, v49
	v_mov_b32_e32 v18, v50
	;; [unrolled: 1-line block ×10, first 2 shown]
	v_mov_b64_e32 v[30:31], v[62:63]
	scratch_store_dwordx4 off, v[0:3], off  ; 16-byte Folded Spill
	s_nop 0
	scratch_store_dwordx4 off, v[4:7], off offset:16 ; 16-byte Folded Spill
	scratch_store_dwordx4 off, v[8:11], off offset:32 ; 16-byte Folded Spill
	scratch_store_dwordx4 off, v[12:15], off offset:48 ; 16-byte Folded Spill
	scratch_store_dwordx4 off, v[16:19], off offset:64 ; 16-byte Folded Spill
	scratch_store_dwordx4 off, v[20:23], off offset:80 ; 16-byte Folded Spill
	scratch_store_dwordx4 off, v[24:27], off offset:96 ; 16-byte Folded Spill
	scratch_store_dwordx4 off, v[28:31], off offset:112 ; 16-byte Folded Spill
	v_mov_b32_e32 v59, v208
	v_mov_b32_e32 v60, v209
	v_mov_b64_e32 v[0:1], v[32:33]
	v_mov_b64_e32 v[142:143], v[46:47]
	;; [unrolled: 1-line block ×20, first 2 shown]
	v_mov_b32_e32 v159, v63
	v_mov_b64_e32 v[234:235], v[44:45]
	v_mov_b64_e32 v[232:233], v[42:43]
	;; [unrolled: 1-line block ×24, first 2 shown]
	v_mov_b32_e32 v29, v218
	v_mov_b64_e32 v[46:47], v[14:15]
	v_mov_b64_e32 v[58:59], v[26:27]
	;; [unrolled: 1-line block ×4, first 2 shown]
	v_mov_b32_e32 v158, v62
	v_mov_b32_e32 v157, v61
	v_mov_b64_e32 v[252:253], v[62:63]
	v_mov_b32_e32 v250, v209
	v_mov_b64_e32 v[44:45], v[12:13]
	v_mov_b64_e32 v[42:43], v[10:11]
	;; [unrolled: 1-line block ×13, first 2 shown]
	v_mov_b32_e32 v30, v219
	v_mov_b32_e32 v31, v255
	v_mov_b64_e32 v[162:163], v[194:195]
	v_mov_b64_e32 v[164:165], v[196:197]
	v_mov_b64_e32 v[166:167], v[198:199]
	v_mov_b64_e32 v[168:169], v[200:201]
	v_mov_b64_e32 v[170:171], v[202:203]
	v_mov_b64_e32 v[172:173], v[204:205]
	v_mov_b64_e32 v[174:175], v[206:207]
	v_mov_b64_e32 v[176:177], v[208:209]
	v_mov_b64_e32 v[178:179], v[210:211]
	v_mov_b64_e32 v[180:181], v[212:213]
	v_mov_b64_e32 v[182:183], v[214:215]
	v_mov_b64_e32 v[184:185], v[216:217]
	v_mov_b64_e32 v[186:187], v[218:219]
	v_mov_b64_e32 v[188:189], v[220:221]
	v_mov_b64_e32 v[190:191], v[222:223]
.LBB62_48:
	s_or_b64 exec, exec, s[0:1]
	v_lshl_add_u32 v62, v221, 2, v214
	s_waitcnt vmcnt(63) expcnt(7) lgkmcnt(15)
	s_barrier
	ds_write_b32 v62, v198
	s_waitcnt lgkmcnt(0)
	s_barrier
	ds_read_b32 v74, v214 offset:12
	s_cmp_lt_i32 s22, 5
	v_mov_b32_e32 v62, 3
	s_cbranch_scc1 .LBB62_51
; %bb.49:
	v_add3_u32 v63, v215, 0, 16
	v_mov_b32_e32 v62, 3
	s_mov_b32 s0, 4
.LBB62_50:                              ; =>This Inner Loop Header: Depth=1
	ds_read_b32 v96, v63
	v_add_u32_e32 v63, 4, v63
	s_waitcnt lgkmcnt(0)
	v_cmp_lt_f32_e64 vcc, |v74|, |v96|
	s_nop 1
	v_cndmask_b32_e32 v74, v74, v96, vcc
	v_mov_b32_e32 v96, s0
	s_add_i32 s0, s0, 1
	v_cndmask_b32_e32 v62, v62, v96, vcc
	s_cmp_lg_u32 s22, s0
	s_cbranch_scc1 .LBB62_50
.LBB62_51:
	s_waitcnt lgkmcnt(0)
	v_cmp_eq_f32_e32 vcc, 0, v74
	s_and_saveexec_b64 s[0:1], vcc
	s_xor_b64 s[0:1], exec, s[0:1]
; %bb.52:
	v_cmp_ne_u32_e32 vcc, 0, v220
	s_nop 1
	v_cndmask_b32_e32 v220, 4, v220, vcc
; %bb.53:
	s_andn2_saveexec_b64 s[0:1], s[0:1]
	s_cbranch_execz .LBB62_55
; %bb.54:
	v_div_scale_f32 v63, s[2:3], v74, v74, 1.0
	v_rcp_f32_e32 v96, v63
	v_div_scale_f32 v97, vcc, 1.0, v74, 1.0
	v_fma_f32 v98, -v63, v96, 1.0
	v_fmac_f32_e32 v96, v98, v96
	v_mul_f32_e32 v98, v97, v96
	v_fma_f32 v99, -v63, v98, v97
	v_fmac_f32_e32 v98, v99, v96
	v_fma_f32 v63, -v63, v98, v97
	v_div_fmas_f32 v63, v63, v96, v98
	v_div_fixup_f32 v74, v63, v74, 1.0
.LBB62_55:
	s_or_b64 exec, exec, s[0:1]
	v_cmp_ne_u32_e32 vcc, v221, v62
	s_and_saveexec_b64 s[0:1], vcc
	s_xor_b64 s[0:1], exec, s[0:1]
	s_cbranch_execz .LBB62_61
; %bb.56:
	v_cmp_eq_u32_e32 vcc, 3, v221
	s_and_saveexec_b64 s[2:3], vcc
	s_cbranch_execz .LBB62_60
; %bb.57:
	v_cmp_ne_u32_e32 vcc, 3, v62
	s_xor_b64 s[18:19], s[16:17], -1
	s_and_b64 s[20:21], s[18:19], vcc
	s_and_saveexec_b64 s[18:19], s[20:21]
	s_cbranch_execz .LBB62_59
; %bb.58:
	scratch_load_dwordx2 v[100:101], off, off offset:2076 ; 8-byte Folded Reload
	v_ashrrev_i32_e32 v63, 31, v62
	s_waitcnt vmcnt(0)
	v_lshl_add_u64 v[96:97], v[62:63], 2, v[100:101]
	global_load_dword v63, v[96:97], off
	global_load_dword v98, v[100:101], off offset:12
	s_waitcnt vmcnt(1)
	global_store_dword v[100:101], v63, off offset:12
	s_waitcnt vmcnt(1)
	global_store_dword v[96:97], v98, off
.LBB62_59:
	s_or_b64 exec, exec, s[18:19]
	v_mov_b32_e32 v63, v62
	v_mov_b32_e32 v221, v62
	scratch_store_dword off, v63, off offset:1304 ; 4-byte Folded Spill
.LBB62_60:
	s_or_b64 exec, exec, s[2:3]
.LBB62_61:
	s_or_saveexec_b64 s[0:1], s[0:1]
	v_mov_b64_e32 v[100:101], v[106:107]
	s_xor_b64 exec, exec, s[0:1]
	s_cbranch_execz .LBB62_63
; %bb.62:
	v_mov_b32_e32 v221, 3
	ds_write2_b32 v214, v4, v5 offset0:4 offset1:5
	ds_write2_b32 v214, v6, v7 offset0:6 offset1:7
	;; [unrolled: 1-line block ×14, first 2 shown]
.LBB62_63:
	s_or_b64 exec, exec, s[0:1]
	s_waitcnt lgkmcnt(0)
	s_barrier
	v_cmp_lt_i32_e32 vcc, 3, v221
	s_mov_b64 s[0:1], exec
	scratch_load_dwordx2 v[62:63], off, off offset:2076 ; 8-byte Folded Reload
	s_and_b64 s[2:3], s[0:1], vcc
	s_mov_b64 exec, s[2:3]
	s_cbranch_execz .LBB62_65
; %bb.64:
	ds_read2_b32 v[0:1], v214 offset0:4 offset1:5
	ds_read2_b32 v[2:3], v214 offset0:6 offset1:7
	;; [unrolled: 1-line block ×3, first 2 shown]
	v_mul_f32_e32 v34, v198, v74
	ds_read2_b32 v[36:37], v214 offset0:10 offset1:11
	s_waitcnt lgkmcnt(3)
	v_pk_fma_f32 v[96:97], v[34:35], v[0:1], v[4:5] op_sel_hi:[0,1,1] neg_lo:[1,0,0] neg_hi:[1,0,0]
	s_waitcnt lgkmcnt(2)
	v_pk_fma_f32 v[98:99], v[34:35], v[2:3], v[6:7] op_sel_hi:[0,1,1] neg_lo:[1,0,0] neg_hi:[1,0,0]
	ds_read2_b32 v[0:1], v214 offset0:12 offset1:13
	ds_read2_b32 v[2:3], v214 offset0:14 offset1:15
	;; [unrolled: 1-line block ×4, first 2 shown]
	s_waitcnt lgkmcnt(5)
	v_pk_fma_f32 v[100:101], v[34:35], v[32:33], v[8:9] op_sel_hi:[0,1,1] neg_lo:[1,0,0] neg_hi:[1,0,0]
	s_waitcnt lgkmcnt(3)
	v_pk_fma_f32 v[104:105], v[34:35], v[0:1], v[12:13] op_sel_hi:[0,1,1] neg_lo:[1,0,0] neg_hi:[1,0,0]
	ds_read2_b32 v[0:1], v214 offset0:20 offset1:21
	s_waitcnt lgkmcnt(3)
	v_pk_fma_f32 v[106:107], v[34:35], v[2:3], v[14:15] op_sel_hi:[0,1,1] neg_lo:[1,0,0] neg_hi:[1,0,0]
	s_waitcnt lgkmcnt(2)
	v_pk_fma_f32 v[108:109], v[34:35], v[4:5], v[16:17] op_sel_hi:[0,1,1] neg_lo:[1,0,0] neg_hi:[1,0,0]
	;; [unrolled: 2-line block ×3, first 2 shown]
	ds_read2_b32 v[2:3], v214 offset0:22 offset1:23
	ds_read2_b32 v[4:5], v214 offset0:24 offset1:25
	;; [unrolled: 1-line block ×3, first 2 shown]
	s_waitcnt lgkmcnt(3)
	v_pk_fma_f32 v[112:113], v[34:35], v[0:1], v[20:21] op_sel_hi:[0,1,1] neg_lo:[1,0,0] neg_hi:[1,0,0]
	ds_read2_b32 v[0:1], v214 offset0:28 offset1:29
	ds_read2_b32 v[8:9], v214 offset0:30 offset1:31
	v_mov_b32_e32 v163, v34
	v_mov_b64_e32 v[64:65], v[160:161]
	v_mov_b64_e32 v[68:69], v[164:165]
	v_mov_b64_e32 v[70:71], v[166:167]
	v_mov_b64_e32 v[86:87], v[182:183]
	v_pk_fma_f32 v[102:103], v[34:35], v[36:37], v[10:11] op_sel_hi:[0,1,1] neg_lo:[1,0,0] neg_hi:[1,0,0]
	s_waitcnt lgkmcnt(4)
	v_pk_fma_f32 v[114:115], v[34:35], v[2:3], v[22:23] op_sel_hi:[0,1,1] neg_lo:[1,0,0] neg_hi:[1,0,0]
	s_waitcnt lgkmcnt(3)
	;; [unrolled: 2-line block ×5, first 2 shown]
	v_pk_fma_f32 v[254:255], v[34:35], v[8:9], v[30:31] op_sel_hi:[0,1,1] neg_lo:[1,0,0] neg_hi:[1,0,0]
	v_mov_b64_e32 v[66:67], v[162:163]
	v_mov_b64_e32 v[72:73], v[168:169]
	;; [unrolled: 1-line block ×12, first 2 shown]
	v_mov_b32_e32 v68, v96
	v_mov_b64_e32 v[6:7], v[70:71]
	v_mov_b64_e32 v[22:23], v[86:87]
	v_mov_b32_e32 v0, v64
	v_mov_b64_e32 v[8:9], v[72:73]
	v_mov_b64_e32 v[10:11], v[74:75]
	;; [unrolled: 1-line block ×11, first 2 shown]
	v_mov_b32_e32 v1, v65
	v_mov_b32_e32 v2, v66
	;; [unrolled: 1-line block ×4, first 2 shown]
	scratch_store_dwordx4 off, v[0:3], off offset:2852 ; 16-byte Folded Spill
	s_nop 0
	scratch_store_dwordx4 off, v[4:7], off offset:2868 ; 16-byte Folded Spill
	scratch_store_dwordx4 off, v[8:11], off offset:2884 ; 16-byte Folded Spill
	;; [unrolled: 1-line block ×7, first 2 shown]
	v_mov_b32_e32 v69, v97
	v_mov_b32_e32 v7, v71
	;; [unrolled: 1-line block ×3, first 2 shown]
	v_mov_b64_e32 v[0:1], v[64:65]
	v_mov_b32_e32 v8, v72
	v_mov_b32_e32 v9, v73
	;; [unrolled: 1-line block ×23, first 2 shown]
	v_mov_b64_e32 v[2:3], v[66:67]
	v_mov_b64_e32 v[4:5], v[68:69]
	v_mov_b32_e32 v70, v98
	v_mov_b32_e32 v71, v99
	;; [unrolled: 1-line block ×4, first 2 shown]
	scratch_store_dwordx4 off, v[0:3], off offset:2724 ; 16-byte Folded Spill
	s_nop 0
	scratch_store_dwordx4 off, v[4:7], off offset:2740 ; 16-byte Folded Spill
	scratch_store_dwordx4 off, v[8:11], off offset:2756 ; 16-byte Folded Spill
	;; [unrolled: 1-line block ×7, first 2 shown]
	v_mov_b64_e32 v[8:9], v[72:73]
	v_mov_b64_e32 v[24:25], v[88:89]
	v_mov_b32_e32 v0, v64
	v_mov_b64_e32 v[10:11], v[74:75]
	v_mov_b64_e32 v[12:13], v[76:77]
	;; [unrolled: 1-line block ×10, first 2 shown]
	v_mov_b32_e32 v1, v65
	v_mov_b32_e32 v2, v66
	;; [unrolled: 1-line block ×7, first 2 shown]
	s_waitcnt vmcnt(16)
	v_mov_b64_e32 v[32:33], v[64:65]
	v_mov_b64_e32 v[40:41], v[72:73]
	v_mov_b64_e32 v[42:43], v[74:75]
	v_mov_b64_e32 v[58:59], v[90:91]
	v_mov_b64_e32 v[34:35], v[66:67]
	v_mov_b64_e32 v[36:37], v[68:69]
	v_mov_b64_e32 v[38:39], v[70:71]
	v_mov_b64_e32 v[44:45], v[76:77]
	v_mov_b64_e32 v[46:47], v[78:79]
	v_mov_b64_e32 v[48:49], v[80:81]
	v_mov_b64_e32 v[50:51], v[82:83]
	v_mov_b64_e32 v[52:53], v[84:85]
	v_mov_b64_e32 v[54:55], v[86:87]
	scratch_store_dwordx4 off, v[0:3], off offset:2596 ; 16-byte Folded Spill
	s_nop 0
	scratch_store_dwordx4 off, v[4:7], off offset:2612 ; 16-byte Folded Spill
	scratch_store_dwordx4 off, v[8:11], off offset:2628 ; 16-byte Folded Spill
	;; [unrolled: 1-line block ×7, first 2 shown]
	v_mov_b32_e32 v9, v73
	v_mov_b64_e32 v[0:1], v[64:65]
	v_mov_b32_e32 v25, v89
	v_mov_b32_e32 v10, v74
	;; [unrolled: 1-line block ×16, first 2 shown]
	v_mov_b64_e32 v[2:3], v[66:67]
	v_mov_b64_e32 v[4:5], v[68:69]
	;; [unrolled: 1-line block ×3, first 2 shown]
	v_mov_b32_e32 v26, v90
	v_mov_b32_e32 v27, v91
	;; [unrolled: 1-line block ×6, first 2 shown]
	v_mov_b64_e32 v[56:57], v[88:89]
	v_mov_b64_e32 v[60:61], v[92:93]
	;; [unrolled: 1-line block ×3, first 2 shown]
	v_mov_b32_e32 v41, v101
	v_mov_b32_e32 v42, v102
	;; [unrolled: 1-line block ×3, first 2 shown]
	scratch_store_dwordx4 off, v[0:3], off offset:2468 ; 16-byte Folded Spill
	s_nop 0
	scratch_store_dwordx4 off, v[4:7], off offset:2484 ; 16-byte Folded Spill
	scratch_store_dwordx4 off, v[8:11], off offset:2500 ; 16-byte Folded Spill
	;; [unrolled: 1-line block ×7, first 2 shown]
	v_mov_b64_e32 v[10:11], v[74:75]
	v_mov_b32_e32 v0, v64
	v_mov_b64_e32 v[26:27], v[90:91]
	v_mov_b64_e32 v[12:13], v[76:77]
	v_mov_b64_e32 v[14:15], v[78:79]
	v_mov_b64_e32 v[16:17], v[80:81]
	v_mov_b64_e32 v[18:19], v[82:83]
	v_mov_b64_e32 v[20:21], v[84:85]
	v_mov_b64_e32 v[22:23], v[86:87]
	v_mov_b64_e32 v[24:25], v[88:89]
	v_mov_b32_e32 v1, v65
	v_mov_b32_e32 v2, v66
	;; [unrolled: 1-line block ×8, first 2 shown]
	v_mov_b64_e32 v[28:29], v[92:93]
	v_mov_b64_e32 v[30:31], v[94:95]
	v_mov_b32_e32 v158, v62
	v_mov_b32_e32 v157, v61
	v_mov_b64_e32 v[252:253], v[62:63]
	v_mov_b32_e32 v200, v97
	v_mov_b32_e32 v201, v98
	;; [unrolled: 1-line block ×10, first 2 shown]
	scratch_store_dwordx4 off, v[0:3], off offset:2340 ; 16-byte Folded Spill
	s_nop 0
	scratch_store_dwordx4 off, v[4:7], off offset:2356 ; 16-byte Folded Spill
	scratch_store_dwordx4 off, v[8:11], off offset:2372 ; 16-byte Folded Spill
	;; [unrolled: 1-line block ×7, first 2 shown]
	v_mov_b32_e32 v11, v43
	v_mov_b64_e32 v[0:1], v[32:33]
	v_mov_b32_e32 v27, v59
	v_mov_b32_e32 v12, v44
	;; [unrolled: 1-line block ×16, first 2 shown]
	v_mov_b64_e32 v[2:3], v[34:35]
	v_mov_b64_e32 v[4:5], v[36:37]
	;; [unrolled: 1-line block ×4, first 2 shown]
	v_mov_b32_e32 v28, v60
	v_mov_b32_e32 v29, v61
	;; [unrolled: 1-line block ×11, first 2 shown]
	scratch_store_dwordx4 off, v[0:3], off offset:2212 ; 16-byte Folded Spill
	s_nop 0
	scratch_store_dwordx4 off, v[4:7], off offset:2228 ; 16-byte Folded Spill
	scratch_store_dwordx4 off, v[8:11], off offset:2244 ; 16-byte Folded Spill
	;; [unrolled: 1-line block ×7, first 2 shown]
	v_mov_b64_e32 v[12:13], v[44:45]
	v_mov_b32_e32 v0, v32
	v_mov_b64_e32 v[28:29], v[60:61]
	v_mov_b64_e32 v[14:15], v[46:47]
	;; [unrolled: 1-line block ×8, first 2 shown]
	v_mov_b32_e32 v1, v33
	v_mov_b32_e32 v2, v34
	;; [unrolled: 1-line block ×10, first 2 shown]
	v_mov_b64_e32 v[30:31], v[62:63]
	v_mov_b32_e32 v44, v104
	scratch_store_dwordx4 off, v[0:3], off offset:2084 ; 16-byte Folded Spill
	s_nop 0
	scratch_store_dwordx4 off, v[4:7], off offset:2100 ; 16-byte Folded Spill
	scratch_store_dwordx4 off, v[8:11], off offset:2116 ; 16-byte Folded Spill
	;; [unrolled: 1-line block ×7, first 2 shown]
	v_mov_b32_e32 v13, v45
	v_mov_b64_e32 v[0:1], v[32:33]
	v_mov_b32_e32 v29, v61
	v_mov_b32_e32 v14, v46
	;; [unrolled: 1-line block ×16, first 2 shown]
	v_mov_b64_e32 v[2:3], v[34:35]
	v_mov_b64_e32 v[4:5], v[36:37]
	;; [unrolled: 1-line block ×5, first 2 shown]
	v_mov_b32_e32 v30, v62
	v_mov_b32_e32 v31, v63
	;; [unrolled: 1-line block ×3, first 2 shown]
	scratch_store_dwordx4 off, v[0:3], off offset:1948 ; 16-byte Folded Spill
	s_nop 0
	scratch_store_dwordx4 off, v[4:7], off offset:1964 ; 16-byte Folded Spill
	scratch_store_dwordx4 off, v[8:11], off offset:1980 ; 16-byte Folded Spill
	;; [unrolled: 1-line block ×7, first 2 shown]
	v_mov_b64_e32 v[14:15], v[46:47]
	v_mov_b64_e32 v[16:17], v[48:49]
	;; [unrolled: 1-line block ×9, first 2 shown]
	v_mov_b32_e32 v12, v104
	v_mov_b32_e32 v46, v106
	scratch_store_dwordx4 off, v[0:3], off offset:1820 ; 16-byte Folded Spill
	s_nop 0
	scratch_store_dwordx4 off, v[4:7], off offset:1836 ; 16-byte Folded Spill
	scratch_store_dwordx4 off, v[8:11], off offset:1852 ; 16-byte Folded Spill
	;; [unrolled: 1-line block ×7, first 2 shown]
	v_mov_b32_e32 v15, v47
	v_mov_b32_e32 v16, v48
	;; [unrolled: 1-line block ×16, first 2 shown]
	v_mov_b64_e32 v[12:13], v[44:45]
	v_mov_b32_e32 v31, v63
	v_mov_b32_e32 v47, v107
	v_mov_b64_e32 v[142:143], v[46:47]
	v_mov_b64_e32 v[236:237], v[46:47]
	;; [unrolled: 1-line block ×14, first 2 shown]
	scratch_store_dwordx4 off, v[0:3], off offset:1692 ; 16-byte Folded Spill
	s_nop 0
	scratch_store_dwordx4 off, v[4:7], off offset:1708 ; 16-byte Folded Spill
	scratch_store_dwordx4 off, v[8:11], off offset:1724 ; 16-byte Folded Spill
	;; [unrolled: 1-line block ×7, first 2 shown]
	v_mov_b64_e32 v[16:17], v[48:49]
	v_mov_b32_e32 v12, v44
	v_mov_b64_e32 v[18:19], v[50:51]
	v_mov_b64_e32 v[20:21], v[52:53]
	;; [unrolled: 1-line block ×7, first 2 shown]
	v_mov_b32_e32 v13, v45
	v_mov_b32_e32 v14, v46
	;; [unrolled: 1-line block ×3, first 2 shown]
	v_mov_b64_e32 v[224:225], v[34:35]
	v_mov_b64_e32 v[222:223], v[32:33]
	scratch_store_dwordx4 off, v[0:3], off offset:1564 ; 16-byte Folded Spill
	s_nop 0
	scratch_store_dwordx4 off, v[4:7], off offset:1580 ; 16-byte Folded Spill
	scratch_store_dwordx4 off, v[8:11], off offset:1596 ; 16-byte Folded Spill
	;; [unrolled: 1-line block ×7, first 2 shown]
	v_mov_b64_e32 v[0:1], v[32:33]
	v_mov_b32_e32 v17, v49
	v_mov_b32_e32 v29, v61
	v_mov_b64_e32 v[2:3], v[34:35]
	v_mov_b64_e32 v[4:5], v[36:37]
	;; [unrolled: 1-line block ×7, first 2 shown]
	v_mov_b32_e32 v18, v50
	v_mov_b32_e32 v19, v51
	v_mov_b32_e32 v20, v52
	v_mov_b32_e32 v21, v53
	v_mov_b32_e32 v22, v54
	v_mov_b32_e32 v23, v55
	v_mov_b32_e32 v24, v56
	v_mov_b32_e32 v25, v57
	v_mov_b32_e32 v26, v58
	v_mov_b32_e32 v27, v59
	v_mov_b32_e32 v28, v60
	v_mov_b32_e32 v30, v62
	v_mov_b32_e32 v31, v63
	v_mov_b32_e32 v49, v109
	scratch_store_dwordx4 off, v[0:3], off offset:1436 ; 16-byte Folded Spill
	s_nop 0
	scratch_store_dwordx4 off, v[4:7], off offset:1452 ; 16-byte Folded Spill
	scratch_store_dwordx4 off, v[8:11], off offset:1468 ; 16-byte Folded Spill
	;; [unrolled: 1-line block ×7, first 2 shown]
	v_mov_b64_e32 v[18:19], v[50:51]
	v_mov_b64_e32 v[20:21], v[52:53]
	;; [unrolled: 1-line block ×7, first 2 shown]
	v_mov_b32_e32 v16, v108
	v_mov_b32_e32 v50, v110
	scratch_store_dwordx4 off, v[0:3], off offset:1308 ; 16-byte Folded Spill
	s_nop 0
	scratch_store_dwordx4 off, v[4:7], off offset:1324 ; 16-byte Folded Spill
	scratch_store_dwordx4 off, v[8:11], off offset:1340 ; 16-byte Folded Spill
	;; [unrolled: 1-line block ×7, first 2 shown]
	v_mov_b32_e32 v19, v51
	v_mov_b32_e32 v20, v52
	;; [unrolled: 1-line block ×12, first 2 shown]
	v_mov_b64_e32 v[16:17], v[48:49]
	v_mov_b32_e32 v31, v63
	v_mov_b32_e32 v51, v111
	scratch_store_dwordx4 off, v[0:3], off offset:1168 ; 16-byte Folded Spill
	s_nop 0
	scratch_store_dwordx4 off, v[4:7], off offset:1184 ; 16-byte Folded Spill
	scratch_store_dwordx4 off, v[8:11], off offset:1200 ; 16-byte Folded Spill
	;; [unrolled: 1-line block ×7, first 2 shown]
	v_mov_b64_e32 v[20:21], v[52:53]
	v_mov_b32_e32 v16, v48
	v_mov_b64_e32 v[22:23], v[54:55]
	v_mov_b64_e32 v[24:25], v[56:57]
	;; [unrolled: 1-line block ×5, first 2 shown]
	v_mov_b32_e32 v17, v49
	v_mov_b32_e32 v18, v50
	;; [unrolled: 1-line block ×3, first 2 shown]
	scratch_store_dwordx4 off, v[0:3], off offset:1040 ; 16-byte Folded Spill
	s_nop 0
	scratch_store_dwordx4 off, v[4:7], off offset:1056 ; 16-byte Folded Spill
	scratch_store_dwordx4 off, v[8:11], off offset:1072 ; 16-byte Folded Spill
	;; [unrolled: 1-line block ×7, first 2 shown]
	v_mov_b32_e32 v21, v53
	v_mov_b64_e32 v[16:17], v[48:49]
	v_mov_b32_e32 v22, v54
	v_mov_b32_e32 v23, v55
	;; [unrolled: 1-line block ×10, first 2 shown]
	v_mov_b64_e32 v[18:19], v[50:51]
	v_mov_b32_e32 v53, v113
	scratch_store_dwordx4 off, v[0:3], off offset:912 ; 16-byte Folded Spill
	s_nop 0
	scratch_store_dwordx4 off, v[4:7], off offset:928 ; 16-byte Folded Spill
	scratch_store_dwordx4 off, v[8:11], off offset:944 ; 16-byte Folded Spill
	;; [unrolled: 1-line block ×7, first 2 shown]
	v_mov_b64_e32 v[22:23], v[54:55]
	v_mov_b32_e32 v16, v48
	v_mov_b64_e32 v[24:25], v[56:57]
	v_mov_b64_e32 v[26:27], v[58:59]
	;; [unrolled: 1-line block ×4, first 2 shown]
	v_mov_b32_e32 v17, v49
	v_mov_b32_e32 v18, v50
	;; [unrolled: 1-line block ×5, first 2 shown]
	scratch_store_dwordx4 off, v[0:3], off offset:784 ; 16-byte Folded Spill
	s_nop 0
	scratch_store_dwordx4 off, v[4:7], off offset:800 ; 16-byte Folded Spill
	scratch_store_dwordx4 off, v[8:11], off offset:816 ; 16-byte Folded Spill
	;; [unrolled: 1-line block ×7, first 2 shown]
	v_mov_b32_e32 v23, v55
	v_mov_b64_e32 v[16:17], v[48:49]
	v_mov_b32_e32 v24, v56
	v_mov_b32_e32 v25, v57
	;; [unrolled: 1-line block ×8, first 2 shown]
	v_mov_b64_e32 v[18:19], v[50:51]
	v_mov_b64_e32 v[20:21], v[52:53]
	v_mov_b32_e32 v55, v115
	scratch_store_dwordx4 off, v[0:3], off offset:656 ; 16-byte Folded Spill
	s_nop 0
	scratch_store_dwordx4 off, v[4:7], off offset:672 ; 16-byte Folded Spill
	scratch_store_dwordx4 off, v[8:11], off offset:688 ; 16-byte Folded Spill
	scratch_store_dwordx4 off, v[12:15], off offset:704 ; 16-byte Folded Spill
	scratch_store_dwordx4 off, v[16:19], off offset:720 ; 16-byte Folded Spill
	scratch_store_dwordx4 off, v[20:23], off offset:736 ; 16-byte Folded Spill
	scratch_store_dwordx4 off, v[24:27], off offset:752 ; 16-byte Folded Spill
	scratch_store_dwordx4 off, v[28:31], off offset:768 ; 16-byte Folded Spill
	s_nop 0
	v_mov_b64_e32 v[24:25], v[56:57]
	v_mov_b32_e32 v16, v48
	v_mov_b64_e32 v[26:27], v[58:59]
	v_mov_b64_e32 v[28:29], v[60:61]
	;; [unrolled: 1-line block ×3, first 2 shown]
	v_mov_b32_e32 v17, v49
	v_mov_b32_e32 v18, v50
	;; [unrolled: 1-line block ×7, first 2 shown]
	scratch_store_dwordx4 off, v[0:3], off offset:528 ; 16-byte Folded Spill
	s_nop 0
	scratch_store_dwordx4 off, v[4:7], off offset:544 ; 16-byte Folded Spill
	scratch_store_dwordx4 off, v[8:11], off offset:560 ; 16-byte Folded Spill
	;; [unrolled: 1-line block ×7, first 2 shown]
	v_mov_b64_e32 v[16:17], v[48:49]
	v_mov_b32_e32 v25, v57
	v_mov_b64_e32 v[18:19], v[50:51]
	v_mov_b64_e32 v[20:21], v[52:53]
	v_mov_b64_e32 v[22:23], v[54:55]
	v_mov_b32_e32 v26, v58
	v_mov_b32_e32 v27, v59
	;; [unrolled: 1-line block ×7, first 2 shown]
	scratch_store_dwordx4 off, v[0:3], off offset:392 ; 16-byte Folded Spill
	s_nop 0
	scratch_store_dwordx4 off, v[4:7], off offset:408 ; 16-byte Folded Spill
	scratch_store_dwordx4 off, v[8:11], off offset:424 ; 16-byte Folded Spill
	;; [unrolled: 1-line block ×7, first 2 shown]
	v_mov_b32_e32 v16, v48
	v_mov_b64_e32 v[26:27], v[58:59]
	v_mov_b32_e32 v17, v49
	v_mov_b32_e32 v18, v50
	;; [unrolled: 1-line block ×8, first 2 shown]
	v_mov_b64_e32 v[28:29], v[60:61]
	v_mov_b64_e32 v[30:31], v[62:63]
	v_mov_b32_e32 v58, v118
	scratch_store_dwordx4 off, v[0:3], off offset:264 ; 16-byte Folded Spill
	s_nop 0
	scratch_store_dwordx4 off, v[4:7], off offset:280 ; 16-byte Folded Spill
	scratch_store_dwordx4 off, v[8:11], off offset:296 ; 16-byte Folded Spill
	;; [unrolled: 1-line block ×7, first 2 shown]
	v_mov_b64_e32 v[16:17], v[48:49]
	v_mov_b32_e32 v27, v59
	v_mov_b64_e32 v[18:19], v[50:51]
	v_mov_b64_e32 v[20:21], v[52:53]
	;; [unrolled: 1-line block ×4, first 2 shown]
	v_mov_b32_e32 v28, v60
	v_mov_b32_e32 v29, v61
	v_mov_b32_e32 v30, v62
	v_mov_b32_e32 v31, v63
	v_mov_b32_e32 v59, v119
	v_mov_b64_e32 v[154:155], v[58:59]
	v_mov_b64_e32 v[248:249], v[58:59]
	;; [unrolled: 1-line block ×12, first 2 shown]
	scratch_store_dwordx4 off, v[0:3], off offset:128 ; 16-byte Folded Spill
	s_nop 0
	scratch_store_dwordx4 off, v[4:7], off offset:144 ; 16-byte Folded Spill
	scratch_store_dwordx4 off, v[8:11], off offset:160 ; 16-byte Folded Spill
	;; [unrolled: 1-line block ×7, first 2 shown]
	v_mov_b32_e32 v16, v48
	s_nop 0
	v_mov_b64_e32 v[28:29], v[60:61]
	v_mov_b32_e32 v17, v49
	v_mov_b32_e32 v18, v50
	;; [unrolled: 1-line block ×10, first 2 shown]
	v_mov_b64_e32 v[30:31], v[62:63]
	v_mov_b32_e32 v60, v120
	scratch_store_dwordx4 off, v[0:3], off  ; 16-byte Folded Spill
	s_nop 0
	scratch_store_dwordx4 off, v[4:7], off offset:16 ; 16-byte Folded Spill
	scratch_store_dwordx4 off, v[8:11], off offset:32 ; 16-byte Folded Spill
	;; [unrolled: 1-line block ×7, first 2 shown]
	v_mov_b64_e32 v[0:1], v[32:33]
	v_mov_b64_e32 v[2:3], v[34:35]
	v_mov_b64_e32 v[4:5], v[36:37]
	v_mov_b64_e32 v[6:7], v[38:39]
	v_mov_b64_e32 v[8:9], v[40:41]
	v_mov_b64_e32 v[10:11], v[42:43]
	v_mov_b64_e32 v[12:13], v[44:45]
	v_mov_b64_e32 v[14:15], v[46:47]
	v_mov_b64_e32 v[16:17], v[48:49]
	v_mov_b64_e32 v[18:19], v[50:51]
	v_mov_b64_e32 v[20:21], v[52:53]
	v_mov_b64_e32 v[22:23], v[54:55]
	v_mov_b64_e32 v[24:25], v[56:57]
	v_mov_b64_e32 v[26:27], v[58:59]
	v_mov_b64_e32 v[28:29], v[60:61]
	v_mov_b64_e32 v[30:31], v[62:63]
	v_mov_b32_e32 v62, v99
	v_mov_b32_e32 v63, v100
	;; [unrolled: 1-line block ×3, first 2 shown]
	v_mov_b64_e32 v[46:47], v[14:15]
	v_mov_b64_e32 v[58:59], v[26:27]
	scratch_store_dwordx4 off, v[160:163], off offset:2980 ; 16-byte Folded Spill
	s_nop 0
	scratch_store_dwordx4 off, v[164:167], off offset:2996 ; 16-byte Folded Spill
	scratch_store_dwordx4 off, v[168:171], off offset:3012 ; 16-byte Folded Spill
	;; [unrolled: 1-line block ×7, first 2 shown]
	scratch_store_dwordx2 off, v[62:63], off offset:1296 ; 8-byte Folded Spill
	v_mov_b32_e32 v62, v105
	v_mov_b32_e32 v63, v106
	v_mov_b64_e32 v[44:45], v[12:13]
	v_mov_b64_e32 v[42:43], v[10:11]
	;; [unrolled: 1-line block ×13, first 2 shown]
	v_mov_b32_e32 v30, v254
	v_mov_b32_e32 v31, v255
	;; [unrolled: 1-line block ×3, first 2 shown]
	scratch_store_dwordx2 off, v[62:63], off offset:520 ; 8-byte Folded Spill
	v_mov_b32_e32 v62, v107
	v_mov_b32_e32 v63, v108
	;; [unrolled: 1-line block ×5, first 2 shown]
	scratch_store_dwordx2 off, v[62:63], off offset:256 ; 8-byte Folded Spill
.LBB62_65:
	s_or_b64 exec, exec, s[0:1]
	s_waitcnt vmcnt(0)
	v_lshl_add_u32 v62, v221, 2, v214
	s_barrier
	ds_write_b32 v62, v199
	s_waitcnt lgkmcnt(0)
	s_barrier
	ds_read_b32 v74, v214 offset:16
	s_cmp_lt_i32 s22, 6
	v_mov_b32_e32 v62, 4
	s_cbranch_scc1 .LBB62_68
; %bb.66:
	v_add3_u32 v63, v215, 0, 20
	v_mov_b32_e32 v62, 4
	s_mov_b32 s0, 5
.LBB62_67:                              ; =>This Inner Loop Header: Depth=1
	ds_read_b32 v96, v63
	v_add_u32_e32 v63, 4, v63
	s_waitcnt lgkmcnt(0)
	v_cmp_lt_f32_e64 vcc, |v74|, |v96|
	s_nop 1
	v_cndmask_b32_e32 v74, v74, v96, vcc
	v_mov_b32_e32 v96, s0
	s_add_i32 s0, s0, 1
	v_cndmask_b32_e32 v62, v62, v96, vcc
	s_cmp_lg_u32 s22, s0
	s_cbranch_scc1 .LBB62_67
.LBB62_68:
	s_waitcnt lgkmcnt(0)
	v_cmp_eq_f32_e32 vcc, 0, v74
	s_and_saveexec_b64 s[0:1], vcc
	s_xor_b64 s[0:1], exec, s[0:1]
; %bb.69:
	v_cmp_ne_u32_e32 vcc, 0, v220
	s_nop 1
	v_cndmask_b32_e32 v220, 5, v220, vcc
; %bb.70:
	s_andn2_saveexec_b64 s[0:1], s[0:1]
	s_cbranch_execz .LBB62_72
; %bb.71:
	v_div_scale_f32 v63, s[2:3], v74, v74, 1.0
	v_rcp_f32_e32 v96, v63
	v_div_scale_f32 v97, vcc, 1.0, v74, 1.0
	v_fma_f32 v98, -v63, v96, 1.0
	v_fmac_f32_e32 v96, v98, v96
	v_mul_f32_e32 v98, v97, v96
	v_fma_f32 v99, -v63, v98, v97
	v_fmac_f32_e32 v98, v99, v96
	v_fma_f32 v63, -v63, v98, v97
	v_div_fmas_f32 v63, v63, v96, v98
	v_div_fixup_f32 v74, v63, v74, 1.0
.LBB62_72:
	s_or_b64 exec, exec, s[0:1]
	v_cmp_ne_u32_e32 vcc, v221, v62
	s_and_saveexec_b64 s[0:1], vcc
	s_xor_b64 s[0:1], exec, s[0:1]
	s_cbranch_execz .LBB62_78
; %bb.73:
	v_cmp_eq_u32_e32 vcc, 4, v221
	s_and_saveexec_b64 s[2:3], vcc
	s_cbranch_execz .LBB62_77
; %bb.74:
	v_cmp_ne_u32_e32 vcc, 4, v62
	s_xor_b64 s[18:19], s[16:17], -1
	s_and_b64 s[20:21], s[18:19], vcc
	s_and_saveexec_b64 s[18:19], s[20:21]
	s_cbranch_execz .LBB62_76
; %bb.75:
	scratch_load_dwordx2 v[104:105], off, off offset:2076 ; 8-byte Folded Reload
	v_ashrrev_i32_e32 v63, 31, v62
	s_waitcnt vmcnt(0)
	v_lshl_add_u64 v[96:97], v[62:63], 2, v[104:105]
	global_load_dword v63, v[96:97], off
	global_load_dword v98, v[104:105], off offset:16
	s_waitcnt vmcnt(1)
	global_store_dword v[104:105], v63, off offset:16
	s_waitcnt vmcnt(1)
	global_store_dword v[96:97], v98, off
.LBB62_76:
	s_or_b64 exec, exec, s[18:19]
	v_mov_b32_e32 v63, v62
	v_mov_b32_e32 v221, v62
	scratch_store_dword off, v63, off offset:1304 ; 4-byte Folded Spill
.LBB62_77:
	s_or_b64 exec, exec, s[2:3]
.LBB62_78:
	s_andn2_saveexec_b64 s[0:1], s[0:1]
	s_cbranch_execz .LBB62_80
; %bb.79:
	v_mov_b32_e32 v221, 4
	ds_write2_b32 v214, v5, v6 offset0:5 offset1:6
	ds_write2_b32 v214, v7, v8 offset0:7 offset1:8
	ds_write2_b32 v214, v9, v10 offset0:9 offset1:10
	ds_write2_b32 v214, v11, v12 offset0:11 offset1:12
	ds_write2_b32 v214, v13, v14 offset0:13 offset1:14
	ds_write2_b32 v214, v15, v16 offset0:15 offset1:16
	ds_write2_b32 v214, v17, v18 offset0:17 offset1:18
	ds_write2_b32 v214, v19, v20 offset0:19 offset1:20
	ds_write2_b32 v214, v21, v22 offset0:21 offset1:22
	ds_write2_b32 v214, v23, v24 offset0:23 offset1:24
	ds_write2_b32 v214, v25, v26 offset0:25 offset1:26
	ds_write2_b32 v214, v27, v28 offset0:27 offset1:28
	ds_write2_b32 v214, v29, v30 offset0:29 offset1:30
	ds_write_b32 v214, v255 offset:124
.LBB62_80:
	s_or_b64 exec, exec, s[0:1]
	v_cmp_lt_i32_e32 vcc, 4, v221
	s_waitcnt lgkmcnt(0)
	s_barrier
	s_and_saveexec_b64 s[0:1], vcc
	s_cbranch_execz .LBB62_82
; %bb.81:
	scratch_load_dwordx4 v[160:163], off, off offset:2980 ; 16-byte Folded Reload
	scratch_load_dwordx4 v[164:167], off, off offset:2996 ; 16-byte Folded Reload
	;; [unrolled: 1-line block ×8, first 2 shown]
	ds_read2_b32 v[0:1], v214 offset0:5 offset1:6
	v_mov_b32_e32 v2, v5
	ds_read2_b32 v[4:5], v214 offset0:7 offset1:8
	ds_read2_b32 v[32:33], v214 offset0:9 offset1:10
	;; [unrolled: 1-line block ×3, first 2 shown]
	s_waitcnt vmcnt(6)
	v_mul_f32_e32 v164, v199, v74
	v_mov_b32_e32 v3, v6
	s_waitcnt lgkmcnt(3)
	v_pk_fma_f32 v[200:201], v[164:165], v[0:1], v[2:3] op_sel_hi:[0,1,1] neg_lo:[1,0,0] neg_hi:[1,0,0]
	v_mov_b32_e32 v0, v7
	v_mov_b32_e32 v1, v8
	s_waitcnt lgkmcnt(2)
	v_pk_fma_f32 v[36:37], v[164:165], v[4:5], v[0:1] op_sel_hi:[0,1,1] neg_lo:[1,0,0] neg_hi:[1,0,0]
	v_mov_b32_e32 v0, v9
	;; [unrolled: 4-line block ×3, first 2 shown]
	v_mov_b32_e32 v1, v12
	s_waitcnt lgkmcnt(0)
	v_pk_fma_f32 v[100:101], v[164:165], v[34:35], v[0:1] op_sel_hi:[0,1,1] neg_lo:[1,0,0] neg_hi:[1,0,0]
	ds_read2_b32 v[0:1], v214 offset0:13 offset1:14
	ds_read2_b32 v[4:5], v214 offset0:15 offset1:16
	;; [unrolled: 1-line block ×4, first 2 shown]
	v_mov_b32_e32 v2, v13
	v_mov_b32_e32 v3, v14
	s_waitcnt vmcnt(0)
	v_mov_b64_e32 v[64:65], v[160:161]
	s_waitcnt lgkmcnt(3)
	v_pk_fma_f32 v[96:97], v[164:165], v[0:1], v[2:3] op_sel_hi:[0,1,1] neg_lo:[1,0,0] neg_hi:[1,0,0]
	v_mov_b32_e32 v0, v15
	v_mov_b32_e32 v1, v16
	s_waitcnt lgkmcnt(2)
	v_pk_fma_f32 v[104:105], v[164:165], v[4:5], v[0:1] op_sel_hi:[0,1,1] neg_lo:[1,0,0] neg_hi:[1,0,0]
	v_mov_b32_e32 v0, v17
	v_mov_b32_e32 v1, v18
	;; [unrolled: 4-line block ×3, first 2 shown]
	s_waitcnt lgkmcnt(0)
	v_pk_fma_f32 v[98:99], v[164:165], v[8:9], v[0:1] op_sel_hi:[0,1,1] neg_lo:[1,0,0] neg_hi:[1,0,0]
	ds_read2_b32 v[0:1], v214 offset0:21 offset1:22
	ds_read2_b32 v[4:5], v214 offset0:23 offset1:24
	;; [unrolled: 1-line block ×4, first 2 shown]
	v_mov_b32_e32 v2, v21
	v_mov_b32_e32 v3, v22
	v_mov_b64_e32 v[68:69], v[164:165]
	s_waitcnt lgkmcnt(3)
	v_pk_fma_f32 v[206:207], v[164:165], v[0:1], v[2:3] op_sel_hi:[0,1,1] neg_lo:[1,0,0] neg_hi:[1,0,0]
	v_mov_b32_e32 v0, v23
	v_mov_b32_e32 v1, v24
	s_waitcnt lgkmcnt(2)
	v_pk_fma_f32 v[204:205], v[164:165], v[4:5], v[0:1] op_sel_hi:[0,1,1] neg_lo:[1,0,0] neg_hi:[1,0,0]
	ds_read2_b32 v[2:3], v214 offset0:29 offset1:30
	ds_read_b32 v4, v214 offset:124
	v_mov_b32_e32 v0, v25
	v_mov_b32_e32 v1, v26
	s_waitcnt lgkmcnt(3)
	v_pk_fma_f32 v[210:211], v[164:165], v[6:7], v[0:1] op_sel_hi:[0,1,1] neg_lo:[1,0,0] neg_hi:[1,0,0]
	v_mov_b32_e32 v0, v27
	v_mov_b32_e32 v1, v28
	s_waitcnt lgkmcnt(2)
	v_pk_fma_f32 v[208:209], v[164:165], v[8:9], v[0:1] op_sel_hi:[0,1,1] neg_lo:[1,0,0] neg_hi:[1,0,0]
	v_mov_b32_e32 v0, v29
	v_mov_b32_e32 v1, v30
	v_mov_b64_e32 v[70:71], v[166:167]
	v_mov_b64_e32 v[86:87], v[182:183]
	s_waitcnt lgkmcnt(1)
	v_pk_fma_f32 v[218:219], v[164:165], v[2:3], v[0:1] op_sel_hi:[0,1,1] neg_lo:[1,0,0] neg_hi:[1,0,0]
	s_waitcnt lgkmcnt(0)
	v_fma_f32 v255, -v164, v4, v255
	v_mov_b64_e32 v[66:67], v[162:163]
	v_mov_b64_e32 v[72:73], v[168:169]
	;; [unrolled: 1-line block ×12, first 2 shown]
	v_mov_b32_e32 v69, v200
	v_mov_b32_e32 v7, v71
	;; [unrolled: 1-line block ×3, first 2 shown]
	v_mov_b64_e32 v[0:1], v[64:65]
	v_mov_b32_e32 v8, v72
	v_mov_b32_e32 v9, v73
	;; [unrolled: 1-line block ×23, first 2 shown]
	v_mov_b64_e32 v[2:3], v[66:67]
	v_mov_b64_e32 v[4:5], v[68:69]
	scratch_store_dwordx4 off, v[0:3], off offset:2724 ; 16-byte Folded Spill
	s_nop 0
	scratch_store_dwordx4 off, v[4:7], off offset:2740 ; 16-byte Folded Spill
	scratch_store_dwordx4 off, v[8:11], off offset:2756 ; 16-byte Folded Spill
	;; [unrolled: 1-line block ×7, first 2 shown]
	v_mov_b32_e32 v70, v201
	v_mov_b64_e32 v[8:9], v[72:73]
	v_mov_b64_e32 v[24:25], v[88:89]
	v_mov_b32_e32 v0, v64
	v_mov_b64_e32 v[10:11], v[74:75]
	v_mov_b64_e32 v[12:13], v[76:77]
	;; [unrolled: 1-line block ×10, first 2 shown]
	v_mov_b32_e32 v1, v65
	v_mov_b32_e32 v2, v66
	;; [unrolled: 1-line block ×6, first 2 shown]
	scratch_store_dwordx4 off, v[0:3], off offset:2596 ; 16-byte Folded Spill
	s_nop 0
	scratch_store_dwordx4 off, v[4:7], off offset:2612 ; 16-byte Folded Spill
	scratch_store_dwordx4 off, v[8:11], off offset:2628 ; 16-byte Folded Spill
	;; [unrolled: 1-line block ×7, first 2 shown]
	v_mov_b32_e32 v71, v36
	v_mov_b32_e32 v9, v73
	v_mov_b64_e32 v[0:1], v[64:65]
	v_mov_b32_e32 v25, v89
	v_mov_b32_e32 v10, v74
	v_mov_b32_e32 v11, v75
	v_mov_b32_e32 v12, v76
	v_mov_b32_e32 v13, v77
	v_mov_b32_e32 v14, v78
	v_mov_b32_e32 v15, v79
	v_mov_b32_e32 v16, v80
	v_mov_b32_e32 v17, v81
	v_mov_b32_e32 v18, v82
	v_mov_b32_e32 v19, v83
	v_mov_b32_e32 v20, v84
	v_mov_b32_e32 v21, v85
	v_mov_b32_e32 v22, v86
	v_mov_b32_e32 v23, v87
	v_mov_b32_e32 v24, v88
	v_mov_b64_e32 v[2:3], v[66:67]
	v_mov_b64_e32 v[4:5], v[68:69]
	;; [unrolled: 1-line block ×3, first 2 shown]
	v_mov_b32_e32 v26, v90
	v_mov_b32_e32 v27, v91
	v_mov_b32_e32 v28, v92
	v_mov_b32_e32 v29, v93
	v_mov_b32_e32 v30, v94
	v_mov_b32_e32 v31, v95
	scratch_store_dwordx4 off, v[0:3], off offset:2468 ; 16-byte Folded Spill
	s_nop 0
	scratch_store_dwordx4 off, v[4:7], off offset:2484 ; 16-byte Folded Spill
	scratch_store_dwordx4 off, v[8:11], off offset:2500 ; 16-byte Folded Spill
	;; [unrolled: 1-line block ×7, first 2 shown]
	scratch_store_dwordx2 off, v[36:37], off offset:1296 ; 8-byte Folded Spill
	v_mov_b32_e32 v72, v37
	v_mov_b64_e32 v[10:11], v[74:75]
	v_mov_b32_e32 v0, v64
	v_mov_b64_e32 v[26:27], v[90:91]
	v_mov_b64_e32 v[12:13], v[76:77]
	;; [unrolled: 1-line block ×8, first 2 shown]
	v_mov_b32_e32 v1, v65
	v_mov_b32_e32 v2, v66
	;; [unrolled: 1-line block ×8, first 2 shown]
	v_mov_b64_e32 v[28:29], v[92:93]
	v_mov_b64_e32 v[30:31], v[94:95]
	scratch_store_dwordx4 off, v[0:3], off offset:2340 ; 16-byte Folded Spill
	s_nop 0
	scratch_store_dwordx4 off, v[4:7], off offset:2356 ; 16-byte Folded Spill
	scratch_store_dwordx4 off, v[8:11], off offset:2372 ; 16-byte Folded Spill
	scratch_store_dwordx4 off, v[12:15], off offset:2388 ; 16-byte Folded Spill
	scratch_store_dwordx4 off, v[16:19], off offset:2404 ; 16-byte Folded Spill
	scratch_store_dwordx4 off, v[20:23], off offset:2420 ; 16-byte Folded Spill
	scratch_store_dwordx4 off, v[24:27], off offset:2436 ; 16-byte Folded Spill
	scratch_store_dwordx4 off, v[28:31], off offset:2452 ; 16-byte Folded Spill
	v_mov_b64_e32 v[32:33], v[64:65]
	v_mov_b64_e32 v[40:41], v[72:73]
	;; [unrolled: 1-line block ×16, first 2 shown]
	v_mov_b32_e32 v41, v122
	v_mov_b32_e32 v11, v43
	v_mov_b64_e32 v[0:1], v[32:33]
	v_mov_b32_e32 v27, v59
	v_mov_b32_e32 v12, v44
	;; [unrolled: 1-line block ×16, first 2 shown]
	v_mov_b64_e32 v[2:3], v[34:35]
	v_mov_b64_e32 v[4:5], v[36:37]
	;; [unrolled: 1-line block ×4, first 2 shown]
	v_mov_b32_e32 v28, v60
	v_mov_b32_e32 v29, v61
	;; [unrolled: 1-line block ×4, first 2 shown]
	scratch_store_dwordx4 off, v[0:3], off offset:2212 ; 16-byte Folded Spill
	s_nop 0
	scratch_store_dwordx4 off, v[4:7], off offset:2228 ; 16-byte Folded Spill
	scratch_store_dwordx4 off, v[8:11], off offset:2244 ; 16-byte Folded Spill
	;; [unrolled: 1-line block ×7, first 2 shown]
	v_mov_b32_e32 v42, v123
	v_mov_b64_e32 v[12:13], v[44:45]
	v_mov_b32_e32 v0, v32
	v_mov_b64_e32 v[28:29], v[60:61]
	v_mov_b64_e32 v[14:15], v[46:47]
	;; [unrolled: 1-line block ×8, first 2 shown]
	v_mov_b32_e32 v1, v33
	v_mov_b32_e32 v2, v34
	v_mov_b32_e32 v3, v35
	v_mov_b32_e32 v4, v36
	v_mov_b32_e32 v5, v37
	v_mov_b32_e32 v6, v38
	v_mov_b32_e32 v7, v39
	v_mov_b32_e32 v8, v40
	v_mov_b32_e32 v9, v41
	v_mov_b32_e32 v10, v42
	v_mov_b64_e32 v[30:31], v[62:63]
	scratch_store_dwordx4 off, v[0:3], off offset:2084 ; 16-byte Folded Spill
	s_nop 0
	scratch_store_dwordx4 off, v[4:7], off offset:2100 ; 16-byte Folded Spill
	scratch_store_dwordx4 off, v[8:11], off offset:2116 ; 16-byte Folded Spill
	;; [unrolled: 1-line block ×7, first 2 shown]
	v_mov_b32_e32 v43, v100
	v_mov_b32_e32 v13, v45
	v_mov_b64_e32 v[0:1], v[32:33]
	v_mov_b32_e32 v29, v61
	v_mov_b32_e32 v14, v46
	;; [unrolled: 1-line block ×16, first 2 shown]
	v_mov_b64_e32 v[2:3], v[34:35]
	v_mov_b64_e32 v[4:5], v[36:37]
	;; [unrolled: 1-line block ×5, first 2 shown]
	v_mov_b32_e32 v30, v62
	v_mov_b32_e32 v31, v63
	scratch_store_dwordx4 off, v[0:3], off offset:1948 ; 16-byte Folded Spill
	s_nop 0
	scratch_store_dwordx4 off, v[4:7], off offset:1964 ; 16-byte Folded Spill
	scratch_store_dwordx4 off, v[8:11], off offset:1980 ; 16-byte Folded Spill
	;; [unrolled: 1-line block ×7, first 2 shown]
	v_mov_b64_e32 v[14:15], v[46:47]
	v_mov_b64_e32 v[16:17], v[48:49]
	;; [unrolled: 1-line block ×9, first 2 shown]
	v_mov_b32_e32 v12, v101
	scratch_store_dwordx4 off, v[0:3], off offset:1820 ; 16-byte Folded Spill
	s_nop 0
	scratch_store_dwordx4 off, v[4:7], off offset:1836 ; 16-byte Folded Spill
	scratch_store_dwordx4 off, v[8:11], off offset:1852 ; 16-byte Folded Spill
	;; [unrolled: 1-line block ×7, first 2 shown]
	v_mov_b32_e32 v44, v101
	v_mov_b32_e32 v45, v96
	;; [unrolled: 1-line block ×18, first 2 shown]
	v_mov_b64_e32 v[12:13], v[44:45]
	v_mov_b32_e32 v31, v63
	scratch_store_dwordx4 off, v[0:3], off offset:1692 ; 16-byte Folded Spill
	s_nop 0
	scratch_store_dwordx4 off, v[4:7], off offset:1708 ; 16-byte Folded Spill
	scratch_store_dwordx4 off, v[8:11], off offset:1724 ; 16-byte Folded Spill
	;; [unrolled: 1-line block ×7, first 2 shown]
	scratch_store_dwordx2 off, v[96:97], off offset:520 ; 8-byte Folded Spill
	v_mov_b32_e32 v46, v97
	v_mov_b64_e32 v[16:17], v[48:49]
	v_mov_b32_e32 v12, v44
	v_mov_b64_e32 v[18:19], v[50:51]
	v_mov_b64_e32 v[20:21], v[52:53]
	;; [unrolled: 1-line block ×7, first 2 shown]
	v_mov_b32_e32 v13, v45
	v_mov_b32_e32 v14, v46
	scratch_store_dwordx4 off, v[0:3], off offset:1564 ; 16-byte Folded Spill
	s_nop 0
	scratch_store_dwordx4 off, v[4:7], off offset:1580 ; 16-byte Folded Spill
	scratch_store_dwordx4 off, v[8:11], off offset:1596 ; 16-byte Folded Spill
	;; [unrolled: 1-line block ×7, first 2 shown]
	v_mov_b32_e32 v47, v104
	v_mov_b64_e32 v[0:1], v[32:33]
	v_mov_b32_e32 v17, v49
	v_mov_b32_e32 v29, v61
	v_mov_b64_e32 v[2:3], v[34:35]
	v_mov_b64_e32 v[4:5], v[36:37]
	;; [unrolled: 1-line block ×7, first 2 shown]
	v_mov_b32_e32 v18, v50
	v_mov_b32_e32 v19, v51
	;; [unrolled: 1-line block ×13, first 2 shown]
	scratch_store_dwordx4 off, v[0:3], off offset:1436 ; 16-byte Folded Spill
	s_nop 0
	scratch_store_dwordx4 off, v[4:7], off offset:1452 ; 16-byte Folded Spill
	scratch_store_dwordx4 off, v[8:11], off offset:1468 ; 16-byte Folded Spill
	;; [unrolled: 1-line block ×7, first 2 shown]
	scratch_store_dwordx2 off, v[104:105], off offset:256 ; 8-byte Folded Spill
	v_mov_b64_e32 v[18:19], v[50:51]
	v_mov_b64_e32 v[20:21], v[52:53]
	v_mov_b64_e32 v[22:23], v[54:55]
	v_mov_b64_e32 v[24:25], v[56:57]
	v_mov_b64_e32 v[26:27], v[58:59]
	v_mov_b64_e32 v[28:29], v[60:61]
	v_mov_b64_e32 v[30:31], v[62:63]
	v_mov_b32_e32 v16, v105
	scratch_store_dwordx4 off, v[0:3], off offset:1308 ; 16-byte Folded Spill
	s_nop 0
	scratch_store_dwordx4 off, v[4:7], off offset:1324 ; 16-byte Folded Spill
	scratch_store_dwordx4 off, v[8:11], off offset:1340 ; 16-byte Folded Spill
	scratch_store_dwordx4 off, v[12:15], off offset:1356 ; 16-byte Folded Spill
	scratch_store_dwordx4 off, v[16:19], off offset:1372 ; 16-byte Folded Spill
	scratch_store_dwordx4 off, v[20:23], off offset:1388 ; 16-byte Folded Spill
	scratch_store_dwordx4 off, v[24:27], off offset:1404 ; 16-byte Folded Spill
	scratch_store_dwordx4 off, v[28:31], off offset:1420 ; 16-byte Folded Spill
	v_mov_b32_e32 v48, v105
	v_mov_b32_e32 v49, v102
	;; [unrolled: 1-line block ×14, first 2 shown]
	v_mov_b64_e32 v[16:17], v[48:49]
	v_mov_b32_e32 v31, v63
	scratch_store_dwordx4 off, v[0:3], off offset:1168 ; 16-byte Folded Spill
	s_nop 0
	scratch_store_dwordx4 off, v[4:7], off offset:1184 ; 16-byte Folded Spill
	scratch_store_dwordx4 off, v[8:11], off offset:1200 ; 16-byte Folded Spill
	;; [unrolled: 1-line block ×7, first 2 shown]
	v_mov_b32_e32 v50, v103
	v_mov_b64_e32 v[20:21], v[52:53]
	v_mov_b32_e32 v16, v48
	v_mov_b64_e32 v[22:23], v[54:55]
	v_mov_b64_e32 v[24:25], v[56:57]
	;; [unrolled: 1-line block ×5, first 2 shown]
	v_mov_b32_e32 v17, v49
	v_mov_b32_e32 v18, v50
	scratch_store_dwordx4 off, v[0:3], off offset:1040 ; 16-byte Folded Spill
	s_nop 0
	scratch_store_dwordx4 off, v[4:7], off offset:1056 ; 16-byte Folded Spill
	scratch_store_dwordx4 off, v[8:11], off offset:1072 ; 16-byte Folded Spill
	scratch_store_dwordx4 off, v[12:15], off offset:1088 ; 16-byte Folded Spill
	scratch_store_dwordx4 off, v[16:19], off offset:1104 ; 16-byte Folded Spill
	scratch_store_dwordx4 off, v[20:23], off offset:1120 ; 16-byte Folded Spill
	scratch_store_dwordx4 off, v[24:27], off offset:1136 ; 16-byte Folded Spill
	scratch_store_dwordx4 off, v[28:31], off offset:1152 ; 16-byte Folded Spill
	v_mov_b32_e32 v51, v98
	v_mov_b32_e32 v21, v53
	v_mov_b64_e32 v[16:17], v[48:49]
	v_mov_b32_e32 v22, v54
	v_mov_b32_e32 v23, v55
	;; [unrolled: 1-line block ×10, first 2 shown]
	v_mov_b64_e32 v[18:19], v[50:51]
	scratch_store_dwordx4 off, v[0:3], off offset:912 ; 16-byte Folded Spill
	s_nop 0
	scratch_store_dwordx4 off, v[4:7], off offset:928 ; 16-byte Folded Spill
	scratch_store_dwordx4 off, v[8:11], off offset:944 ; 16-byte Folded Spill
	;; [unrolled: 1-line block ×7, first 2 shown]
	v_mov_b32_e32 v52, v99
	v_mov_b64_e32 v[22:23], v[54:55]
	v_mov_b32_e32 v16, v48
	v_mov_b64_e32 v[24:25], v[56:57]
	v_mov_b64_e32 v[26:27], v[58:59]
	;; [unrolled: 1-line block ×4, first 2 shown]
	v_mov_b32_e32 v17, v49
	v_mov_b32_e32 v18, v50
	;; [unrolled: 1-line block ×4, first 2 shown]
	scratch_store_dwordx4 off, v[0:3], off offset:784 ; 16-byte Folded Spill
	s_nop 0
	scratch_store_dwordx4 off, v[4:7], off offset:800 ; 16-byte Folded Spill
	scratch_store_dwordx4 off, v[8:11], off offset:816 ; 16-byte Folded Spill
	;; [unrolled: 1-line block ×7, first 2 shown]
	v_mov_b32_e32 v53, v206
	v_mov_b32_e32 v23, v55
	v_mov_b64_e32 v[16:17], v[48:49]
	v_mov_b32_e32 v24, v56
	v_mov_b32_e32 v25, v57
	;; [unrolled: 1-line block ×8, first 2 shown]
	v_mov_b64_e32 v[18:19], v[50:51]
	v_mov_b64_e32 v[20:21], v[52:53]
	scratch_store_dwordx4 off, v[0:3], off offset:656 ; 16-byte Folded Spill
	s_nop 0
	scratch_store_dwordx4 off, v[4:7], off offset:672 ; 16-byte Folded Spill
	scratch_store_dwordx4 off, v[8:11], off offset:688 ; 16-byte Folded Spill
	;; [unrolled: 1-line block ×7, first 2 shown]
	v_mov_b32_e32 v54, v207
	v_mov_b64_e32 v[24:25], v[56:57]
	v_mov_b32_e32 v16, v48
	v_mov_b64_e32 v[26:27], v[58:59]
	v_mov_b64_e32 v[28:29], v[60:61]
	;; [unrolled: 1-line block ×3, first 2 shown]
	v_mov_b32_e32 v17, v49
	v_mov_b32_e32 v18, v50
	;; [unrolled: 1-line block ×6, first 2 shown]
	scratch_store_dwordx4 off, v[0:3], off offset:528 ; 16-byte Folded Spill
	s_nop 0
	scratch_store_dwordx4 off, v[4:7], off offset:544 ; 16-byte Folded Spill
	scratch_store_dwordx4 off, v[8:11], off offset:560 ; 16-byte Folded Spill
	;; [unrolled: 1-line block ×7, first 2 shown]
	v_mov_b32_e32 v55, v204
	v_mov_b64_e32 v[16:17], v[48:49]
	v_mov_b32_e32 v25, v57
	v_mov_b64_e32 v[18:19], v[50:51]
	v_mov_b64_e32 v[20:21], v[52:53]
	;; [unrolled: 1-line block ×3, first 2 shown]
	v_mov_b32_e32 v26, v58
	v_mov_b32_e32 v27, v59
	;; [unrolled: 1-line block ×6, first 2 shown]
	scratch_store_dwordx4 off, v[0:3], off offset:392 ; 16-byte Folded Spill
	s_nop 0
	scratch_store_dwordx4 off, v[4:7], off offset:408 ; 16-byte Folded Spill
	scratch_store_dwordx4 off, v[8:11], off offset:424 ; 16-byte Folded Spill
	;; [unrolled: 1-line block ×7, first 2 shown]
	v_mov_b32_e32 v56, v205
	v_mov_b32_e32 v16, v48
	v_mov_b64_e32 v[26:27], v[58:59]
	v_mov_b32_e32 v17, v49
	v_mov_b32_e32 v18, v50
	;; [unrolled: 1-line block ×8, first 2 shown]
	v_mov_b64_e32 v[28:29], v[60:61]
	v_mov_b64_e32 v[30:31], v[62:63]
	scratch_store_dwordx4 off, v[0:3], off offset:264 ; 16-byte Folded Spill
	s_nop 0
	scratch_store_dwordx4 off, v[4:7], off offset:280 ; 16-byte Folded Spill
	scratch_store_dwordx4 off, v[8:11], off offset:296 ; 16-byte Folded Spill
	;; [unrolled: 1-line block ×7, first 2 shown]
	v_mov_b32_e32 v57, v210
	v_mov_b64_e32 v[16:17], v[48:49]
	v_mov_b32_e32 v27, v59
	v_mov_b64_e32 v[18:19], v[50:51]
	v_mov_b64_e32 v[20:21], v[52:53]
	;; [unrolled: 1-line block ×4, first 2 shown]
	v_mov_b32_e32 v28, v60
	v_mov_b32_e32 v29, v61
	;; [unrolled: 1-line block ×4, first 2 shown]
	scratch_store_dwordx4 off, v[0:3], off offset:128 ; 16-byte Folded Spill
	s_nop 0
	scratch_store_dwordx4 off, v[4:7], off offset:144 ; 16-byte Folded Spill
	scratch_store_dwordx4 off, v[8:11], off offset:160 ; 16-byte Folded Spill
	;; [unrolled: 1-line block ×7, first 2 shown]
	v_mov_b32_e32 v58, v211
	v_mov_b32_e32 v16, v48
	v_mov_b64_e32 v[28:29], v[60:61]
	v_mov_b32_e32 v17, v49
	v_mov_b32_e32 v18, v50
	;; [unrolled: 1-line block ×10, first 2 shown]
	v_mov_b64_e32 v[30:31], v[62:63]
	scratch_store_dwordx4 off, v[0:3], off  ; 16-byte Folded Spill
	s_nop 0
	scratch_store_dwordx4 off, v[4:7], off offset:16 ; 16-byte Folded Spill
	scratch_store_dwordx4 off, v[8:11], off offset:32 ; 16-byte Folded Spill
	;; [unrolled: 1-line block ×7, first 2 shown]
	v_mov_b32_e32 v59, v208
	v_mov_b32_e32 v60, v209
	v_mov_b64_e32 v[0:1], v[32:33]
	v_mov_b64_e32 v[142:143], v[46:47]
	;; [unrolled: 1-line block ×20, first 2 shown]
	v_mov_b32_e32 v159, v63
	v_mov_b64_e32 v[234:235], v[44:45]
	v_mov_b64_e32 v[232:233], v[42:43]
	;; [unrolled: 1-line block ×24, first 2 shown]
	v_mov_b32_e32 v29, v218
	v_mov_b64_e32 v[46:47], v[14:15]
	v_mov_b64_e32 v[58:59], v[26:27]
	;; [unrolled: 1-line block ×4, first 2 shown]
	v_mov_b32_e32 v158, v62
	v_mov_b32_e32 v157, v61
	v_mov_b64_e32 v[252:253], v[62:63]
	v_mov_b32_e32 v250, v209
	v_mov_b64_e32 v[44:45], v[12:13]
	v_mov_b64_e32 v[42:43], v[10:11]
	;; [unrolled: 1-line block ×13, first 2 shown]
	v_mov_b32_e32 v30, v219
	v_mov_b32_e32 v31, v255
	scratch_store_dwordx4 off, v[160:163], off offset:2852 ; 16-byte Folded Spill
	s_nop 0
	scratch_store_dwordx4 off, v[164:167], off offset:2868 ; 16-byte Folded Spill
	scratch_store_dwordx4 off, v[168:171], off offset:2884 ; 16-byte Folded Spill
	;; [unrolled: 1-line block ×7, first 2 shown]
.LBB62_82:
	s_or_b64 exec, exec, s[0:1]
	v_lshl_add_u32 v62, v221, 2, v214
	s_waitcnt vmcnt(63) expcnt(7) lgkmcnt(15)
	s_barrier
	ds_write_b32 v62, v200
	s_waitcnt lgkmcnt(0)
	s_barrier
	ds_read_b32 v74, v214 offset:20
	s_cmp_lt_i32 s22, 7
	v_mov_b32_e32 v62, 5
	s_cbranch_scc1 .LBB62_85
; %bb.83:
	scratch_load_dwordx4 v[160:163], off, off ; 16-byte Folded Reload
	scratch_load_dwordx4 v[164:167], off, off offset:16 ; 16-byte Folded Reload
	scratch_load_dwordx4 v[168:171], off, off offset:32 ; 16-byte Folded Reload
	;; [unrolled: 1-line block ×7, first 2 shown]
	v_add3_u32 v63, v215, 0, 24
	v_mov_b32_e32 v62, 5
	s_mov_b32 s0, 6
.LBB62_84:                              ; =>This Inner Loop Header: Depth=1
	ds_read_b32 v96, v63
	v_add_u32_e32 v63, 4, v63
	s_waitcnt lgkmcnt(0)
	v_cmp_lt_f32_e64 vcc, |v74|, |v96|
	s_nop 1
	v_cndmask_b32_e32 v74, v74, v96, vcc
	v_mov_b32_e32 v96, s0
	s_add_i32 s0, s0, 1
	v_cndmask_b32_e32 v62, v62, v96, vcc
	s_cmp_lg_u32 s22, s0
	s_cbranch_scc1 .LBB62_84
	s_branch .LBB62_86
.LBB62_85:
	scratch_load_dwordx4 v[160:163], off, off ; 16-byte Folded Reload
	scratch_load_dwordx4 v[164:167], off, off offset:16 ; 16-byte Folded Reload
	scratch_load_dwordx4 v[168:171], off, off offset:32 ; 16-byte Folded Reload
	;; [unrolled: 1-line block ×7, first 2 shown]
.LBB62_86:
	v_mov_b64_e32 v[106:107], v[108:109]
	s_waitcnt lgkmcnt(0)
	v_cmp_eq_f32_e32 vcc, 0, v74
	s_and_saveexec_b64 s[0:1], vcc
	s_xor_b64 s[0:1], exec, s[0:1]
; %bb.87:
	v_cmp_ne_u32_e32 vcc, 0, v220
	s_nop 1
	v_cndmask_b32_e32 v220, 6, v220, vcc
; %bb.88:
	s_andn2_saveexec_b64 s[0:1], s[0:1]
	s_cbranch_execz .LBB62_90
; %bb.89:
	v_div_scale_f32 v63, s[2:3], v74, v74, 1.0
	v_rcp_f32_e32 v96, v63
	v_div_scale_f32 v97, vcc, 1.0, v74, 1.0
	v_fma_f32 v98, -v63, v96, 1.0
	v_fmac_f32_e32 v96, v98, v96
	v_mul_f32_e32 v98, v97, v96
	v_fma_f32 v99, -v63, v98, v97
	v_fmac_f32_e32 v98, v99, v96
	v_fma_f32 v63, -v63, v98, v97
	v_div_fmas_f32 v63, v63, v96, v98
	v_div_fixup_f32 v74, v63, v74, 1.0
.LBB62_90:
	s_or_b64 exec, exec, s[0:1]
	v_cmp_ne_u32_e32 vcc, v221, v62
	s_and_saveexec_b64 s[0:1], vcc
	s_xor_b64 s[0:1], exec, s[0:1]
	s_cbranch_execz .LBB62_96
; %bb.91:
	v_cmp_eq_u32_e32 vcc, 5, v221
	s_and_saveexec_b64 s[2:3], vcc
	s_cbranch_execz .LBB62_95
; %bb.92:
	v_cmp_ne_u32_e32 vcc, 5, v62
	s_xor_b64 s[18:19], s[16:17], -1
	s_and_b64 s[20:21], s[18:19], vcc
	s_and_saveexec_b64 s[18:19], s[20:21]
	s_cbranch_execz .LBB62_94
; %bb.93:
	scratch_load_dwordx2 v[104:105], off, off offset:2076 ; 8-byte Folded Reload
	v_ashrrev_i32_e32 v63, 31, v62
	s_waitcnt vmcnt(0)
	v_lshl_add_u64 v[96:97], v[62:63], 2, v[104:105]
	global_load_dword v63, v[96:97], off
	global_load_dword v98, v[104:105], off offset:20
	s_waitcnt vmcnt(1)
	global_store_dword v[104:105], v63, off offset:20
	s_waitcnt vmcnt(1)
	global_store_dword v[96:97], v98, off
.LBB62_94:
	s_or_b64 exec, exec, s[18:19]
	v_mov_b32_e32 v63, v62
	v_mov_b32_e32 v221, v62
	scratch_store_dword off, v63, off offset:1304 ; 4-byte Folded Spill
.LBB62_95:
	s_or_b64 exec, exec, s[2:3]
.LBB62_96:
	s_andn2_saveexec_b64 s[0:1], s[0:1]
	s_cbranch_execz .LBB62_98
; %bb.97:
	v_mov_b32_e32 v221, 5
	ds_write2_b32 v214, v6, v7 offset0:6 offset1:7
	ds_write2_b32 v214, v8, v9 offset0:8 offset1:9
	;; [unrolled: 1-line block ×13, first 2 shown]
.LBB62_98:
	s_or_b64 exec, exec, s[0:1]
	v_cmp_lt_i32_e32 vcc, 5, v221
	s_waitcnt lgkmcnt(0)
	s_barrier
	s_and_saveexec_b64 s[0:1], vcc
	s_cbranch_execz .LBB62_100
; %bb.99:
	ds_read2_b32 v[0:1], v214 offset0:6 offset1:7
	ds_read2_b32 v[2:3], v214 offset0:8 offset1:9
	;; [unrolled: 1-line block ×3, first 2 shown]
	v_mul_f32_e32 v32, v200, v74
	ds_read2_b32 v[34:35], v214 offset0:12 offset1:13
	s_waitcnt lgkmcnt(3)
	v_pk_fma_f32 v[192:193], v[32:33], v[0:1], v[6:7] op_sel_hi:[0,1,1] neg_lo:[1,0,0] neg_hi:[1,0,0]
	s_waitcnt lgkmcnt(2)
	v_pk_fma_f32 v[194:195], v[32:33], v[2:3], v[8:9] op_sel_hi:[0,1,1] neg_lo:[1,0,0] neg_hi:[1,0,0]
	;; [unrolled: 2-line block ×3, first 2 shown]
	ds_read2_b32 v[0:1], v214 offset0:14 offset1:15
	ds_read2_b32 v[2:3], v214 offset0:16 offset1:17
	;; [unrolled: 1-line block ×4, first 2 shown]
	s_waitcnt lgkmcnt(4)
	v_pk_fma_f32 v[198:199], v[32:33], v[34:35], v[12:13] op_sel_hi:[0,1,1] neg_lo:[1,0,0] neg_hi:[1,0,0]
	s_waitcnt lgkmcnt(3)
	v_pk_fma_f32 v[204:205], v[32:33], v[0:1], v[14:15] op_sel_hi:[0,1,1] neg_lo:[1,0,0] neg_hi:[1,0,0]
	;; [unrolled: 2-line block ×5, first 2 shown]
	ds_read2_b32 v[0:1], v214 offset0:22 offset1:23
	ds_read2_b32 v[2:3], v214 offset0:24 offset1:25
	;; [unrolled: 1-line block ×5, first 2 shown]
	scratch_load_dwordx4 v[96:99], off, off offset:2852 ; 16-byte Folded Reload
	scratch_load_dwordx4 v[100:103], off, off offset:2868 ; 16-byte Folded Reload
	scratch_load_dwordx4 v[104:107], off, off offset:2884 ; 16-byte Folded Reload
	scratch_load_dwordx4 v[108:111], off, off offset:2900 ; 16-byte Folded Reload
	scratch_load_dwordx4 v[112:115], off, off offset:2916 ; 16-byte Folded Reload
	scratch_load_dwordx4 v[116:119], off, off offset:2932 ; 16-byte Folded Reload
	scratch_load_dwordx4 v[120:123], off, off offset:2948 ; 16-byte Folded Reload
	scratch_load_dwordx4 v[124:127], off, off offset:2964 ; 16-byte Folded Reload
	s_waitcnt vmcnt(6)
	v_mov_b32_e32 v101, v32
	s_waitcnt lgkmcnt(4)
	v_pk_fma_f32 v[212:213], v[32:33], v[0:1], v[22:23] op_sel_hi:[0,1,1] neg_lo:[1,0,0] neg_hi:[1,0,0]
	s_waitcnt lgkmcnt(3)
	v_pk_fma_f32 v[216:217], v[32:33], v[2:3], v[24:25] op_sel_hi:[0,1,1] neg_lo:[1,0,0] neg_hi:[1,0,0]
	;; [unrolled: 2-line block ×5, first 2 shown]
	v_mov_b32_e32 v201, v192
	s_waitcnt vmcnt(0)
	v_mov_b64_e32 v[158:159], v[126:127]
	v_mov_b64_e32 v[152:153], v[120:121]
	;; [unrolled: 1-line block ×16, first 2 shown]
	v_mov_b32_e32 v134, v192
	v_mov_b64_e32 v[8:9], v[136:137]
	v_mov_b64_e32 v[24:25], v[152:153]
	v_mov_b32_e32 v0, v128
	v_mov_b64_e32 v[10:11], v[138:139]
	v_mov_b64_e32 v[12:13], v[140:141]
	;; [unrolled: 1-line block ×10, first 2 shown]
	v_mov_b32_e32 v1, v129
	v_mov_b32_e32 v2, v130
	;; [unrolled: 1-line block ×6, first 2 shown]
	scratch_store_dwordx4 off, v[0:3], off offset:2596 ; 16-byte Folded Spill
	s_nop 0
	scratch_store_dwordx4 off, v[4:7], off offset:2612 ; 16-byte Folded Spill
	scratch_store_dwordx4 off, v[8:11], off offset:2628 ; 16-byte Folded Spill
	;; [unrolled: 1-line block ×7, first 2 shown]
	v_mov_b32_e32 v135, v193
	v_mov_b32_e32 v9, v137
	v_mov_b64_e32 v[0:1], v[128:129]
	v_mov_b32_e32 v25, v153
	v_mov_b32_e32 v10, v138
	v_mov_b32_e32 v11, v139
	v_mov_b32_e32 v12, v140
	v_mov_b32_e32 v13, v141
	v_mov_b32_e32 v14, v142
	v_mov_b32_e32 v15, v143
	v_mov_b32_e32 v16, v144
	v_mov_b32_e32 v17, v145
	v_mov_b32_e32 v18, v146
	v_mov_b32_e32 v19, v147
	v_mov_b32_e32 v20, v148
	v_mov_b32_e32 v21, v149
	v_mov_b32_e32 v22, v150
	v_mov_b32_e32 v23, v151
	v_mov_b32_e32 v24, v152
	v_mov_b64_e32 v[2:3], v[130:131]
	v_mov_b64_e32 v[4:5], v[132:133]
	v_mov_b64_e32 v[6:7], v[134:135]
	v_mov_b32_e32 v26, v154
	v_mov_b32_e32 v27, v155
	;; [unrolled: 1-line block ×8, first 2 shown]
	v_mov_b64_e32 v[60:61], v[156:157]
	v_mov_b64_e32 v[62:63], v[158:159]
	scratch_store_dwordx4 off, v[0:3], off offset:2468 ; 16-byte Folded Spill
	s_nop 0
	scratch_store_dwordx4 off, v[4:7], off offset:2484 ; 16-byte Folded Spill
	scratch_store_dwordx4 off, v[8:11], off offset:2500 ; 16-byte Folded Spill
	scratch_store_dwordx4 off, v[12:15], off offset:2516 ; 16-byte Folded Spill
	scratch_store_dwordx4 off, v[16:19], off offset:2532 ; 16-byte Folded Spill
	scratch_store_dwordx4 off, v[20:23], off offset:2548 ; 16-byte Folded Spill
	scratch_store_dwordx4 off, v[24:27], off offset:2564 ; 16-byte Folded Spill
	scratch_store_dwordx4 off, v[28:31], off offset:2580 ; 16-byte Folded Spill
	v_mov_b64_e32 v[10:11], v[138:139]
	v_mov_b32_e32 v0, v128
	v_mov_b64_e32 v[26:27], v[154:155]
	v_mov_b64_e32 v[12:13], v[140:141]
	;; [unrolled: 1-line block ×8, first 2 shown]
	v_mov_b32_e32 v1, v129
	v_mov_b32_e32 v2, v130
	;; [unrolled: 1-line block ×8, first 2 shown]
	v_mov_b64_e32 v[28:29], v[156:157]
	v_mov_b64_e32 v[30:31], v[158:159]
	v_mov_b32_e32 v138, v196
	scratch_store_dwordx4 off, v[0:3], off offset:2340 ; 16-byte Folded Spill
	s_nop 0
	scratch_store_dwordx4 off, v[4:7], off offset:2356 ; 16-byte Folded Spill
	scratch_store_dwordx4 off, v[8:11], off offset:2372 ; 16-byte Folded Spill
	;; [unrolled: 1-line block ×7, first 2 shown]
	v_mov_b32_e32 v11, v139
	v_mov_b64_e32 v[0:1], v[128:129]
	v_mov_b32_e32 v27, v155
	v_mov_b32_e32 v12, v140
	;; [unrolled: 1-line block ×16, first 2 shown]
	v_mov_b64_e32 v[2:3], v[130:131]
	v_mov_b64_e32 v[4:5], v[132:133]
	v_mov_b64_e32 v[6:7], v[134:135]
	v_mov_b64_e32 v[8:9], v[136:137]
	v_mov_b32_e32 v28, v156
	v_mov_b32_e32 v29, v157
	;; [unrolled: 1-line block ×5, first 2 shown]
	scratch_store_dwordx4 off, v[0:3], off offset:2212 ; 16-byte Folded Spill
	s_nop 0
	scratch_store_dwordx4 off, v[4:7], off offset:2228 ; 16-byte Folded Spill
	scratch_store_dwordx4 off, v[8:11], off offset:2244 ; 16-byte Folded Spill
	;; [unrolled: 1-line block ×7, first 2 shown]
	v_mov_b64_e32 v[12:13], v[140:141]
	v_mov_b32_e32 v0, v128
	v_mov_b64_e32 v[28:29], v[156:157]
	v_mov_b64_e32 v[14:15], v[142:143]
	;; [unrolled: 1-line block ×8, first 2 shown]
	v_mov_b32_e32 v1, v129
	v_mov_b32_e32 v2, v130
	;; [unrolled: 1-line block ×10, first 2 shown]
	v_mov_b64_e32 v[30:31], v[158:159]
	v_mov_b32_e32 v140, v198
	scratch_store_dwordx4 off, v[0:3], off offset:2084 ; 16-byte Folded Spill
	s_nop 0
	scratch_store_dwordx4 off, v[4:7], off offset:2100 ; 16-byte Folded Spill
	scratch_store_dwordx4 off, v[8:11], off offset:2116 ; 16-byte Folded Spill
	;; [unrolled: 1-line block ×7, first 2 shown]
	v_mov_b32_e32 v13, v141
	v_mov_b64_e32 v[0:1], v[128:129]
	v_mov_b32_e32 v29, v157
	v_mov_b32_e32 v14, v142
	;; [unrolled: 1-line block ×16, first 2 shown]
	v_mov_b64_e32 v[2:3], v[130:131]
	v_mov_b64_e32 v[4:5], v[132:133]
	;; [unrolled: 1-line block ×5, first 2 shown]
	v_mov_b32_e32 v30, v158
	v_mov_b32_e32 v31, v159
	;; [unrolled: 1-line block ×3, first 2 shown]
	scratch_store_dwordx4 off, v[0:3], off offset:1948 ; 16-byte Folded Spill
	s_nop 0
	scratch_store_dwordx4 off, v[4:7], off offset:1964 ; 16-byte Folded Spill
	scratch_store_dwordx4 off, v[8:11], off offset:1980 ; 16-byte Folded Spill
	;; [unrolled: 1-line block ×7, first 2 shown]
	v_mov_b64_e32 v[14:15], v[142:143]
	v_mov_b64_e32 v[16:17], v[144:145]
	;; [unrolled: 1-line block ×9, first 2 shown]
	v_mov_b32_e32 v12, v198
	v_mov_b32_e32 v142, v204
	scratch_store_dwordx4 off, v[0:3], off offset:1820 ; 16-byte Folded Spill
	s_nop 0
	scratch_store_dwordx4 off, v[4:7], off offset:1836 ; 16-byte Folded Spill
	scratch_store_dwordx4 off, v[8:11], off offset:1852 ; 16-byte Folded Spill
	;; [unrolled: 1-line block ×7, first 2 shown]
	v_mov_b32_e32 v15, v143
	v_mov_b32_e32 v16, v144
	;; [unrolled: 1-line block ×16, first 2 shown]
	v_mov_b64_e32 v[12:13], v[140:141]
	v_mov_b32_e32 v31, v159
	v_mov_b32_e32 v143, v205
	v_mov_b64_e32 v[32:33], v[128:129]
	v_mov_b64_e32 v[34:35], v[130:131]
	;; [unrolled: 1-line block ×8, first 2 shown]
	scratch_store_dwordx4 off, v[0:3], off offset:1692 ; 16-byte Folded Spill
	s_nop 0
	scratch_store_dwordx4 off, v[4:7], off offset:1708 ; 16-byte Folded Spill
	scratch_store_dwordx4 off, v[8:11], off offset:1724 ; 16-byte Folded Spill
	;; [unrolled: 1-line block ×7, first 2 shown]
	v_mov_b64_e32 v[16:17], v[144:145]
	v_mov_b32_e32 v12, v140
	v_mov_b64_e32 v[18:19], v[146:147]
	v_mov_b64_e32 v[20:21], v[148:149]
	;; [unrolled: 1-line block ×7, first 2 shown]
	v_mov_b32_e32 v13, v141
	v_mov_b32_e32 v14, v142
	;; [unrolled: 1-line block ×3, first 2 shown]
	scratch_store_dwordx4 off, v[0:3], off offset:1564 ; 16-byte Folded Spill
	s_nop 0
	scratch_store_dwordx4 off, v[4:7], off offset:1580 ; 16-byte Folded Spill
	scratch_store_dwordx4 off, v[8:11], off offset:1596 ; 16-byte Folded Spill
	;; [unrolled: 1-line block ×7, first 2 shown]
	v_mov_b64_e32 v[0:1], v[128:129]
	v_mov_b32_e32 v17, v145
	v_mov_b32_e32 v29, v157
	v_mov_b64_e32 v[2:3], v[130:131]
	v_mov_b64_e32 v[4:5], v[132:133]
	;; [unrolled: 1-line block ×7, first 2 shown]
	v_mov_b32_e32 v18, v146
	v_mov_b32_e32 v19, v147
	v_mov_b32_e32 v20, v148
	v_mov_b32_e32 v21, v149
	v_mov_b32_e32 v22, v150
	v_mov_b32_e32 v23, v151
	v_mov_b32_e32 v24, v152
	v_mov_b32_e32 v25, v153
	v_mov_b32_e32 v26, v154
	v_mov_b32_e32 v27, v155
	v_mov_b32_e32 v28, v156
	v_mov_b32_e32 v30, v158
	v_mov_b32_e32 v31, v159
	v_mov_b32_e32 v145, v207
	scratch_store_dwordx4 off, v[0:3], off offset:1436 ; 16-byte Folded Spill
	s_nop 0
	scratch_store_dwordx4 off, v[4:7], off offset:1452 ; 16-byte Folded Spill
	scratch_store_dwordx4 off, v[8:11], off offset:1468 ; 16-byte Folded Spill
	scratch_store_dwordx4 off, v[12:15], off offset:1484 ; 16-byte Folded Spill
	scratch_store_dwordx4 off, v[16:19], off offset:1500 ; 16-byte Folded Spill
	scratch_store_dwordx4 off, v[20:23], off offset:1516 ; 16-byte Folded Spill
	scratch_store_dwordx4 off, v[24:27], off offset:1532 ; 16-byte Folded Spill
	scratch_store_dwordx4 off, v[28:31], off offset:1548 ; 16-byte Folded Spill
	v_mov_b64_e32 v[18:19], v[146:147]
	v_mov_b64_e32 v[20:21], v[148:149]
	;; [unrolled: 1-line block ×7, first 2 shown]
	v_mov_b32_e32 v16, v206
	v_mov_b32_e32 v146, v208
	scratch_store_dwordx4 off, v[0:3], off offset:1308 ; 16-byte Folded Spill
	s_nop 0
	scratch_store_dwordx4 off, v[4:7], off offset:1324 ; 16-byte Folded Spill
	scratch_store_dwordx4 off, v[8:11], off offset:1340 ; 16-byte Folded Spill
	;; [unrolled: 1-line block ×7, first 2 shown]
	v_mov_b32_e32 v19, v147
	v_mov_b32_e32 v20, v148
	;; [unrolled: 1-line block ×12, first 2 shown]
	v_mov_b64_e32 v[16:17], v[144:145]
	v_mov_b32_e32 v31, v159
	v_mov_b32_e32 v147, v209
	scratch_store_dwordx4 off, v[0:3], off offset:1168 ; 16-byte Folded Spill
	s_nop 0
	scratch_store_dwordx4 off, v[4:7], off offset:1184 ; 16-byte Folded Spill
	scratch_store_dwordx4 off, v[8:11], off offset:1200 ; 16-byte Folded Spill
	;; [unrolled: 1-line block ×7, first 2 shown]
	v_mov_b64_e32 v[20:21], v[148:149]
	v_mov_b32_e32 v16, v144
	v_mov_b64_e32 v[22:23], v[150:151]
	v_mov_b64_e32 v[24:25], v[152:153]
	;; [unrolled: 1-line block ×5, first 2 shown]
	v_mov_b32_e32 v17, v145
	v_mov_b32_e32 v18, v146
	;; [unrolled: 1-line block ×3, first 2 shown]
	scratch_store_dwordx4 off, v[0:3], off offset:1040 ; 16-byte Folded Spill
	s_nop 0
	scratch_store_dwordx4 off, v[4:7], off offset:1056 ; 16-byte Folded Spill
	scratch_store_dwordx4 off, v[8:11], off offset:1072 ; 16-byte Folded Spill
	;; [unrolled: 1-line block ×7, first 2 shown]
	v_mov_b32_e32 v21, v149
	v_mov_b64_e32 v[16:17], v[144:145]
	v_mov_b32_e32 v22, v150
	v_mov_b32_e32 v23, v151
	;; [unrolled: 1-line block ×10, first 2 shown]
	v_mov_b64_e32 v[18:19], v[146:147]
	v_mov_b32_e32 v149, v211
	scratch_store_dwordx4 off, v[0:3], off offset:912 ; 16-byte Folded Spill
	s_nop 0
	scratch_store_dwordx4 off, v[4:7], off offset:928 ; 16-byte Folded Spill
	scratch_store_dwordx4 off, v[8:11], off offset:944 ; 16-byte Folded Spill
	;; [unrolled: 1-line block ×7, first 2 shown]
	v_mov_b64_e32 v[22:23], v[150:151]
	v_mov_b32_e32 v16, v144
	v_mov_b64_e32 v[24:25], v[152:153]
	v_mov_b64_e32 v[26:27], v[154:155]
	;; [unrolled: 1-line block ×4, first 2 shown]
	v_mov_b32_e32 v17, v145
	v_mov_b32_e32 v18, v146
	;; [unrolled: 1-line block ×5, first 2 shown]
	scratch_store_dwordx4 off, v[0:3], off offset:784 ; 16-byte Folded Spill
	s_nop 0
	scratch_store_dwordx4 off, v[4:7], off offset:800 ; 16-byte Folded Spill
	scratch_store_dwordx4 off, v[8:11], off offset:816 ; 16-byte Folded Spill
	;; [unrolled: 1-line block ×7, first 2 shown]
	v_mov_b32_e32 v23, v151
	v_mov_b64_e32 v[16:17], v[144:145]
	v_mov_b32_e32 v24, v152
	v_mov_b32_e32 v25, v153
	;; [unrolled: 1-line block ×8, first 2 shown]
	v_mov_b64_e32 v[18:19], v[146:147]
	v_mov_b64_e32 v[20:21], v[148:149]
	v_mov_b32_e32 v151, v213
	scratch_store_dwordx4 off, v[0:3], off offset:656 ; 16-byte Folded Spill
	s_nop 0
	scratch_store_dwordx4 off, v[4:7], off offset:672 ; 16-byte Folded Spill
	scratch_store_dwordx4 off, v[8:11], off offset:688 ; 16-byte Folded Spill
	;; [unrolled: 1-line block ×7, first 2 shown]
	s_nop 0
	v_mov_b64_e32 v[24:25], v[152:153]
	v_mov_b32_e32 v16, v144
	v_mov_b64_e32 v[26:27], v[154:155]
	v_mov_b64_e32 v[28:29], v[156:157]
	;; [unrolled: 1-line block ×3, first 2 shown]
	v_mov_b32_e32 v17, v145
	v_mov_b32_e32 v18, v146
	;; [unrolled: 1-line block ×7, first 2 shown]
	scratch_store_dwordx4 off, v[0:3], off offset:528 ; 16-byte Folded Spill
	s_nop 0
	scratch_store_dwordx4 off, v[4:7], off offset:544 ; 16-byte Folded Spill
	scratch_store_dwordx4 off, v[8:11], off offset:560 ; 16-byte Folded Spill
	;; [unrolled: 1-line block ×7, first 2 shown]
	v_mov_b64_e32 v[16:17], v[144:145]
	v_mov_b32_e32 v25, v153
	v_mov_b64_e32 v[18:19], v[146:147]
	v_mov_b64_e32 v[20:21], v[148:149]
	;; [unrolled: 1-line block ×3, first 2 shown]
	v_mov_b32_e32 v26, v154
	v_mov_b32_e32 v27, v155
	;; [unrolled: 1-line block ×7, first 2 shown]
	scratch_store_dwordx4 off, v[0:3], off offset:392 ; 16-byte Folded Spill
	s_nop 0
	scratch_store_dwordx4 off, v[4:7], off offset:408 ; 16-byte Folded Spill
	scratch_store_dwordx4 off, v[8:11], off offset:424 ; 16-byte Folded Spill
	;; [unrolled: 1-line block ×7, first 2 shown]
	v_mov_b32_e32 v16, v144
	v_mov_b64_e32 v[26:27], v[154:155]
	v_mov_b32_e32 v17, v145
	v_mov_b32_e32 v18, v146
	v_mov_b32_e32 v19, v147
	v_mov_b32_e32 v20, v148
	v_mov_b32_e32 v21, v149
	v_mov_b32_e32 v22, v150
	v_mov_b32_e32 v23, v151
	v_mov_b32_e32 v24, v152
	v_mov_b64_e32 v[28:29], v[156:157]
	v_mov_b64_e32 v[30:31], v[158:159]
	v_mov_b32_e32 v154, v218
	v_mov_b32_e32 v48, v144
	;; [unrolled: 1-line block ×12, first 2 shown]
	scratch_store_dwordx4 off, v[0:3], off offset:264 ; 16-byte Folded Spill
	s_nop 0
	scratch_store_dwordx4 off, v[4:7], off offset:280 ; 16-byte Folded Spill
	scratch_store_dwordx4 off, v[8:11], off offset:296 ; 16-byte Folded Spill
	;; [unrolled: 1-line block ×7, first 2 shown]
	v_mov_b64_e32 v[16:17], v[144:145]
	v_mov_b32_e32 v27, v155
	v_mov_b64_e32 v[18:19], v[146:147]
	v_mov_b64_e32 v[20:21], v[148:149]
	;; [unrolled: 1-line block ×4, first 2 shown]
	v_mov_b32_e32 v28, v156
	v_mov_b32_e32 v29, v157
	;; [unrolled: 1-line block ×5, first 2 shown]
	v_mov_b64_e32 v[252:253], v[158:159]
	v_mov_b64_e32 v[250:251], v[156:157]
	;; [unrolled: 1-line block ×16, first 2 shown]
	v_mov_b32_e32 v250, v202
	scratch_store_dwordx4 off, v[0:3], off offset:128 ; 16-byte Folded Spill
	s_nop 0
	scratch_store_dwordx4 off, v[4:7], off offset:144 ; 16-byte Folded Spill
	scratch_store_dwordx4 off, v[8:11], off offset:160 ; 16-byte Folded Spill
	;; [unrolled: 1-line block ×7, first 2 shown]
	scratch_store_dwordx4 off, v[32:35], off ; 16-byte Folded Spill
	s_nop 0
	scratch_store_dwordx4 off, v[36:39], off offset:16 ; 16-byte Folded Spill
	scratch_store_dwordx4 off, v[40:43], off offset:32 ; 16-byte Folded Spill
	;; [unrolled: 1-line block ×7, first 2 shown]
	v_mov_b64_e32 v[0:1], v[222:223]
	v_mov_b64_e32 v[14:15], v[236:237]
	;; [unrolled: 1-line block ×4, first 2 shown]
	v_mov_b32_e32 v62, v193
	v_mov_b32_e32 v63, v194
	v_mov_b64_e32 v[2:3], v[224:225]
	v_mov_b64_e32 v[4:5], v[226:227]
	;; [unrolled: 1-line block ×12, first 2 shown]
	v_mov_b32_e32 v29, v203
	v_mov_b64_e32 v[46:47], v[14:15]
	v_mov_b64_e32 v[58:59], v[26:27]
	scratch_store_dwordx4 off, v[96:99], off offset:2724 ; 16-byte Folded Spill
	s_nop 0
	scratch_store_dwordx4 off, v[100:103], off offset:2740 ; 16-byte Folded Spill
	scratch_store_dwordx4 off, v[104:107], off offset:2756 ; 16-byte Folded Spill
	;; [unrolled: 1-line block ×7, first 2 shown]
	scratch_store_dwordx2 off, v[62:63], off offset:1296 ; 8-byte Folded Spill
	v_mov_b32_e32 v62, v199
	v_mov_b32_e32 v63, v204
	v_mov_b64_e32 v[44:45], v[12:13]
	v_mov_b64_e32 v[42:43], v[10:11]
	;; [unrolled: 1-line block ×13, first 2 shown]
	v_mov_b32_e32 v30, v254
	v_mov_b32_e32 v31, v255
	;; [unrolled: 1-line block ×6, first 2 shown]
	scratch_store_dwordx2 off, v[62:63], off offset:520 ; 8-byte Folded Spill
	v_mov_b32_e32 v62, v205
	v_mov_b32_e32 v63, v206
	;; [unrolled: 1-line block ×16, first 2 shown]
	scratch_store_dwordx2 off, v[62:63], off offset:256 ; 8-byte Folded Spill
.LBB62_100:
	s_or_b64 exec, exec, s[0:1]
	v_lshl_add_u32 v62, v221, 2, v214
	s_waitcnt vmcnt(63) expcnt(7) lgkmcnt(15)
	s_barrier
	ds_write_b32 v62, v201
	s_waitcnt lgkmcnt(0)
	s_barrier
	ds_read_b32 v74, v214 offset:24
	s_cmp_lt_i32 s22, 8
	v_mov_b32_e32 v62, 6
	s_cbranch_scc1 .LBB62_189
; %bb.101:
	v_add3_u32 v63, v215, 0, 28
	v_mov_b32_e32 v62, 6
	s_mov_b32 s0, 7
	v_mov_b64_e32 v[192:193], v[100:101]
.LBB62_102:                             ; =>This Inner Loop Header: Depth=1
	ds_read_b32 v96, v63
	v_add_u32_e32 v63, 4, v63
	s_waitcnt lgkmcnt(0)
	v_cmp_lt_f32_e64 vcc, |v74|, |v96|
	s_nop 1
	v_cndmask_b32_e32 v74, v74, v96, vcc
	v_mov_b32_e32 v96, s0
	s_add_i32 s0, s0, 1
	v_cndmask_b32_e32 v62, v62, v96, vcc
	s_cmp_lg_u32 s22, s0
	s_cbranch_scc1 .LBB62_102
; %bb.103:
	v_cmp_eq_f32_e32 vcc, 0, v74
	s_and_saveexec_b64 s[0:1], vcc
	s_xor_b64 s[0:1], exec, s[0:1]
.LBB62_104:
	v_cmp_ne_u32_e32 vcc, 0, v220
	s_nop 1
	v_cndmask_b32_e32 v220, 7, v220, vcc
.LBB62_105:
	s_andn2_saveexec_b64 s[0:1], s[0:1]
	s_cbranch_execz .LBB62_107
; %bb.106:
	v_div_scale_f32 v63, s[2:3], v74, v74, 1.0
	v_rcp_f32_e32 v96, v63
	v_div_scale_f32 v97, vcc, 1.0, v74, 1.0
	v_fma_f32 v98, -v63, v96, 1.0
	v_fmac_f32_e32 v96, v98, v96
	v_mul_f32_e32 v98, v97, v96
	v_fma_f32 v99, -v63, v98, v97
	v_fmac_f32_e32 v98, v99, v96
	v_fma_f32 v63, -v63, v98, v97
	v_div_fmas_f32 v63, v63, v96, v98
	v_div_fixup_f32 v74, v63, v74, 1.0
.LBB62_107:
	s_or_b64 exec, exec, s[0:1]
	v_cmp_ne_u32_e32 vcc, v221, v62
	s_and_saveexec_b64 s[0:1], vcc
	s_xor_b64 s[0:1], exec, s[0:1]
	s_cbranch_execz .LBB62_113
; %bb.108:
	v_cmp_eq_u32_e32 vcc, 6, v221
	s_and_saveexec_b64 s[2:3], vcc
	s_cbranch_execz .LBB62_112
; %bb.109:
	v_cmp_ne_u32_e32 vcc, 6, v62
	s_xor_b64 s[18:19], s[16:17], -1
	s_and_b64 s[20:21], s[18:19], vcc
	s_and_saveexec_b64 s[18:19], s[20:21]
	s_cbranch_execz .LBB62_111
; %bb.110:
	scratch_load_dwordx2 v[100:101], off, off offset:2076 ; 8-byte Folded Reload
	v_ashrrev_i32_e32 v63, 31, v62
	s_waitcnt vmcnt(0)
	v_lshl_add_u64 v[96:97], v[62:63], 2, v[100:101]
	global_load_dword v63, v[96:97], off
	global_load_dword v98, v[100:101], off offset:24
	s_waitcnt vmcnt(1)
	global_store_dword v[100:101], v63, off offset:24
	s_waitcnt vmcnt(1)
	global_store_dword v[96:97], v98, off
.LBB62_111:
	s_or_b64 exec, exec, s[18:19]
	v_mov_b32_e32 v63, v62
	v_mov_b32_e32 v221, v62
	scratch_store_dword off, v63, off offset:1304 ; 4-byte Folded Spill
.LBB62_112:
	s_or_b64 exec, exec, s[2:3]
.LBB62_113:
	s_or_saveexec_b64 s[0:1], s[0:1]
	v_mov_b64_e32 v[70:71], v[122:123]
	v_mov_b64_e32 v[64:65], v[106:107]
	;; [unrolled: 1-line block ×3, first 2 shown]
	s_xor_b64 exec, exec, s[0:1]
	s_cbranch_execz .LBB62_115
; %bb.114:
	v_mov_b32_e32 v221, 6
	ds_write2_b32 v214, v7, v8 offset0:7 offset1:8
	ds_write2_b32 v214, v9, v10 offset0:9 offset1:10
	;; [unrolled: 1-line block ×12, first 2 shown]
	ds_write_b32 v214, v255 offset:124
.LBB62_115:
	s_or_b64 exec, exec, s[0:1]
	v_cmp_lt_i32_e32 vcc, 6, v221
	s_waitcnt lgkmcnt(0)
	s_barrier
	s_and_saveexec_b64 s[0:1], vcc
	s_cbranch_execz .LBB62_117
; %bb.116:
	scratch_load_dwordx4 v[96:99], off, off offset:2724 ; 16-byte Folded Reload
	scratch_load_dwordx4 v[100:103], off, off offset:2740 ; 16-byte Folded Reload
	;; [unrolled: 1-line block ×8, first 2 shown]
	ds_read2_b32 v[0:1], v214 offset0:7 offset1:8
	v_mov_b32_e32 v2, v7
	ds_read2_b32 v[4:5], v214 offset0:9 offset1:10
	ds_read2_b32 v[6:7], v214 offset0:11 offset1:12
	;; [unrolled: 1-line block ×3, first 2 shown]
	s_waitcnt vmcnt(6)
	v_mul_f32_e32 v102, v201, v74
	v_mov_b32_e32 v3, v8
	s_waitcnt lgkmcnt(3)
	v_pk_fma_f32 v[40:41], v[102:103], v[0:1], v[2:3] op_sel_hi:[0,1,1] neg_lo:[1,0,0] neg_hi:[1,0,0]
	v_mov_b32_e32 v0, v9
	v_mov_b32_e32 v1, v10
	s_waitcnt lgkmcnt(2)
	v_pk_fma_f32 v[42:43], v[102:103], v[4:5], v[0:1] op_sel_hi:[0,1,1] neg_lo:[1,0,0] neg_hi:[1,0,0]
	v_mov_b32_e32 v0, v11
	;; [unrolled: 4-line block ×3, first 2 shown]
	v_mov_b32_e32 v1, v14
	s_waitcnt lgkmcnt(0)
	v_pk_fma_f32 v[32:33], v[102:103], v[32:33], v[0:1] op_sel_hi:[0,1,1] neg_lo:[1,0,0] neg_hi:[1,0,0]
	ds_read2_b32 v[0:1], v214 offset0:15 offset1:16
	ds_read2_b32 v[4:5], v214 offset0:17 offset1:18
	;; [unrolled: 1-line block ×4, first 2 shown]
	v_mov_b32_e32 v2, v15
	v_mov_b32_e32 v3, v16
	s_waitcnt vmcnt(0)
	v_mov_b64_e32 v[158:159], v[126:127]
	s_waitcnt lgkmcnt(3)
	v_pk_fma_f32 v[38:39], v[102:103], v[0:1], v[2:3] op_sel_hi:[0,1,1] neg_lo:[1,0,0] neg_hi:[1,0,0]
	v_mov_b32_e32 v0, v17
	v_mov_b32_e32 v1, v18
	s_waitcnt lgkmcnt(2)
	v_pk_fma_f32 v[36:37], v[102:103], v[4:5], v[0:1] op_sel_hi:[0,1,1] neg_lo:[1,0,0] neg_hi:[1,0,0]
	v_mov_b32_e32 v0, v19
	v_mov_b32_e32 v1, v20
	;; [unrolled: 4-line block ×3, first 2 shown]
	s_waitcnt lgkmcnt(0)
	v_pk_fma_f32 v[206:207], v[102:103], v[8:9], v[0:1] op_sel_hi:[0,1,1] neg_lo:[1,0,0] neg_hi:[1,0,0]
	ds_read2_b32 v[0:1], v214 offset0:23 offset1:24
	v_mov_b32_e32 v2, v23
	v_mov_b32_e32 v3, v24
	ds_read2_b32 v[4:5], v214 offset0:25 offset1:26
	ds_read2_b32 v[6:7], v214 offset0:27 offset1:28
	;; [unrolled: 1-line block ×3, first 2 shown]
	v_mov_b64_e32 v[152:153], v[120:121]
	s_waitcnt lgkmcnt(3)
	v_pk_fma_f32 v[204:205], v[102:103], v[0:1], v[2:3] op_sel_hi:[0,1,1] neg_lo:[1,0,0] neg_hi:[1,0,0]
	ds_read_b32 v2, v214 offset:124
	v_mov_b32_e32 v0, v25
	v_mov_b32_e32 v1, v26
	s_waitcnt lgkmcnt(3)
	v_pk_fma_f32 v[210:211], v[102:103], v[4:5], v[0:1] op_sel_hi:[0,1,1] neg_lo:[1,0,0] neg_hi:[1,0,0]
	v_mov_b32_e32 v0, v27
	v_mov_b32_e32 v1, v28
	s_waitcnt lgkmcnt(2)
	v_pk_fma_f32 v[208:209], v[102:103], v[6:7], v[0:1] op_sel_hi:[0,1,1] neg_lo:[1,0,0] neg_hi:[1,0,0]
	v_mov_b32_e32 v0, v29
	v_mov_b32_e32 v1, v30
	v_mov_b64_e32 v[136:137], v[104:105]
	v_mov_b64_e32 v[134:135], v[102:103]
	;; [unrolled: 1-line block ×3, first 2 shown]
	s_waitcnt lgkmcnt(1)
	v_pk_fma_f32 v[218:219], v[102:103], v[8:9], v[0:1] op_sel_hi:[0,1,1] neg_lo:[1,0,0] neg_hi:[1,0,0]
	s_waitcnt lgkmcnt(0)
	v_fma_f32 v255, -v102, v2, v255
	v_mov_b64_e32 v[156:157], v[124:125]
	v_mov_b64_e32 v[154:155], v[122:123]
	;; [unrolled: 1-line block ×11, first 2 shown]
	v_mov_b32_e32 v135, v40
	v_mov_b32_e32 v9, v137
	v_mov_b64_e32 v[0:1], v[128:129]
	v_mov_b32_e32 v25, v153
	v_mov_b32_e32 v10, v138
	;; [unrolled: 1-line block ×16, first 2 shown]
	v_mov_b64_e32 v[2:3], v[130:131]
	v_mov_b64_e32 v[4:5], v[132:133]
	;; [unrolled: 1-line block ×3, first 2 shown]
	v_mov_b32_e32 v26, v154
	v_mov_b32_e32 v27, v155
	;; [unrolled: 1-line block ×6, first 2 shown]
	scratch_store_dwordx4 off, v[0:3], off offset:2468 ; 16-byte Folded Spill
	s_nop 0
	scratch_store_dwordx4 off, v[4:7], off offset:2484 ; 16-byte Folded Spill
	scratch_store_dwordx4 off, v[8:11], off offset:2500 ; 16-byte Folded Spill
	;; [unrolled: 1-line block ×7, first 2 shown]
	scratch_store_dwordx2 off, v[40:41], off offset:1296 ; 8-byte Folded Spill
	v_mov_b32_e32 v136, v41
	v_mov_b64_e32 v[10:11], v[138:139]
	v_mov_b32_e32 v0, v128
	v_mov_b64_e32 v[26:27], v[154:155]
	v_mov_b64_e32 v[12:13], v[140:141]
	;; [unrolled: 1-line block ×8, first 2 shown]
	v_mov_b32_e32 v1, v129
	v_mov_b32_e32 v2, v130
	;; [unrolled: 1-line block ×8, first 2 shown]
	v_mov_b64_e32 v[28:29], v[156:157]
	v_mov_b64_e32 v[30:31], v[158:159]
	scratch_store_dwordx4 off, v[0:3], off offset:2340 ; 16-byte Folded Spill
	s_nop 0
	scratch_store_dwordx4 off, v[4:7], off offset:2356 ; 16-byte Folded Spill
	scratch_store_dwordx4 off, v[8:11], off offset:2372 ; 16-byte Folded Spill
	;; [unrolled: 1-line block ×7, first 2 shown]
	v_mov_b32_e32 v137, v42
	v_mov_b32_e32 v11, v139
	v_mov_b64_e32 v[0:1], v[128:129]
	v_mov_b32_e32 v27, v155
	v_mov_b32_e32 v12, v140
	;; [unrolled: 1-line block ×16, first 2 shown]
	v_mov_b64_e32 v[2:3], v[130:131]
	v_mov_b64_e32 v[4:5], v[132:133]
	;; [unrolled: 1-line block ×4, first 2 shown]
	v_mov_b32_e32 v28, v156
	v_mov_b32_e32 v29, v157
	;; [unrolled: 1-line block ×4, first 2 shown]
	scratch_store_dwordx4 off, v[0:3], off offset:2212 ; 16-byte Folded Spill
	s_nop 0
	scratch_store_dwordx4 off, v[4:7], off offset:2228 ; 16-byte Folded Spill
	scratch_store_dwordx4 off, v[8:11], off offset:2244 ; 16-byte Folded Spill
	;; [unrolled: 1-line block ×7, first 2 shown]
	v_mov_b32_e32 v138, v43
	v_mov_b64_e32 v[12:13], v[140:141]
	v_mov_b32_e32 v0, v128
	v_mov_b64_e32 v[28:29], v[156:157]
	v_mov_b64_e32 v[14:15], v[142:143]
	;; [unrolled: 1-line block ×8, first 2 shown]
	v_mov_b32_e32 v1, v129
	v_mov_b32_e32 v2, v130
	;; [unrolled: 1-line block ×10, first 2 shown]
	v_mov_b64_e32 v[30:31], v[158:159]
	scratch_store_dwordx4 off, v[0:3], off offset:2084 ; 16-byte Folded Spill
	s_nop 0
	scratch_store_dwordx4 off, v[4:7], off offset:2100 ; 16-byte Folded Spill
	scratch_store_dwordx4 off, v[8:11], off offset:2116 ; 16-byte Folded Spill
	;; [unrolled: 1-line block ×7, first 2 shown]
	v_mov_b32_e32 v139, v192
	v_mov_b32_e32 v13, v141
	v_mov_b64_e32 v[0:1], v[128:129]
	v_mov_b32_e32 v29, v157
	v_mov_b32_e32 v14, v142
	;; [unrolled: 1-line block ×16, first 2 shown]
	v_mov_b64_e32 v[2:3], v[130:131]
	v_mov_b64_e32 v[4:5], v[132:133]
	;; [unrolled: 1-line block ×5, first 2 shown]
	v_mov_b32_e32 v30, v158
	v_mov_b32_e32 v31, v159
	scratch_store_dwordx4 off, v[0:3], off offset:1948 ; 16-byte Folded Spill
	s_nop 0
	scratch_store_dwordx4 off, v[4:7], off offset:1964 ; 16-byte Folded Spill
	scratch_store_dwordx4 off, v[8:11], off offset:1980 ; 16-byte Folded Spill
	;; [unrolled: 1-line block ×7, first 2 shown]
	v_mov_b64_e32 v[14:15], v[142:143]
	v_mov_b64_e32 v[16:17], v[144:145]
	;; [unrolled: 1-line block ×9, first 2 shown]
	v_mov_b32_e32 v12, v193
	v_mov_b32_e32 v140, v193
	scratch_store_dwordx4 off, v[0:3], off offset:1820 ; 16-byte Folded Spill
	s_nop 0
	scratch_store_dwordx4 off, v[4:7], off offset:1836 ; 16-byte Folded Spill
	scratch_store_dwordx4 off, v[8:11], off offset:1852 ; 16-byte Folded Spill
	;; [unrolled: 1-line block ×7, first 2 shown]
	v_mov_b32_e32 v141, v32
	v_mov_b32_e32 v15, v143
	;; [unrolled: 1-line block ×17, first 2 shown]
	v_mov_b64_e32 v[12:13], v[140:141]
	v_mov_b32_e32 v31, v159
	scratch_store_dwordx4 off, v[0:3], off offset:1692 ; 16-byte Folded Spill
	s_nop 0
	scratch_store_dwordx4 off, v[4:7], off offset:1708 ; 16-byte Folded Spill
	scratch_store_dwordx4 off, v[8:11], off offset:1724 ; 16-byte Folded Spill
	;; [unrolled: 1-line block ×7, first 2 shown]
	scratch_store_dwordx2 off, v[32:33], off offset:520 ; 8-byte Folded Spill
	v_mov_b32_e32 v142, v33
	v_mov_b64_e32 v[16:17], v[144:145]
	v_mov_b32_e32 v12, v140
	v_mov_b64_e32 v[18:19], v[146:147]
	v_mov_b64_e32 v[20:21], v[148:149]
	;; [unrolled: 1-line block ×7, first 2 shown]
	v_mov_b32_e32 v13, v141
	v_mov_b32_e32 v14, v142
	scratch_store_dwordx4 off, v[0:3], off offset:1564 ; 16-byte Folded Spill
	s_nop 0
	scratch_store_dwordx4 off, v[4:7], off offset:1580 ; 16-byte Folded Spill
	scratch_store_dwordx4 off, v[8:11], off offset:1596 ; 16-byte Folded Spill
	;; [unrolled: 1-line block ×7, first 2 shown]
	v_mov_b32_e32 v143, v38
	v_mov_b64_e32 v[0:1], v[128:129]
	v_mov_b32_e32 v17, v145
	v_mov_b32_e32 v29, v157
	v_mov_b64_e32 v[2:3], v[130:131]
	v_mov_b64_e32 v[4:5], v[132:133]
	;; [unrolled: 1-line block ×7, first 2 shown]
	v_mov_b32_e32 v18, v146
	v_mov_b32_e32 v19, v147
	;; [unrolled: 1-line block ×13, first 2 shown]
	scratch_store_dwordx4 off, v[0:3], off offset:1436 ; 16-byte Folded Spill
	s_nop 0
	scratch_store_dwordx4 off, v[4:7], off offset:1452 ; 16-byte Folded Spill
	scratch_store_dwordx4 off, v[8:11], off offset:1468 ; 16-byte Folded Spill
	;; [unrolled: 1-line block ×7, first 2 shown]
	scratch_store_dwordx2 off, v[38:39], off offset:256 ; 8-byte Folded Spill
	v_mov_b64_e32 v[18:19], v[146:147]
	v_mov_b64_e32 v[20:21], v[148:149]
	;; [unrolled: 1-line block ×7, first 2 shown]
	v_mov_b32_e32 v16, v39
	v_mov_b32_e32 v144, v39
	v_mov_b32_e32 v145, v36
	scratch_store_dwordx4 off, v[0:3], off offset:1308 ; 16-byte Folded Spill
	s_nop 0
	scratch_store_dwordx4 off, v[4:7], off offset:1324 ; 16-byte Folded Spill
	scratch_store_dwordx4 off, v[8:11], off offset:1340 ; 16-byte Folded Spill
	;; [unrolled: 1-line block ×7, first 2 shown]
	v_mov_b32_e32 v19, v147
	v_mov_b32_e32 v20, v148
	;; [unrolled: 1-line block ×12, first 2 shown]
	v_mov_b64_e32 v[16:17], v[144:145]
	v_mov_b32_e32 v31, v159
	scratch_store_dwordx4 off, v[0:3], off offset:1168 ; 16-byte Folded Spill
	s_nop 0
	scratch_store_dwordx4 off, v[4:7], off offset:1184 ; 16-byte Folded Spill
	scratch_store_dwordx4 off, v[8:11], off offset:1200 ; 16-byte Folded Spill
	;; [unrolled: 1-line block ×7, first 2 shown]
	v_mov_b32_e32 v146, v37
	v_mov_b64_e32 v[20:21], v[148:149]
	v_mov_b32_e32 v16, v144
	v_mov_b64_e32 v[22:23], v[150:151]
	v_mov_b64_e32 v[24:25], v[152:153]
	;; [unrolled: 1-line block ×5, first 2 shown]
	v_mov_b32_e32 v17, v145
	v_mov_b32_e32 v18, v146
	;; [unrolled: 1-line block ×3, first 2 shown]
	scratch_store_dwordx4 off, v[0:3], off offset:1040 ; 16-byte Folded Spill
	s_nop 0
	scratch_store_dwordx4 off, v[4:7], off offset:1056 ; 16-byte Folded Spill
	scratch_store_dwordx4 off, v[8:11], off offset:1072 ; 16-byte Folded Spill
	;; [unrolled: 1-line block ×7, first 2 shown]
	v_mov_b32_e32 v21, v149
	v_mov_b64_e32 v[16:17], v[144:145]
	v_mov_b32_e32 v22, v150
	v_mov_b32_e32 v23, v151
	;; [unrolled: 1-line block ×10, first 2 shown]
	v_mov_b64_e32 v[18:19], v[146:147]
	scratch_store_dwordx4 off, v[0:3], off offset:912 ; 16-byte Folded Spill
	s_nop 0
	scratch_store_dwordx4 off, v[4:7], off offset:928 ; 16-byte Folded Spill
	scratch_store_dwordx4 off, v[8:11], off offset:944 ; 16-byte Folded Spill
	;; [unrolled: 1-line block ×7, first 2 shown]
	v_mov_b32_e32 v148, v35
	v_mov_b64_e32 v[22:23], v[150:151]
	v_mov_b32_e32 v16, v144
	v_mov_b64_e32 v[24:25], v[152:153]
	v_mov_b64_e32 v[26:27], v[154:155]
	v_mov_b64_e32 v[28:29], v[156:157]
	v_mov_b64_e32 v[30:31], v[158:159]
	v_mov_b32_e32 v17, v145
	v_mov_b32_e32 v18, v146
	v_mov_b32_e32 v19, v147
	v_mov_b32_e32 v20, v148
	scratch_store_dwordx4 off, v[0:3], off offset:784 ; 16-byte Folded Spill
	s_nop 0
	scratch_store_dwordx4 off, v[4:7], off offset:800 ; 16-byte Folded Spill
	scratch_store_dwordx4 off, v[8:11], off offset:816 ; 16-byte Folded Spill
	;; [unrolled: 1-line block ×7, first 2 shown]
	v_mov_b32_e32 v149, v206
	v_mov_b32_e32 v23, v151
	v_mov_b64_e32 v[16:17], v[144:145]
	v_mov_b32_e32 v24, v152
	v_mov_b32_e32 v25, v153
	;; [unrolled: 1-line block ×8, first 2 shown]
	v_mov_b64_e32 v[18:19], v[146:147]
	v_mov_b64_e32 v[20:21], v[148:149]
	scratch_store_dwordx4 off, v[0:3], off offset:656 ; 16-byte Folded Spill
	s_nop 0
	scratch_store_dwordx4 off, v[4:7], off offset:672 ; 16-byte Folded Spill
	scratch_store_dwordx4 off, v[8:11], off offset:688 ; 16-byte Folded Spill
	;; [unrolled: 1-line block ×7, first 2 shown]
	v_mov_b32_e32 v150, v207
	v_mov_b64_e32 v[24:25], v[152:153]
	v_mov_b32_e32 v16, v144
	v_mov_b64_e32 v[26:27], v[154:155]
	v_mov_b64_e32 v[28:29], v[156:157]
	;; [unrolled: 1-line block ×3, first 2 shown]
	v_mov_b32_e32 v17, v145
	v_mov_b32_e32 v18, v146
	;; [unrolled: 1-line block ×6, first 2 shown]
	scratch_store_dwordx4 off, v[0:3], off offset:528 ; 16-byte Folded Spill
	s_nop 0
	scratch_store_dwordx4 off, v[4:7], off offset:544 ; 16-byte Folded Spill
	scratch_store_dwordx4 off, v[8:11], off offset:560 ; 16-byte Folded Spill
	scratch_store_dwordx4 off, v[12:15], off offset:576 ; 16-byte Folded Spill
	scratch_store_dwordx4 off, v[16:19], off offset:592 ; 16-byte Folded Spill
	scratch_store_dwordx4 off, v[20:23], off offset:608 ; 16-byte Folded Spill
	scratch_store_dwordx4 off, v[24:27], off offset:624 ; 16-byte Folded Spill
	scratch_store_dwordx4 off, v[28:31], off offset:640 ; 16-byte Folded Spill
	v_mov_b32_e32 v151, v204
	v_mov_b64_e32 v[16:17], v[144:145]
	v_mov_b32_e32 v25, v153
	v_mov_b64_e32 v[18:19], v[146:147]
	v_mov_b64_e32 v[20:21], v[148:149]
	v_mov_b64_e32 v[22:23], v[150:151]
	v_mov_b32_e32 v26, v154
	v_mov_b32_e32 v27, v155
	;; [unrolled: 1-line block ×6, first 2 shown]
	scratch_store_dwordx4 off, v[0:3], off offset:392 ; 16-byte Folded Spill
	s_nop 0
	scratch_store_dwordx4 off, v[4:7], off offset:408 ; 16-byte Folded Spill
	scratch_store_dwordx4 off, v[8:11], off offset:424 ; 16-byte Folded Spill
	;; [unrolled: 1-line block ×7, first 2 shown]
	v_mov_b32_e32 v152, v205
	v_mov_b32_e32 v16, v144
	v_mov_b64_e32 v[26:27], v[154:155]
	v_mov_b32_e32 v17, v145
	v_mov_b32_e32 v18, v146
	;; [unrolled: 1-line block ×8, first 2 shown]
	v_mov_b64_e32 v[28:29], v[156:157]
	v_mov_b64_e32 v[30:31], v[158:159]
	scratch_store_dwordx4 off, v[0:3], off offset:264 ; 16-byte Folded Spill
	s_nop 0
	scratch_store_dwordx4 off, v[4:7], off offset:280 ; 16-byte Folded Spill
	scratch_store_dwordx4 off, v[8:11], off offset:296 ; 16-byte Folded Spill
	;; [unrolled: 1-line block ×7, first 2 shown]
	v_mov_b32_e32 v153, v210
	v_mov_b64_e32 v[16:17], v[144:145]
	v_mov_b32_e32 v27, v155
	v_mov_b64_e32 v[18:19], v[146:147]
	v_mov_b64_e32 v[20:21], v[148:149]
	;; [unrolled: 1-line block ×4, first 2 shown]
	v_mov_b32_e32 v28, v156
	v_mov_b32_e32 v29, v157
	;; [unrolled: 1-line block ×6, first 2 shown]
	v_mov_b64_e32 v[252:253], v[158:159]
	v_mov_b64_e32 v[70:71], v[42:43]
	;; [unrolled: 1-line block ×4, first 2 shown]
	scratch_store_dwordx4 off, v[0:3], off offset:128 ; 16-byte Folded Spill
	s_nop 0
	scratch_store_dwordx4 off, v[4:7], off offset:144 ; 16-byte Folded Spill
	scratch_store_dwordx4 off, v[8:11], off offset:160 ; 16-byte Folded Spill
	scratch_store_dwordx4 off, v[12:15], off offset:176 ; 16-byte Folded Spill
	scratch_store_dwordx4 off, v[16:19], off offset:192 ; 16-byte Folded Spill
	scratch_store_dwordx4 off, v[20:23], off offset:208 ; 16-byte Folded Spill
	scratch_store_dwordx4 off, v[24:27], off offset:224 ; 16-byte Folded Spill
	scratch_store_dwordx4 off, v[28:31], off offset:240 ; 16-byte Folded Spill
	v_mov_b64_e32 v[32:33], v[128:129]
	v_mov_b32_e32 v48, v144
	v_mov_b64_e32 v[60:61], v[156:157]
	v_mov_b64_e32 v[250:251], v[156:157]
	;; [unrolled: 1-line block ×10, first 2 shown]
	v_mov_b32_e32 v49, v145
	v_mov_b32_e32 v50, v146
	;; [unrolled: 1-line block ×10, first 2 shown]
	v_mov_b64_e32 v[62:63], v[158:159]
	v_mov_b64_e32 v[248:249], v[154:155]
	;; [unrolled: 1-line block ×14, first 2 shown]
	v_mov_b32_e32 v250, v209
	v_mov_b64_e32 v[0:1], v[222:223]
	scratch_store_dwordx4 off, v[32:35], off ; 16-byte Folded Spill
	s_nop 0
	scratch_store_dwordx4 off, v[36:39], off offset:16 ; 16-byte Folded Spill
	scratch_store_dwordx4 off, v[40:43], off offset:32 ; 16-byte Folded Spill
	;; [unrolled: 1-line block ×7, first 2 shown]
	v_mov_b64_e32 v[14:15], v[236:237]
	v_mov_b64_e32 v[26:27], v[248:249]
	;; [unrolled: 1-line block ×15, first 2 shown]
	v_mov_b32_e32 v29, v218
	v_mov_b64_e32 v[46:47], v[14:15]
	v_mov_b64_e32 v[58:59], v[26:27]
	;; [unrolled: 1-line block ×15, first 2 shown]
	v_mov_b32_e32 v30, v219
	v_mov_b32_e32 v31, v255
	scratch_store_dwordx4 off, v[96:99], off offset:2596 ; 16-byte Folded Spill
	s_nop 0
	scratch_store_dwordx4 off, v[100:103], off offset:2612 ; 16-byte Folded Spill
	scratch_store_dwordx4 off, v[104:107], off offset:2628 ; 16-byte Folded Spill
	;; [unrolled: 1-line block ×7, first 2 shown]
.LBB62_117:
	s_or_b64 exec, exec, s[0:1]
	s_waitcnt vmcnt(63) expcnt(7) lgkmcnt(15)
	s_barrier
	scratch_load_dwordx2 v[68:69], off, off offset:1296 ; 8-byte Folded Reload
	v_lshl_add_u32 v62, v221, 2, v214
	s_cmp_lt_i32 s22, 9
	s_waitcnt vmcnt(0)
	ds_write_b32 v62, v68
	s_waitcnt lgkmcnt(0)
	s_barrier
	ds_read_b32 v74, v214 offset:28
	v_mov_b32_e32 v62, 7
	s_cbranch_scc1 .LBB62_190
; %bb.118:
	v_add3_u32 v63, v215, 0, 32
	v_mov_b32_e32 v62, 7
	s_mov_b32 s0, 8
	v_mov_b64_e32 v[100:101], v[66:67]
	v_mov_b64_e32 v[104:105], v[64:65]
	;; [unrolled: 1-line block ×3, first 2 shown]
.LBB62_119:                             ; =>This Inner Loop Header: Depth=1
	ds_read_b32 v96, v63
	v_add_u32_e32 v63, 4, v63
	s_waitcnt lgkmcnt(0)
	v_cmp_lt_f32_e64 vcc, |v74|, |v96|
	s_nop 1
	v_cndmask_b32_e32 v74, v74, v96, vcc
	v_mov_b32_e32 v96, s0
	s_add_i32 s0, s0, 1
	v_cndmask_b32_e32 v62, v62, v96, vcc
	s_cmp_lg_u32 s22, s0
	s_cbranch_scc1 .LBB62_119
; %bb.120:
	v_cmp_eq_f32_e32 vcc, 0, v74
	s_and_saveexec_b64 s[0:1], vcc
	s_xor_b64 s[0:1], exec, s[0:1]
.LBB62_121:
	v_cmp_ne_u32_e32 vcc, 0, v220
	s_nop 1
	v_cndmask_b32_e32 v220, 8, v220, vcc
.LBB62_122:
	s_andn2_saveexec_b64 s[0:1], s[0:1]
	s_cbranch_execz .LBB62_124
; %bb.123:
	v_div_scale_f32 v63, s[2:3], v74, v74, 1.0
	v_rcp_f32_e32 v96, v63
	v_div_scale_f32 v97, vcc, 1.0, v74, 1.0
	v_fma_f32 v98, -v63, v96, 1.0
	v_fmac_f32_e32 v96, v98, v96
	v_mul_f32_e32 v98, v97, v96
	v_fma_f32 v99, -v63, v98, v97
	v_fmac_f32_e32 v98, v99, v96
	v_fma_f32 v63, -v63, v98, v97
	v_div_fmas_f32 v63, v63, v96, v98
	v_div_fixup_f32 v74, v63, v74, 1.0
.LBB62_124:
	s_or_b64 exec, exec, s[0:1]
	v_cmp_ne_u32_e32 vcc, v221, v62
	s_and_saveexec_b64 s[0:1], vcc
	s_xor_b64 s[0:1], exec, s[0:1]
	s_cbranch_execz .LBB62_130
; %bb.125:
	v_cmp_eq_u32_e32 vcc, 7, v221
	s_and_saveexec_b64 s[2:3], vcc
	s_cbranch_execz .LBB62_129
; %bb.126:
	v_cmp_ne_u32_e32 vcc, 7, v62
	s_xor_b64 s[18:19], s[16:17], -1
	s_and_b64 s[20:21], s[18:19], vcc
	s_and_saveexec_b64 s[18:19], s[20:21]
	s_cbranch_execz .LBB62_128
; %bb.127:
	scratch_load_dwordx2 v[102:103], off, off offset:2076 ; 8-byte Folded Reload
	v_ashrrev_i32_e32 v63, 31, v62
	s_waitcnt vmcnt(0)
	v_lshl_add_u64 v[96:97], v[62:63], 2, v[102:103]
	global_load_dword v63, v[96:97], off
	global_load_dword v98, v[102:103], off offset:28
	s_waitcnt vmcnt(1)
	global_store_dword v[102:103], v63, off offset:28
	s_waitcnt vmcnt(1)
	global_store_dword v[96:97], v98, off
.LBB62_128:
	s_or_b64 exec, exec, s[18:19]
	v_mov_b32_e32 v63, v62
	v_mov_b32_e32 v221, v62
	scratch_store_dword off, v63, off offset:1304 ; 4-byte Folded Spill
.LBB62_129:
	s_or_b64 exec, exec, s[2:3]
.LBB62_130:
	s_andn2_saveexec_b64 s[0:1], s[0:1]
	s_cbranch_execz .LBB62_132
; %bb.131:
	v_mov_b32_e32 v221, 7
	ds_write2_b32 v214, v8, v9 offset0:8 offset1:9
	ds_write2_b32 v214, v10, v11 offset0:10 offset1:11
	;; [unrolled: 1-line block ×12, first 2 shown]
.LBB62_132:
	s_or_b64 exec, exec, s[0:1]
	v_cmp_lt_i32_e32 vcc, 7, v221
	s_waitcnt lgkmcnt(0)
	s_barrier
	s_and_saveexec_b64 s[0:1], vcc
	s_cbranch_execz .LBB62_134
; %bb.133:
	ds_read2_b32 v[0:1], v214 offset0:8 offset1:9
	ds_read2_b32 v[2:3], v214 offset0:10 offset1:11
	;; [unrolled: 1-line block ×3, first 2 shown]
	scratch_load_dwordx2 v[6:7], off, off offset:1296 ; 8-byte Folded Reload
	ds_read2_b32 v[32:33], v214 offset0:14 offset1:15
	s_waitcnt vmcnt(0)
	v_mul_f32_e32 v6, v6, v74
	s_waitcnt lgkmcnt(3)
	v_pk_fma_f32 v[192:193], v[6:7], v[0:1], v[8:9] op_sel_hi:[0,1,1] neg_lo:[1,0,0] neg_hi:[1,0,0]
	s_waitcnt lgkmcnt(2)
	v_pk_fma_f32 v[194:195], v[6:7], v[2:3], v[10:11] op_sel_hi:[0,1,1] neg_lo:[1,0,0] neg_hi:[1,0,0]
	;; [unrolled: 2-line block ×3, first 2 shown]
	ds_read2_b32 v[0:1], v214 offset0:16 offset1:17
	ds_read2_b32 v[2:3], v214 offset0:18 offset1:19
	;; [unrolled: 1-line block ×4, first 2 shown]
	s_waitcnt lgkmcnt(4)
	v_pk_fma_f32 v[200:201], v[6:7], v[32:33], v[14:15] op_sel_hi:[0,1,1] neg_lo:[1,0,0] neg_hi:[1,0,0]
	s_waitcnt lgkmcnt(3)
	v_pk_fma_f32 v[204:205], v[6:7], v[0:1], v[16:17] op_sel_hi:[0,1,1] neg_lo:[1,0,0] neg_hi:[1,0,0]
	;; [unrolled: 2-line block ×4, first 2 shown]
	ds_read2_b32 v[0:1], v214 offset0:24 offset1:25
	ds_read2_b32 v[2:3], v214 offset0:26 offset1:27
	;; [unrolled: 1-line block ×4, first 2 shown]
	scratch_load_dwordx4 v[96:99], off, off offset:2596 ; 16-byte Folded Reload
	scratch_load_dwordx4 v[100:103], off, off offset:2612 ; 16-byte Folded Reload
	;; [unrolled: 1-line block ×8, first 2 shown]
	s_waitcnt vmcnt(6)
	v_mov_b32_e32 v103, v6
	s_waitcnt lgkmcnt(4)
	v_pk_fma_f32 v[210:211], v[6:7], v[8:9], v[22:23] op_sel_hi:[0,1,1] neg_lo:[1,0,0] neg_hi:[1,0,0]
	s_waitcnt lgkmcnt(3)
	v_pk_fma_f32 v[212:213], v[6:7], v[0:1], v[24:25] op_sel_hi:[0,1,1] neg_lo:[1,0,0] neg_hi:[1,0,0]
	s_waitcnt lgkmcnt(2)
	v_pk_fma_f32 v[216:217], v[6:7], v[2:3], v[26:27] op_sel_hi:[0,1,1] neg_lo:[1,0,0] neg_hi:[1,0,0]
	s_waitcnt lgkmcnt(1)
	v_pk_fma_f32 v[196:197], v[6:7], v[4:5], v[28:29] op_sel_hi:[0,1,1] neg_lo:[1,0,0] neg_hi:[1,0,0]
	s_waitcnt lgkmcnt(0)
	v_pk_fma_f32 v[254:255], v[6:7], v[10:11], v[30:31] op_sel_hi:[0,1,1] neg_lo:[1,0,0] neg_hi:[1,0,0]
	v_mov_b32_e32 v218, v197
	v_mov_b32_e32 v219, v254
	s_waitcnt vmcnt(0)
	v_mov_b64_e32 v[158:159], v[126:127]
	v_mov_b64_e32 v[154:155], v[122:123]
	;; [unrolled: 1-line block ×16, first 2 shown]
	v_mov_b32_e32 v136, v192
	v_mov_b64_e32 v[10:11], v[138:139]
	v_mov_b32_e32 v0, v128
	v_mov_b64_e32 v[26:27], v[154:155]
	v_mov_b64_e32 v[12:13], v[140:141]
	v_mov_b64_e32 v[14:15], v[142:143]
	v_mov_b64_e32 v[16:17], v[144:145]
	v_mov_b64_e32 v[18:19], v[146:147]
	v_mov_b64_e32 v[20:21], v[148:149]
	v_mov_b64_e32 v[22:23], v[150:151]
	v_mov_b64_e32 v[24:25], v[152:153]
	v_mov_b32_e32 v1, v129
	v_mov_b32_e32 v2, v130
	;; [unrolled: 1-line block ×8, first 2 shown]
	v_mov_b64_e32 v[28:29], v[156:157]
	v_mov_b64_e32 v[30:31], v[158:159]
	scratch_store_dwordx4 off, v[0:3], off offset:2340 ; 16-byte Folded Spill
	s_nop 0
	scratch_store_dwordx4 off, v[4:7], off offset:2356 ; 16-byte Folded Spill
	scratch_store_dwordx4 off, v[8:11], off offset:2372 ; 16-byte Folded Spill
	;; [unrolled: 1-line block ×7, first 2 shown]
	v_mov_b32_e32 v137, v193
	v_mov_b32_e32 v11, v139
	v_mov_b64_e32 v[0:1], v[128:129]
	v_mov_b32_e32 v27, v155
	v_mov_b32_e32 v12, v140
	;; [unrolled: 1-line block ×16, first 2 shown]
	v_mov_b64_e32 v[2:3], v[130:131]
	v_mov_b64_e32 v[4:5], v[132:133]
	v_mov_b64_e32 v[6:7], v[134:135]
	v_mov_b64_e32 v[8:9], v[136:137]
	v_mov_b32_e32 v28, v156
	v_mov_b32_e32 v29, v157
	;; [unrolled: 1-line block ×6, first 2 shown]
	v_mov_b64_e32 v[60:61], v[156:157]
	v_mov_b64_e32 v[62:63], v[158:159]
	scratch_store_dwordx4 off, v[0:3], off offset:2212 ; 16-byte Folded Spill
	s_nop 0
	scratch_store_dwordx4 off, v[4:7], off offset:2228 ; 16-byte Folded Spill
	scratch_store_dwordx4 off, v[8:11], off offset:2244 ; 16-byte Folded Spill
	;; [unrolled: 1-line block ×7, first 2 shown]
	v_mov_b64_e32 v[12:13], v[140:141]
	v_mov_b32_e32 v0, v128
	v_mov_b64_e32 v[28:29], v[156:157]
	v_mov_b64_e32 v[14:15], v[142:143]
	;; [unrolled: 1-line block ×8, first 2 shown]
	v_mov_b32_e32 v1, v129
	v_mov_b32_e32 v2, v130
	;; [unrolled: 1-line block ×10, first 2 shown]
	v_mov_b64_e32 v[30:31], v[158:159]
	v_mov_b32_e32 v140, v198
	scratch_store_dwordx4 off, v[0:3], off offset:2084 ; 16-byte Folded Spill
	s_nop 0
	scratch_store_dwordx4 off, v[4:7], off offset:2100 ; 16-byte Folded Spill
	scratch_store_dwordx4 off, v[8:11], off offset:2116 ; 16-byte Folded Spill
	scratch_store_dwordx4 off, v[12:15], off offset:2132 ; 16-byte Folded Spill
	scratch_store_dwordx4 off, v[16:19], off offset:2148 ; 16-byte Folded Spill
	scratch_store_dwordx4 off, v[20:23], off offset:2164 ; 16-byte Folded Spill
	scratch_store_dwordx4 off, v[24:27], off offset:2180 ; 16-byte Folded Spill
	scratch_store_dwordx4 off, v[28:31], off offset:2196 ; 16-byte Folded Spill
	v_mov_b32_e32 v13, v141
	v_mov_b64_e32 v[0:1], v[128:129]
	v_mov_b32_e32 v29, v157
	v_mov_b32_e32 v14, v142
	;; [unrolled: 1-line block ×16, first 2 shown]
	v_mov_b64_e32 v[2:3], v[130:131]
	v_mov_b64_e32 v[4:5], v[132:133]
	;; [unrolled: 1-line block ×5, first 2 shown]
	v_mov_b32_e32 v30, v158
	v_mov_b32_e32 v31, v159
	v_mov_b32_e32 v141, v199
	scratch_store_dwordx4 off, v[0:3], off offset:1948 ; 16-byte Folded Spill
	s_nop 0
	scratch_store_dwordx4 off, v[4:7], off offset:1964 ; 16-byte Folded Spill
	scratch_store_dwordx4 off, v[8:11], off offset:1980 ; 16-byte Folded Spill
	;; [unrolled: 1-line block ×7, first 2 shown]
	v_mov_b64_e32 v[14:15], v[142:143]
	v_mov_b64_e32 v[16:17], v[144:145]
	;; [unrolled: 1-line block ×9, first 2 shown]
	v_mov_b32_e32 v12, v198
	v_mov_b32_e32 v142, v200
	scratch_store_dwordx4 off, v[0:3], off offset:1820 ; 16-byte Folded Spill
	s_nop 0
	scratch_store_dwordx4 off, v[4:7], off offset:1836 ; 16-byte Folded Spill
	scratch_store_dwordx4 off, v[8:11], off offset:1852 ; 16-byte Folded Spill
	;; [unrolled: 1-line block ×7, first 2 shown]
	v_mov_b32_e32 v15, v143
	v_mov_b32_e32 v16, v144
	;; [unrolled: 1-line block ×16, first 2 shown]
	v_mov_b64_e32 v[12:13], v[140:141]
	v_mov_b32_e32 v31, v159
	v_mov_b32_e32 v143, v201
	v_mov_b64_e32 v[32:33], v[128:129]
	v_mov_b64_e32 v[34:35], v[130:131]
	;; [unrolled: 1-line block ×8, first 2 shown]
	scratch_store_dwordx4 off, v[0:3], off offset:1692 ; 16-byte Folded Spill
	s_nop 0
	scratch_store_dwordx4 off, v[4:7], off offset:1708 ; 16-byte Folded Spill
	scratch_store_dwordx4 off, v[8:11], off offset:1724 ; 16-byte Folded Spill
	scratch_store_dwordx4 off, v[12:15], off offset:1740 ; 16-byte Folded Spill
	scratch_store_dwordx4 off, v[16:19], off offset:1756 ; 16-byte Folded Spill
	scratch_store_dwordx4 off, v[20:23], off offset:1772 ; 16-byte Folded Spill
	scratch_store_dwordx4 off, v[24:27], off offset:1788 ; 16-byte Folded Spill
	scratch_store_dwordx4 off, v[28:31], off offset:1804 ; 16-byte Folded Spill
	v_mov_b64_e32 v[16:17], v[144:145]
	v_mov_b32_e32 v12, v140
	v_mov_b64_e32 v[18:19], v[146:147]
	v_mov_b64_e32 v[20:21], v[148:149]
	;; [unrolled: 1-line block ×7, first 2 shown]
	v_mov_b32_e32 v13, v141
	v_mov_b32_e32 v14, v142
	;; [unrolled: 1-line block ×3, first 2 shown]
	scratch_store_dwordx4 off, v[0:3], off offset:1564 ; 16-byte Folded Spill
	s_nop 0
	scratch_store_dwordx4 off, v[4:7], off offset:1580 ; 16-byte Folded Spill
	scratch_store_dwordx4 off, v[8:11], off offset:1596 ; 16-byte Folded Spill
	;; [unrolled: 1-line block ×7, first 2 shown]
	v_mov_b64_e32 v[0:1], v[128:129]
	v_mov_b32_e32 v17, v145
	v_mov_b32_e32 v29, v157
	v_mov_b64_e32 v[2:3], v[130:131]
	v_mov_b64_e32 v[4:5], v[132:133]
	;; [unrolled: 1-line block ×7, first 2 shown]
	v_mov_b32_e32 v18, v146
	v_mov_b32_e32 v19, v147
	;; [unrolled: 1-line block ×14, first 2 shown]
	scratch_store_dwordx4 off, v[0:3], off offset:1436 ; 16-byte Folded Spill
	s_nop 0
	scratch_store_dwordx4 off, v[4:7], off offset:1452 ; 16-byte Folded Spill
	scratch_store_dwordx4 off, v[8:11], off offset:1468 ; 16-byte Folded Spill
	;; [unrolled: 1-line block ×7, first 2 shown]
	v_mov_b64_e32 v[18:19], v[146:147]
	v_mov_b64_e32 v[20:21], v[148:149]
	;; [unrolled: 1-line block ×7, first 2 shown]
	v_mov_b32_e32 v16, v204
	v_mov_b32_e32 v146, v206
	scratch_store_dwordx4 off, v[0:3], off offset:1308 ; 16-byte Folded Spill
	s_nop 0
	scratch_store_dwordx4 off, v[4:7], off offset:1324 ; 16-byte Folded Spill
	scratch_store_dwordx4 off, v[8:11], off offset:1340 ; 16-byte Folded Spill
	;; [unrolled: 1-line block ×7, first 2 shown]
	v_mov_b32_e32 v19, v147
	v_mov_b32_e32 v20, v148
	;; [unrolled: 1-line block ×12, first 2 shown]
	v_mov_b64_e32 v[16:17], v[144:145]
	v_mov_b32_e32 v31, v159
	v_mov_b32_e32 v147, v207
	scratch_store_dwordx4 off, v[0:3], off offset:1168 ; 16-byte Folded Spill
	s_nop 0
	scratch_store_dwordx4 off, v[4:7], off offset:1184 ; 16-byte Folded Spill
	scratch_store_dwordx4 off, v[8:11], off offset:1200 ; 16-byte Folded Spill
	;; [unrolled: 1-line block ×7, first 2 shown]
	v_mov_b64_e32 v[20:21], v[148:149]
	v_mov_b32_e32 v16, v144
	v_mov_b64_e32 v[22:23], v[150:151]
	v_mov_b64_e32 v[24:25], v[152:153]
	;; [unrolled: 1-line block ×5, first 2 shown]
	v_mov_b32_e32 v17, v145
	v_mov_b32_e32 v18, v146
	;; [unrolled: 1-line block ×3, first 2 shown]
	scratch_store_dwordx4 off, v[0:3], off offset:1040 ; 16-byte Folded Spill
	s_nop 0
	scratch_store_dwordx4 off, v[4:7], off offset:1056 ; 16-byte Folded Spill
	scratch_store_dwordx4 off, v[8:11], off offset:1072 ; 16-byte Folded Spill
	;; [unrolled: 1-line block ×7, first 2 shown]
	v_mov_b32_e32 v21, v149
	v_mov_b64_e32 v[16:17], v[144:145]
	v_mov_b32_e32 v22, v150
	v_mov_b32_e32 v23, v151
	;; [unrolled: 1-line block ×10, first 2 shown]
	v_mov_b64_e32 v[18:19], v[146:147]
	v_mov_b32_e32 v149, v209
	scratch_store_dwordx4 off, v[0:3], off offset:912 ; 16-byte Folded Spill
	s_nop 0
	scratch_store_dwordx4 off, v[4:7], off offset:928 ; 16-byte Folded Spill
	scratch_store_dwordx4 off, v[8:11], off offset:944 ; 16-byte Folded Spill
	;; [unrolled: 1-line block ×7, first 2 shown]
	v_mov_b64_e32 v[22:23], v[150:151]
	v_mov_b32_e32 v16, v144
	v_mov_b64_e32 v[24:25], v[152:153]
	v_mov_b64_e32 v[26:27], v[154:155]
	;; [unrolled: 1-line block ×4, first 2 shown]
	v_mov_b32_e32 v17, v145
	v_mov_b32_e32 v18, v146
	v_mov_b32_e32 v19, v147
	v_mov_b32_e32 v20, v148
	v_mov_b32_e32 v150, v210
	scratch_store_dwordx4 off, v[0:3], off offset:784 ; 16-byte Folded Spill
	s_nop 0
	scratch_store_dwordx4 off, v[4:7], off offset:800 ; 16-byte Folded Spill
	scratch_store_dwordx4 off, v[8:11], off offset:816 ; 16-byte Folded Spill
	;; [unrolled: 1-line block ×7, first 2 shown]
	v_mov_b32_e32 v23, v151
	v_mov_b64_e32 v[16:17], v[144:145]
	v_mov_b32_e32 v24, v152
	v_mov_b32_e32 v25, v153
	;; [unrolled: 1-line block ×8, first 2 shown]
	v_mov_b64_e32 v[18:19], v[146:147]
	v_mov_b64_e32 v[20:21], v[148:149]
	v_mov_b32_e32 v151, v211
	scratch_store_dwordx4 off, v[0:3], off offset:656 ; 16-byte Folded Spill
	s_nop 0
	scratch_store_dwordx4 off, v[4:7], off offset:672 ; 16-byte Folded Spill
	scratch_store_dwordx4 off, v[8:11], off offset:688 ; 16-byte Folded Spill
	;; [unrolled: 1-line block ×7, first 2 shown]
	s_nop 0
	v_mov_b64_e32 v[24:25], v[152:153]
	v_mov_b32_e32 v16, v144
	v_mov_b64_e32 v[26:27], v[154:155]
	v_mov_b64_e32 v[28:29], v[156:157]
	;; [unrolled: 1-line block ×3, first 2 shown]
	v_mov_b32_e32 v17, v145
	v_mov_b32_e32 v18, v146
	;; [unrolled: 1-line block ×7, first 2 shown]
	scratch_store_dwordx4 off, v[0:3], off offset:528 ; 16-byte Folded Spill
	s_nop 0
	scratch_store_dwordx4 off, v[4:7], off offset:544 ; 16-byte Folded Spill
	scratch_store_dwordx4 off, v[8:11], off offset:560 ; 16-byte Folded Spill
	;; [unrolled: 1-line block ×7, first 2 shown]
	v_mov_b64_e32 v[16:17], v[144:145]
	v_mov_b32_e32 v25, v153
	v_mov_b64_e32 v[18:19], v[146:147]
	v_mov_b64_e32 v[20:21], v[148:149]
	;; [unrolled: 1-line block ×3, first 2 shown]
	v_mov_b32_e32 v26, v154
	v_mov_b32_e32 v27, v155
	;; [unrolled: 1-line block ×7, first 2 shown]
	scratch_store_dwordx4 off, v[0:3], off offset:392 ; 16-byte Folded Spill
	s_nop 0
	scratch_store_dwordx4 off, v[4:7], off offset:408 ; 16-byte Folded Spill
	scratch_store_dwordx4 off, v[8:11], off offset:424 ; 16-byte Folded Spill
	;; [unrolled: 1-line block ×7, first 2 shown]
	v_mov_b32_e32 v16, v144
	v_mov_b64_e32 v[26:27], v[154:155]
	v_mov_b32_e32 v17, v145
	v_mov_b32_e32 v18, v146
	;; [unrolled: 1-line block ×8, first 2 shown]
	v_mov_b64_e32 v[28:29], v[156:157]
	v_mov_b64_e32 v[30:31], v[158:159]
	v_mov_b32_e32 v154, v216
	v_mov_b32_e32 v48, v144
	;; [unrolled: 1-line block ×12, first 2 shown]
	scratch_store_dwordx4 off, v[0:3], off offset:264 ; 16-byte Folded Spill
	s_nop 0
	scratch_store_dwordx4 off, v[4:7], off offset:280 ; 16-byte Folded Spill
	scratch_store_dwordx4 off, v[8:11], off offset:296 ; 16-byte Folded Spill
	;; [unrolled: 1-line block ×7, first 2 shown]
	v_mov_b64_e32 v[16:17], v[144:145]
	v_mov_b32_e32 v27, v155
	v_mov_b64_e32 v[18:19], v[146:147]
	v_mov_b64_e32 v[20:21], v[148:149]
	;; [unrolled: 1-line block ×4, first 2 shown]
	v_mov_b32_e32 v28, v156
	v_mov_b32_e32 v29, v157
	;; [unrolled: 1-line block ×5, first 2 shown]
	v_mov_b64_e32 v[252:253], v[158:159]
	v_mov_b64_e32 v[250:251], v[156:157]
	v_mov_b64_e32 v[222:223], v[128:129]
	v_mov_b64_e32 v[248:249], v[154:155]
	v_mov_b64_e32 v[246:247], v[152:153]
	v_mov_b64_e32 v[244:245], v[150:151]
	v_mov_b64_e32 v[242:243], v[148:149]
	v_mov_b64_e32 v[240:241], v[146:147]
	v_mov_b64_e32 v[238:239], v[144:145]
	v_mov_b64_e32 v[236:237], v[142:143]
	v_mov_b64_e32 v[234:235], v[140:141]
	v_mov_b64_e32 v[232:233], v[138:139]
	v_mov_b64_e32 v[230:231], v[136:137]
	v_mov_b64_e32 v[228:229], v[134:135]
	v_mov_b64_e32 v[226:227], v[132:133]
	v_mov_b64_e32 v[224:225], v[130:131]
	v_mov_b32_e32 v250, v196
	scratch_store_dwordx4 off, v[0:3], off offset:128 ; 16-byte Folded Spill
	s_nop 0
	scratch_store_dwordx4 off, v[4:7], off offset:144 ; 16-byte Folded Spill
	scratch_store_dwordx4 off, v[8:11], off offset:160 ; 16-byte Folded Spill
	;; [unrolled: 1-line block ×7, first 2 shown]
	scratch_store_dwordx4 off, v[32:35], off ; 16-byte Folded Spill
	s_nop 0
	scratch_store_dwordx4 off, v[36:39], off offset:16 ; 16-byte Folded Spill
	scratch_store_dwordx4 off, v[40:43], off offset:32 ; 16-byte Folded Spill
	scratch_store_dwordx4 off, v[44:47], off offset:48 ; 16-byte Folded Spill
	scratch_store_dwordx4 off, v[48:51], off offset:64 ; 16-byte Folded Spill
	scratch_store_dwordx4 off, v[52:55], off offset:80 ; 16-byte Folded Spill
	scratch_store_dwordx4 off, v[56:59], off offset:96 ; 16-byte Folded Spill
	scratch_store_dwordx4 off, v[60:63], off offset:112 ; 16-byte Folded Spill
	v_mov_b64_e32 v[0:1], v[222:223]
	v_mov_b64_e32 v[14:15], v[236:237]
	;; [unrolled: 1-line block ×4, first 2 shown]
	v_mov_b32_e32 v63, v192
	v_mov_b64_e32 v[2:3], v[224:225]
	v_mov_b64_e32 v[4:5], v[226:227]
	;; [unrolled: 1-line block ×12, first 2 shown]
	v_mov_b32_e32 v29, v197
	v_mov_b64_e32 v[46:47], v[14:15]
	v_mov_b64_e32 v[58:59], v[26:27]
	scratch_store_dwordx4 off, v[96:99], off offset:2468 ; 16-byte Folded Spill
	s_nop 0
	scratch_store_dwordx4 off, v[100:103], off offset:2484 ; 16-byte Folded Spill
	scratch_store_dwordx4 off, v[104:107], off offset:2500 ; 16-byte Folded Spill
	;; [unrolled: 1-line block ×7, first 2 shown]
	v_mov_b64_e32 v[44:45], v[12:13]
	v_mov_b64_e32 v[42:43], v[10:11]
	;; [unrolled: 1-line block ×13, first 2 shown]
	v_mov_b32_e32 v30, v254
	v_mov_b32_e32 v31, v255
	;; [unrolled: 1-line block ×16, first 2 shown]
	scratch_store_dwordx2 off, v[62:63], off offset:1296 ; 8-byte Folded Spill
	v_mov_b32_e32 v62, v199
	v_mov_b32_e32 v63, v200
	scratch_store_dwordx2 off, v[62:63], off offset:520 ; 8-byte Folded Spill
	v_mov_b32_e32 v62, v201
	v_mov_b32_e32 v63, v204
	;; [unrolled: 1-line block ×4, first 2 shown]
	scratch_store_dwordx2 off, v[62:63], off offset:256 ; 8-byte Folded Spill
.LBB62_134:
	s_or_b64 exec, exec, s[0:1]
	s_waitcnt vmcnt(63) expcnt(7) lgkmcnt(15)
	s_barrier
	scratch_load_dwordx2 v[64:65], off, off offset:1296 ; 8-byte Folded Reload
	v_lshl_add_u32 v62, v221, 2, v214
	s_cmp_lt_i32 s22, 10
	s_waitcnt vmcnt(0)
	ds_write_b32 v62, v65
	s_waitcnt lgkmcnt(0)
	s_barrier
	ds_read_b32 v74, v214 offset:32
	v_mov_b32_e32 v62, 8
	s_cbranch_scc1 .LBB62_137
; %bb.135:
	v_add3_u32 v63, v215, 0, 36
	v_mov_b32_e32 v62, 8
	s_mov_b32 s0, 9
.LBB62_136:                             ; =>This Inner Loop Header: Depth=1
	ds_read_b32 v96, v63
	v_add_u32_e32 v63, 4, v63
	s_waitcnt lgkmcnt(0)
	v_cmp_lt_f32_e64 vcc, |v74|, |v96|
	s_nop 1
	v_cndmask_b32_e32 v74, v74, v96, vcc
	v_mov_b32_e32 v96, s0
	s_add_i32 s0, s0, 1
	v_cndmask_b32_e32 v62, v62, v96, vcc
	s_cmp_lg_u32 s22, s0
	s_cbranch_scc1 .LBB62_136
.LBB62_137:
	s_waitcnt lgkmcnt(0)
	v_cmp_eq_f32_e32 vcc, 0, v74
	s_and_saveexec_b64 s[0:1], vcc
	s_xor_b64 s[0:1], exec, s[0:1]
; %bb.138:
	v_cmp_ne_u32_e32 vcc, 0, v220
	s_nop 1
	v_cndmask_b32_e32 v220, 9, v220, vcc
; %bb.139:
	s_andn2_saveexec_b64 s[0:1], s[0:1]
	s_cbranch_execz .LBB62_141
; %bb.140:
	v_div_scale_f32 v63, s[2:3], v74, v74, 1.0
	v_rcp_f32_e32 v96, v63
	v_div_scale_f32 v97, vcc, 1.0, v74, 1.0
	v_fma_f32 v98, -v63, v96, 1.0
	v_fmac_f32_e32 v96, v98, v96
	v_mul_f32_e32 v98, v97, v96
	v_fma_f32 v99, -v63, v98, v97
	v_fmac_f32_e32 v98, v99, v96
	v_fma_f32 v63, -v63, v98, v97
	v_div_fmas_f32 v63, v63, v96, v98
	v_div_fixup_f32 v74, v63, v74, 1.0
.LBB62_141:
	s_or_b64 exec, exec, s[0:1]
	v_cmp_ne_u32_e32 vcc, v221, v62
	s_and_saveexec_b64 s[0:1], vcc
	s_xor_b64 s[0:1], exec, s[0:1]
	s_cbranch_execz .LBB62_147
; %bb.142:
	v_cmp_eq_u32_e32 vcc, 8, v221
	s_and_saveexec_b64 s[2:3], vcc
	s_cbranch_execz .LBB62_146
; %bb.143:
	v_cmp_ne_u32_e32 vcc, 8, v62
	s_xor_b64 s[18:19], s[16:17], -1
	s_and_b64 s[20:21], s[18:19], vcc
	s_and_saveexec_b64 s[18:19], s[20:21]
	s_cbranch_execz .LBB62_145
; %bb.144:
	scratch_load_dwordx2 v[102:103], off, off offset:2076 ; 8-byte Folded Reload
	v_ashrrev_i32_e32 v63, 31, v62
	s_waitcnt vmcnt(0)
	v_lshl_add_u64 v[96:97], v[62:63], 2, v[102:103]
	global_load_dword v63, v[96:97], off
	global_load_dword v98, v[102:103], off offset:32
	s_waitcnt vmcnt(1)
	global_store_dword v[102:103], v63, off offset:32
	s_waitcnt vmcnt(1)
	global_store_dword v[96:97], v98, off
.LBB62_145:
	s_or_b64 exec, exec, s[18:19]
	v_mov_b32_e32 v63, v62
	v_mov_b32_e32 v221, v62
	scratch_store_dword off, v63, off offset:1304 ; 4-byte Folded Spill
.LBB62_146:
	s_or_b64 exec, exec, s[2:3]
.LBB62_147:
	s_or_saveexec_b64 s[0:1], s[0:1]
	v_mov_b64_e32 v[216:217], v[104:105]
	v_mov_b64_e32 v[64:65], v[100:101]
	s_xor_b64 exec, exec, s[0:1]
	s_cbranch_execz .LBB62_149
; %bb.148:
	v_mov_b32_e32 v221, 8
	ds_write2_b32 v214, v9, v10 offset0:9 offset1:10
	ds_write2_b32 v214, v11, v12 offset0:11 offset1:12
	ds_write2_b32 v214, v13, v14 offset0:13 offset1:14
	ds_write2_b32 v214, v15, v16 offset0:15 offset1:16
	ds_write2_b32 v214, v17, v18 offset0:17 offset1:18
	ds_write2_b32 v214, v19, v20 offset0:19 offset1:20
	ds_write2_b32 v214, v21, v22 offset0:21 offset1:22
	ds_write2_b32 v214, v23, v24 offset0:23 offset1:24
	ds_write2_b32 v214, v25, v26 offset0:25 offset1:26
	ds_write2_b32 v214, v27, v28 offset0:27 offset1:28
	ds_write2_b32 v214, v29, v30 offset0:29 offset1:30
	ds_write_b32 v214, v255 offset:124
.LBB62_149:
	s_or_b64 exec, exec, s[0:1]
	v_cmp_lt_i32_e32 vcc, 8, v221
	s_waitcnt lgkmcnt(0)
	s_barrier
	s_and_saveexec_b64 s[0:1], vcc
	s_cbranch_execz .LBB62_151
; %bb.150:
	scratch_load_dwordx4 v[76:79], off, off offset:2468 ; 16-byte Folded Reload
	scratch_load_dwordx4 v[80:83], off, off offset:2484 ; 16-byte Folded Reload
	;; [unrolled: 1-line block ×8, first 2 shown]
	scratch_load_dwordx2 v[0:1], off, off offset:1296 ; 8-byte Folded Reload
	v_mov_b32_e32 v2, v9
	v_mov_b32_e32 v3, v10
	s_waitcnt vmcnt(0)
	v_mul_f32_e32 v84, v1, v74
	ds_read2_b32 v[0:1], v214 offset0:9 offset1:10
	ds_read2_b32 v[4:5], v214 offset0:11 offset1:12
	;; [unrolled: 1-line block ×4, first 2 shown]
	v_mov_b64_e32 v[158:159], v[106:107]
	v_mov_b64_e32 v[154:155], v[102:103]
	;; [unrolled: 1-line block ×3, first 2 shown]
	s_waitcnt lgkmcnt(3)
	v_pk_fma_f32 v[118:119], v[84:85], v[0:1], v[2:3] op_sel_hi:[0,1,1] neg_lo:[1,0,0] neg_hi:[1,0,0]
	v_mov_b32_e32 v0, v11
	v_mov_b32_e32 v1, v12
	s_waitcnt lgkmcnt(2)
	v_pk_fma_f32 v[192:193], v[84:85], v[4:5], v[0:1] op_sel_hi:[0,1,1] neg_lo:[1,0,0] neg_hi:[1,0,0]
	v_mov_b32_e32 v0, v13
	v_mov_b32_e32 v1, v14
	;; [unrolled: 4-line block ×3, first 2 shown]
	s_waitcnt lgkmcnt(0)
	v_pk_fma_f32 v[38:39], v[84:85], v[8:9], v[0:1] op_sel_hi:[0,1,1] neg_lo:[1,0,0] neg_hi:[1,0,0]
	ds_read2_b32 v[0:1], v214 offset0:17 offset1:18
	ds_read2_b32 v[4:5], v214 offset0:19 offset1:20
	;; [unrolled: 1-line block ×4, first 2 shown]
	v_mov_b32_e32 v2, v17
	v_mov_b32_e32 v3, v18
	v_mov_b64_e32 v[136:137], v[84:85]
	s_waitcnt lgkmcnt(3)
	v_pk_fma_f32 v[36:37], v[84:85], v[0:1], v[2:3] op_sel_hi:[0,1,1] neg_lo:[1,0,0] neg_hi:[1,0,0]
	v_mov_b32_e32 v0, v19
	v_mov_b32_e32 v1, v20
	s_waitcnt lgkmcnt(2)
	v_pk_fma_f32 v[34:35], v[84:85], v[4:5], v[0:1] op_sel_hi:[0,1,1] neg_lo:[1,0,0] neg_hi:[1,0,0]
	v_mov_b32_e32 v0, v21
	v_mov_b32_e32 v1, v22
	;; [unrolled: 4-line block ×3, first 2 shown]
	s_waitcnt lgkmcnt(0)
	v_pk_fma_f32 v[204:205], v[84:85], v[8:9], v[0:1] op_sel_hi:[0,1,1] neg_lo:[1,0,0] neg_hi:[1,0,0]
	ds_read2_b32 v[0:1], v214 offset0:25 offset1:26
	ds_read2_b32 v[4:5], v214 offset0:27 offset1:28
	;; [unrolled: 1-line block ×3, first 2 shown]
	ds_read_b32 v8, v214 offset:124
	v_mov_b32_e32 v2, v25
	v_mov_b32_e32 v3, v26
	v_mov_b64_e32 v[128:129], v[76:77]
	s_waitcnt lgkmcnt(3)
	v_pk_fma_f32 v[210:211], v[84:85], v[0:1], v[2:3] op_sel_hi:[0,1,1] neg_lo:[1,0,0] neg_hi:[1,0,0]
	v_mov_b32_e32 v0, v27
	v_mov_b32_e32 v1, v28
	s_waitcnt lgkmcnt(2)
	v_pk_fma_f32 v[208:209], v[84:85], v[4:5], v[0:1] op_sel_hi:[0,1,1] neg_lo:[1,0,0] neg_hi:[1,0,0]
	v_mov_b32_e32 v0, v29
	v_mov_b32_e32 v1, v30
	s_waitcnt lgkmcnt(1)
	v_pk_fma_f32 v[218:219], v[84:85], v[6:7], v[0:1] op_sel_hi:[0,1,1] neg_lo:[1,0,0] neg_hi:[1,0,0]
	s_waitcnt lgkmcnt(0)
	v_fma_f32 v255, -v84, v8, v255
	v_mov_b64_e32 v[156:157], v[104:105]
	v_mov_b64_e32 v[152:153], v[100:101]
	;; [unrolled: 1-line block ×11, first 2 shown]
	v_mov_b32_e32 v137, v118
	v_mov_b32_e32 v11, v139
	v_mov_b64_e32 v[0:1], v[128:129]
	v_mov_b32_e32 v27, v155
	v_mov_b32_e32 v12, v140
	;; [unrolled: 1-line block ×16, first 2 shown]
	v_mov_b64_e32 v[2:3], v[130:131]
	v_mov_b64_e32 v[4:5], v[132:133]
	;; [unrolled: 1-line block ×4, first 2 shown]
	v_mov_b32_e32 v28, v156
	v_mov_b32_e32 v29, v157
	;; [unrolled: 1-line block ×4, first 2 shown]
	scratch_store_dwordx4 off, v[0:3], off offset:2212 ; 16-byte Folded Spill
	s_nop 0
	scratch_store_dwordx4 off, v[4:7], off offset:2228 ; 16-byte Folded Spill
	scratch_store_dwordx4 off, v[8:11], off offset:2244 ; 16-byte Folded Spill
	;; [unrolled: 1-line block ×7, first 2 shown]
	v_mov_b32_e32 v138, v119
	v_mov_b64_e32 v[12:13], v[140:141]
	v_mov_b32_e32 v0, v128
	v_mov_b64_e32 v[28:29], v[156:157]
	v_mov_b64_e32 v[14:15], v[142:143]
	;; [unrolled: 1-line block ×8, first 2 shown]
	v_mov_b32_e32 v1, v129
	v_mov_b32_e32 v2, v130
	;; [unrolled: 1-line block ×10, first 2 shown]
	v_mov_b64_e32 v[30:31], v[158:159]
	scratch_store_dwordx4 off, v[0:3], off offset:2084 ; 16-byte Folded Spill
	s_nop 0
	scratch_store_dwordx4 off, v[4:7], off offset:2100 ; 16-byte Folded Spill
	scratch_store_dwordx4 off, v[8:11], off offset:2116 ; 16-byte Folded Spill
	;; [unrolled: 1-line block ×7, first 2 shown]
	v_mov_b32_e32 v139, v192
	v_mov_b32_e32 v13, v141
	v_mov_b64_e32 v[0:1], v[128:129]
	v_mov_b32_e32 v29, v157
	v_mov_b32_e32 v14, v142
	;; [unrolled: 1-line block ×16, first 2 shown]
	v_mov_b64_e32 v[2:3], v[130:131]
	v_mov_b64_e32 v[4:5], v[132:133]
	;; [unrolled: 1-line block ×5, first 2 shown]
	v_mov_b32_e32 v30, v158
	v_mov_b32_e32 v31, v159
	scratch_store_dwordx4 off, v[0:3], off offset:1948 ; 16-byte Folded Spill
	s_nop 0
	scratch_store_dwordx4 off, v[4:7], off offset:1964 ; 16-byte Folded Spill
	scratch_store_dwordx4 off, v[8:11], off offset:1980 ; 16-byte Folded Spill
	;; [unrolled: 1-line block ×7, first 2 shown]
	v_mov_b64_e32 v[14:15], v[142:143]
	v_mov_b64_e32 v[16:17], v[144:145]
	;; [unrolled: 1-line block ×9, first 2 shown]
	v_mov_b32_e32 v12, v193
	v_mov_b32_e32 v140, v193
	;; [unrolled: 1-line block ×4, first 2 shown]
	v_mov_b64_e32 v[216:217], v[36:37]
	v_mov_b64_e32 v[64:65], v[34:35]
	scratch_store_dwordx4 off, v[0:3], off offset:1820 ; 16-byte Folded Spill
	s_nop 0
	scratch_store_dwordx4 off, v[4:7], off offset:1836 ; 16-byte Folded Spill
	scratch_store_dwordx4 off, v[8:11], off offset:1852 ; 16-byte Folded Spill
	;; [unrolled: 1-line block ×7, first 2 shown]
	v_mov_b32_e32 v15, v143
	v_mov_b32_e32 v16, v144
	;; [unrolled: 1-line block ×16, first 2 shown]
	v_mov_b64_e32 v[12:13], v[140:141]
	v_mov_b32_e32 v31, v159
	scratch_store_dwordx4 off, v[0:3], off offset:1692 ; 16-byte Folded Spill
	s_nop 0
	scratch_store_dwordx4 off, v[4:7], off offset:1708 ; 16-byte Folded Spill
	scratch_store_dwordx4 off, v[8:11], off offset:1724 ; 16-byte Folded Spill
	scratch_store_dwordx4 off, v[12:15], off offset:1740 ; 16-byte Folded Spill
	scratch_store_dwordx4 off, v[16:19], off offset:1756 ; 16-byte Folded Spill
	scratch_store_dwordx4 off, v[20:23], off offset:1772 ; 16-byte Folded Spill
	scratch_store_dwordx4 off, v[24:27], off offset:1788 ; 16-byte Folded Spill
	scratch_store_dwordx4 off, v[28:31], off offset:1804 ; 16-byte Folded Spill
	scratch_store_dwordx2 off, v[32:33], off offset:520 ; 8-byte Folded Spill
	v_mov_b64_e32 v[16:17], v[144:145]
	v_mov_b32_e32 v12, v140
	v_mov_b64_e32 v[18:19], v[146:147]
	v_mov_b64_e32 v[20:21], v[148:149]
	;; [unrolled: 1-line block ×7, first 2 shown]
	v_mov_b32_e32 v13, v141
	v_mov_b32_e32 v14, v142
	;; [unrolled: 1-line block ×4, first 2 shown]
	v_mov_b64_e32 v[60:61], v[156:157]
	scratch_store_dwordx4 off, v[0:3], off offset:1564 ; 16-byte Folded Spill
	s_nop 0
	scratch_store_dwordx4 off, v[4:7], off offset:1580 ; 16-byte Folded Spill
	scratch_store_dwordx4 off, v[8:11], off offset:1596 ; 16-byte Folded Spill
	;; [unrolled: 1-line block ×7, first 2 shown]
	v_mov_b64_e32 v[0:1], v[128:129]
	v_mov_b32_e32 v17, v145
	v_mov_b32_e32 v29, v157
	v_mov_b64_e32 v[2:3], v[130:131]
	v_mov_b64_e32 v[4:5], v[132:133]
	;; [unrolled: 1-line block ×7, first 2 shown]
	v_mov_b32_e32 v18, v146
	v_mov_b32_e32 v19, v147
	v_mov_b32_e32 v20, v148
	v_mov_b32_e32 v21, v149
	v_mov_b32_e32 v22, v150
	v_mov_b32_e32 v23, v151
	v_mov_b32_e32 v24, v152
	v_mov_b32_e32 v25, v153
	v_mov_b32_e32 v26, v154
	v_mov_b32_e32 v27, v155
	v_mov_b32_e32 v28, v156
	v_mov_b32_e32 v30, v158
	v_mov_b32_e32 v31, v159
	scratch_store_dwordx4 off, v[0:3], off offset:1436 ; 16-byte Folded Spill
	s_nop 0
	scratch_store_dwordx4 off, v[4:7], off offset:1452 ; 16-byte Folded Spill
	scratch_store_dwordx4 off, v[8:11], off offset:1468 ; 16-byte Folded Spill
	;; [unrolled: 1-line block ×7, first 2 shown]
	scratch_store_dwordx2 off, v[38:39], off offset:256 ; 8-byte Folded Spill
	v_mov_b64_e32 v[18:19], v[146:147]
	v_mov_b64_e32 v[20:21], v[148:149]
	;; [unrolled: 1-line block ×7, first 2 shown]
	v_mov_b32_e32 v16, v39
	v_mov_b32_e32 v145, v36
	;; [unrolled: 1-line block ×3, first 2 shown]
	v_mov_b64_e32 v[62:63], v[158:159]
	scratch_store_dwordx4 off, v[0:3], off offset:1308 ; 16-byte Folded Spill
	s_nop 0
	scratch_store_dwordx4 off, v[4:7], off offset:1324 ; 16-byte Folded Spill
	scratch_store_dwordx4 off, v[8:11], off offset:1340 ; 16-byte Folded Spill
	;; [unrolled: 1-line block ×7, first 2 shown]
	v_mov_b32_e32 v19, v147
	v_mov_b32_e32 v20, v148
	;; [unrolled: 1-line block ×12, first 2 shown]
	v_mov_b64_e32 v[16:17], v[144:145]
	v_mov_b32_e32 v31, v159
	v_mov_b32_e32 v147, v34
	scratch_store_dwordx4 off, v[0:3], off offset:1168 ; 16-byte Folded Spill
	s_nop 0
	scratch_store_dwordx4 off, v[4:7], off offset:1184 ; 16-byte Folded Spill
	scratch_store_dwordx4 off, v[8:11], off offset:1200 ; 16-byte Folded Spill
	;; [unrolled: 1-line block ×7, first 2 shown]
	v_mov_b64_e32 v[20:21], v[148:149]
	v_mov_b32_e32 v16, v144
	v_mov_b64_e32 v[22:23], v[150:151]
	v_mov_b64_e32 v[24:25], v[152:153]
	;; [unrolled: 1-line block ×5, first 2 shown]
	v_mov_b32_e32 v17, v145
	v_mov_b32_e32 v18, v146
	;; [unrolled: 1-line block ×3, first 2 shown]
	v_mov_b64_e32 v[32:33], v[128:129]
	v_mov_b64_e32 v[34:35], v[130:131]
	;; [unrolled: 1-line block ×5, first 2 shown]
	scratch_store_dwordx4 off, v[0:3], off offset:1040 ; 16-byte Folded Spill
	s_nop 0
	scratch_store_dwordx4 off, v[4:7], off offset:1056 ; 16-byte Folded Spill
	scratch_store_dwordx4 off, v[8:11], off offset:1072 ; 16-byte Folded Spill
	;; [unrolled: 1-line block ×7, first 2 shown]
	v_mov_b32_e32 v21, v149
	v_mov_b64_e32 v[16:17], v[144:145]
	v_mov_b32_e32 v22, v150
	v_mov_b32_e32 v23, v151
	;; [unrolled: 1-line block ×10, first 2 shown]
	v_mov_b64_e32 v[18:19], v[146:147]
	v_mov_b32_e32 v149, v206
	v_mov_b64_e32 v[42:43], v[138:139]
	scratch_store_dwordx4 off, v[0:3], off offset:912 ; 16-byte Folded Spill
	s_nop 0
	scratch_store_dwordx4 off, v[4:7], off offset:928 ; 16-byte Folded Spill
	scratch_store_dwordx4 off, v[8:11], off offset:944 ; 16-byte Folded Spill
	;; [unrolled: 1-line block ×7, first 2 shown]
	v_mov_b64_e32 v[22:23], v[150:151]
	v_mov_b32_e32 v16, v144
	v_mov_b64_e32 v[24:25], v[152:153]
	v_mov_b64_e32 v[26:27], v[154:155]
	v_mov_b64_e32 v[28:29], v[156:157]
	v_mov_b64_e32 v[30:31], v[158:159]
	v_mov_b32_e32 v17, v145
	v_mov_b32_e32 v18, v146
	;; [unrolled: 1-line block ×5, first 2 shown]
	v_mov_b64_e32 v[44:45], v[140:141]
	v_mov_b64_e32 v[46:47], v[142:143]
	scratch_store_dwordx4 off, v[0:3], off offset:784 ; 16-byte Folded Spill
	s_nop 0
	scratch_store_dwordx4 off, v[4:7], off offset:800 ; 16-byte Folded Spill
	scratch_store_dwordx4 off, v[8:11], off offset:816 ; 16-byte Folded Spill
	;; [unrolled: 1-line block ×7, first 2 shown]
	v_mov_b32_e32 v23, v151
	v_mov_b64_e32 v[16:17], v[144:145]
	v_mov_b32_e32 v24, v152
	v_mov_b32_e32 v25, v153
	;; [unrolled: 1-line block ×8, first 2 shown]
	v_mov_b64_e32 v[18:19], v[146:147]
	v_mov_b64_e32 v[20:21], v[148:149]
	v_mov_b32_e32 v151, v204
	scratch_store_dwordx4 off, v[0:3], off offset:656 ; 16-byte Folded Spill
	s_nop 0
	scratch_store_dwordx4 off, v[4:7], off offset:672 ; 16-byte Folded Spill
	scratch_store_dwordx4 off, v[8:11], off offset:688 ; 16-byte Folded Spill
	;; [unrolled: 1-line block ×7, first 2 shown]
	s_nop 0
	v_mov_b64_e32 v[24:25], v[152:153]
	v_mov_b32_e32 v16, v144
	v_mov_b64_e32 v[26:27], v[154:155]
	v_mov_b64_e32 v[28:29], v[156:157]
	;; [unrolled: 1-line block ×3, first 2 shown]
	v_mov_b32_e32 v17, v145
	v_mov_b32_e32 v18, v146
	;; [unrolled: 1-line block ×7, first 2 shown]
	scratch_store_dwordx4 off, v[0:3], off offset:528 ; 16-byte Folded Spill
	s_nop 0
	scratch_store_dwordx4 off, v[4:7], off offset:544 ; 16-byte Folded Spill
	scratch_store_dwordx4 off, v[8:11], off offset:560 ; 16-byte Folded Spill
	scratch_store_dwordx4 off, v[12:15], off offset:576 ; 16-byte Folded Spill
	scratch_store_dwordx4 off, v[16:19], off offset:592 ; 16-byte Folded Spill
	scratch_store_dwordx4 off, v[20:23], off offset:608 ; 16-byte Folded Spill
	scratch_store_dwordx4 off, v[24:27], off offset:624 ; 16-byte Folded Spill
	scratch_store_dwordx4 off, v[28:31], off offset:640 ; 16-byte Folded Spill
	v_mov_b64_e32 v[16:17], v[144:145]
	v_mov_b32_e32 v25, v153
	v_mov_b64_e32 v[18:19], v[146:147]
	v_mov_b64_e32 v[20:21], v[148:149]
	;; [unrolled: 1-line block ×3, first 2 shown]
	v_mov_b32_e32 v26, v154
	v_mov_b32_e32 v27, v155
	;; [unrolled: 1-line block ×7, first 2 shown]
	scratch_store_dwordx4 off, v[0:3], off offset:392 ; 16-byte Folded Spill
	s_nop 0
	scratch_store_dwordx4 off, v[4:7], off offset:408 ; 16-byte Folded Spill
	scratch_store_dwordx4 off, v[8:11], off offset:424 ; 16-byte Folded Spill
	;; [unrolled: 1-line block ×7, first 2 shown]
	v_mov_b32_e32 v16, v144
	v_mov_b64_e32 v[26:27], v[154:155]
	v_mov_b32_e32 v17, v145
	v_mov_b32_e32 v18, v146
	;; [unrolled: 1-line block ×8, first 2 shown]
	v_mov_b64_e32 v[28:29], v[156:157]
	v_mov_b64_e32 v[30:31], v[158:159]
	v_mov_b32_e32 v154, v211
	v_mov_b32_e32 v48, v144
	v_mov_b32_e32 v49, v145
	scratch_store_dwordx4 off, v[0:3], off offset:264 ; 16-byte Folded Spill
	s_nop 0
	scratch_store_dwordx4 off, v[4:7], off offset:280 ; 16-byte Folded Spill
	scratch_store_dwordx4 off, v[8:11], off offset:296 ; 16-byte Folded Spill
	;; [unrolled: 1-line block ×7, first 2 shown]
	v_mov_b64_e32 v[16:17], v[144:145]
	v_mov_b32_e32 v27, v155
	v_mov_b64_e32 v[18:19], v[146:147]
	v_mov_b64_e32 v[20:21], v[148:149]
	;; [unrolled: 1-line block ×4, first 2 shown]
	v_mov_b32_e32 v28, v156
	v_mov_b32_e32 v29, v157
	;; [unrolled: 1-line block ×5, first 2 shown]
	v_mov_b64_e32 v[252:253], v[158:159]
	v_mov_b64_e32 v[250:251], v[156:157]
	;; [unrolled: 1-line block ×3, first 2 shown]
	v_mov_b32_e32 v50, v146
	scratch_store_dwordx4 off, v[0:3], off offset:128 ; 16-byte Folded Spill
	s_nop 0
	scratch_store_dwordx4 off, v[4:7], off offset:144 ; 16-byte Folded Spill
	scratch_store_dwordx4 off, v[8:11], off offset:160 ; 16-byte Folded Spill
	;; [unrolled: 1-line block ×7, first 2 shown]
	v_mov_b32_e32 v51, v147
	v_mov_b32_e32 v52, v148
	v_mov_b32_e32 v53, v149
	v_mov_b32_e32 v54, v150
	v_mov_b32_e32 v55, v151
	v_mov_b32_e32 v56, v152
	v_mov_b32_e32 v57, v153
	v_mov_b32_e32 v58, v154
	v_mov_b64_e32 v[248:249], v[154:155]
	v_mov_b64_e32 v[246:247], v[152:153]
	;; [unrolled: 1-line block ×13, first 2 shown]
	v_mov_b32_e32 v250, v209
	v_mov_b64_e32 v[0:1], v[222:223]
	scratch_store_dwordx4 off, v[32:35], off ; 16-byte Folded Spill
	s_nop 0
	scratch_store_dwordx4 off, v[36:39], off offset:16 ; 16-byte Folded Spill
	scratch_store_dwordx4 off, v[40:43], off offset:32 ; 16-byte Folded Spill
	;; [unrolled: 1-line block ×7, first 2 shown]
	v_mov_b64_e32 v[14:15], v[236:237]
	v_mov_b64_e32 v[26:27], v[248:249]
	;; [unrolled: 1-line block ×15, first 2 shown]
	v_mov_b32_e32 v29, v218
	v_mov_b64_e32 v[46:47], v[14:15]
	v_mov_b64_e32 v[58:59], v[26:27]
	;; [unrolled: 1-line block ×15, first 2 shown]
	v_mov_b32_e32 v30, v219
	v_mov_b32_e32 v31, v255
	scratch_store_dwordx4 off, v[76:79], off offset:2340 ; 16-byte Folded Spill
	s_nop 0
	scratch_store_dwordx4 off, v[80:83], off offset:2356 ; 16-byte Folded Spill
	scratch_store_dwordx4 off, v[84:87], off offset:2372 ; 16-byte Folded Spill
	;; [unrolled: 1-line block ×7, first 2 shown]
.LBB62_151:
	s_or_b64 exec, exec, s[0:1]
	v_lshl_add_u32 v62, v221, 2, v214
	s_waitcnt vmcnt(63) expcnt(7) lgkmcnt(15)
	s_barrier
	ds_write_b32 v62, v118
	s_waitcnt lgkmcnt(0)
	s_barrier
	ds_read_b32 v74, v214 offset:36
	s_cmp_lt_i32 s22, 11
	v_mov_b32_e32 v62, 9
	s_cbranch_scc1 .LBB62_191
; %bb.152:
	v_add3_u32 v63, v215, 0, 40
	v_mov_b32_e32 v62, 9
	s_mov_b32 s0, 10
	v_mov_b64_e32 v[100:101], v[64:65]
.LBB62_153:                             ; =>This Inner Loop Header: Depth=1
	ds_read_b32 v96, v63
	v_add_u32_e32 v63, 4, v63
	s_waitcnt lgkmcnt(0)
	v_cmp_lt_f32_e64 vcc, |v74|, |v96|
	s_nop 1
	v_cndmask_b32_e32 v74, v74, v96, vcc
	v_mov_b32_e32 v96, s0
	s_add_i32 s0, s0, 1
	v_cndmask_b32_e32 v62, v62, v96, vcc
	s_cmp_lg_u32 s22, s0
	s_cbranch_scc1 .LBB62_153
; %bb.154:
	v_cmp_eq_f32_e32 vcc, 0, v74
	s_and_saveexec_b64 s[0:1], vcc
	s_xor_b64 s[0:1], exec, s[0:1]
.LBB62_155:
	v_cmp_ne_u32_e32 vcc, 0, v220
	s_nop 1
	v_cndmask_b32_e32 v220, 10, v220, vcc
.LBB62_156:
	s_andn2_saveexec_b64 s[0:1], s[0:1]
	s_cbranch_execz .LBB62_158
; %bb.157:
	v_div_scale_f32 v63, s[2:3], v74, v74, 1.0
	v_rcp_f32_e32 v96, v63
	v_div_scale_f32 v97, vcc, 1.0, v74, 1.0
	v_fma_f32 v98, -v63, v96, 1.0
	v_fmac_f32_e32 v96, v98, v96
	v_mul_f32_e32 v98, v97, v96
	v_fma_f32 v99, -v63, v98, v97
	v_fmac_f32_e32 v98, v99, v96
	v_fma_f32 v63, -v63, v98, v97
	v_div_fmas_f32 v63, v63, v96, v98
	v_div_fixup_f32 v74, v63, v74, 1.0
.LBB62_158:
	s_or_b64 exec, exec, s[0:1]
	v_cmp_ne_u32_e32 vcc, v221, v62
	s_and_saveexec_b64 s[0:1], vcc
	s_xor_b64 s[0:1], exec, s[0:1]
	s_cbranch_execz .LBB62_164
; %bb.159:
	v_cmp_eq_u32_e32 vcc, 9, v221
	s_and_saveexec_b64 s[2:3], vcc
	s_cbranch_execz .LBB62_163
; %bb.160:
	v_cmp_ne_u32_e32 vcc, 9, v62
	s_xor_b64 s[18:19], s[16:17], -1
	s_and_b64 s[20:21], s[18:19], vcc
	s_and_saveexec_b64 s[18:19], s[20:21]
	s_cbranch_execz .LBB62_162
; %bb.161:
	scratch_load_dwordx2 v[102:103], off, off offset:2076 ; 8-byte Folded Reload
	v_ashrrev_i32_e32 v63, 31, v62
	s_waitcnt vmcnt(0)
	v_lshl_add_u64 v[96:97], v[62:63], 2, v[102:103]
	global_load_dword v63, v[96:97], off
	global_load_dword v98, v[102:103], off offset:36
	s_waitcnt vmcnt(1)
	global_store_dword v[102:103], v63, off offset:36
	s_waitcnt vmcnt(1)
	global_store_dword v[96:97], v98, off
.LBB62_162:
	s_or_b64 exec, exec, s[18:19]
	v_mov_b32_e32 v63, v62
	v_mov_b32_e32 v221, v62
	scratch_store_dword off, v63, off offset:1304 ; 4-byte Folded Spill
.LBB62_163:
	s_or_b64 exec, exec, s[2:3]
.LBB62_164:
	s_andn2_saveexec_b64 s[0:1], s[0:1]
	s_cbranch_execz .LBB62_166
; %bb.165:
	v_mov_b32_e32 v221, 9
	ds_write2_b32 v214, v10, v11 offset0:10 offset1:11
	ds_write2_b32 v214, v12, v13 offset0:12 offset1:13
	;; [unrolled: 1-line block ×11, first 2 shown]
.LBB62_166:
	s_or_b64 exec, exec, s[0:1]
	v_cmp_lt_i32_e32 vcc, 9, v221
	s_waitcnt lgkmcnt(0)
	s_barrier
	s_and_saveexec_b64 s[0:1], vcc
	s_cbranch_execz .LBB62_168
; %bb.167:
	ds_read2_b32 v[0:1], v214 offset0:10 offset1:11
	ds_read2_b32 v[2:3], v214 offset0:12 offset1:13
	;; [unrolled: 1-line block ×3, first 2 shown]
	v_mul_f32_e32 v6, v118, v74
	ds_read2_b32 v[8:9], v214 offset0:16 offset1:17
	s_waitcnt lgkmcnt(3)
	v_pk_fma_f32 v[96:97], v[6:7], v[0:1], v[10:11] op_sel_hi:[0,1,1] neg_lo:[1,0,0] neg_hi:[1,0,0]
	s_waitcnt lgkmcnt(2)
	v_pk_fma_f32 v[98:99], v[6:7], v[2:3], v[12:13] op_sel_hi:[0,1,1] neg_lo:[1,0,0] neg_hi:[1,0,0]
	ds_read2_b32 v[0:1], v214 offset0:18 offset1:19
	ds_read2_b32 v[2:3], v214 offset0:20 offset1:21
	s_waitcnt lgkmcnt(3)
	v_pk_fma_f32 v[100:101], v[6:7], v[4:5], v[14:15] op_sel_hi:[0,1,1] neg_lo:[1,0,0] neg_hi:[1,0,0]
	s_waitcnt lgkmcnt(2)
	v_pk_fma_f32 v[102:103], v[6:7], v[8:9], v[16:17] op_sel_hi:[0,1,1] neg_lo:[1,0,0] neg_hi:[1,0,0]
	ds_read2_b32 v[4:5], v214 offset0:22 offset1:23
	ds_read2_b32 v[8:9], v214 offset0:24 offset1:25
	s_waitcnt lgkmcnt(3)
	v_pk_fma_f32 v[104:105], v[6:7], v[0:1], v[18:19] op_sel_hi:[0,1,1] neg_lo:[1,0,0] neg_hi:[1,0,0]
	s_waitcnt lgkmcnt(2)
	v_pk_fma_f32 v[106:107], v[6:7], v[2:3], v[20:21] op_sel_hi:[0,1,1] neg_lo:[1,0,0] neg_hi:[1,0,0]
	ds_read2_b32 v[0:1], v214 offset0:26 offset1:27
	ds_read2_b32 v[2:3], v214 offset0:28 offset1:29
	ds_read2_b32 v[10:11], v214 offset0:30 offset1:31
	scratch_load_dwordx4 v[64:67], off, off offset:2340 ; 16-byte Folded Reload
	scratch_load_dwordx4 v[68:71], off, off offset:2356 ; 16-byte Folded Reload
	scratch_load_dwordx4 v[72:75], off, off offset:2372 ; 16-byte Folded Reload
	scratch_load_dwordx4 v[76:79], off, off offset:2388 ; 16-byte Folded Reload
	scratch_load_dwordx4 v[80:83], off, off offset:2404 ; 16-byte Folded Reload
	scratch_load_dwordx4 v[84:87], off, off offset:2420 ; 16-byte Folded Reload
	scratch_load_dwordx4 v[88:91], off, off offset:2436 ; 16-byte Folded Reload
	scratch_load_dwordx4 v[92:95], off, off offset:2452 ; 16-byte Folded Reload
	s_waitcnt vmcnt(5)
	v_mov_b32_e32 v73, v6
	s_waitcnt lgkmcnt(4)
	v_pk_fma_f32 v[108:109], v[6:7], v[4:5], v[22:23] op_sel_hi:[0,1,1] neg_lo:[1,0,0] neg_hi:[1,0,0]
	s_waitcnt lgkmcnt(3)
	v_pk_fma_f32 v[110:111], v[6:7], v[8:9], v[24:25] op_sel_hi:[0,1,1] neg_lo:[1,0,0] neg_hi:[1,0,0]
	s_waitcnt lgkmcnt(2)
	v_pk_fma_f32 v[112:113], v[6:7], v[0:1], v[26:27] op_sel_hi:[0,1,1] neg_lo:[1,0,0] neg_hi:[1,0,0]
	s_waitcnt lgkmcnt(1)
	v_pk_fma_f32 v[114:115], v[6:7], v[2:3], v[28:29] op_sel_hi:[0,1,1] neg_lo:[1,0,0] neg_hi:[1,0,0]
	s_waitcnt lgkmcnt(0)
	v_pk_fma_f32 v[254:255], v[6:7], v[10:11], v[30:31] op_sel_hi:[0,1,1] neg_lo:[1,0,0] neg_hi:[1,0,0]
	v_mov_b32_e32 v119, v96
	v_mov_b32_e32 v192, v97
	;; [unrolled: 1-line block ×15, first 2 shown]
	s_waitcnt vmcnt(0)
	v_mov_b64_e32 v[158:159], v[94:95]
	v_mov_b64_e32 v[156:157], v[92:93]
	;; [unrolled: 1-line block ×16, first 2 shown]
	v_mov_b32_e32 v138, v96
	v_mov_b64_e32 v[12:13], v[140:141]
	v_mov_b32_e32 v0, v128
	v_mov_b64_e32 v[28:29], v[156:157]
	v_mov_b64_e32 v[14:15], v[142:143]
	;; [unrolled: 1-line block ×8, first 2 shown]
	v_mov_b32_e32 v1, v129
	v_mov_b32_e32 v2, v130
	;; [unrolled: 1-line block ×10, first 2 shown]
	v_mov_b64_e32 v[30:31], v[158:159]
	scratch_store_dwordx4 off, v[0:3], off offset:2084 ; 16-byte Folded Spill
	s_nop 0
	scratch_store_dwordx4 off, v[4:7], off offset:2100 ; 16-byte Folded Spill
	scratch_store_dwordx4 off, v[8:11], off offset:2116 ; 16-byte Folded Spill
	scratch_store_dwordx4 off, v[12:15], off offset:2132 ; 16-byte Folded Spill
	scratch_store_dwordx4 off, v[16:19], off offset:2148 ; 16-byte Folded Spill
	scratch_store_dwordx4 off, v[20:23], off offset:2164 ; 16-byte Folded Spill
	scratch_store_dwordx4 off, v[24:27], off offset:2180 ; 16-byte Folded Spill
	scratch_store_dwordx4 off, v[28:31], off offset:2196 ; 16-byte Folded Spill
	v_mov_b32_e32 v139, v97
	v_mov_b32_e32 v13, v141
	v_mov_b64_e32 v[0:1], v[128:129]
	v_mov_b32_e32 v29, v157
	v_mov_b32_e32 v14, v142
	;; [unrolled: 1-line block ×16, first 2 shown]
	v_mov_b64_e32 v[2:3], v[130:131]
	v_mov_b64_e32 v[4:5], v[132:133]
	v_mov_b64_e32 v[6:7], v[134:135]
	v_mov_b64_e32 v[8:9], v[136:137]
	v_mov_b64_e32 v[10:11], v[138:139]
	v_mov_b32_e32 v30, v158
	v_mov_b32_e32 v31, v159
	;; [unrolled: 1-line block ×4, first 2 shown]
	v_mov_b64_e32 v[60:61], v[156:157]
	v_mov_b64_e32 v[62:63], v[158:159]
	scratch_store_dwordx4 off, v[0:3], off offset:1948 ; 16-byte Folded Spill
	s_nop 0
	scratch_store_dwordx4 off, v[4:7], off offset:1964 ; 16-byte Folded Spill
	scratch_store_dwordx4 off, v[8:11], off offset:1980 ; 16-byte Folded Spill
	;; [unrolled: 1-line block ×7, first 2 shown]
	v_mov_b64_e32 v[14:15], v[142:143]
	v_mov_b64_e32 v[16:17], v[144:145]
	;; [unrolled: 1-line block ×9, first 2 shown]
	v_mov_b32_e32 v12, v98
	v_mov_b32_e32 v142, v100
	scratch_store_dwordx4 off, v[0:3], off offset:1820 ; 16-byte Folded Spill
	s_nop 0
	scratch_store_dwordx4 off, v[4:7], off offset:1836 ; 16-byte Folded Spill
	scratch_store_dwordx4 off, v[8:11], off offset:1852 ; 16-byte Folded Spill
	;; [unrolled: 1-line block ×7, first 2 shown]
	v_mov_b32_e32 v15, v143
	v_mov_b32_e32 v16, v144
	;; [unrolled: 1-line block ×16, first 2 shown]
	v_mov_b64_e32 v[12:13], v[140:141]
	v_mov_b32_e32 v31, v159
	v_mov_b32_e32 v143, v101
	v_mov_b64_e32 v[32:33], v[128:129]
	v_mov_b64_e32 v[34:35], v[130:131]
	v_mov_b64_e32 v[36:37], v[132:133]
	v_mov_b64_e32 v[38:39], v[134:135]
	v_mov_b64_e32 v[40:41], v[136:137]
	v_mov_b64_e32 v[42:43], v[138:139]
	v_mov_b64_e32 v[44:45], v[140:141]
	v_mov_b64_e32 v[46:47], v[142:143]
	scratch_store_dwordx4 off, v[0:3], off offset:1692 ; 16-byte Folded Spill
	s_nop 0
	scratch_store_dwordx4 off, v[4:7], off offset:1708 ; 16-byte Folded Spill
	scratch_store_dwordx4 off, v[8:11], off offset:1724 ; 16-byte Folded Spill
	;; [unrolled: 1-line block ×7, first 2 shown]
	v_mov_b64_e32 v[16:17], v[144:145]
	v_mov_b32_e32 v12, v140
	v_mov_b64_e32 v[18:19], v[146:147]
	v_mov_b64_e32 v[20:21], v[148:149]
	;; [unrolled: 1-line block ×7, first 2 shown]
	v_mov_b32_e32 v13, v141
	v_mov_b32_e32 v14, v142
	v_mov_b32_e32 v144, v102
	scratch_store_dwordx4 off, v[0:3], off offset:1564 ; 16-byte Folded Spill
	s_nop 0
	scratch_store_dwordx4 off, v[4:7], off offset:1580 ; 16-byte Folded Spill
	scratch_store_dwordx4 off, v[8:11], off offset:1596 ; 16-byte Folded Spill
	scratch_store_dwordx4 off, v[12:15], off offset:1612 ; 16-byte Folded Spill
	scratch_store_dwordx4 off, v[16:19], off offset:1628 ; 16-byte Folded Spill
	scratch_store_dwordx4 off, v[20:23], off offset:1644 ; 16-byte Folded Spill
	scratch_store_dwordx4 off, v[24:27], off offset:1660 ; 16-byte Folded Spill
	scratch_store_dwordx4 off, v[28:31], off offset:1676 ; 16-byte Folded Spill
	v_mov_b64_e32 v[0:1], v[128:129]
	v_mov_b32_e32 v17, v145
	v_mov_b32_e32 v29, v157
	v_mov_b64_e32 v[2:3], v[130:131]
	v_mov_b64_e32 v[4:5], v[132:133]
	v_mov_b64_e32 v[6:7], v[134:135]
	v_mov_b64_e32 v[8:9], v[136:137]
	v_mov_b64_e32 v[10:11], v[138:139]
	v_mov_b64_e32 v[12:13], v[140:141]
	v_mov_b64_e32 v[14:15], v[142:143]
	v_mov_b32_e32 v18, v146
	v_mov_b32_e32 v19, v147
	;; [unrolled: 1-line block ×14, first 2 shown]
	scratch_store_dwordx4 off, v[0:3], off offset:1436 ; 16-byte Folded Spill
	s_nop 0
	scratch_store_dwordx4 off, v[4:7], off offset:1452 ; 16-byte Folded Spill
	scratch_store_dwordx4 off, v[8:11], off offset:1468 ; 16-byte Folded Spill
	;; [unrolled: 1-line block ×7, first 2 shown]
	v_mov_b64_e32 v[18:19], v[146:147]
	v_mov_b64_e32 v[20:21], v[148:149]
	;; [unrolled: 1-line block ×7, first 2 shown]
	v_mov_b32_e32 v16, v102
	v_mov_b32_e32 v146, v104
	scratch_store_dwordx4 off, v[0:3], off offset:1308 ; 16-byte Folded Spill
	s_nop 0
	scratch_store_dwordx4 off, v[4:7], off offset:1324 ; 16-byte Folded Spill
	scratch_store_dwordx4 off, v[8:11], off offset:1340 ; 16-byte Folded Spill
	;; [unrolled: 1-line block ×7, first 2 shown]
	v_mov_b32_e32 v19, v147
	v_mov_b32_e32 v20, v148
	;; [unrolled: 1-line block ×12, first 2 shown]
	v_mov_b64_e32 v[16:17], v[144:145]
	v_mov_b32_e32 v31, v159
	v_mov_b32_e32 v147, v105
	scratch_store_dwordx4 off, v[0:3], off offset:1168 ; 16-byte Folded Spill
	s_nop 0
	scratch_store_dwordx4 off, v[4:7], off offset:1184 ; 16-byte Folded Spill
	scratch_store_dwordx4 off, v[8:11], off offset:1200 ; 16-byte Folded Spill
	;; [unrolled: 1-line block ×7, first 2 shown]
	v_mov_b64_e32 v[20:21], v[148:149]
	v_mov_b32_e32 v16, v144
	v_mov_b64_e32 v[22:23], v[150:151]
	v_mov_b64_e32 v[24:25], v[152:153]
	;; [unrolled: 1-line block ×5, first 2 shown]
	v_mov_b32_e32 v17, v145
	v_mov_b32_e32 v18, v146
	;; [unrolled: 1-line block ×3, first 2 shown]
	scratch_store_dwordx4 off, v[0:3], off offset:1040 ; 16-byte Folded Spill
	s_nop 0
	scratch_store_dwordx4 off, v[4:7], off offset:1056 ; 16-byte Folded Spill
	scratch_store_dwordx4 off, v[8:11], off offset:1072 ; 16-byte Folded Spill
	;; [unrolled: 1-line block ×7, first 2 shown]
	v_mov_b32_e32 v21, v149
	v_mov_b64_e32 v[16:17], v[144:145]
	v_mov_b32_e32 v22, v150
	v_mov_b32_e32 v23, v151
	;; [unrolled: 1-line block ×10, first 2 shown]
	v_mov_b64_e32 v[18:19], v[146:147]
	v_mov_b32_e32 v149, v107
	scratch_store_dwordx4 off, v[0:3], off offset:912 ; 16-byte Folded Spill
	s_nop 0
	scratch_store_dwordx4 off, v[4:7], off offset:928 ; 16-byte Folded Spill
	scratch_store_dwordx4 off, v[8:11], off offset:944 ; 16-byte Folded Spill
	;; [unrolled: 1-line block ×7, first 2 shown]
	v_mov_b64_e32 v[22:23], v[150:151]
	v_mov_b32_e32 v16, v144
	v_mov_b64_e32 v[24:25], v[152:153]
	v_mov_b64_e32 v[26:27], v[154:155]
	;; [unrolled: 1-line block ×4, first 2 shown]
	v_mov_b32_e32 v17, v145
	v_mov_b32_e32 v18, v146
	;; [unrolled: 1-line block ×5, first 2 shown]
	scratch_store_dwordx4 off, v[0:3], off offset:784 ; 16-byte Folded Spill
	s_nop 0
	scratch_store_dwordx4 off, v[4:7], off offset:800 ; 16-byte Folded Spill
	scratch_store_dwordx4 off, v[8:11], off offset:816 ; 16-byte Folded Spill
	;; [unrolled: 1-line block ×7, first 2 shown]
	v_mov_b32_e32 v23, v151
	v_mov_b64_e32 v[16:17], v[144:145]
	v_mov_b32_e32 v24, v152
	v_mov_b32_e32 v25, v153
	;; [unrolled: 1-line block ×8, first 2 shown]
	v_mov_b64_e32 v[18:19], v[146:147]
	v_mov_b64_e32 v[20:21], v[148:149]
	v_mov_b32_e32 v151, v109
	scratch_store_dwordx4 off, v[0:3], off offset:656 ; 16-byte Folded Spill
	s_nop 0
	scratch_store_dwordx4 off, v[4:7], off offset:672 ; 16-byte Folded Spill
	scratch_store_dwordx4 off, v[8:11], off offset:688 ; 16-byte Folded Spill
	;; [unrolled: 1-line block ×7, first 2 shown]
	s_nop 0
	v_mov_b64_e32 v[24:25], v[152:153]
	v_mov_b32_e32 v16, v144
	v_mov_b64_e32 v[26:27], v[154:155]
	v_mov_b64_e32 v[28:29], v[156:157]
	;; [unrolled: 1-line block ×3, first 2 shown]
	v_mov_b32_e32 v17, v145
	v_mov_b32_e32 v18, v146
	;; [unrolled: 1-line block ×7, first 2 shown]
	scratch_store_dwordx4 off, v[0:3], off offset:528 ; 16-byte Folded Spill
	s_nop 0
	scratch_store_dwordx4 off, v[4:7], off offset:544 ; 16-byte Folded Spill
	scratch_store_dwordx4 off, v[8:11], off offset:560 ; 16-byte Folded Spill
	;; [unrolled: 1-line block ×7, first 2 shown]
	v_mov_b64_e32 v[16:17], v[144:145]
	v_mov_b32_e32 v25, v153
	v_mov_b64_e32 v[18:19], v[146:147]
	v_mov_b64_e32 v[20:21], v[148:149]
	;; [unrolled: 1-line block ×3, first 2 shown]
	v_mov_b32_e32 v26, v154
	v_mov_b32_e32 v27, v155
	;; [unrolled: 1-line block ×7, first 2 shown]
	scratch_store_dwordx4 off, v[0:3], off offset:392 ; 16-byte Folded Spill
	s_nop 0
	scratch_store_dwordx4 off, v[4:7], off offset:408 ; 16-byte Folded Spill
	scratch_store_dwordx4 off, v[8:11], off offset:424 ; 16-byte Folded Spill
	;; [unrolled: 1-line block ×7, first 2 shown]
	v_mov_b32_e32 v16, v144
	v_mov_b64_e32 v[26:27], v[154:155]
	v_mov_b32_e32 v17, v145
	v_mov_b32_e32 v18, v146
	;; [unrolled: 1-line block ×8, first 2 shown]
	v_mov_b64_e32 v[28:29], v[156:157]
	v_mov_b64_e32 v[30:31], v[158:159]
	v_mov_b32_e32 v154, v112
	v_mov_b32_e32 v48, v144
	;; [unrolled: 1-line block ×12, first 2 shown]
	scratch_store_dwordx4 off, v[0:3], off offset:264 ; 16-byte Folded Spill
	s_nop 0
	scratch_store_dwordx4 off, v[4:7], off offset:280 ; 16-byte Folded Spill
	scratch_store_dwordx4 off, v[8:11], off offset:296 ; 16-byte Folded Spill
	;; [unrolled: 1-line block ×7, first 2 shown]
	v_mov_b64_e32 v[16:17], v[144:145]
	v_mov_b32_e32 v27, v155
	v_mov_b64_e32 v[18:19], v[146:147]
	v_mov_b64_e32 v[20:21], v[148:149]
	;; [unrolled: 1-line block ×4, first 2 shown]
	v_mov_b32_e32 v28, v156
	v_mov_b32_e32 v29, v157
	;; [unrolled: 1-line block ×5, first 2 shown]
	v_mov_b64_e32 v[252:253], v[158:159]
	v_mov_b64_e32 v[250:251], v[156:157]
	;; [unrolled: 1-line block ×16, first 2 shown]
	v_mov_b32_e32 v250, v114
	scratch_store_dwordx4 off, v[0:3], off offset:128 ; 16-byte Folded Spill
	s_nop 0
	scratch_store_dwordx4 off, v[4:7], off offset:144 ; 16-byte Folded Spill
	scratch_store_dwordx4 off, v[8:11], off offset:160 ; 16-byte Folded Spill
	;; [unrolled: 1-line block ×7, first 2 shown]
	v_mov_b64_e32 v[0:1], v[222:223]
	scratch_store_dwordx4 off, v[32:35], off ; 16-byte Folded Spill
	s_nop 0
	scratch_store_dwordx4 off, v[36:39], off offset:16 ; 16-byte Folded Spill
	scratch_store_dwordx4 off, v[40:43], off offset:32 ; 16-byte Folded Spill
	;; [unrolled: 1-line block ×7, first 2 shown]
	v_mov_b64_e32 v[14:15], v[236:237]
	v_mov_b64_e32 v[26:27], v[248:249]
	v_mov_b64_e32 v[28:29], v[250:251]
	v_mov_b64_e32 v[2:3], v[224:225]
	v_mov_b64_e32 v[4:5], v[226:227]
	v_mov_b64_e32 v[6:7], v[228:229]
	v_mov_b64_e32 v[8:9], v[230:231]
	v_mov_b64_e32 v[10:11], v[232:233]
	v_mov_b64_e32 v[12:13], v[234:235]
	v_mov_b64_e32 v[16:17], v[238:239]
	v_mov_b64_e32 v[18:19], v[240:241]
	v_mov_b64_e32 v[20:21], v[242:243]
	v_mov_b64_e32 v[22:23], v[244:245]
	v_mov_b64_e32 v[24:25], v[246:247]
	v_mov_b64_e32 v[30:31], v[252:253]
	v_mov_b32_e32 v29, v115
	v_mov_b64_e32 v[46:47], v[14:15]
	v_mov_b64_e32 v[58:59], v[26:27]
	v_mov_b32_e32 v62, v99
	v_mov_b32_e32 v63, v100
	v_mov_b64_e32 v[44:45], v[12:13]
	v_mov_b64_e32 v[42:43], v[10:11]
	;; [unrolled: 1-line block ×13, first 2 shown]
	v_mov_b32_e32 v30, v254
	v_mov_b32_e32 v31, v255
	scratch_store_dwordx4 off, v[64:67], off offset:2212 ; 16-byte Folded Spill
	s_nop 0
	scratch_store_dwordx4 off, v[68:71], off offset:2228 ; 16-byte Folded Spill
	scratch_store_dwordx4 off, v[72:75], off offset:2244 ; 16-byte Folded Spill
	;; [unrolled: 1-line block ×7, first 2 shown]
	scratch_store_dwordx2 off, v[62:63], off offset:520 ; 8-byte Folded Spill
	v_mov_b32_e32 v62, v101
	v_mov_b32_e32 v63, v102
	;; [unrolled: 1-line block ×4, first 2 shown]
	scratch_store_dwordx2 off, v[62:63], off offset:256 ; 8-byte Folded Spill
.LBB62_168:
	s_or_b64 exec, exec, s[0:1]
	v_lshl_add_u32 v62, v221, 2, v214
	s_waitcnt vmcnt(63) expcnt(7) lgkmcnt(15)
	s_barrier
	ds_write_b32 v62, v119
	s_waitcnt lgkmcnt(0)
	s_barrier
	ds_read_b32 v74, v214 offset:40
	s_cmp_lt_i32 s22, 12
	v_mov_b32_e32 v62, 10
	s_cbranch_scc1 .LBB62_171
; %bb.169:
	v_add3_u32 v63, v215, 0, 44
	v_mov_b32_e32 v62, 10
	s_mov_b32 s0, 11
.LBB62_170:                             ; =>This Inner Loop Header: Depth=1
	ds_read_b32 v96, v63
	v_add_u32_e32 v63, 4, v63
	s_waitcnt lgkmcnt(0)
	v_cmp_lt_f32_e64 vcc, |v74|, |v96|
	s_nop 1
	v_cndmask_b32_e32 v74, v74, v96, vcc
	v_mov_b32_e32 v96, s0
	s_add_i32 s0, s0, 1
	v_cndmask_b32_e32 v62, v62, v96, vcc
	s_cmp_lg_u32 s22, s0
	s_cbranch_scc1 .LBB62_170
.LBB62_171:
	s_waitcnt lgkmcnt(0)
	v_cmp_eq_f32_e32 vcc, 0, v74
	s_and_saveexec_b64 s[0:1], vcc
	s_xor_b64 s[0:1], exec, s[0:1]
; %bb.172:
	v_cmp_ne_u32_e32 vcc, 0, v220
	s_nop 1
	v_cndmask_b32_e32 v220, 11, v220, vcc
; %bb.173:
	s_andn2_saveexec_b64 s[0:1], s[0:1]
	s_cbranch_execz .LBB62_175
; %bb.174:
	v_div_scale_f32 v63, s[2:3], v74, v74, 1.0
	v_rcp_f32_e32 v96, v63
	v_div_scale_f32 v97, vcc, 1.0, v74, 1.0
	v_fma_f32 v98, -v63, v96, 1.0
	v_fmac_f32_e32 v96, v98, v96
	v_mul_f32_e32 v98, v97, v96
	v_fma_f32 v99, -v63, v98, v97
	v_fmac_f32_e32 v98, v99, v96
	v_fma_f32 v63, -v63, v98, v97
	v_div_fmas_f32 v63, v63, v96, v98
	v_div_fixup_f32 v74, v63, v74, 1.0
.LBB62_175:
	s_or_b64 exec, exec, s[0:1]
	v_cmp_ne_u32_e32 vcc, v221, v62
	s_and_saveexec_b64 s[0:1], vcc
	s_xor_b64 s[0:1], exec, s[0:1]
	s_cbranch_execz .LBB62_181
; %bb.176:
	v_cmp_eq_u32_e32 vcc, 10, v221
	s_and_saveexec_b64 s[2:3], vcc
	s_cbranch_execz .LBB62_180
; %bb.177:
	v_cmp_ne_u32_e32 vcc, 10, v62
	s_xor_b64 s[18:19], s[16:17], -1
	s_and_b64 s[20:21], s[18:19], vcc
	s_and_saveexec_b64 s[18:19], s[20:21]
	s_cbranch_execz .LBB62_179
; %bb.178:
	scratch_load_dwordx2 v[102:103], off, off offset:2076 ; 8-byte Folded Reload
	v_ashrrev_i32_e32 v63, 31, v62
	s_waitcnt vmcnt(0)
	v_lshl_add_u64 v[96:97], v[62:63], 2, v[102:103]
	global_load_dword v63, v[96:97], off
	global_load_dword v98, v[102:103], off offset:40
	s_waitcnt vmcnt(1)
	global_store_dword v[102:103], v63, off offset:40
	s_waitcnt vmcnt(1)
	global_store_dword v[96:97], v98, off
.LBB62_179:
	s_or_b64 exec, exec, s[18:19]
	v_mov_b32_e32 v63, v62
	v_mov_b32_e32 v221, v62
	scratch_store_dword off, v63, off offset:1304 ; 4-byte Folded Spill
.LBB62_180:
	s_or_b64 exec, exec, s[2:3]
.LBB62_181:
	s_or_saveexec_b64 s[0:1], s[0:1]
	v_mov_b64_e32 v[116:117], v[100:101]
	s_xor_b64 exec, exec, s[0:1]
	s_cbranch_execz .LBB62_183
; %bb.182:
	v_mov_b32_e32 v221, 10
	ds_write2_b32 v214, v11, v12 offset0:11 offset1:12
	ds_write2_b32 v214, v13, v14 offset0:13 offset1:14
	;; [unrolled: 1-line block ×10, first 2 shown]
	ds_write_b32 v214, v255 offset:124
.LBB62_183:
	s_or_b64 exec, exec, s[0:1]
	v_cmp_lt_i32_e32 vcc, 10, v221
	s_waitcnt lgkmcnt(0)
	s_barrier
	s_and_saveexec_b64 s[0:1], vcc
	s_cbranch_execz .LBB62_185
; %bb.184:
	scratch_load_dwordx4 v[32:35], off, off offset:2212 ; 16-byte Folded Reload
	scratch_load_dwordx4 v[36:39], off, off offset:2228 ; 16-byte Folded Reload
	;; [unrolled: 1-line block ×8, first 2 shown]
	ds_read2_b32 v[0:1], v214 offset0:11 offset1:12
	ds_read2_b32 v[4:5], v214 offset0:13 offset1:14
	;; [unrolled: 1-line block ×4, first 2 shown]
	v_mul_f32_e32 v74, v119, v74
	v_mov_b32_e32 v2, v11
	v_mov_b32_e32 v3, v12
	s_waitcnt vmcnt(5)
	v_mov_b64_e32 v[72:73], v[40:41]
	v_mov_b64_e32 v[70:71], v[38:39]
	;; [unrolled: 1-line block ×4, first 2 shown]
	s_waitcnt vmcnt(1)
	v_mov_b32_e32 v90, v58
	v_mov_b32_e32 v75, v43
	s_waitcnt lgkmcnt(3)
	v_pk_fma_f32 v[192:193], v[74:75], v[0:1], v[2:3] op_sel_hi:[0,1,1] neg_lo:[1,0,0] neg_hi:[1,0,0]
	v_mov_b32_e32 v0, v13
	v_mov_b32_e32 v1, v14
	v_mov_b64_e32 v[64:65], v[32:33]
	s_waitcnt lgkmcnt(2)
	v_pk_fma_f32 v[32:33], v[74:75], v[4:5], v[0:1] op_sel_hi:[0,1,1] neg_lo:[1,0,0] neg_hi:[1,0,0]
	v_mov_b32_e32 v0, v15
	v_mov_b32_e32 v1, v16
	s_waitcnt lgkmcnt(1)
	v_pk_fma_f32 v[38:39], v[74:75], v[6:7], v[0:1] op_sel_hi:[0,1,1] neg_lo:[1,0,0] neg_hi:[1,0,0]
	v_mov_b32_e32 v0, v17
	v_mov_b32_e32 v1, v18
	s_waitcnt lgkmcnt(0)
	v_pk_fma_f32 v[36:37], v[74:75], v[8:9], v[0:1] op_sel_hi:[0,1,1] neg_lo:[1,0,0] neg_hi:[1,0,0]
	ds_read2_b32 v[0:1], v214 offset0:19 offset1:20
	ds_read2_b32 v[4:5], v214 offset0:21 offset1:22
	;; [unrolled: 1-line block ×4, first 2 shown]
	v_mov_b32_e32 v2, v19
	v_mov_b32_e32 v3, v20
	s_waitcnt vmcnt(0)
	v_mov_b32_e32 v95, v63
	s_waitcnt lgkmcnt(3)
	v_pk_fma_f32 v[34:35], v[74:75], v[0:1], v[2:3] op_sel_hi:[0,1,1] neg_lo:[1,0,0] neg_hi:[1,0,0]
	v_mov_b32_e32 v0, v21
	v_mov_b32_e32 v1, v22
	s_waitcnt lgkmcnt(2)
	v_pk_fma_f32 v[206:207], v[74:75], v[4:5], v[0:1] op_sel_hi:[0,1,1] neg_lo:[1,0,0] neg_hi:[1,0,0]
	v_mov_b32_e32 v0, v23
	;; [unrolled: 4-line block ×3, first 2 shown]
	v_mov_b32_e32 v1, v26
	s_waitcnt lgkmcnt(0)
	v_pk_fma_f32 v[210:211], v[74:75], v[8:9], v[0:1] op_sel_hi:[0,1,1] neg_lo:[1,0,0] neg_hi:[1,0,0]
	ds_read2_b32 v[0:1], v214 offset0:27 offset1:28
	ds_read2_b32 v[4:5], v214 offset0:29 offset1:30
	ds_read_b32 v6, v214 offset:124
	v_mov_b32_e32 v94, v62
	v_mov_b32_e32 v89, v57
	;; [unrolled: 1-line block ×20, first 2 shown]
	v_mov_b64_e32 v[158:159], v[94:95]
	s_waitcnt lgkmcnt(2)
	v_pk_fma_f32 v[208:209], v[74:75], v[0:1], v[2:3] op_sel_hi:[0,1,1] neg_lo:[1,0,0] neg_hi:[1,0,0]
	v_mov_b32_e32 v0, v29
	v_mov_b32_e32 v1, v30
	v_mov_b64_e32 v[156:157], v[92:93]
	v_mov_b64_e32 v[140:141], v[76:77]
	;; [unrolled: 1-line block ×4, first 2 shown]
	s_waitcnt lgkmcnt(1)
	v_pk_fma_f32 v[218:219], v[74:75], v[4:5], v[0:1] op_sel_hi:[0,1,1] neg_lo:[1,0,0] neg_hi:[1,0,0]
	s_waitcnt lgkmcnt(0)
	v_fma_f32 v255, -v74, v6, v255
	v_mov_b64_e32 v[154:155], v[90:91]
	v_mov_b64_e32 v[152:153], v[88:89]
	;; [unrolled: 1-line block ×11, first 2 shown]
	v_mov_b32_e32 v139, v192
	v_mov_b32_e32 v13, v141
	v_mov_b64_e32 v[0:1], v[128:129]
	v_mov_b32_e32 v29, v157
	v_mov_b32_e32 v14, v142
	;; [unrolled: 1-line block ×16, first 2 shown]
	v_mov_b64_e32 v[2:3], v[130:131]
	v_mov_b64_e32 v[4:5], v[132:133]
	;; [unrolled: 1-line block ×5, first 2 shown]
	v_mov_b32_e32 v30, v158
	v_mov_b32_e32 v31, v159
	scratch_store_dwordx4 off, v[0:3], off offset:1948 ; 16-byte Folded Spill
	s_nop 0
	scratch_store_dwordx4 off, v[4:7], off offset:1964 ; 16-byte Folded Spill
	scratch_store_dwordx4 off, v[8:11], off offset:1980 ; 16-byte Folded Spill
	;; [unrolled: 1-line block ×7, first 2 shown]
	v_mov_b64_e32 v[14:15], v[142:143]
	v_mov_b64_e32 v[16:17], v[144:145]
	;; [unrolled: 1-line block ×9, first 2 shown]
	v_mov_b32_e32 v12, v193
	scratch_store_dwordx4 off, v[0:3], off offset:1820 ; 16-byte Folded Spill
	s_nop 0
	scratch_store_dwordx4 off, v[4:7], off offset:1836 ; 16-byte Folded Spill
	scratch_store_dwordx4 off, v[8:11], off offset:1852 ; 16-byte Folded Spill
	;; [unrolled: 1-line block ×7, first 2 shown]
	v_mov_b32_e32 v140, v193
	v_mov_b32_e32 v141, v32
	;; [unrolled: 1-line block ×18, first 2 shown]
	v_mov_b64_e32 v[12:13], v[140:141]
	v_mov_b32_e32 v31, v159
	scratch_store_dwordx4 off, v[0:3], off offset:1692 ; 16-byte Folded Spill
	s_nop 0
	scratch_store_dwordx4 off, v[4:7], off offset:1708 ; 16-byte Folded Spill
	scratch_store_dwordx4 off, v[8:11], off offset:1724 ; 16-byte Folded Spill
	;; [unrolled: 1-line block ×7, first 2 shown]
	scratch_store_dwordx2 off, v[32:33], off offset:520 ; 8-byte Folded Spill
	v_mov_b32_e32 v142, v33
	v_mov_b64_e32 v[16:17], v[144:145]
	v_mov_b32_e32 v12, v140
	v_mov_b64_e32 v[18:19], v[146:147]
	v_mov_b64_e32 v[20:21], v[148:149]
	v_mov_b64_e32 v[22:23], v[150:151]
	v_mov_b64_e32 v[24:25], v[152:153]
	v_mov_b64_e32 v[26:27], v[154:155]
	v_mov_b64_e32 v[28:29], v[156:157]
	v_mov_b64_e32 v[30:31], v[158:159]
	v_mov_b32_e32 v13, v141
	v_mov_b32_e32 v14, v142
	scratch_store_dwordx4 off, v[0:3], off offset:1564 ; 16-byte Folded Spill
	s_nop 0
	scratch_store_dwordx4 off, v[4:7], off offset:1580 ; 16-byte Folded Spill
	scratch_store_dwordx4 off, v[8:11], off offset:1596 ; 16-byte Folded Spill
	;; [unrolled: 1-line block ×7, first 2 shown]
	v_mov_b32_e32 v143, v38
	v_mov_b64_e32 v[0:1], v[128:129]
	v_mov_b32_e32 v17, v145
	v_mov_b32_e32 v29, v157
	v_mov_b64_e32 v[2:3], v[130:131]
	v_mov_b64_e32 v[4:5], v[132:133]
	;; [unrolled: 1-line block ×7, first 2 shown]
	v_mov_b32_e32 v18, v146
	v_mov_b32_e32 v19, v147
	;; [unrolled: 1-line block ×13, first 2 shown]
	scratch_store_dwordx4 off, v[0:3], off offset:1436 ; 16-byte Folded Spill
	s_nop 0
	scratch_store_dwordx4 off, v[4:7], off offset:1452 ; 16-byte Folded Spill
	scratch_store_dwordx4 off, v[8:11], off offset:1468 ; 16-byte Folded Spill
	scratch_store_dwordx4 off, v[12:15], off offset:1484 ; 16-byte Folded Spill
	scratch_store_dwordx4 off, v[16:19], off offset:1500 ; 16-byte Folded Spill
	scratch_store_dwordx4 off, v[20:23], off offset:1516 ; 16-byte Folded Spill
	scratch_store_dwordx4 off, v[24:27], off offset:1532 ; 16-byte Folded Spill
	scratch_store_dwordx4 off, v[28:31], off offset:1548 ; 16-byte Folded Spill
	scratch_store_dwordx2 off, v[38:39], off offset:256 ; 8-byte Folded Spill
	v_mov_b64_e32 v[18:19], v[146:147]
	v_mov_b64_e32 v[20:21], v[148:149]
	;; [unrolled: 1-line block ×7, first 2 shown]
	v_mov_b32_e32 v16, v39
	scratch_store_dwordx4 off, v[0:3], off offset:1308 ; 16-byte Folded Spill
	s_nop 0
	scratch_store_dwordx4 off, v[4:7], off offset:1324 ; 16-byte Folded Spill
	scratch_store_dwordx4 off, v[8:11], off offset:1340 ; 16-byte Folded Spill
	;; [unrolled: 1-line block ×7, first 2 shown]
	v_mov_b32_e32 v144, v39
	v_mov_b32_e32 v145, v36
	;; [unrolled: 1-line block ×14, first 2 shown]
	v_mov_b64_e32 v[16:17], v[144:145]
	v_mov_b32_e32 v31, v159
	scratch_store_dwordx4 off, v[0:3], off offset:1168 ; 16-byte Folded Spill
	s_nop 0
	scratch_store_dwordx4 off, v[4:7], off offset:1184 ; 16-byte Folded Spill
	scratch_store_dwordx4 off, v[8:11], off offset:1200 ; 16-byte Folded Spill
	;; [unrolled: 1-line block ×7, first 2 shown]
	v_mov_b32_e32 v146, v37
	v_mov_b64_e32 v[20:21], v[148:149]
	v_mov_b32_e32 v16, v144
	v_mov_b64_e32 v[22:23], v[150:151]
	v_mov_b64_e32 v[24:25], v[152:153]
	;; [unrolled: 1-line block ×5, first 2 shown]
	v_mov_b32_e32 v17, v145
	v_mov_b32_e32 v18, v146
	scratch_store_dwordx4 off, v[0:3], off offset:1040 ; 16-byte Folded Spill
	s_nop 0
	scratch_store_dwordx4 off, v[4:7], off offset:1056 ; 16-byte Folded Spill
	scratch_store_dwordx4 off, v[8:11], off offset:1072 ; 16-byte Folded Spill
	;; [unrolled: 1-line block ×7, first 2 shown]
	v_mov_b32_e32 v147, v34
	v_mov_b32_e32 v21, v149
	v_mov_b64_e32 v[16:17], v[144:145]
	v_mov_b32_e32 v22, v150
	v_mov_b32_e32 v23, v151
	;; [unrolled: 1-line block ×10, first 2 shown]
	v_mov_b64_e32 v[18:19], v[146:147]
	scratch_store_dwordx4 off, v[0:3], off offset:912 ; 16-byte Folded Spill
	s_nop 0
	scratch_store_dwordx4 off, v[4:7], off offset:928 ; 16-byte Folded Spill
	scratch_store_dwordx4 off, v[8:11], off offset:944 ; 16-byte Folded Spill
	;; [unrolled: 1-line block ×7, first 2 shown]
	v_mov_b32_e32 v148, v35
	v_mov_b64_e32 v[22:23], v[150:151]
	v_mov_b32_e32 v16, v144
	v_mov_b64_e32 v[24:25], v[152:153]
	v_mov_b64_e32 v[26:27], v[154:155]
	v_mov_b64_e32 v[28:29], v[156:157]
	v_mov_b64_e32 v[30:31], v[158:159]
	v_mov_b32_e32 v17, v145
	v_mov_b32_e32 v18, v146
	;; [unrolled: 1-line block ×4, first 2 shown]
	scratch_store_dwordx4 off, v[0:3], off offset:784 ; 16-byte Folded Spill
	s_nop 0
	scratch_store_dwordx4 off, v[4:7], off offset:800 ; 16-byte Folded Spill
	scratch_store_dwordx4 off, v[8:11], off offset:816 ; 16-byte Folded Spill
	;; [unrolled: 1-line block ×7, first 2 shown]
	v_mov_b32_e32 v149, v206
	v_mov_b32_e32 v23, v151
	v_mov_b64_e32 v[16:17], v[144:145]
	v_mov_b32_e32 v24, v152
	v_mov_b32_e32 v25, v153
	;; [unrolled: 1-line block ×8, first 2 shown]
	v_mov_b64_e32 v[18:19], v[146:147]
	v_mov_b64_e32 v[20:21], v[148:149]
	scratch_store_dwordx4 off, v[0:3], off offset:656 ; 16-byte Folded Spill
	s_nop 0
	scratch_store_dwordx4 off, v[4:7], off offset:672 ; 16-byte Folded Spill
	scratch_store_dwordx4 off, v[8:11], off offset:688 ; 16-byte Folded Spill
	;; [unrolled: 1-line block ×7, first 2 shown]
	v_mov_b32_e32 v150, v207
	v_mov_b64_e32 v[24:25], v[152:153]
	v_mov_b32_e32 v16, v144
	v_mov_b64_e32 v[26:27], v[154:155]
	v_mov_b64_e32 v[28:29], v[156:157]
	;; [unrolled: 1-line block ×3, first 2 shown]
	v_mov_b32_e32 v17, v145
	v_mov_b32_e32 v18, v146
	;; [unrolled: 1-line block ×6, first 2 shown]
	scratch_store_dwordx4 off, v[0:3], off offset:528 ; 16-byte Folded Spill
	s_nop 0
	scratch_store_dwordx4 off, v[4:7], off offset:544 ; 16-byte Folded Spill
	scratch_store_dwordx4 off, v[8:11], off offset:560 ; 16-byte Folded Spill
	;; [unrolled: 1-line block ×7, first 2 shown]
	v_mov_b32_e32 v151, v204
	v_mov_b64_e32 v[16:17], v[144:145]
	v_mov_b32_e32 v25, v153
	v_mov_b64_e32 v[18:19], v[146:147]
	v_mov_b64_e32 v[20:21], v[148:149]
	;; [unrolled: 1-line block ×3, first 2 shown]
	v_mov_b32_e32 v26, v154
	v_mov_b32_e32 v27, v155
	;; [unrolled: 1-line block ×6, first 2 shown]
	scratch_store_dwordx4 off, v[0:3], off offset:392 ; 16-byte Folded Spill
	s_nop 0
	scratch_store_dwordx4 off, v[4:7], off offset:408 ; 16-byte Folded Spill
	scratch_store_dwordx4 off, v[8:11], off offset:424 ; 16-byte Folded Spill
	;; [unrolled: 1-line block ×7, first 2 shown]
	v_mov_b32_e32 v152, v205
	v_mov_b32_e32 v16, v144
	v_mov_b64_e32 v[26:27], v[154:155]
	v_mov_b32_e32 v17, v145
	v_mov_b32_e32 v18, v146
	;; [unrolled: 1-line block ×8, first 2 shown]
	v_mov_b64_e32 v[28:29], v[156:157]
	v_mov_b64_e32 v[30:31], v[158:159]
	scratch_store_dwordx4 off, v[0:3], off offset:264 ; 16-byte Folded Spill
	s_nop 0
	scratch_store_dwordx4 off, v[4:7], off offset:280 ; 16-byte Folded Spill
	scratch_store_dwordx4 off, v[8:11], off offset:296 ; 16-byte Folded Spill
	;; [unrolled: 1-line block ×7, first 2 shown]
	v_mov_b32_e32 v153, v210
	v_mov_b64_e32 v[16:17], v[144:145]
	v_mov_b32_e32 v27, v155
	v_mov_b64_e32 v[18:19], v[146:147]
	v_mov_b64_e32 v[20:21], v[148:149]
	;; [unrolled: 1-line block ×4, first 2 shown]
	v_mov_b32_e32 v28, v156
	v_mov_b32_e32 v29, v157
	;; [unrolled: 1-line block ×6, first 2 shown]
	v_mov_b64_e32 v[252:253], v[158:159]
	v_mov_b64_e32 v[216:217], v[36:37]
	;; [unrolled: 1-line block ×3, first 2 shown]
	scratch_store_dwordx4 off, v[0:3], off offset:128 ; 16-byte Folded Spill
	s_nop 0
	scratch_store_dwordx4 off, v[4:7], off offset:144 ; 16-byte Folded Spill
	scratch_store_dwordx4 off, v[8:11], off offset:160 ; 16-byte Folded Spill
	;; [unrolled: 1-line block ×7, first 2 shown]
	v_mov_b64_e32 v[32:33], v[128:129]
	v_mov_b32_e32 v48, v144
	v_mov_b64_e32 v[60:61], v[156:157]
	v_mov_b64_e32 v[250:251], v[156:157]
	;; [unrolled: 1-line block ×10, first 2 shown]
	v_mov_b32_e32 v49, v145
	v_mov_b32_e32 v50, v146
	;; [unrolled: 1-line block ×10, first 2 shown]
	v_mov_b64_e32 v[62:63], v[158:159]
	v_mov_b64_e32 v[248:249], v[154:155]
	;; [unrolled: 1-line block ×14, first 2 shown]
	v_mov_b32_e32 v250, v209
	v_mov_b64_e32 v[0:1], v[222:223]
	scratch_store_dwordx4 off, v[32:35], off ; 16-byte Folded Spill
	s_nop 0
	scratch_store_dwordx4 off, v[36:39], off offset:16 ; 16-byte Folded Spill
	scratch_store_dwordx4 off, v[40:43], off offset:32 ; 16-byte Folded Spill
	;; [unrolled: 1-line block ×7, first 2 shown]
	v_mov_b64_e32 v[14:15], v[236:237]
	v_mov_b64_e32 v[26:27], v[248:249]
	;; [unrolled: 1-line block ×15, first 2 shown]
	v_mov_b32_e32 v29, v218
	v_mov_b64_e32 v[46:47], v[14:15]
	v_mov_b64_e32 v[58:59], v[26:27]
	;; [unrolled: 1-line block ×15, first 2 shown]
	v_mov_b32_e32 v30, v219
	v_mov_b32_e32 v31, v255
	scratch_store_dwordx4 off, v[64:67], off offset:2084 ; 16-byte Folded Spill
	s_nop 0
	scratch_store_dwordx4 off, v[68:71], off offset:2100 ; 16-byte Folded Spill
	scratch_store_dwordx4 off, v[72:75], off offset:2116 ; 16-byte Folded Spill
	;; [unrolled: 1-line block ×7, first 2 shown]
.LBB62_185:
	s_or_b64 exec, exec, s[0:1]
	v_lshl_add_u32 v62, v221, 2, v214
	s_waitcnt vmcnt(63) expcnt(7) lgkmcnt(15)
	s_barrier
	ds_write_b32 v62, v192
	s_waitcnt lgkmcnt(0)
	s_barrier
	ds_read_b32 v64, v214 offset:44
	s_cmp_lt_i32 s22, 13
	v_mov_b32_e32 v62, 11
	s_cbranch_scc1 .LBB62_192
; %bb.186:
	scratch_load_dwordx4 v[82:85], off, off offset:128 ; 16-byte Folded Reload
	scratch_load_dwordx4 v[86:89], off, off offset:144 ; 16-byte Folded Reload
	scratch_load_dwordx4 v[90:93], off, off offset:160 ; 16-byte Folded Reload
	scratch_load_dwordx4 v[94:97], off, off offset:176 ; 16-byte Folded Reload
	scratch_load_dwordx4 v[98:101], off, off offset:192 ; 16-byte Folded Reload
	scratch_load_dwordx4 v[102:105], off, off offset:208 ; 16-byte Folded Reload
	scratch_load_dwordx4 v[106:109], off, off offset:224 ; 16-byte Folded Reload
	scratch_load_dwordx4 v[110:113], off, off offset:240 ; 16-byte Folded Reload
	v_add3_u32 v63, v215, 0, 48
	v_mov_b32_e32 v62, 11
	s_mov_b32 s0, 12
	v_mov_b64_e32 v[160:161], v[116:117]
.LBB62_187:                             ; =>This Inner Loop Header: Depth=1
	ds_read_b32 v65, v63
	v_add_u32_e32 v63, 4, v63
	s_waitcnt lgkmcnt(0)
	v_cmp_lt_f32_e64 vcc, |v64|, |v65|
	s_nop 1
	v_cndmask_b32_e32 v64, v64, v65, vcc
	v_mov_b32_e32 v65, s0
	s_add_i32 s0, s0, 1
	v_cndmask_b32_e32 v62, v62, v65, vcc
	s_cmp_lg_u32 s22, s0
	s_cbranch_scc1 .LBB62_187
; %bb.188:
	s_waitcnt vmcnt(4)
	v_mov_b64_e32 v[96:97], v[46:47]
	s_waitcnt vmcnt(1)
	v_mov_b64_e32 v[108:109], v[58:59]
	v_mov_b64_e32 v[94:95], v[44:45]
	;; [unrolled: 1-line block ×13, first 2 shown]
	s_waitcnt vmcnt(0)
	v_mov_b64_e32 v[110:111], v[60:61]
	v_cmp_eq_f32_e32 vcc, 0, v64
	s_and_saveexec_b64 s[0:1], vcc
	s_xor_b64 s[0:1], exec, s[0:1]
	s_cbranch_execnz .LBB62_193
	s_branch .LBB62_194
.LBB62_189:
	v_mov_b64_e32 v[192:193], v[100:101]
	s_waitcnt lgkmcnt(0)
	v_cmp_eq_f32_e32 vcc, 0, v74
	s_and_saveexec_b64 s[0:1], vcc
	s_xor_b64 s[0:1], exec, s[0:1]
	s_cbranch_execnz .LBB62_104
	s_branch .LBB62_105
.LBB62_190:
	v_mov_b64_e32 v[100:101], v[66:67]
	v_mov_b64_e32 v[104:105], v[64:65]
	;; [unrolled: 1-line block ×3, first 2 shown]
	s_waitcnt lgkmcnt(0)
	v_cmp_eq_f32_e32 vcc, 0, v74
	s_and_saveexec_b64 s[0:1], vcc
	s_xor_b64 s[0:1], exec, s[0:1]
	s_cbranch_execnz .LBB62_121
	s_branch .LBB62_122
.LBB62_191:
	v_mov_b64_e32 v[100:101], v[64:65]
	s_waitcnt lgkmcnt(0)
	v_cmp_eq_f32_e32 vcc, 0, v74
	s_and_saveexec_b64 s[0:1], vcc
	s_xor_b64 s[0:1], exec, s[0:1]
	s_cbranch_execnz .LBB62_155
	s_branch .LBB62_156
.LBB62_192:
	scratch_load_dwordx4 v[82:85], off, off offset:128 ; 16-byte Folded Reload
	scratch_load_dwordx4 v[86:89], off, off offset:144 ; 16-byte Folded Reload
	;; [unrolled: 1-line block ×8, first 2 shown]
	s_waitcnt vmcnt(4)
	v_mov_b64_e32 v[96:97], v[46:47]
	s_waitcnt vmcnt(1)
	v_mov_b64_e32 v[108:109], v[58:59]
	v_mov_b64_e32 v[94:95], v[44:45]
	;; [unrolled: 1-line block ×13, first 2 shown]
	s_waitcnt vmcnt(0)
	v_mov_b64_e32 v[110:111], v[60:61]
	v_mov_b64_e32 v[160:161], v[116:117]
	s_waitcnt lgkmcnt(0)
	v_cmp_eq_f32_e32 vcc, 0, v64
	s_and_saveexec_b64 s[0:1], vcc
	s_xor_b64 s[0:1], exec, s[0:1]
.LBB62_193:
	v_cmp_ne_u32_e32 vcc, 0, v220
	s_nop 1
	v_cndmask_b32_e32 v220, 12, v220, vcc
.LBB62_194:
	s_andn2_saveexec_b64 s[0:1], s[0:1]
	s_cbranch_execz .LBB62_196
; %bb.195:
	v_div_scale_f32 v63, s[2:3], v64, v64, 1.0
	v_rcp_f32_e32 v65, v63
	v_div_scale_f32 v66, vcc, 1.0, v64, 1.0
	v_fma_f32 v67, -v63, v65, 1.0
	v_fmac_f32_e32 v65, v67, v65
	v_mul_f32_e32 v67, v66, v65
	v_fma_f32 v68, -v63, v67, v66
	v_fmac_f32_e32 v67, v68, v65
	v_fma_f32 v63, -v63, v67, v66
	v_div_fmas_f32 v63, v63, v65, v67
	v_div_fixup_f32 v64, v63, v64, 1.0
.LBB62_196:
	s_or_b64 exec, exec, s[0:1]
	v_cmp_ne_u32_e32 vcc, v221, v62
	s_and_saveexec_b64 s[0:1], vcc
	s_xor_b64 s[0:1], exec, s[0:1]
	s_cbranch_execz .LBB62_202
; %bb.197:
	v_cmp_eq_u32_e32 vcc, 11, v221
	s_and_saveexec_b64 s[2:3], vcc
	s_cbranch_execz .LBB62_201
; %bb.198:
	v_cmp_ne_u32_e32 vcc, 11, v62
	s_xor_b64 s[18:19], s[16:17], -1
	s_and_b64 s[20:21], s[18:19], vcc
	s_and_saveexec_b64 s[18:19], s[20:21]
	s_cbranch_execz .LBB62_200
; %bb.199:
	scratch_load_dwordx2 v[32:33], off, off offset:2076 ; 8-byte Folded Reload
	v_ashrrev_i32_e32 v63, 31, v62
	s_waitcnt vmcnt(0)
	v_lshl_add_u64 v[66:67], v[62:63], 2, v[32:33]
	global_load_dword v63, v[66:67], off
	global_load_dword v65, v[32:33], off offset:44
	s_waitcnt vmcnt(1)
	global_store_dword v[32:33], v63, off offset:44
	s_waitcnt vmcnt(1)
	global_store_dword v[66:67], v65, off
.LBB62_200:
	s_or_b64 exec, exec, s[18:19]
	v_mov_b32_e32 v32, v62
	v_mov_b32_e32 v221, v62
	scratch_store_dword off, v32, off offset:1304 ; 4-byte Folded Spill
.LBB62_201:
	s_or_b64 exec, exec, s[2:3]
.LBB62_202:
	s_andn2_saveexec_b64 s[0:1], s[0:1]
	s_cbranch_execz .LBB62_204
; %bb.203:
	v_mov_b32_e32 v221, 11
	ds_write2_b32 v214, v12, v13 offset0:12 offset1:13
	ds_write2_b32 v214, v14, v15 offset0:14 offset1:15
	;; [unrolled: 1-line block ×10, first 2 shown]
.LBB62_204:
	s_or_b64 exec, exec, s[0:1]
	v_cmp_lt_i32_e32 vcc, 11, v221
	s_waitcnt lgkmcnt(0)
	s_barrier
	s_and_saveexec_b64 s[0:1], vcc
	s_cbranch_execz .LBB62_206
; %bb.205:
	ds_read2_b32 v[0:1], v214 offset0:12 offset1:13
	ds_read2_b32 v[2:3], v214 offset0:14 offset1:15
	ds_read2_b32 v[4:5], v214 offset0:16 offset1:17
	v_mul_f32_e32 v6, v192, v64
	ds_read2_b32 v[8:9], v214 offset0:18 offset1:19
	s_waitcnt lgkmcnt(3)
	v_pk_fma_f32 v[64:65], v[6:7], v[0:1], v[12:13] op_sel_hi:[0,1,1] neg_lo:[1,0,0] neg_hi:[1,0,0]
	ds_read2_b32 v[0:1], v214 offset0:20 offset1:21
	s_waitcnt lgkmcnt(3)
	v_pk_fma_f32 v[66:67], v[6:7], v[2:3], v[14:15] op_sel_hi:[0,1,1] neg_lo:[1,0,0] neg_hi:[1,0,0]
	s_waitcnt lgkmcnt(2)
	v_pk_fma_f32 v[68:69], v[6:7], v[4:5], v[16:17] op_sel_hi:[0,1,1] neg_lo:[1,0,0] neg_hi:[1,0,0]
	;; [unrolled: 2-line block ×3, first 2 shown]
	ds_read2_b32 v[2:3], v214 offset0:22 offset1:23
	ds_read2_b32 v[4:5], v214 offset0:24 offset1:25
	;; [unrolled: 1-line block ×3, first 2 shown]
	s_waitcnt lgkmcnt(3)
	v_pk_fma_f32 v[72:73], v[6:7], v[0:1], v[20:21] op_sel_hi:[0,1,1] neg_lo:[1,0,0] neg_hi:[1,0,0]
	ds_read2_b32 v[0:1], v214 offset0:28 offset1:29
	ds_read2_b32 v[10:11], v214 offset0:30 offset1:31
	scratch_load_dwordx4 v[160:163], off, off offset:2084 ; 16-byte Folded Reload
	scratch_load_dwordx4 v[164:167], off, off offset:2100 ; 16-byte Folded Reload
	scratch_load_dwordx4 v[168:171], off, off offset:2116 ; 16-byte Folded Reload
	scratch_load_dwordx4 v[172:175], off, off offset:2132 ; 16-byte Folded Reload
	scratch_load_dwordx4 v[176:179], off, off offset:2148 ; 16-byte Folded Reload
	scratch_load_dwordx4 v[180:183], off, off offset:2164 ; 16-byte Folded Reload
	scratch_load_dwordx4 v[184:187], off, off offset:2180 ; 16-byte Folded Reload
	scratch_load_dwordx4 v[188:191], off, off offset:2196 ; 16-byte Folded Reload
	s_waitcnt vmcnt(5)
	v_mov_b32_e32 v171, v6
	s_waitcnt lgkmcnt(4)
	v_pk_fma_f32 v[74:75], v[6:7], v[2:3], v[22:23] op_sel_hi:[0,1,1] neg_lo:[1,0,0] neg_hi:[1,0,0]
	s_waitcnt lgkmcnt(3)
	v_pk_fma_f32 v[76:77], v[6:7], v[4:5], v[24:25] op_sel_hi:[0,1,1] neg_lo:[1,0,0] neg_hi:[1,0,0]
	;; [unrolled: 2-line block ×5, first 2 shown]
	v_mov_b32_e32 v12, v64
	v_mov_b32_e32 v250, v80
	;; [unrolled: 1-line block ×15, first 2 shown]
	s_waitcnt vmcnt(0)
	v_mov_b64_e32 v[82:83], v[160:161]
	v_mov_b64_e32 v[96:97], v[174:175]
	;; [unrolled: 1-line block ×30, first 2 shown]
	scratch_store_dwordx4 off, v[0:3], off offset:1820 ; 16-byte Folded Spill
	s_nop 0
	scratch_store_dwordx4 off, v[4:7], off offset:1836 ; 16-byte Folded Spill
	scratch_store_dwordx4 off, v[8:11], off offset:1852 ; 16-byte Folded Spill
	;; [unrolled: 1-line block ×7, first 2 shown]
	v_mov_b64_e32 v[94:95], v[172:173]
	v_mov_b32_e32 v94, v64
	v_mov_b32_e32 v95, v65
	;; [unrolled: 1-line block ×18, first 2 shown]
	v_mov_b64_e32 v[12:13], v[94:95]
	v_mov_b32_e32 v31, v113
	v_mov_b32_e32 v96, v66
	;; [unrolled: 1-line block ×3, first 2 shown]
	scratch_store_dwordx4 off, v[0:3], off offset:1692 ; 16-byte Folded Spill
	s_nop 0
	scratch_store_dwordx4 off, v[4:7], off offset:1708 ; 16-byte Folded Spill
	scratch_store_dwordx4 off, v[8:11], off offset:1724 ; 16-byte Folded Spill
	;; [unrolled: 1-line block ×7, first 2 shown]
	v_mov_b64_e32 v[16:17], v[98:99]
	v_mov_b32_e32 v12, v94
	v_mov_b64_e32 v[18:19], v[100:101]
	v_mov_b64_e32 v[20:21], v[102:103]
	;; [unrolled: 1-line block ×7, first 2 shown]
	v_mov_b32_e32 v13, v95
	v_mov_b32_e32 v14, v96
	v_mov_b32_e32 v98, v68
	scratch_store_dwordx4 off, v[0:3], off offset:1564 ; 16-byte Folded Spill
	s_nop 0
	scratch_store_dwordx4 off, v[4:7], off offset:1580 ; 16-byte Folded Spill
	scratch_store_dwordx4 off, v[8:11], off offset:1596 ; 16-byte Folded Spill
	;; [unrolled: 1-line block ×7, first 2 shown]
	v_mov_b64_e32 v[0:1], v[82:83]
	v_mov_b32_e32 v17, v99
	v_mov_b32_e32 v29, v111
	v_mov_b64_e32 v[2:3], v[84:85]
	v_mov_b64_e32 v[4:5], v[86:87]
	;; [unrolled: 1-line block ×7, first 2 shown]
	v_mov_b32_e32 v18, v100
	v_mov_b32_e32 v19, v101
	;; [unrolled: 1-line block ×14, first 2 shown]
	scratch_store_dwordx4 off, v[0:3], off offset:1436 ; 16-byte Folded Spill
	s_nop 0
	scratch_store_dwordx4 off, v[4:7], off offset:1452 ; 16-byte Folded Spill
	scratch_store_dwordx4 off, v[8:11], off offset:1468 ; 16-byte Folded Spill
	;; [unrolled: 1-line block ×7, first 2 shown]
	v_mov_b64_e32 v[18:19], v[100:101]
	v_mov_b64_e32 v[20:21], v[102:103]
	;; [unrolled: 1-line block ×7, first 2 shown]
	v_mov_b32_e32 v16, v68
	v_mov_b32_e32 v100, v70
	scratch_store_dwordx4 off, v[0:3], off offset:1308 ; 16-byte Folded Spill
	s_nop 0
	scratch_store_dwordx4 off, v[4:7], off offset:1324 ; 16-byte Folded Spill
	scratch_store_dwordx4 off, v[8:11], off offset:1340 ; 16-byte Folded Spill
	;; [unrolled: 1-line block ×7, first 2 shown]
	v_mov_b32_e32 v19, v101
	v_mov_b32_e32 v20, v102
	v_mov_b32_e32 v21, v103
	v_mov_b32_e32 v22, v104
	v_mov_b32_e32 v23, v105
	v_mov_b32_e32 v24, v106
	v_mov_b32_e32 v25, v107
	v_mov_b32_e32 v26, v108
	v_mov_b32_e32 v27, v109
	v_mov_b32_e32 v28, v110
	v_mov_b32_e32 v29, v111
	v_mov_b32_e32 v30, v112
	v_mov_b64_e32 v[16:17], v[98:99]
	v_mov_b32_e32 v31, v113
	v_mov_b32_e32 v101, v71
	scratch_store_dwordx4 off, v[0:3], off offset:1168 ; 16-byte Folded Spill
	s_nop 0
	scratch_store_dwordx4 off, v[4:7], off offset:1184 ; 16-byte Folded Spill
	scratch_store_dwordx4 off, v[8:11], off offset:1200 ; 16-byte Folded Spill
	;; [unrolled: 1-line block ×7, first 2 shown]
	v_mov_b64_e32 v[20:21], v[102:103]
	v_mov_b32_e32 v16, v98
	v_mov_b64_e32 v[22:23], v[104:105]
	v_mov_b64_e32 v[24:25], v[106:107]
	;; [unrolled: 1-line block ×5, first 2 shown]
	v_mov_b32_e32 v17, v99
	v_mov_b32_e32 v18, v100
	;; [unrolled: 1-line block ×3, first 2 shown]
	scratch_store_dwordx4 off, v[0:3], off offset:1040 ; 16-byte Folded Spill
	s_nop 0
	scratch_store_dwordx4 off, v[4:7], off offset:1056 ; 16-byte Folded Spill
	scratch_store_dwordx4 off, v[8:11], off offset:1072 ; 16-byte Folded Spill
	;; [unrolled: 1-line block ×7, first 2 shown]
	v_mov_b32_e32 v21, v103
	v_mov_b64_e32 v[16:17], v[98:99]
	v_mov_b32_e32 v22, v104
	v_mov_b32_e32 v23, v105
	;; [unrolled: 1-line block ×10, first 2 shown]
	v_mov_b64_e32 v[18:19], v[100:101]
	v_mov_b32_e32 v103, v73
	scratch_store_dwordx4 off, v[0:3], off offset:912 ; 16-byte Folded Spill
	s_nop 0
	scratch_store_dwordx4 off, v[4:7], off offset:928 ; 16-byte Folded Spill
	scratch_store_dwordx4 off, v[8:11], off offset:944 ; 16-byte Folded Spill
	;; [unrolled: 1-line block ×7, first 2 shown]
	v_mov_b64_e32 v[22:23], v[104:105]
	v_mov_b32_e32 v16, v98
	v_mov_b64_e32 v[24:25], v[106:107]
	v_mov_b64_e32 v[26:27], v[108:109]
	;; [unrolled: 1-line block ×4, first 2 shown]
	v_mov_b32_e32 v17, v99
	v_mov_b32_e32 v18, v100
	;; [unrolled: 1-line block ×5, first 2 shown]
	scratch_store_dwordx4 off, v[0:3], off offset:784 ; 16-byte Folded Spill
	s_nop 0
	scratch_store_dwordx4 off, v[4:7], off offset:800 ; 16-byte Folded Spill
	scratch_store_dwordx4 off, v[8:11], off offset:816 ; 16-byte Folded Spill
	;; [unrolled: 1-line block ×7, first 2 shown]
	v_mov_b32_e32 v23, v105
	v_mov_b64_e32 v[16:17], v[98:99]
	v_mov_b32_e32 v24, v106
	v_mov_b32_e32 v25, v107
	;; [unrolled: 1-line block ×8, first 2 shown]
	v_mov_b64_e32 v[18:19], v[100:101]
	v_mov_b64_e32 v[20:21], v[102:103]
	v_mov_b32_e32 v105, v75
	scratch_store_dwordx4 off, v[0:3], off offset:656 ; 16-byte Folded Spill
	s_nop 0
	scratch_store_dwordx4 off, v[4:7], off offset:672 ; 16-byte Folded Spill
	scratch_store_dwordx4 off, v[8:11], off offset:688 ; 16-byte Folded Spill
	;; [unrolled: 1-line block ×7, first 2 shown]
	s_nop 0
	v_mov_b64_e32 v[24:25], v[106:107]
	v_mov_b32_e32 v16, v98
	v_mov_b64_e32 v[26:27], v[108:109]
	v_mov_b64_e32 v[28:29], v[110:111]
	;; [unrolled: 1-line block ×3, first 2 shown]
	v_mov_b32_e32 v17, v99
	v_mov_b32_e32 v18, v100
	;; [unrolled: 1-line block ×7, first 2 shown]
	scratch_store_dwordx4 off, v[0:3], off offset:528 ; 16-byte Folded Spill
	s_nop 0
	scratch_store_dwordx4 off, v[4:7], off offset:544 ; 16-byte Folded Spill
	scratch_store_dwordx4 off, v[8:11], off offset:560 ; 16-byte Folded Spill
	;; [unrolled: 1-line block ×7, first 2 shown]
	v_mov_b64_e32 v[16:17], v[98:99]
	v_mov_b32_e32 v25, v107
	v_mov_b64_e32 v[18:19], v[100:101]
	v_mov_b64_e32 v[20:21], v[102:103]
	;; [unrolled: 1-line block ×3, first 2 shown]
	v_mov_b32_e32 v26, v108
	v_mov_b32_e32 v27, v109
	;; [unrolled: 1-line block ×7, first 2 shown]
	scratch_store_dwordx4 off, v[0:3], off offset:392 ; 16-byte Folded Spill
	s_nop 0
	scratch_store_dwordx4 off, v[4:7], off offset:408 ; 16-byte Folded Spill
	scratch_store_dwordx4 off, v[8:11], off offset:424 ; 16-byte Folded Spill
	scratch_store_dwordx4 off, v[12:15], off offset:440 ; 16-byte Folded Spill
	scratch_store_dwordx4 off, v[16:19], off offset:456 ; 16-byte Folded Spill
	scratch_store_dwordx4 off, v[20:23], off offset:472 ; 16-byte Folded Spill
	scratch_store_dwordx4 off, v[24:27], off offset:488 ; 16-byte Folded Spill
	scratch_store_dwordx4 off, v[28:31], off offset:504 ; 16-byte Folded Spill
	v_mov_b32_e32 v16, v98
	v_mov_b64_e32 v[26:27], v[108:109]
	v_mov_b32_e32 v17, v99
	v_mov_b32_e32 v18, v100
	v_mov_b32_e32 v19, v101
	v_mov_b32_e32 v20, v102
	v_mov_b32_e32 v21, v103
	v_mov_b32_e32 v22, v104
	v_mov_b32_e32 v23, v105
	v_mov_b32_e32 v24, v106
	v_mov_b64_e32 v[28:29], v[110:111]
	v_mov_b64_e32 v[30:31], v[112:113]
	scratch_store_dwordx4 off, v[0:3], off offset:264 ; 16-byte Folded Spill
	s_nop 0
	scratch_store_dwordx4 off, v[4:7], off offset:280 ; 16-byte Folded Spill
	scratch_store_dwordx4 off, v[8:11], off offset:296 ; 16-byte Folded Spill
	;; [unrolled: 1-line block ×7, first 2 shown]
	v_mov_b64_e32 v[16:17], v[98:99]
	v_mov_b32_e32 v27, v109
	v_mov_b64_e32 v[18:19], v[100:101]
	v_mov_b64_e32 v[20:21], v[102:103]
	;; [unrolled: 1-line block ×4, first 2 shown]
	v_mov_b32_e32 v28, v110
	v_mov_b32_e32 v29, v111
	;; [unrolled: 1-line block ×4, first 2 shown]
	scratch_store_dwordx4 off, v[0:3], off offset:128 ; 16-byte Folded Spill
	s_nop 0
	scratch_store_dwordx4 off, v[4:7], off offset:144 ; 16-byte Folded Spill
	scratch_store_dwordx4 off, v[8:11], off offset:160 ; 16-byte Folded Spill
	;; [unrolled: 1-line block ×7, first 2 shown]
	v_mov_b64_e32 v[0:1], v[82:83]
	v_mov_b64_e32 v[26:27], v[108:109]
	;; [unrolled: 1-line block ×4, first 2 shown]
	v_mov_b32_e32 v26, v78
	v_mov_b64_e32 v[2:3], v[84:85]
	v_mov_b64_e32 v[4:5], v[86:87]
	;; [unrolled: 1-line block ×13, first 2 shown]
	v_mov_b32_e32 v58, v26
	v_mov_b64_e32 v[62:63], v[30:31]
	v_mov_b32_e32 v27, v79
	v_mov_b64_e32 v[112:113], v[30:31]
	v_mov_b64_e32 v[44:45], v[12:13]
	;; [unrolled: 1-line block ×8, first 2 shown]
	v_mov_b32_e32 v57, v25
	v_mov_b32_e32 v56, v24
	;; [unrolled: 1-line block ×10, first 2 shown]
	v_mov_b64_e32 v[60:61], v[28:29]
	v_mov_b64_e32 v[142:143], v[14:15]
	;; [unrolled: 1-line block ×3, first 2 shown]
	v_mov_b32_e32 v159, v31
	v_mov_b64_e32 v[110:111], v[28:29]
	v_mov_b64_e32 v[82:83], v[0:1]
	scratch_store_dwordx4 off, v[32:35], off ; 16-byte Folded Spill
	s_nop 0
	scratch_store_dwordx4 off, v[36:39], off offset:16 ; 16-byte Folded Spill
	scratch_store_dwordx4 off, v[40:43], off offset:32 ; 16-byte Folded Spill
	;; [unrolled: 1-line block ×7, first 2 shown]
	v_mov_b64_e32 v[140:141], v[12:13]
	v_mov_b64_e32 v[138:139], v[10:11]
	;; [unrolled: 1-line block ×12, first 2 shown]
	v_mov_b32_e32 v158, v30
	v_mov_b32_e32 v157, v29
	v_mov_b64_e32 v[108:109], v[26:27]
	v_mov_b64_e32 v[106:107], v[24:25]
	;; [unrolled: 1-line block ×13, first 2 shown]
	v_mov_b32_e32 v110, v80
	v_mov_b32_e32 v111, v81
	v_mov_b64_e32 v[0:1], v[82:83]
	v_mov_b64_e32 v[236:237], v[96:97]
	;; [unrolled: 1-line block ×4, first 2 shown]
	scratch_store_dwordx4 off, v[160:163], off offset:1948 ; 16-byte Folded Spill
	s_nop 0
	scratch_store_dwordx4 off, v[164:167], off offset:1964 ; 16-byte Folded Spill
	scratch_store_dwordx4 off, v[168:171], off offset:1980 ; 16-byte Folded Spill
	;; [unrolled: 1-line block ×7, first 2 shown]
	v_mov_b32_e32 v32, v65
	v_mov_b32_e32 v33, v66
	v_mov_b64_e32 v[234:235], v[94:95]
	v_mov_b64_e32 v[232:233], v[92:93]
	;; [unrolled: 1-line block ×27, first 2 shown]
	v_mov_b32_e32 v30, v254
	v_mov_b32_e32 v31, v255
	scratch_store_dwordx2 off, v[32:33], off offset:520 ; 8-byte Folded Spill
	v_mov_b32_e32 v32, v67
	v_mov_b32_e32 v33, v68
	;; [unrolled: 1-line block ×4, first 2 shown]
	scratch_store_dwordx2 off, v[32:33], off offset:256 ; 8-byte Folded Spill
.LBB62_206:
	s_or_b64 exec, exec, s[0:1]
	v_lshl_add_u32 v62, v221, 2, v214
	s_waitcnt vmcnt(63) expcnt(7) lgkmcnt(15)
	s_barrier
	ds_write_b32 v62, v193
	s_waitcnt lgkmcnt(0)
	s_barrier
	ds_read_b32 v64, v214 offset:48
	s_cmp_lt_i32 s22, 14
	v_mov_b32_e32 v62, 12
	s_cbranch_scc1 .LBB62_209
; %bb.207:
	v_add3_u32 v63, v215, 0, 52
	v_mov_b32_e32 v62, 12
	s_mov_b32 s0, 13
.LBB62_208:                             ; =>This Inner Loop Header: Depth=1
	ds_read_b32 v65, v63
	v_add_u32_e32 v63, 4, v63
	s_waitcnt lgkmcnt(0)
	v_cmp_lt_f32_e64 vcc, |v64|, |v65|
	s_nop 1
	v_cndmask_b32_e32 v64, v64, v65, vcc
	v_mov_b32_e32 v65, s0
	s_add_i32 s0, s0, 1
	v_cndmask_b32_e32 v62, v62, v65, vcc
	s_cmp_lg_u32 s22, s0
	s_cbranch_scc1 .LBB62_208
.LBB62_209:
	s_waitcnt lgkmcnt(0)
	v_cmp_eq_f32_e32 vcc, 0, v64
	s_and_saveexec_b64 s[0:1], vcc
	s_xor_b64 s[0:1], exec, s[0:1]
; %bb.210:
	v_cmp_ne_u32_e32 vcc, 0, v220
	s_nop 1
	v_cndmask_b32_e32 v220, 13, v220, vcc
; %bb.211:
	s_andn2_saveexec_b64 s[0:1], s[0:1]
	s_cbranch_execz .LBB62_213
; %bb.212:
	v_div_scale_f32 v63, s[2:3], v64, v64, 1.0
	v_rcp_f32_e32 v65, v63
	v_div_scale_f32 v66, vcc, 1.0, v64, 1.0
	v_fma_f32 v67, -v63, v65, 1.0
	v_fmac_f32_e32 v65, v67, v65
	v_mul_f32_e32 v67, v66, v65
	v_fma_f32 v68, -v63, v67, v66
	v_fmac_f32_e32 v67, v68, v65
	v_fma_f32 v63, -v63, v67, v66
	v_div_fmas_f32 v63, v63, v65, v67
	v_div_fixup_f32 v64, v63, v64, 1.0
.LBB62_213:
	s_or_b64 exec, exec, s[0:1]
	v_cmp_ne_u32_e32 vcc, v221, v62
	s_and_saveexec_b64 s[0:1], vcc
	s_xor_b64 s[0:1], exec, s[0:1]
	s_cbranch_execz .LBB62_219
; %bb.214:
	v_cmp_eq_u32_e32 vcc, 12, v221
	s_and_saveexec_b64 s[2:3], vcc
	s_cbranch_execz .LBB62_218
; %bb.215:
	v_cmp_ne_u32_e32 vcc, 12, v62
	s_xor_b64 s[18:19], s[16:17], -1
	s_and_b64 s[20:21], s[18:19], vcc
	s_and_saveexec_b64 s[18:19], s[20:21]
	s_cbranch_execz .LBB62_217
; %bb.216:
	scratch_load_dwordx2 v[32:33], off, off offset:2076 ; 8-byte Folded Reload
	v_ashrrev_i32_e32 v63, 31, v62
	s_waitcnt vmcnt(0)
	v_lshl_add_u64 v[66:67], v[62:63], 2, v[32:33]
	global_load_dword v63, v[66:67], off
	global_load_dword v65, v[32:33], off offset:48
	s_waitcnt vmcnt(1)
	global_store_dword v[32:33], v63, off offset:48
	s_waitcnt vmcnt(1)
	global_store_dword v[66:67], v65, off
.LBB62_217:
	s_or_b64 exec, exec, s[18:19]
	v_mov_b32_e32 v32, v62
	v_mov_b32_e32 v221, v62
	scratch_store_dword off, v32, off offset:1304 ; 4-byte Folded Spill
.LBB62_218:
	s_or_b64 exec, exec, s[2:3]
.LBB62_219:
	s_andn2_saveexec_b64 s[0:1], s[0:1]
	s_cbranch_execz .LBB62_221
; %bb.220:
	v_mov_b32_e32 v221, 12
	ds_write2_b32 v214, v13, v14 offset0:13 offset1:14
	ds_write2_b32 v214, v15, v16 offset0:15 offset1:16
	ds_write2_b32 v214, v17, v18 offset0:17 offset1:18
	ds_write2_b32 v214, v19, v20 offset0:19 offset1:20
	ds_write2_b32 v214, v21, v22 offset0:21 offset1:22
	ds_write2_b32 v214, v23, v24 offset0:23 offset1:24
	ds_write2_b32 v214, v25, v26 offset0:25 offset1:26
	ds_write2_b32 v214, v27, v28 offset0:27 offset1:28
	ds_write2_b32 v214, v29, v30 offset0:29 offset1:30
	ds_write_b32 v214, v255 offset:124
.LBB62_221:
	s_or_b64 exec, exec, s[0:1]
	v_cmp_lt_i32_e32 vcc, 12, v221
	s_waitcnt lgkmcnt(0)
	s_barrier
	s_and_saveexec_b64 s[0:1], vcc
	s_cbranch_execz .LBB62_223
; %bb.222:
	scratch_load_dwordx4 v[32:35], off, off offset:1948 ; 16-byte Folded Reload
	scratch_load_dwordx4 v[36:39], off, off offset:1964 ; 16-byte Folded Reload
	scratch_load_dwordx4 v[40:43], off, off offset:1980 ; 16-byte Folded Reload
	scratch_load_dwordx4 v[44:47], off, off offset:1996 ; 16-byte Folded Reload
	scratch_load_dwordx4 v[48:51], off, off offset:2012 ; 16-byte Folded Reload
	scratch_load_dwordx4 v[52:55], off, off offset:2028 ; 16-byte Folded Reload
	scratch_load_dwordx4 v[56:59], off, off offset:2044 ; 16-byte Folded Reload
	scratch_load_dwordx4 v[60:63], off, off offset:2060 ; 16-byte Folded Reload
	ds_read2_b32 v[0:1], v214 offset0:13 offset1:14
	ds_read2_b32 v[4:5], v214 offset0:15 offset1:16
	;; [unrolled: 1-line block ×4, first 2 shown]
	s_waitcnt vmcnt(4)
	v_mul_f32_e32 v44, v193, v64
	v_mov_b32_e32 v2, v13
	v_mov_b32_e32 v3, v14
	s_waitcnt lgkmcnt(3)
	v_pk_fma_f32 v[64:65], v[44:45], v[0:1], v[2:3] op_sel_hi:[0,1,1] neg_lo:[1,0,0] neg_hi:[1,0,0]
	v_mov_b32_e32 v0, v15
	v_mov_b32_e32 v1, v16
	s_waitcnt lgkmcnt(2)
	v_pk_fma_f32 v[66:67], v[44:45], v[4:5], v[0:1] op_sel_hi:[0,1,1] neg_lo:[1,0,0] neg_hi:[1,0,0]
	v_mov_b32_e32 v0, v17
	v_mov_b32_e32 v1, v18
	s_waitcnt lgkmcnt(1)
	v_pk_fma_f32 v[216:217], v[44:45], v[6:7], v[0:1] op_sel_hi:[0,1,1] neg_lo:[1,0,0] neg_hi:[1,0,0]
	v_mov_b32_e32 v0, v19
	v_mov_b32_e32 v1, v20
	s_waitcnt lgkmcnt(0)
	v_pk_fma_f32 v[160:161], v[44:45], v[8:9], v[0:1] op_sel_hi:[0,1,1] neg_lo:[1,0,0] neg_hi:[1,0,0]
	ds_read2_b32 v[0:1], v214 offset0:21 offset1:22
	ds_read2_b32 v[4:5], v214 offset0:23 offset1:24
	;; [unrolled: 1-line block ×4, first 2 shown]
	v_mov_b32_e32 v2, v21
	v_mov_b32_e32 v3, v22
	s_waitcnt vmcnt(0)
	v_mov_b64_e32 v[112:113], v[62:63]
	s_waitcnt lgkmcnt(3)
	v_pk_fma_f32 v[206:207], v[44:45], v[0:1], v[2:3] op_sel_hi:[0,1,1] neg_lo:[1,0,0] neg_hi:[1,0,0]
	v_mov_b32_e32 v0, v23
	v_mov_b32_e32 v1, v24
	s_waitcnt lgkmcnt(2)
	v_pk_fma_f32 v[204:205], v[44:45], v[4:5], v[0:1] op_sel_hi:[0,1,1] neg_lo:[1,0,0] neg_hi:[1,0,0]
	ds_read2_b32 v[2:3], v214 offset0:29 offset1:30
	ds_read_b32 v4, v214 offset:124
	v_mov_b32_e32 v0, v25
	v_mov_b32_e32 v1, v26
	s_waitcnt lgkmcnt(3)
	v_pk_fma_f32 v[210:211], v[44:45], v[6:7], v[0:1] op_sel_hi:[0,1,1] neg_lo:[1,0,0] neg_hi:[1,0,0]
	v_mov_b32_e32 v0, v27
	v_mov_b32_e32 v1, v28
	s_waitcnt lgkmcnt(2)
	v_pk_fma_f32 v[208:209], v[44:45], v[8:9], v[0:1] op_sel_hi:[0,1,1] neg_lo:[1,0,0] neg_hi:[1,0,0]
	v_mov_b32_e32 v0, v29
	v_mov_b32_e32 v1, v30
	v_mov_b64_e32 v[96:97], v[46:47]
	v_mov_b64_e32 v[94:95], v[44:45]
	;; [unrolled: 1-line block ×3, first 2 shown]
	s_waitcnt lgkmcnt(1)
	v_pk_fma_f32 v[218:219], v[44:45], v[2:3], v[0:1] op_sel_hi:[0,1,1] neg_lo:[1,0,0] neg_hi:[1,0,0]
	s_waitcnt lgkmcnt(0)
	v_fma_f32 v255, -v44, v4, v255
	v_mov_b64_e32 v[110:111], v[60:61]
	v_mov_b64_e32 v[108:109], v[58:59]
	;; [unrolled: 1-line block ×12, first 2 shown]
	v_mov_b32_e32 v95, v64
	v_mov_b32_e32 v15, v97
	v_mov_b64_e32 v[0:1], v[82:83]
	v_mov_b32_e32 v16, v98
	v_mov_b32_e32 v17, v99
	;; [unrolled: 1-line block ×15, first 2 shown]
	v_mov_b64_e32 v[2:3], v[84:85]
	v_mov_b64_e32 v[4:5], v[86:87]
	;; [unrolled: 1-line block ×6, first 2 shown]
	v_mov_b32_e32 v31, v113
	scratch_store_dwordx4 off, v[0:3], off offset:1692 ; 16-byte Folded Spill
	s_nop 0
	scratch_store_dwordx4 off, v[4:7], off offset:1708 ; 16-byte Folded Spill
	scratch_store_dwordx4 off, v[8:11], off offset:1724 ; 16-byte Folded Spill
	;; [unrolled: 1-line block ×7, first 2 shown]
	scratch_store_dwordx2 off, v[64:65], off offset:520 ; 8-byte Folded Spill
	v_mov_b32_e32 v96, v65
	v_mov_b64_e32 v[16:17], v[98:99]
	v_mov_b32_e32 v12, v94
	v_mov_b64_e32 v[18:19], v[100:101]
	v_mov_b64_e32 v[20:21], v[102:103]
	;; [unrolled: 1-line block ×7, first 2 shown]
	v_mov_b32_e32 v13, v95
	v_mov_b32_e32 v14, v96
	;; [unrolled: 1-line block ×5, first 2 shown]
	scratch_store_dwordx4 off, v[0:3], off offset:1564 ; 16-byte Folded Spill
	s_nop 0
	scratch_store_dwordx4 off, v[4:7], off offset:1580 ; 16-byte Folded Spill
	scratch_store_dwordx4 off, v[8:11], off offset:1596 ; 16-byte Folded Spill
	;; [unrolled: 1-line block ×7, first 2 shown]
	v_mov_b64_e32 v[0:1], v[82:83]
	v_mov_b32_e32 v17, v99
	v_mov_b32_e32 v29, v111
	v_mov_b64_e32 v[2:3], v[84:85]
	v_mov_b64_e32 v[4:5], v[86:87]
	;; [unrolled: 1-line block ×7, first 2 shown]
	v_mov_b32_e32 v18, v100
	v_mov_b32_e32 v19, v101
	;; [unrolled: 1-line block ×13, first 2 shown]
	scratch_store_dwordx4 off, v[0:3], off offset:1436 ; 16-byte Folded Spill
	s_nop 0
	scratch_store_dwordx4 off, v[4:7], off offset:1452 ; 16-byte Folded Spill
	scratch_store_dwordx4 off, v[8:11], off offset:1468 ; 16-byte Folded Spill
	;; [unrolled: 1-line block ×7, first 2 shown]
	scratch_store_dwordx2 off, v[66:67], off offset:256 ; 8-byte Folded Spill
	v_mov_b64_e32 v[18:19], v[100:101]
	v_mov_b64_e32 v[20:21], v[102:103]
	;; [unrolled: 1-line block ×7, first 2 shown]
	v_mov_b32_e32 v16, v67
	v_mov_b32_e32 v99, v216
	;; [unrolled: 1-line block ×3, first 2 shown]
	scratch_store_dwordx4 off, v[0:3], off offset:1308 ; 16-byte Folded Spill
	s_nop 0
	scratch_store_dwordx4 off, v[4:7], off offset:1324 ; 16-byte Folded Spill
	scratch_store_dwordx4 off, v[8:11], off offset:1340 ; 16-byte Folded Spill
	;; [unrolled: 1-line block ×7, first 2 shown]
	v_mov_b32_e32 v19, v101
	v_mov_b32_e32 v20, v102
	;; [unrolled: 1-line block ×12, first 2 shown]
	v_mov_b64_e32 v[16:17], v[98:99]
	v_mov_b32_e32 v31, v113
	v_mov_b32_e32 v101, v160
	scratch_store_dwordx4 off, v[0:3], off offset:1168 ; 16-byte Folded Spill
	s_nop 0
	scratch_store_dwordx4 off, v[4:7], off offset:1184 ; 16-byte Folded Spill
	scratch_store_dwordx4 off, v[8:11], off offset:1200 ; 16-byte Folded Spill
	;; [unrolled: 1-line block ×7, first 2 shown]
	v_mov_b64_e32 v[20:21], v[102:103]
	v_mov_b32_e32 v16, v98
	v_mov_b64_e32 v[22:23], v[104:105]
	v_mov_b64_e32 v[24:25], v[106:107]
	;; [unrolled: 1-line block ×5, first 2 shown]
	v_mov_b32_e32 v17, v99
	v_mov_b32_e32 v18, v100
	;; [unrolled: 1-line block ×3, first 2 shown]
	scratch_store_dwordx4 off, v[0:3], off offset:1040 ; 16-byte Folded Spill
	s_nop 0
	scratch_store_dwordx4 off, v[4:7], off offset:1056 ; 16-byte Folded Spill
	scratch_store_dwordx4 off, v[8:11], off offset:1072 ; 16-byte Folded Spill
	;; [unrolled: 1-line block ×7, first 2 shown]
	v_mov_b32_e32 v21, v103
	v_mov_b64_e32 v[16:17], v[98:99]
	v_mov_b32_e32 v22, v104
	v_mov_b32_e32 v23, v105
	;; [unrolled: 1-line block ×10, first 2 shown]
	v_mov_b64_e32 v[18:19], v[100:101]
	v_mov_b32_e32 v103, v206
	scratch_store_dwordx4 off, v[0:3], off offset:912 ; 16-byte Folded Spill
	s_nop 0
	scratch_store_dwordx4 off, v[4:7], off offset:928 ; 16-byte Folded Spill
	scratch_store_dwordx4 off, v[8:11], off offset:944 ; 16-byte Folded Spill
	;; [unrolled: 1-line block ×7, first 2 shown]
	v_mov_b64_e32 v[22:23], v[104:105]
	v_mov_b32_e32 v16, v98
	v_mov_b64_e32 v[24:25], v[106:107]
	v_mov_b64_e32 v[26:27], v[108:109]
	;; [unrolled: 1-line block ×4, first 2 shown]
	v_mov_b32_e32 v17, v99
	v_mov_b32_e32 v18, v100
	;; [unrolled: 1-line block ×5, first 2 shown]
	scratch_store_dwordx4 off, v[0:3], off offset:784 ; 16-byte Folded Spill
	s_nop 0
	scratch_store_dwordx4 off, v[4:7], off offset:800 ; 16-byte Folded Spill
	scratch_store_dwordx4 off, v[8:11], off offset:816 ; 16-byte Folded Spill
	;; [unrolled: 1-line block ×7, first 2 shown]
	v_mov_b32_e32 v23, v105
	v_mov_b64_e32 v[16:17], v[98:99]
	v_mov_b32_e32 v24, v106
	v_mov_b32_e32 v25, v107
	;; [unrolled: 1-line block ×8, first 2 shown]
	v_mov_b64_e32 v[18:19], v[100:101]
	v_mov_b64_e32 v[20:21], v[102:103]
	v_mov_b32_e32 v105, v204
	scratch_store_dwordx4 off, v[0:3], off offset:656 ; 16-byte Folded Spill
	s_nop 0
	scratch_store_dwordx4 off, v[4:7], off offset:672 ; 16-byte Folded Spill
	scratch_store_dwordx4 off, v[8:11], off offset:688 ; 16-byte Folded Spill
	;; [unrolled: 1-line block ×7, first 2 shown]
	s_nop 0
	v_mov_b64_e32 v[24:25], v[106:107]
	v_mov_b32_e32 v16, v98
	v_mov_b64_e32 v[26:27], v[108:109]
	v_mov_b64_e32 v[28:29], v[110:111]
	;; [unrolled: 1-line block ×3, first 2 shown]
	v_mov_b32_e32 v17, v99
	v_mov_b32_e32 v18, v100
	;; [unrolled: 1-line block ×7, first 2 shown]
	scratch_store_dwordx4 off, v[0:3], off offset:528 ; 16-byte Folded Spill
	s_nop 0
	scratch_store_dwordx4 off, v[4:7], off offset:544 ; 16-byte Folded Spill
	scratch_store_dwordx4 off, v[8:11], off offset:560 ; 16-byte Folded Spill
	;; [unrolled: 1-line block ×7, first 2 shown]
	v_mov_b64_e32 v[16:17], v[98:99]
	v_mov_b32_e32 v25, v107
	v_mov_b64_e32 v[18:19], v[100:101]
	v_mov_b64_e32 v[20:21], v[102:103]
	;; [unrolled: 1-line block ×3, first 2 shown]
	v_mov_b32_e32 v26, v108
	v_mov_b32_e32 v27, v109
	;; [unrolled: 1-line block ×7, first 2 shown]
	scratch_store_dwordx4 off, v[0:3], off offset:392 ; 16-byte Folded Spill
	s_nop 0
	scratch_store_dwordx4 off, v[4:7], off offset:408 ; 16-byte Folded Spill
	scratch_store_dwordx4 off, v[8:11], off offset:424 ; 16-byte Folded Spill
	;; [unrolled: 1-line block ×7, first 2 shown]
	v_mov_b32_e32 v16, v98
	v_mov_b64_e32 v[26:27], v[108:109]
	v_mov_b32_e32 v17, v99
	v_mov_b32_e32 v18, v100
	v_mov_b32_e32 v19, v101
	v_mov_b32_e32 v20, v102
	v_mov_b32_e32 v21, v103
	v_mov_b32_e32 v22, v104
	v_mov_b32_e32 v23, v105
	v_mov_b32_e32 v24, v106
	v_mov_b64_e32 v[28:29], v[110:111]
	v_mov_b64_e32 v[30:31], v[112:113]
	scratch_store_dwordx4 off, v[0:3], off offset:264 ; 16-byte Folded Spill
	s_nop 0
	scratch_store_dwordx4 off, v[4:7], off offset:280 ; 16-byte Folded Spill
	scratch_store_dwordx4 off, v[8:11], off offset:296 ; 16-byte Folded Spill
	;; [unrolled: 1-line block ×7, first 2 shown]
	v_mov_b64_e32 v[16:17], v[98:99]
	v_mov_b32_e32 v27, v109
	v_mov_b64_e32 v[18:19], v[100:101]
	v_mov_b64_e32 v[20:21], v[102:103]
	;; [unrolled: 1-line block ×4, first 2 shown]
	v_mov_b32_e32 v28, v110
	v_mov_b32_e32 v29, v111
	;; [unrolled: 1-line block ×4, first 2 shown]
	scratch_store_dwordx4 off, v[0:3], off offset:128 ; 16-byte Folded Spill
	s_nop 0
	scratch_store_dwordx4 off, v[4:7], off offset:144 ; 16-byte Folded Spill
	scratch_store_dwordx4 off, v[8:11], off offset:160 ; 16-byte Folded Spill
	;; [unrolled: 1-line block ×7, first 2 shown]
	v_mov_b64_e32 v[0:1], v[82:83]
	v_mov_b64_e32 v[26:27], v[108:109]
	;; [unrolled: 1-line block ×4, first 2 shown]
	v_mov_b32_e32 v26, v211
	v_mov_b64_e32 v[2:3], v[84:85]
	v_mov_b64_e32 v[4:5], v[86:87]
	;; [unrolled: 1-line block ×13, first 2 shown]
	v_mov_b32_e32 v90, v26
	v_mov_b64_e32 v[94:95], v[30:31]
	v_mov_b64_e32 v[76:77], v[12:13]
	;; [unrolled: 1-line block ×8, first 2 shown]
	v_mov_b32_e32 v89, v25
	v_mov_b32_e32 v88, v24
	;; [unrolled: 1-line block ×10, first 2 shown]
	v_mov_b64_e32 v[92:93], v[28:29]
	scratch_store_dwordx4 off, v[64:67], off ; 16-byte Folded Spill
	s_nop 0
	scratch_store_dwordx4 off, v[68:71], off offset:16 ; 16-byte Folded Spill
	scratch_store_dwordx4 off, v[72:75], off offset:32 ; 16-byte Folded Spill
	;; [unrolled: 1-line block ×7, first 2 shown]
	v_mov_b32_e32 v27, v208
	v_mov_b64_e32 v[112:113], v[30:31]
	v_mov_b64_e32 v[142:143], v[14:15]
	;; [unrolled: 1-line block ×3, first 2 shown]
	v_mov_b32_e32 v159, v31
	v_mov_b64_e32 v[110:111], v[28:29]
	v_mov_b64_e32 v[82:83], v[0:1]
	;; [unrolled: 1-line block ×14, first 2 shown]
	v_mov_b32_e32 v158, v30
	v_mov_b32_e32 v157, v29
	v_mov_b64_e32 v[108:109], v[26:27]
	v_mov_b64_e32 v[106:107], v[24:25]
	;; [unrolled: 1-line block ×13, first 2 shown]
	v_mov_b32_e32 v110, v209
	v_mov_b32_e32 v111, v218
	v_mov_b64_e32 v[0:1], v[82:83]
	v_mov_b64_e32 v[236:237], v[96:97]
	;; [unrolled: 1-line block ×31, first 2 shown]
	v_mov_b32_e32 v30, v219
	v_mov_b32_e32 v31, v255
	scratch_store_dwordx4 off, v[32:35], off offset:1820 ; 16-byte Folded Spill
	s_nop 0
	scratch_store_dwordx4 off, v[36:39], off offset:1836 ; 16-byte Folded Spill
	scratch_store_dwordx4 off, v[40:43], off offset:1852 ; 16-byte Folded Spill
	;; [unrolled: 1-line block ×7, first 2 shown]
.LBB62_223:
	s_or_b64 exec, exec, s[0:1]
	s_waitcnt vmcnt(63) expcnt(7) lgkmcnt(15)
	s_barrier
	scratch_load_dwordx2 v[32:33], off, off offset:520 ; 8-byte Folded Reload
	v_lshl_add_u32 v62, v221, 2, v214
	s_cmp_lt_i32 s22, 15
	s_waitcnt vmcnt(0)
	ds_write_b32 v62, v32
	s_waitcnt lgkmcnt(0)
	s_barrier
	ds_read_b32 v64, v214 offset:52
	v_mov_b32_e32 v62, 13
	s_cbranch_scc1 .LBB62_226
; %bb.224:
	v_add3_u32 v63, v215, 0, 56
	v_mov_b32_e32 v62, 13
	s_mov_b32 s0, 14
.LBB62_225:                             ; =>This Inner Loop Header: Depth=1
	ds_read_b32 v65, v63
	v_add_u32_e32 v63, 4, v63
	s_waitcnt lgkmcnt(0)
	v_cmp_lt_f32_e64 vcc, |v64|, |v65|
	s_nop 1
	v_cndmask_b32_e32 v64, v64, v65, vcc
	v_mov_b32_e32 v65, s0
	s_add_i32 s0, s0, 1
	v_cndmask_b32_e32 v62, v62, v65, vcc
	s_cmp_lg_u32 s22, s0
	s_cbranch_scc1 .LBB62_225
.LBB62_226:
	s_waitcnt lgkmcnt(0)
	v_cmp_eq_f32_e32 vcc, 0, v64
	s_and_saveexec_b64 s[0:1], vcc
	s_xor_b64 s[0:1], exec, s[0:1]
; %bb.227:
	v_cmp_ne_u32_e32 vcc, 0, v220
	s_nop 1
	v_cndmask_b32_e32 v220, 14, v220, vcc
; %bb.228:
	s_andn2_saveexec_b64 s[0:1], s[0:1]
	s_cbranch_execz .LBB62_230
; %bb.229:
	v_div_scale_f32 v63, s[2:3], v64, v64, 1.0
	v_rcp_f32_e32 v65, v63
	v_div_scale_f32 v66, vcc, 1.0, v64, 1.0
	v_fma_f32 v67, -v63, v65, 1.0
	v_fmac_f32_e32 v65, v67, v65
	v_mul_f32_e32 v67, v66, v65
	v_fma_f32 v68, -v63, v67, v66
	v_fmac_f32_e32 v67, v68, v65
	v_fma_f32 v63, -v63, v67, v66
	v_div_fmas_f32 v63, v63, v65, v67
	v_div_fixup_f32 v64, v63, v64, 1.0
.LBB62_230:
	s_or_b64 exec, exec, s[0:1]
	v_cmp_ne_u32_e32 vcc, v221, v62
	s_and_saveexec_b64 s[0:1], vcc
	s_xor_b64 s[0:1], exec, s[0:1]
	s_cbranch_execz .LBB62_236
; %bb.231:
	v_cmp_eq_u32_e32 vcc, 13, v221
	s_and_saveexec_b64 s[2:3], vcc
	s_cbranch_execz .LBB62_235
; %bb.232:
	v_cmp_ne_u32_e32 vcc, 13, v62
	s_xor_b64 s[18:19], s[16:17], -1
	s_and_b64 s[20:21], s[18:19], vcc
	s_and_saveexec_b64 s[18:19], s[20:21]
	s_cbranch_execz .LBB62_234
; %bb.233:
	scratch_load_dwordx2 v[32:33], off, off offset:2076 ; 8-byte Folded Reload
	v_ashrrev_i32_e32 v63, 31, v62
	s_waitcnt vmcnt(0)
	v_lshl_add_u64 v[66:67], v[62:63], 2, v[32:33]
	global_load_dword v63, v[66:67], off
	global_load_dword v65, v[32:33], off offset:52
	s_waitcnt vmcnt(1)
	global_store_dword v[32:33], v63, off offset:52
	s_waitcnt vmcnt(1)
	global_store_dword v[66:67], v65, off
.LBB62_234:
	s_or_b64 exec, exec, s[18:19]
	v_mov_b32_e32 v32, v62
	v_mov_b32_e32 v221, v62
	scratch_store_dword off, v32, off offset:1304 ; 4-byte Folded Spill
.LBB62_235:
	s_or_b64 exec, exec, s[2:3]
.LBB62_236:
	s_andn2_saveexec_b64 s[0:1], s[0:1]
	s_cbranch_execz .LBB62_238
; %bb.237:
	v_mov_b32_e32 v221, 13
	ds_write2_b32 v214, v14, v15 offset0:14 offset1:15
	ds_write2_b32 v214, v16, v17 offset0:16 offset1:17
	;; [unrolled: 1-line block ×9, first 2 shown]
.LBB62_238:
	s_or_b64 exec, exec, s[0:1]
	v_cmp_lt_i32_e32 vcc, 13, v221
	s_waitcnt lgkmcnt(0)
	s_barrier
	s_and_saveexec_b64 s[0:1], vcc
	s_cbranch_execz .LBB62_240
; %bb.239:
	ds_read2_b32 v[0:1], v214 offset0:14 offset1:15
	ds_read2_b32 v[2:3], v214 offset0:16 offset1:17
	;; [unrolled: 1-line block ×4, first 2 shown]
	scratch_load_dwordx2 v[8:9], off, off offset:520 ; 8-byte Folded Reload
	s_waitcnt vmcnt(0)
	v_mul_f32_e32 v8, v8, v64
	s_waitcnt lgkmcnt(3)
	v_pk_fma_f32 v[64:65], v[8:9], v[0:1], v[14:15] op_sel_hi:[0,1,1] neg_lo:[1,0,0] neg_hi:[1,0,0]
	s_waitcnt lgkmcnt(2)
	v_pk_fma_f32 v[66:67], v[8:9], v[2:3], v[16:17] op_sel_hi:[0,1,1] neg_lo:[1,0,0] neg_hi:[1,0,0]
	;; [unrolled: 2-line block ×4, first 2 shown]
	ds_read2_b32 v[0:1], v214 offset0:22 offset1:23
	ds_read2_b32 v[2:3], v214 offset0:24 offset1:25
	;; [unrolled: 1-line block ×5, first 2 shown]
	scratch_load_dwordx4 v[32:35], off, off offset:1820 ; 16-byte Folded Reload
	scratch_load_dwordx4 v[36:39], off, off offset:1836 ; 16-byte Folded Reload
	;; [unrolled: 1-line block ×8, first 2 shown]
	s_waitcnt vmcnt(4)
	v_mov_b32_e32 v45, v8
	s_waitcnt lgkmcnt(4)
	v_pk_fma_f32 v[72:73], v[8:9], v[0:1], v[22:23] op_sel_hi:[0,1,1] neg_lo:[1,0,0] neg_hi:[1,0,0]
	s_waitcnt lgkmcnt(3)
	v_pk_fma_f32 v[74:75], v[8:9], v[2:3], v[24:25] op_sel_hi:[0,1,1] neg_lo:[1,0,0] neg_hi:[1,0,0]
	;; [unrolled: 2-line block ×5, first 2 shown]
	v_mov_b32_e32 v250, v78
	v_mov_b32_e32 v216, v67
	v_mov_b32_e32 v217, v68
	v_mov_b32_e32 v160, v69
	v_mov_b32_e32 v161, v70
	v_mov_b32_e32 v206, v71
	v_mov_b32_e32 v207, v72
	v_mov_b32_e32 v204, v73
	v_mov_b32_e32 v205, v74
	v_mov_b32_e32 v210, v75
	v_mov_b32_e32 v211, v76
	v_mov_b32_e32 v208, v77
	v_mov_b32_e32 v209, v78
	v_mov_b32_e32 v218, v79
	v_mov_b32_e32 v219, v254
	s_waitcnt vmcnt(0)
	v_mov_b64_e32 v[112:113], v[62:63]
	v_mov_b64_e32 v[98:99], v[48:49]
	;; [unrolled: 1-line block ×16, first 2 shown]
	v_mov_b32_e32 v96, v64
	v_mov_b64_e32 v[16:17], v[98:99]
	v_mov_b64_e32 v[0:1], v[82:83]
	v_mov_b32_e32 v12, v94
	v_mov_b64_e32 v[18:19], v[100:101]
	v_mov_b64_e32 v[20:21], v[102:103]
	;; [unrolled: 1-line block ×12, first 2 shown]
	v_mov_b32_e32 v13, v95
	v_mov_b32_e32 v14, v96
	scratch_store_dwordx4 off, v[0:3], off offset:1564 ; 16-byte Folded Spill
	s_nop 0
	scratch_store_dwordx4 off, v[4:7], off offset:1580 ; 16-byte Folded Spill
	scratch_store_dwordx4 off, v[8:11], off offset:1596 ; 16-byte Folded Spill
	;; [unrolled: 1-line block ×7, first 2 shown]
	v_mov_b32_e32 v97, v65
	v_mov_b64_e32 v[0:1], v[82:83]
	v_mov_b64_e32 v[2:3], v[84:85]
	v_mov_b64_e32 v[4:5], v[86:87]
	v_mov_b64_e32 v[6:7], v[88:89]
	v_mov_b64_e32 v[8:9], v[90:91]
	v_mov_b64_e32 v[10:11], v[92:93]
	v_mov_b64_e32 v[12:13], v[94:95]
	v_mov_b64_e32 v[14:15], v[96:97]
	v_mov_b32_e32 v98, v66
	v_mov_b32_e32 v99, v67
	scratch_store_dwordx4 off, v[0:3], off offset:1436 ; 16-byte Folded Spill
	s_nop 0
	scratch_store_dwordx4 off, v[4:7], off offset:1452 ; 16-byte Folded Spill
	scratch_store_dwordx4 off, v[8:11], off offset:1468 ; 16-byte Folded Spill
	scratch_store_dwordx4 off, v[12:15], off offset:1484 ; 16-byte Folded Spill
	scratch_store_dwordx4 off, v[16:19], off offset:1500 ; 16-byte Folded Spill
	scratch_store_dwordx4 off, v[20:23], off offset:1516 ; 16-byte Folded Spill
	scratch_store_dwordx4 off, v[24:27], off offset:1532 ; 16-byte Folded Spill
	scratch_store_dwordx4 off, v[28:31], off offset:1548 ; 16-byte Folded Spill
	v_mov_b64_e32 v[18:19], v[100:101]
	v_mov_b64_e32 v[20:21], v[102:103]
	;; [unrolled: 1-line block ×7, first 2 shown]
	v_mov_b32_e32 v16, v66
	v_mov_b32_e32 v100, v68
	scratch_store_dwordx4 off, v[0:3], off offset:1308 ; 16-byte Folded Spill
	s_nop 0
	scratch_store_dwordx4 off, v[4:7], off offset:1324 ; 16-byte Folded Spill
	scratch_store_dwordx4 off, v[8:11], off offset:1340 ; 16-byte Folded Spill
	;; [unrolled: 1-line block ×7, first 2 shown]
	v_mov_b32_e32 v19, v101
	v_mov_b32_e32 v20, v102
	;; [unrolled: 1-line block ×12, first 2 shown]
	v_mov_b64_e32 v[16:17], v[98:99]
	v_mov_b32_e32 v31, v113
	v_mov_b32_e32 v101, v69
	scratch_store_dwordx4 off, v[0:3], off offset:1168 ; 16-byte Folded Spill
	s_nop 0
	scratch_store_dwordx4 off, v[4:7], off offset:1184 ; 16-byte Folded Spill
	scratch_store_dwordx4 off, v[8:11], off offset:1200 ; 16-byte Folded Spill
	;; [unrolled: 1-line block ×7, first 2 shown]
	v_mov_b64_e32 v[20:21], v[102:103]
	v_mov_b32_e32 v16, v98
	v_mov_b64_e32 v[22:23], v[104:105]
	v_mov_b64_e32 v[24:25], v[106:107]
	;; [unrolled: 1-line block ×5, first 2 shown]
	v_mov_b32_e32 v17, v99
	v_mov_b32_e32 v18, v100
	;; [unrolled: 1-line block ×3, first 2 shown]
	scratch_store_dwordx4 off, v[0:3], off offset:1040 ; 16-byte Folded Spill
	s_nop 0
	scratch_store_dwordx4 off, v[4:7], off offset:1056 ; 16-byte Folded Spill
	scratch_store_dwordx4 off, v[8:11], off offset:1072 ; 16-byte Folded Spill
	;; [unrolled: 1-line block ×7, first 2 shown]
	v_mov_b32_e32 v21, v103
	v_mov_b64_e32 v[16:17], v[98:99]
	v_mov_b32_e32 v22, v104
	v_mov_b32_e32 v23, v105
	;; [unrolled: 1-line block ×10, first 2 shown]
	v_mov_b64_e32 v[18:19], v[100:101]
	v_mov_b32_e32 v103, v71
	scratch_store_dwordx4 off, v[0:3], off offset:912 ; 16-byte Folded Spill
	s_nop 0
	scratch_store_dwordx4 off, v[4:7], off offset:928 ; 16-byte Folded Spill
	scratch_store_dwordx4 off, v[8:11], off offset:944 ; 16-byte Folded Spill
	;; [unrolled: 1-line block ×7, first 2 shown]
	v_mov_b64_e32 v[22:23], v[104:105]
	v_mov_b32_e32 v16, v98
	v_mov_b64_e32 v[24:25], v[106:107]
	v_mov_b64_e32 v[26:27], v[108:109]
	;; [unrolled: 1-line block ×4, first 2 shown]
	v_mov_b32_e32 v17, v99
	v_mov_b32_e32 v18, v100
	;; [unrolled: 1-line block ×5, first 2 shown]
	scratch_store_dwordx4 off, v[0:3], off offset:784 ; 16-byte Folded Spill
	s_nop 0
	scratch_store_dwordx4 off, v[4:7], off offset:800 ; 16-byte Folded Spill
	scratch_store_dwordx4 off, v[8:11], off offset:816 ; 16-byte Folded Spill
	;; [unrolled: 1-line block ×7, first 2 shown]
	v_mov_b32_e32 v23, v105
	v_mov_b64_e32 v[16:17], v[98:99]
	v_mov_b32_e32 v24, v106
	v_mov_b32_e32 v25, v107
	;; [unrolled: 1-line block ×8, first 2 shown]
	v_mov_b64_e32 v[18:19], v[100:101]
	v_mov_b64_e32 v[20:21], v[102:103]
	v_mov_b32_e32 v105, v73
	scratch_store_dwordx4 off, v[0:3], off offset:656 ; 16-byte Folded Spill
	s_nop 0
	scratch_store_dwordx4 off, v[4:7], off offset:672 ; 16-byte Folded Spill
	scratch_store_dwordx4 off, v[8:11], off offset:688 ; 16-byte Folded Spill
	;; [unrolled: 1-line block ×7, first 2 shown]
	s_nop 0
	v_mov_b64_e32 v[24:25], v[106:107]
	v_mov_b32_e32 v16, v98
	v_mov_b64_e32 v[26:27], v[108:109]
	v_mov_b64_e32 v[28:29], v[110:111]
	;; [unrolled: 1-line block ×3, first 2 shown]
	v_mov_b32_e32 v17, v99
	v_mov_b32_e32 v18, v100
	;; [unrolled: 1-line block ×7, first 2 shown]
	scratch_store_dwordx4 off, v[0:3], off offset:528 ; 16-byte Folded Spill
	s_nop 0
	scratch_store_dwordx4 off, v[4:7], off offset:544 ; 16-byte Folded Spill
	scratch_store_dwordx4 off, v[8:11], off offset:560 ; 16-byte Folded Spill
	;; [unrolled: 1-line block ×7, first 2 shown]
	v_mov_b64_e32 v[16:17], v[98:99]
	v_mov_b32_e32 v25, v107
	v_mov_b64_e32 v[18:19], v[100:101]
	v_mov_b64_e32 v[20:21], v[102:103]
	;; [unrolled: 1-line block ×3, first 2 shown]
	v_mov_b32_e32 v26, v108
	v_mov_b32_e32 v27, v109
	;; [unrolled: 1-line block ×7, first 2 shown]
	scratch_store_dwordx4 off, v[0:3], off offset:392 ; 16-byte Folded Spill
	s_nop 0
	scratch_store_dwordx4 off, v[4:7], off offset:408 ; 16-byte Folded Spill
	scratch_store_dwordx4 off, v[8:11], off offset:424 ; 16-byte Folded Spill
	;; [unrolled: 1-line block ×7, first 2 shown]
	v_mov_b32_e32 v16, v98
	v_mov_b64_e32 v[26:27], v[108:109]
	v_mov_b32_e32 v17, v99
	v_mov_b32_e32 v18, v100
	;; [unrolled: 1-line block ×8, first 2 shown]
	v_mov_b64_e32 v[28:29], v[110:111]
	v_mov_b64_e32 v[30:31], v[112:113]
	scratch_store_dwordx4 off, v[0:3], off offset:264 ; 16-byte Folded Spill
	s_nop 0
	scratch_store_dwordx4 off, v[4:7], off offset:280 ; 16-byte Folded Spill
	scratch_store_dwordx4 off, v[8:11], off offset:296 ; 16-byte Folded Spill
	;; [unrolled: 1-line block ×7, first 2 shown]
	v_mov_b64_e32 v[16:17], v[98:99]
	v_mov_b32_e32 v27, v109
	v_mov_b64_e32 v[18:19], v[100:101]
	v_mov_b64_e32 v[20:21], v[102:103]
	;; [unrolled: 1-line block ×4, first 2 shown]
	v_mov_b32_e32 v28, v110
	v_mov_b32_e32 v29, v111
	;; [unrolled: 1-line block ×4, first 2 shown]
	scratch_store_dwordx4 off, v[0:3], off offset:128 ; 16-byte Folded Spill
	s_nop 0
	scratch_store_dwordx4 off, v[4:7], off offset:144 ; 16-byte Folded Spill
	scratch_store_dwordx4 off, v[8:11], off offset:160 ; 16-byte Folded Spill
	;; [unrolled: 1-line block ×7, first 2 shown]
	v_mov_b64_e32 v[0:1], v[82:83]
	v_mov_b64_e32 v[26:27], v[108:109]
	;; [unrolled: 1-line block ×4, first 2 shown]
	v_mov_b32_e32 v26, v76
	v_mov_b64_e32 v[2:3], v[84:85]
	v_mov_b64_e32 v[4:5], v[86:87]
	;; [unrolled: 1-line block ×13, first 2 shown]
	v_mov_b32_e32 v106, v26
	v_mov_b64_e32 v[110:111], v[30:31]
	v_mov_b64_e32 v[92:93], v[12:13]
	;; [unrolled: 1-line block ×8, first 2 shown]
	v_mov_b32_e32 v105, v25
	v_mov_b32_e32 v104, v24
	;; [unrolled: 1-line block ×10, first 2 shown]
	v_mov_b64_e32 v[108:109], v[28:29]
	scratch_store_dwordx4 off, v[80:83], off ; 16-byte Folded Spill
	s_nop 0
	scratch_store_dwordx4 off, v[84:87], off offset:16 ; 16-byte Folded Spill
	scratch_store_dwordx4 off, v[88:91], off offset:32 ; 16-byte Folded Spill
	;; [unrolled: 1-line block ×8, first 2 shown]
	s_nop 0
	scratch_store_dwordx4 off, v[36:39], off offset:1708 ; 16-byte Folded Spill
	scratch_store_dwordx4 off, v[40:43], off offset:1724 ; 16-byte Folded Spill
	;; [unrolled: 1-line block ×7, first 2 shown]
	v_mov_b32_e32 v27, v77
	v_mov_b64_e32 v[112:113], v[30:31]
	v_mov_b64_e32 v[142:143], v[14:15]
	;; [unrolled: 1-line block ×3, first 2 shown]
	v_mov_b32_e32 v159, v31
	v_mov_b64_e32 v[110:111], v[28:29]
	v_mov_b64_e32 v[82:83], v[0:1]
	;; [unrolled: 1-line block ×14, first 2 shown]
	v_mov_b32_e32 v158, v30
	v_mov_b32_e32 v157, v29
	v_mov_b64_e32 v[108:109], v[26:27]
	v_mov_b64_e32 v[106:107], v[24:25]
	;; [unrolled: 1-line block ×13, first 2 shown]
	v_mov_b32_e32 v110, v78
	v_mov_b32_e32 v111, v79
	v_mov_b64_e32 v[0:1], v[82:83]
	v_mov_b64_e32 v[236:237], v[96:97]
	;; [unrolled: 1-line block ×4, first 2 shown]
	v_mov_b32_e32 v33, v64
	v_mov_b64_e32 v[234:235], v[94:95]
	v_mov_b64_e32 v[232:233], v[92:93]
	v_mov_b64_e32 v[230:231], v[90:91]
	v_mov_b64_e32 v[228:229], v[88:89]
	v_mov_b64_e32 v[226:227], v[86:87]
	v_mov_b64_e32 v[224:225], v[84:85]
	v_mov_b64_e32 v[222:223], v[82:83]
	v_mov_b64_e32 v[246:247], v[106:107]
	v_mov_b64_e32 v[244:245], v[104:105]
	v_mov_b64_e32 v[242:243], v[102:103]
	v_mov_b64_e32 v[240:241], v[100:101]
	v_mov_b64_e32 v[238:239], v[98:99]
	v_mov_b64_e32 v[252:253], v[112:113]
	v_mov_b64_e32 v[2:3], v[84:85]
	v_mov_b64_e32 v[4:5], v[86:87]
	v_mov_b64_e32 v[6:7], v[88:89]
	v_mov_b64_e32 v[8:9], v[90:91]
	v_mov_b64_e32 v[10:11], v[92:93]
	v_mov_b64_e32 v[12:13], v[94:95]
	v_mov_b64_e32 v[14:15], v[96:97]
	v_mov_b64_e32 v[16:17], v[98:99]
	v_mov_b64_e32 v[18:19], v[100:101]
	v_mov_b64_e32 v[20:21], v[102:103]
	v_mov_b64_e32 v[22:23], v[104:105]
	v_mov_b64_e32 v[24:25], v[106:107]
	v_mov_b64_e32 v[26:27], v[108:109]
	v_mov_b64_e32 v[28:29], v[110:111]
	v_mov_b32_e32 v30, v254
	v_mov_b32_e32 v31, v255
	scratch_store_dwordx2 off, v[32:33], off offset:520 ; 8-byte Folded Spill
	v_mov_b32_e32 v32, v65
	v_mov_b32_e32 v33, v66
	scratch_store_dwordx2 off, v[32:33], off offset:256 ; 8-byte Folded Spill
.LBB62_240:
	s_or_b64 exec, exec, s[0:1]
	s_waitcnt vmcnt(63) expcnt(7) lgkmcnt(15)
	s_barrier
	scratch_load_dwordx2 v[32:33], off, off offset:520 ; 8-byte Folded Reload
	v_lshl_add_u32 v62, v221, 2, v214
	s_cmp_lt_i32 s22, 16
	s_waitcnt vmcnt(0)
	ds_write_b32 v62, v33
	s_waitcnt lgkmcnt(0)
	s_barrier
	ds_read_b32 v64, v214 offset:56
	v_mov_b32_e32 v62, 14
	s_cbranch_scc1 .LBB62_243
; %bb.241:
	v_add3_u32 v63, v215, 0, 60
	v_mov_b32_e32 v62, 14
	s_mov_b32 s0, 15
.LBB62_242:                             ; =>This Inner Loop Header: Depth=1
	ds_read_b32 v65, v63
	v_add_u32_e32 v63, 4, v63
	s_waitcnt lgkmcnt(0)
	v_cmp_lt_f32_e64 vcc, |v64|, |v65|
	s_nop 1
	v_cndmask_b32_e32 v64, v64, v65, vcc
	v_mov_b32_e32 v65, s0
	s_add_i32 s0, s0, 1
	v_cndmask_b32_e32 v62, v62, v65, vcc
	s_cmp_lg_u32 s22, s0
	s_cbranch_scc1 .LBB62_242
.LBB62_243:
	s_waitcnt lgkmcnt(0)
	v_cmp_eq_f32_e32 vcc, 0, v64
	s_and_saveexec_b64 s[0:1], vcc
	s_xor_b64 s[0:1], exec, s[0:1]
; %bb.244:
	v_cmp_ne_u32_e32 vcc, 0, v220
	s_nop 1
	v_cndmask_b32_e32 v220, 15, v220, vcc
; %bb.245:
	s_andn2_saveexec_b64 s[0:1], s[0:1]
	s_cbranch_execz .LBB62_247
; %bb.246:
	v_div_scale_f32 v63, s[2:3], v64, v64, 1.0
	v_rcp_f32_e32 v65, v63
	v_div_scale_f32 v66, vcc, 1.0, v64, 1.0
	v_fma_f32 v67, -v63, v65, 1.0
	v_fmac_f32_e32 v65, v67, v65
	v_mul_f32_e32 v67, v66, v65
	v_fma_f32 v68, -v63, v67, v66
	v_fmac_f32_e32 v67, v68, v65
	v_fma_f32 v63, -v63, v67, v66
	v_div_fmas_f32 v63, v63, v65, v67
	v_div_fixup_f32 v64, v63, v64, 1.0
.LBB62_247:
	s_or_b64 exec, exec, s[0:1]
	v_cmp_ne_u32_e32 vcc, v221, v62
	s_and_saveexec_b64 s[0:1], vcc
	s_xor_b64 s[0:1], exec, s[0:1]
	s_cbranch_execz .LBB62_253
; %bb.248:
	v_cmp_eq_u32_e32 vcc, 14, v221
	s_and_saveexec_b64 s[2:3], vcc
	s_cbranch_execz .LBB62_252
; %bb.249:
	v_cmp_ne_u32_e32 vcc, 14, v62
	s_xor_b64 s[18:19], s[16:17], -1
	s_and_b64 s[20:21], s[18:19], vcc
	s_and_saveexec_b64 s[18:19], s[20:21]
	s_cbranch_execz .LBB62_251
; %bb.250:
	scratch_load_dwordx2 v[32:33], off, off offset:2076 ; 8-byte Folded Reload
	v_ashrrev_i32_e32 v63, 31, v62
	s_waitcnt vmcnt(0)
	v_lshl_add_u64 v[66:67], v[62:63], 2, v[32:33]
	global_load_dword v63, v[66:67], off
	global_load_dword v65, v[32:33], off offset:56
	s_waitcnt vmcnt(1)
	global_store_dword v[32:33], v63, off offset:56
	s_waitcnt vmcnt(1)
	global_store_dword v[66:67], v65, off
.LBB62_251:
	s_or_b64 exec, exec, s[18:19]
	v_mov_b32_e32 v32, v62
	v_mov_b32_e32 v221, v62
	scratch_store_dword off, v32, off offset:1304 ; 4-byte Folded Spill
.LBB62_252:
	s_or_b64 exec, exec, s[2:3]
.LBB62_253:
	s_andn2_saveexec_b64 s[0:1], s[0:1]
	s_cbranch_execz .LBB62_255
; %bb.254:
	v_mov_b32_e32 v221, 14
	ds_write2_b32 v214, v15, v16 offset0:15 offset1:16
	ds_write2_b32 v214, v17, v18 offset0:17 offset1:18
	;; [unrolled: 1-line block ×8, first 2 shown]
	ds_write_b32 v214, v255 offset:124
.LBB62_255:
	s_or_b64 exec, exec, s[0:1]
	v_cmp_lt_i32_e32 vcc, 14, v221
	s_waitcnt lgkmcnt(0)
	s_barrier
	s_and_saveexec_b64 s[0:1], vcc
	s_cbranch_execz .LBB62_257
; %bb.256:
	scratch_load_dwordx4 v[32:35], off, off offset:1692 ; 16-byte Folded Reload
	scratch_load_dwordx4 v[36:39], off, off offset:1708 ; 16-byte Folded Reload
	;; [unrolled: 1-line block ×8, first 2 shown]
	scratch_load_dwordx2 v[0:1], off, off offset:520 ; 8-byte Folded Reload
	v_mov_b32_e32 v2, v15
	v_mov_b32_e32 v3, v16
	s_waitcnt vmcnt(0)
	v_mul_f32_e32 v46, v1, v64
	ds_read2_b32 v[0:1], v214 offset0:15 offset1:16
	ds_read2_b32 v[4:5], v214 offset0:17 offset1:18
	;; [unrolled: 1-line block ×4, first 2 shown]
	v_mov_b64_e32 v[112:113], v[62:63]
	v_mov_b64_e32 v[110:111], v[60:61]
	;; [unrolled: 1-line block ×3, first 2 shown]
	s_waitcnt lgkmcnt(3)
	v_pk_fma_f32 v[64:65], v[46:47], v[0:1], v[2:3] op_sel_hi:[0,1,1] neg_lo:[1,0,0] neg_hi:[1,0,0]
	v_mov_b32_e32 v0, v17
	v_mov_b32_e32 v1, v18
	s_waitcnt lgkmcnt(2)
	v_pk_fma_f32 v[216:217], v[46:47], v[4:5], v[0:1] op_sel_hi:[0,1,1] neg_lo:[1,0,0] neg_hi:[1,0,0]
	v_mov_b32_e32 v0, v19
	v_mov_b32_e32 v1, v20
	;; [unrolled: 4-line block ×3, first 2 shown]
	s_waitcnt lgkmcnt(0)
	v_pk_fma_f32 v[206:207], v[46:47], v[8:9], v[0:1] op_sel_hi:[0,1,1] neg_lo:[1,0,0] neg_hi:[1,0,0]
	ds_read2_b32 v[0:1], v214 offset0:23 offset1:24
	v_mov_b32_e32 v2, v23
	v_mov_b32_e32 v3, v24
	ds_read2_b32 v[4:5], v214 offset0:25 offset1:26
	ds_read2_b32 v[6:7], v214 offset0:27 offset1:28
	;; [unrolled: 1-line block ×3, first 2 shown]
	v_mov_b64_e32 v[96:97], v[46:47]
	s_waitcnt lgkmcnt(3)
	v_pk_fma_f32 v[204:205], v[46:47], v[0:1], v[2:3] op_sel_hi:[0,1,1] neg_lo:[1,0,0] neg_hi:[1,0,0]
	ds_read_b32 v2, v214 offset:124
	v_mov_b32_e32 v0, v25
	v_mov_b32_e32 v1, v26
	s_waitcnt lgkmcnt(3)
	v_pk_fma_f32 v[210:211], v[46:47], v[4:5], v[0:1] op_sel_hi:[0,1,1] neg_lo:[1,0,0] neg_hi:[1,0,0]
	v_mov_b32_e32 v0, v27
	v_mov_b32_e32 v1, v28
	s_waitcnt lgkmcnt(2)
	v_pk_fma_f32 v[208:209], v[46:47], v[6:7], v[0:1] op_sel_hi:[0,1,1] neg_lo:[1,0,0] neg_hi:[1,0,0]
	v_mov_b32_e32 v0, v29
	v_mov_b32_e32 v1, v30
	v_mov_b64_e32 v[82:83], v[32:33]
	s_waitcnt lgkmcnt(1)
	v_pk_fma_f32 v[218:219], v[46:47], v[8:9], v[0:1] op_sel_hi:[0,1,1] neg_lo:[1,0,0] neg_hi:[1,0,0]
	s_waitcnt lgkmcnt(0)
	v_fma_f32 v255, -v46, v2, v255
	v_mov_b64_e32 v[108:109], v[58:59]
	v_mov_b64_e32 v[106:107], v[56:57]
	;; [unrolled: 1-line block ×11, first 2 shown]
	v_mov_b32_e32 v97, v64
	v_mov_b64_e32 v[0:1], v[82:83]
	v_mov_b32_e32 v17, v99
	v_mov_b32_e32 v29, v111
	v_mov_b64_e32 v[2:3], v[84:85]
	v_mov_b64_e32 v[4:5], v[86:87]
	;; [unrolled: 1-line block ×7, first 2 shown]
	v_mov_b32_e32 v18, v100
	v_mov_b32_e32 v19, v101
	;; [unrolled: 1-line block ×13, first 2 shown]
	scratch_store_dwordx4 off, v[0:3], off offset:1436 ; 16-byte Folded Spill
	s_nop 0
	scratch_store_dwordx4 off, v[4:7], off offset:1452 ; 16-byte Folded Spill
	scratch_store_dwordx4 off, v[8:11], off offset:1468 ; 16-byte Folded Spill
	;; [unrolled: 1-line block ×7, first 2 shown]
	scratch_store_dwordx2 off, v[64:65], off offset:256 ; 8-byte Folded Spill
	v_mov_b64_e32 v[18:19], v[100:101]
	v_mov_b64_e32 v[20:21], v[102:103]
	;; [unrolled: 1-line block ×7, first 2 shown]
	v_mov_b32_e32 v16, v65
	v_mov_b32_e32 v98, v65
	;; [unrolled: 1-line block ×5, first 2 shown]
	scratch_store_dwordx4 off, v[0:3], off offset:1308 ; 16-byte Folded Spill
	s_nop 0
	scratch_store_dwordx4 off, v[4:7], off offset:1324 ; 16-byte Folded Spill
	scratch_store_dwordx4 off, v[8:11], off offset:1340 ; 16-byte Folded Spill
	;; [unrolled: 1-line block ×7, first 2 shown]
	v_mov_b32_e32 v19, v101
	v_mov_b32_e32 v20, v102
	;; [unrolled: 1-line block ×12, first 2 shown]
	v_mov_b64_e32 v[16:17], v[98:99]
	v_mov_b32_e32 v31, v113
	v_mov_b32_e32 v101, v160
	scratch_store_dwordx4 off, v[0:3], off offset:1168 ; 16-byte Folded Spill
	s_nop 0
	scratch_store_dwordx4 off, v[4:7], off offset:1184 ; 16-byte Folded Spill
	scratch_store_dwordx4 off, v[8:11], off offset:1200 ; 16-byte Folded Spill
	;; [unrolled: 1-line block ×7, first 2 shown]
	v_mov_b64_e32 v[20:21], v[102:103]
	v_mov_b32_e32 v16, v98
	v_mov_b64_e32 v[22:23], v[104:105]
	v_mov_b64_e32 v[24:25], v[106:107]
	;; [unrolled: 1-line block ×5, first 2 shown]
	v_mov_b32_e32 v17, v99
	v_mov_b32_e32 v18, v100
	;; [unrolled: 1-line block ×3, first 2 shown]
	scratch_store_dwordx4 off, v[0:3], off offset:1040 ; 16-byte Folded Spill
	s_nop 0
	scratch_store_dwordx4 off, v[4:7], off offset:1056 ; 16-byte Folded Spill
	scratch_store_dwordx4 off, v[8:11], off offset:1072 ; 16-byte Folded Spill
	;; [unrolled: 1-line block ×7, first 2 shown]
	v_mov_b32_e32 v21, v103
	v_mov_b64_e32 v[16:17], v[98:99]
	v_mov_b32_e32 v22, v104
	v_mov_b32_e32 v23, v105
	;; [unrolled: 1-line block ×10, first 2 shown]
	v_mov_b64_e32 v[18:19], v[100:101]
	v_mov_b32_e32 v103, v206
	scratch_store_dwordx4 off, v[0:3], off offset:912 ; 16-byte Folded Spill
	s_nop 0
	scratch_store_dwordx4 off, v[4:7], off offset:928 ; 16-byte Folded Spill
	scratch_store_dwordx4 off, v[8:11], off offset:944 ; 16-byte Folded Spill
	;; [unrolled: 1-line block ×7, first 2 shown]
	v_mov_b64_e32 v[22:23], v[104:105]
	v_mov_b32_e32 v16, v98
	v_mov_b64_e32 v[24:25], v[106:107]
	v_mov_b64_e32 v[26:27], v[108:109]
	;; [unrolled: 1-line block ×4, first 2 shown]
	v_mov_b32_e32 v17, v99
	v_mov_b32_e32 v18, v100
	;; [unrolled: 1-line block ×5, first 2 shown]
	scratch_store_dwordx4 off, v[0:3], off offset:784 ; 16-byte Folded Spill
	s_nop 0
	scratch_store_dwordx4 off, v[4:7], off offset:800 ; 16-byte Folded Spill
	scratch_store_dwordx4 off, v[8:11], off offset:816 ; 16-byte Folded Spill
	;; [unrolled: 1-line block ×7, first 2 shown]
	v_mov_b32_e32 v23, v105
	v_mov_b64_e32 v[16:17], v[98:99]
	v_mov_b32_e32 v24, v106
	v_mov_b32_e32 v25, v107
	v_mov_b32_e32 v26, v108
	v_mov_b32_e32 v27, v109
	v_mov_b32_e32 v28, v110
	v_mov_b32_e32 v29, v111
	v_mov_b32_e32 v30, v112
	v_mov_b32_e32 v31, v113
	v_mov_b64_e32 v[18:19], v[100:101]
	v_mov_b64_e32 v[20:21], v[102:103]
	v_mov_b32_e32 v105, v204
	scratch_store_dwordx4 off, v[0:3], off offset:656 ; 16-byte Folded Spill
	s_nop 0
	scratch_store_dwordx4 off, v[4:7], off offset:672 ; 16-byte Folded Spill
	scratch_store_dwordx4 off, v[8:11], off offset:688 ; 16-byte Folded Spill
	;; [unrolled: 1-line block ×7, first 2 shown]
	s_nop 0
	v_mov_b64_e32 v[24:25], v[106:107]
	v_mov_b32_e32 v16, v98
	v_mov_b64_e32 v[26:27], v[108:109]
	v_mov_b64_e32 v[28:29], v[110:111]
	v_mov_b64_e32 v[30:31], v[112:113]
	v_mov_b32_e32 v17, v99
	v_mov_b32_e32 v18, v100
	;; [unrolled: 1-line block ×7, first 2 shown]
	scratch_store_dwordx4 off, v[0:3], off offset:528 ; 16-byte Folded Spill
	s_nop 0
	scratch_store_dwordx4 off, v[4:7], off offset:544 ; 16-byte Folded Spill
	scratch_store_dwordx4 off, v[8:11], off offset:560 ; 16-byte Folded Spill
	;; [unrolled: 1-line block ×7, first 2 shown]
	v_mov_b64_e32 v[16:17], v[98:99]
	v_mov_b32_e32 v25, v107
	v_mov_b64_e32 v[18:19], v[100:101]
	v_mov_b64_e32 v[20:21], v[102:103]
	;; [unrolled: 1-line block ×3, first 2 shown]
	v_mov_b32_e32 v26, v108
	v_mov_b32_e32 v27, v109
	;; [unrolled: 1-line block ×7, first 2 shown]
	scratch_store_dwordx4 off, v[0:3], off offset:392 ; 16-byte Folded Spill
	s_nop 0
	scratch_store_dwordx4 off, v[4:7], off offset:408 ; 16-byte Folded Spill
	scratch_store_dwordx4 off, v[8:11], off offset:424 ; 16-byte Folded Spill
	;; [unrolled: 1-line block ×7, first 2 shown]
	v_mov_b32_e32 v16, v98
	v_mov_b64_e32 v[26:27], v[108:109]
	v_mov_b32_e32 v17, v99
	v_mov_b32_e32 v18, v100
	;; [unrolled: 1-line block ×8, first 2 shown]
	v_mov_b64_e32 v[28:29], v[110:111]
	v_mov_b64_e32 v[30:31], v[112:113]
	scratch_store_dwordx4 off, v[0:3], off offset:264 ; 16-byte Folded Spill
	s_nop 0
	scratch_store_dwordx4 off, v[4:7], off offset:280 ; 16-byte Folded Spill
	scratch_store_dwordx4 off, v[8:11], off offset:296 ; 16-byte Folded Spill
	;; [unrolled: 1-line block ×7, first 2 shown]
	v_mov_b64_e32 v[16:17], v[98:99]
	v_mov_b32_e32 v27, v109
	v_mov_b64_e32 v[18:19], v[100:101]
	v_mov_b64_e32 v[20:21], v[102:103]
	;; [unrolled: 1-line block ×4, first 2 shown]
	v_mov_b32_e32 v28, v110
	v_mov_b32_e32 v29, v111
	;; [unrolled: 1-line block ×4, first 2 shown]
	scratch_store_dwordx4 off, v[0:3], off offset:128 ; 16-byte Folded Spill
	s_nop 0
	scratch_store_dwordx4 off, v[4:7], off offset:144 ; 16-byte Folded Spill
	scratch_store_dwordx4 off, v[8:11], off offset:160 ; 16-byte Folded Spill
	;; [unrolled: 1-line block ×7, first 2 shown]
	v_mov_b64_e32 v[0:1], v[82:83]
	v_mov_b64_e32 v[26:27], v[108:109]
	;; [unrolled: 1-line block ×4, first 2 shown]
	v_mov_b32_e32 v26, v211
	v_mov_b64_e32 v[2:3], v[84:85]
	v_mov_b64_e32 v[4:5], v[86:87]
	;; [unrolled: 1-line block ×13, first 2 shown]
	v_mov_b32_e32 v90, v26
	v_mov_b64_e32 v[94:95], v[30:31]
	v_mov_b64_e32 v[76:77], v[12:13]
	;; [unrolled: 1-line block ×8, first 2 shown]
	v_mov_b32_e32 v89, v25
	v_mov_b32_e32 v88, v24
	;; [unrolled: 1-line block ×10, first 2 shown]
	v_mov_b64_e32 v[92:93], v[28:29]
	scratch_store_dwordx4 off, v[64:67], off ; 16-byte Folded Spill
	s_nop 0
	scratch_store_dwordx4 off, v[68:71], off offset:16 ; 16-byte Folded Spill
	scratch_store_dwordx4 off, v[72:75], off offset:32 ; 16-byte Folded Spill
	;; [unrolled: 1-line block ×7, first 2 shown]
	v_mov_b32_e32 v27, v208
	v_mov_b64_e32 v[112:113], v[30:31]
	v_mov_b64_e32 v[142:143], v[14:15]
	v_mov_b64_e32 v[154:155], v[26:27]
	v_mov_b32_e32 v159, v31
	v_mov_b64_e32 v[110:111], v[28:29]
	v_mov_b64_e32 v[82:83], v[0:1]
	;; [unrolled: 1-line block ×14, first 2 shown]
	v_mov_b32_e32 v158, v30
	v_mov_b32_e32 v157, v29
	v_mov_b64_e32 v[108:109], v[26:27]
	v_mov_b64_e32 v[106:107], v[24:25]
	;; [unrolled: 1-line block ×13, first 2 shown]
	v_mov_b32_e32 v110, v209
	v_mov_b32_e32 v111, v218
	v_mov_b64_e32 v[0:1], v[82:83]
	v_mov_b64_e32 v[236:237], v[96:97]
	;; [unrolled: 1-line block ×31, first 2 shown]
	v_mov_b32_e32 v30, v219
	v_mov_b32_e32 v31, v255
	scratch_store_dwordx4 off, v[32:35], off offset:1564 ; 16-byte Folded Spill
	s_nop 0
	scratch_store_dwordx4 off, v[36:39], off offset:1580 ; 16-byte Folded Spill
	scratch_store_dwordx4 off, v[40:43], off offset:1596 ; 16-byte Folded Spill
	;; [unrolled: 1-line block ×7, first 2 shown]
.LBB62_257:
	s_or_b64 exec, exec, s[0:1]
	s_waitcnt vmcnt(63) expcnt(7) lgkmcnt(15)
	s_barrier
	scratch_load_dwordx2 v[32:33], off, off offset:256 ; 8-byte Folded Reload
	v_lshl_add_u32 v62, v221, 2, v214
	s_cmp_lt_i32 s22, 17
	s_waitcnt vmcnt(0)
	ds_write_b32 v62, v32
	s_waitcnt lgkmcnt(0)
	s_barrier
	ds_read_b32 v64, v214 offset:60
	v_mov_b32_e32 v62, 15
	s_cbranch_scc1 .LBB62_260
; %bb.258:
	v_add3_u32 v63, v215, 0, 64
	v_mov_b32_e32 v62, 15
	s_mov_b32 s0, 16
.LBB62_259:                             ; =>This Inner Loop Header: Depth=1
	ds_read_b32 v65, v63
	v_add_u32_e32 v63, 4, v63
	s_waitcnt lgkmcnt(0)
	v_cmp_lt_f32_e64 vcc, |v64|, |v65|
	s_nop 1
	v_cndmask_b32_e32 v64, v64, v65, vcc
	v_mov_b32_e32 v65, s0
	s_add_i32 s0, s0, 1
	v_cndmask_b32_e32 v62, v62, v65, vcc
	s_cmp_lg_u32 s22, s0
	s_cbranch_scc1 .LBB62_259
.LBB62_260:
	s_waitcnt lgkmcnt(0)
	v_cmp_eq_f32_e32 vcc, 0, v64
	s_and_saveexec_b64 s[0:1], vcc
	s_xor_b64 s[0:1], exec, s[0:1]
; %bb.261:
	v_cmp_ne_u32_e32 vcc, 0, v220
	s_nop 1
	v_cndmask_b32_e32 v220, 16, v220, vcc
; %bb.262:
	s_andn2_saveexec_b64 s[0:1], s[0:1]
	s_cbranch_execz .LBB62_264
; %bb.263:
	v_div_scale_f32 v63, s[2:3], v64, v64, 1.0
	v_rcp_f32_e32 v65, v63
	v_div_scale_f32 v66, vcc, 1.0, v64, 1.0
	v_fma_f32 v67, -v63, v65, 1.0
	v_fmac_f32_e32 v65, v67, v65
	v_mul_f32_e32 v67, v66, v65
	v_fma_f32 v68, -v63, v67, v66
	v_fmac_f32_e32 v67, v68, v65
	v_fma_f32 v63, -v63, v67, v66
	v_div_fmas_f32 v63, v63, v65, v67
	v_div_fixup_f32 v64, v63, v64, 1.0
.LBB62_264:
	s_or_b64 exec, exec, s[0:1]
	v_cmp_ne_u32_e32 vcc, v221, v62
	s_and_saveexec_b64 s[0:1], vcc
	s_xor_b64 s[0:1], exec, s[0:1]
	s_cbranch_execz .LBB62_270
; %bb.265:
	v_cmp_eq_u32_e32 vcc, 15, v221
	s_and_saveexec_b64 s[2:3], vcc
	s_cbranch_execz .LBB62_269
; %bb.266:
	v_cmp_ne_u32_e32 vcc, 15, v62
	s_xor_b64 s[18:19], s[16:17], -1
	s_and_b64 s[20:21], s[18:19], vcc
	s_and_saveexec_b64 s[18:19], s[20:21]
	s_cbranch_execz .LBB62_268
; %bb.267:
	scratch_load_dwordx2 v[32:33], off, off offset:2076 ; 8-byte Folded Reload
	v_ashrrev_i32_e32 v63, 31, v62
	s_waitcnt vmcnt(0)
	v_lshl_add_u64 v[66:67], v[62:63], 2, v[32:33]
	global_load_dword v63, v[66:67], off
	global_load_dword v65, v[32:33], off offset:60
	s_waitcnt vmcnt(1)
	global_store_dword v[32:33], v63, off offset:60
	s_waitcnt vmcnt(1)
	global_store_dword v[66:67], v65, off
.LBB62_268:
	s_or_b64 exec, exec, s[18:19]
	v_mov_b32_e32 v32, v62
	v_mov_b32_e32 v221, v62
	scratch_store_dword off, v32, off offset:1304 ; 4-byte Folded Spill
.LBB62_269:
	s_or_b64 exec, exec, s[2:3]
.LBB62_270:
	s_andn2_saveexec_b64 s[0:1], s[0:1]
	s_cbranch_execz .LBB62_272
; %bb.271:
	v_mov_b32_e32 v221, 15
	ds_write2_b32 v214, v16, v17 offset0:16 offset1:17
	ds_write2_b32 v214, v18, v19 offset0:18 offset1:19
	;; [unrolled: 1-line block ×8, first 2 shown]
.LBB62_272:
	s_or_b64 exec, exec, s[0:1]
	v_cmp_lt_i32_e32 vcc, 15, v221
	s_waitcnt lgkmcnt(0)
	s_barrier
	s_and_saveexec_b64 s[0:1], vcc
	s_cbranch_execz .LBB62_274
; %bb.273:
	ds_read2_b32 v[0:1], v214 offset0:16 offset1:17
	ds_read2_b32 v[2:3], v214 offset0:18 offset1:19
	ds_read2_b32 v[4:5], v214 offset0:20 offset1:21
	scratch_load_dwordx2 v[6:7], off, off offset:256 ; 8-byte Folded Reload
	ds_read2_b32 v[8:9], v214 offset0:22 offset1:23
	s_waitcnt vmcnt(0)
	v_mul_f32_e32 v6, v6, v64
	s_waitcnt lgkmcnt(3)
	v_pk_fma_f32 v[64:65], v[6:7], v[0:1], v[16:17] op_sel_hi:[0,1,1] neg_lo:[1,0,0] neg_hi:[1,0,0]
	s_waitcnt lgkmcnt(2)
	v_pk_fma_f32 v[66:67], v[6:7], v[2:3], v[18:19] op_sel_hi:[0,1,1] neg_lo:[1,0,0] neg_hi:[1,0,0]
	;; [unrolled: 2-line block ×3, first 2 shown]
	ds_read2_b32 v[0:1], v214 offset0:24 offset1:25
	ds_read2_b32 v[2:3], v214 offset0:26 offset1:27
	;; [unrolled: 1-line block ×4, first 2 shown]
	scratch_load_dwordx4 v[32:35], off, off offset:1564 ; 16-byte Folded Reload
	scratch_load_dwordx4 v[36:39], off, off offset:1580 ; 16-byte Folded Reload
	;; [unrolled: 1-line block ×8, first 2 shown]
	s_waitcnt vmcnt(4)
	v_mov_b32_e32 v47, v6
	s_waitcnt lgkmcnt(4)
	v_pk_fma_f32 v[70:71], v[6:7], v[8:9], v[22:23] op_sel_hi:[0,1,1] neg_lo:[1,0,0] neg_hi:[1,0,0]
	s_waitcnt lgkmcnt(3)
	v_pk_fma_f32 v[72:73], v[6:7], v[0:1], v[24:25] op_sel_hi:[0,1,1] neg_lo:[1,0,0] neg_hi:[1,0,0]
	;; [unrolled: 2-line block ×5, first 2 shown]
	v_mov_b32_e32 v16, v64
	v_mov_b32_e32 v250, v76
	;; [unrolled: 1-line block ×16, first 2 shown]
	s_waitcnt vmcnt(0)
	v_mov_b64_e32 v[112:113], v[62:63]
	v_mov_b64_e32 v[100:101], v[50:51]
	;; [unrolled: 1-line block ×30, first 2 shown]
	scratch_store_dwordx4 off, v[0:3], off offset:1308 ; 16-byte Folded Spill
	s_nop 0
	scratch_store_dwordx4 off, v[4:7], off offset:1324 ; 16-byte Folded Spill
	scratch_store_dwordx4 off, v[8:11], off offset:1340 ; 16-byte Folded Spill
	scratch_store_dwordx4 off, v[12:15], off offset:1356 ; 16-byte Folded Spill
	scratch_store_dwordx4 off, v[16:19], off offset:1372 ; 16-byte Folded Spill
	scratch_store_dwordx4 off, v[20:23], off offset:1388 ; 16-byte Folded Spill
	scratch_store_dwordx4 off, v[24:27], off offset:1404 ; 16-byte Folded Spill
	scratch_store_dwordx4 off, v[28:31], off offset:1420 ; 16-byte Folded Spill
	v_mov_b64_e32 v[98:99], v[48:49]
	v_mov_b32_e32 v98, v64
	v_mov_b32_e32 v99, v65
	;; [unrolled: 1-line block ×14, first 2 shown]
	v_mov_b64_e32 v[16:17], v[98:99]
	v_mov_b32_e32 v31, v113
	v_mov_b32_e32 v100, v66
	;; [unrolled: 1-line block ×3, first 2 shown]
	scratch_store_dwordx4 off, v[0:3], off offset:1168 ; 16-byte Folded Spill
	s_nop 0
	scratch_store_dwordx4 off, v[4:7], off offset:1184 ; 16-byte Folded Spill
	scratch_store_dwordx4 off, v[8:11], off offset:1200 ; 16-byte Folded Spill
	;; [unrolled: 1-line block ×7, first 2 shown]
	v_mov_b64_e32 v[20:21], v[102:103]
	v_mov_b32_e32 v16, v98
	v_mov_b64_e32 v[22:23], v[104:105]
	v_mov_b64_e32 v[24:25], v[106:107]
	;; [unrolled: 1-line block ×5, first 2 shown]
	v_mov_b32_e32 v17, v99
	v_mov_b32_e32 v18, v100
	;; [unrolled: 1-line block ×3, first 2 shown]
	scratch_store_dwordx4 off, v[0:3], off offset:1040 ; 16-byte Folded Spill
	s_nop 0
	scratch_store_dwordx4 off, v[4:7], off offset:1056 ; 16-byte Folded Spill
	scratch_store_dwordx4 off, v[8:11], off offset:1072 ; 16-byte Folded Spill
	;; [unrolled: 1-line block ×7, first 2 shown]
	v_mov_b32_e32 v21, v103
	v_mov_b64_e32 v[16:17], v[98:99]
	v_mov_b32_e32 v22, v104
	v_mov_b32_e32 v23, v105
	;; [unrolled: 1-line block ×10, first 2 shown]
	v_mov_b64_e32 v[18:19], v[100:101]
	v_mov_b32_e32 v103, v69
	scratch_store_dwordx4 off, v[0:3], off offset:912 ; 16-byte Folded Spill
	s_nop 0
	scratch_store_dwordx4 off, v[4:7], off offset:928 ; 16-byte Folded Spill
	scratch_store_dwordx4 off, v[8:11], off offset:944 ; 16-byte Folded Spill
	;; [unrolled: 1-line block ×7, first 2 shown]
	v_mov_b64_e32 v[22:23], v[104:105]
	v_mov_b32_e32 v16, v98
	v_mov_b64_e32 v[24:25], v[106:107]
	v_mov_b64_e32 v[26:27], v[108:109]
	;; [unrolled: 1-line block ×4, first 2 shown]
	v_mov_b32_e32 v17, v99
	v_mov_b32_e32 v18, v100
	;; [unrolled: 1-line block ×5, first 2 shown]
	scratch_store_dwordx4 off, v[0:3], off offset:784 ; 16-byte Folded Spill
	s_nop 0
	scratch_store_dwordx4 off, v[4:7], off offset:800 ; 16-byte Folded Spill
	scratch_store_dwordx4 off, v[8:11], off offset:816 ; 16-byte Folded Spill
	;; [unrolled: 1-line block ×7, first 2 shown]
	v_mov_b32_e32 v23, v105
	v_mov_b64_e32 v[16:17], v[98:99]
	v_mov_b32_e32 v24, v106
	v_mov_b32_e32 v25, v107
	;; [unrolled: 1-line block ×8, first 2 shown]
	v_mov_b64_e32 v[18:19], v[100:101]
	v_mov_b64_e32 v[20:21], v[102:103]
	v_mov_b32_e32 v105, v71
	scratch_store_dwordx4 off, v[0:3], off offset:656 ; 16-byte Folded Spill
	s_nop 0
	scratch_store_dwordx4 off, v[4:7], off offset:672 ; 16-byte Folded Spill
	scratch_store_dwordx4 off, v[8:11], off offset:688 ; 16-byte Folded Spill
	;; [unrolled: 1-line block ×7, first 2 shown]
	s_nop 0
	v_mov_b64_e32 v[24:25], v[106:107]
	v_mov_b32_e32 v16, v98
	v_mov_b64_e32 v[26:27], v[108:109]
	v_mov_b64_e32 v[28:29], v[110:111]
	;; [unrolled: 1-line block ×3, first 2 shown]
	v_mov_b32_e32 v17, v99
	v_mov_b32_e32 v18, v100
	;; [unrolled: 1-line block ×7, first 2 shown]
	scratch_store_dwordx4 off, v[0:3], off offset:528 ; 16-byte Folded Spill
	s_nop 0
	scratch_store_dwordx4 off, v[4:7], off offset:544 ; 16-byte Folded Spill
	scratch_store_dwordx4 off, v[8:11], off offset:560 ; 16-byte Folded Spill
	;; [unrolled: 1-line block ×7, first 2 shown]
	v_mov_b64_e32 v[16:17], v[98:99]
	v_mov_b32_e32 v25, v107
	v_mov_b64_e32 v[18:19], v[100:101]
	v_mov_b64_e32 v[20:21], v[102:103]
	;; [unrolled: 1-line block ×3, first 2 shown]
	v_mov_b32_e32 v26, v108
	v_mov_b32_e32 v27, v109
	;; [unrolled: 1-line block ×7, first 2 shown]
	scratch_store_dwordx4 off, v[0:3], off offset:392 ; 16-byte Folded Spill
	s_nop 0
	scratch_store_dwordx4 off, v[4:7], off offset:408 ; 16-byte Folded Spill
	scratch_store_dwordx4 off, v[8:11], off offset:424 ; 16-byte Folded Spill
	;; [unrolled: 1-line block ×7, first 2 shown]
	v_mov_b32_e32 v16, v98
	v_mov_b64_e32 v[26:27], v[108:109]
	v_mov_b32_e32 v17, v99
	v_mov_b32_e32 v18, v100
	;; [unrolled: 1-line block ×8, first 2 shown]
	v_mov_b64_e32 v[28:29], v[110:111]
	v_mov_b64_e32 v[30:31], v[112:113]
	scratch_store_dwordx4 off, v[0:3], off offset:264 ; 16-byte Folded Spill
	s_nop 0
	scratch_store_dwordx4 off, v[4:7], off offset:280 ; 16-byte Folded Spill
	scratch_store_dwordx4 off, v[8:11], off offset:296 ; 16-byte Folded Spill
	;; [unrolled: 1-line block ×7, first 2 shown]
	v_mov_b64_e32 v[16:17], v[98:99]
	v_mov_b32_e32 v27, v109
	v_mov_b64_e32 v[18:19], v[100:101]
	v_mov_b64_e32 v[20:21], v[102:103]
	;; [unrolled: 1-line block ×4, first 2 shown]
	v_mov_b32_e32 v28, v110
	v_mov_b32_e32 v29, v111
	;; [unrolled: 1-line block ×4, first 2 shown]
	scratch_store_dwordx4 off, v[0:3], off offset:128 ; 16-byte Folded Spill
	s_nop 0
	scratch_store_dwordx4 off, v[4:7], off offset:144 ; 16-byte Folded Spill
	scratch_store_dwordx4 off, v[8:11], off offset:160 ; 16-byte Folded Spill
	;; [unrolled: 1-line block ×7, first 2 shown]
	v_mov_b64_e32 v[0:1], v[82:83]
	v_mov_b64_e32 v[26:27], v[108:109]
	v_mov_b64_e32 v[14:15], v[96:97]
	v_mov_b64_e32 v[30:31], v[112:113]
	v_mov_b32_e32 v26, v74
	v_mov_b64_e32 v[2:3], v[84:85]
	v_mov_b64_e32 v[4:5], v[86:87]
	;; [unrolled: 1-line block ×13, first 2 shown]
	v_mov_b32_e32 v104, v26
	v_mov_b64_e32 v[108:109], v[30:31]
	v_mov_b64_e32 v[90:91], v[12:13]
	;; [unrolled: 1-line block ×8, first 2 shown]
	v_mov_b32_e32 v103, v25
	v_mov_b32_e32 v102, v24
	;; [unrolled: 1-line block ×10, first 2 shown]
	v_mov_b64_e32 v[106:107], v[28:29]
	scratch_store_dwordx4 off, v[78:81], off ; 16-byte Folded Spill
	s_nop 0
	scratch_store_dwordx4 off, v[82:85], off offset:16 ; 16-byte Folded Spill
	scratch_store_dwordx4 off, v[86:89], off offset:32 ; 16-byte Folded Spill
	;; [unrolled: 1-line block ×8, first 2 shown]
	s_nop 0
	scratch_store_dwordx4 off, v[36:39], off offset:1452 ; 16-byte Folded Spill
	scratch_store_dwordx4 off, v[40:43], off offset:1468 ; 16-byte Folded Spill
	;; [unrolled: 1-line block ×7, first 2 shown]
	v_mov_b32_e32 v27, v75
	v_mov_b64_e32 v[112:113], v[30:31]
	v_mov_b64_e32 v[142:143], v[14:15]
	;; [unrolled: 1-line block ×3, first 2 shown]
	v_mov_b32_e32 v159, v31
	v_mov_b64_e32 v[110:111], v[28:29]
	v_mov_b64_e32 v[82:83], v[0:1]
	v_mov_b64_e32 v[140:141], v[12:13]
	v_mov_b64_e32 v[138:139], v[10:11]
	v_mov_b64_e32 v[136:137], v[8:9]
	v_mov_b64_e32 v[134:135], v[6:7]
	v_mov_b64_e32 v[132:133], v[4:5]
	v_mov_b64_e32 v[130:131], v[2:3]
	v_mov_b64_e32 v[128:129], v[0:1]
	v_mov_b64_e32 v[152:153], v[24:25]
	v_mov_b64_e32 v[150:151], v[22:23]
	v_mov_b64_e32 v[148:149], v[20:21]
	v_mov_b64_e32 v[146:147], v[18:19]
	v_mov_b64_e32 v[144:145], v[16:17]
	v_mov_b32_e32 v158, v30
	v_mov_b32_e32 v157, v29
	v_mov_b64_e32 v[108:109], v[26:27]
	v_mov_b64_e32 v[106:107], v[24:25]
	;; [unrolled: 1-line block ×13, first 2 shown]
	v_mov_b32_e32 v110, v76
	v_mov_b32_e32 v111, v77
	v_mov_b64_e32 v[0:1], v[82:83]
	v_mov_b64_e32 v[236:237], v[96:97]
	;; [unrolled: 1-line block ×31, first 2 shown]
	v_mov_b32_e32 v30, v254
	v_mov_b32_e32 v31, v255
	;; [unrolled: 1-line block ×3, first 2 shown]
	scratch_store_dwordx2 off, v[32:33], off offset:256 ; 8-byte Folded Spill
.LBB62_274:
	s_or_b64 exec, exec, s[0:1]
	s_waitcnt vmcnt(63) expcnt(7) lgkmcnt(15)
	s_barrier
	scratch_load_dwordx2 v[32:33], off, off offset:256 ; 8-byte Folded Reload
	v_lshl_add_u32 v62, v221, 2, v214
	s_cmp_lt_i32 s22, 18
	s_waitcnt vmcnt(0)
	ds_write_b32 v62, v33
	s_waitcnt lgkmcnt(0)
	s_barrier
	ds_read_b32 v64, v214 offset:64
	v_mov_b32_e32 v62, 16
	s_cbranch_scc1 .LBB62_277
; %bb.275:
	v_add_u32_e32 v63, 0x44, v214
	v_mov_b32_e32 v62, 16
	s_mov_b32 s0, 17
.LBB62_276:                             ; =>This Inner Loop Header: Depth=1
	ds_read_b32 v65, v63
	v_add_u32_e32 v63, 4, v63
	s_waitcnt lgkmcnt(0)
	v_cmp_lt_f32_e64 vcc, |v64|, |v65|
	s_nop 1
	v_cndmask_b32_e32 v64, v64, v65, vcc
	v_mov_b32_e32 v65, s0
	s_add_i32 s0, s0, 1
	v_cndmask_b32_e32 v62, v62, v65, vcc
	s_cmp_lg_u32 s22, s0
	s_cbranch_scc1 .LBB62_276
.LBB62_277:
	s_waitcnt lgkmcnt(0)
	v_cmp_eq_f32_e32 vcc, 0, v64
	s_and_saveexec_b64 s[0:1], vcc
	s_xor_b64 s[0:1], exec, s[0:1]
; %bb.278:
	v_cmp_ne_u32_e32 vcc, 0, v220
	s_nop 1
	v_cndmask_b32_e32 v220, 17, v220, vcc
; %bb.279:
	s_andn2_saveexec_b64 s[0:1], s[0:1]
	s_cbranch_execz .LBB62_281
; %bb.280:
	v_div_scale_f32 v63, s[2:3], v64, v64, 1.0
	v_rcp_f32_e32 v65, v63
	v_div_scale_f32 v66, vcc, 1.0, v64, 1.0
	v_fma_f32 v67, -v63, v65, 1.0
	v_fmac_f32_e32 v65, v67, v65
	v_mul_f32_e32 v67, v66, v65
	v_fma_f32 v68, -v63, v67, v66
	v_fmac_f32_e32 v67, v68, v65
	v_fma_f32 v63, -v63, v67, v66
	v_div_fmas_f32 v63, v63, v65, v67
	v_div_fixup_f32 v64, v63, v64, 1.0
.LBB62_281:
	s_or_b64 exec, exec, s[0:1]
	v_cmp_ne_u32_e32 vcc, v221, v62
	s_and_saveexec_b64 s[0:1], vcc
	s_xor_b64 s[0:1], exec, s[0:1]
	s_cbranch_execz .LBB62_287
; %bb.282:
	v_cmp_eq_u32_e32 vcc, 16, v221
	s_and_saveexec_b64 s[2:3], vcc
	s_cbranch_execz .LBB62_286
; %bb.283:
	v_cmp_ne_u32_e32 vcc, 16, v62
	s_xor_b64 s[18:19], s[16:17], -1
	s_and_b64 s[20:21], s[18:19], vcc
	s_and_saveexec_b64 s[18:19], s[20:21]
	s_cbranch_execz .LBB62_285
; %bb.284:
	scratch_load_dwordx2 v[32:33], off, off offset:2076 ; 8-byte Folded Reload
	v_ashrrev_i32_e32 v63, 31, v62
	s_waitcnt vmcnt(0)
	v_lshl_add_u64 v[66:67], v[62:63], 2, v[32:33]
	global_load_dword v63, v[66:67], off
	global_load_dword v65, v[32:33], off offset:64
	s_waitcnt vmcnt(1)
	global_store_dword v[32:33], v63, off offset:64
	s_waitcnt vmcnt(1)
	global_store_dword v[66:67], v65, off
.LBB62_285:
	s_or_b64 exec, exec, s[18:19]
	v_mov_b32_e32 v32, v62
	v_mov_b32_e32 v221, v62
	scratch_store_dword off, v32, off offset:1304 ; 4-byte Folded Spill
.LBB62_286:
	s_or_b64 exec, exec, s[2:3]
.LBB62_287:
	s_andn2_saveexec_b64 s[0:1], s[0:1]
	s_cbranch_execz .LBB62_289
; %bb.288:
	v_mov_b32_e32 v221, 16
	ds_write2_b32 v214, v17, v18 offset0:17 offset1:18
	ds_write2_b32 v214, v19, v20 offset0:19 offset1:20
	;; [unrolled: 1-line block ×7, first 2 shown]
	ds_write_b32 v214, v255 offset:124
.LBB62_289:
	s_or_b64 exec, exec, s[0:1]
	v_cmp_lt_i32_e32 vcc, 16, v221
	s_waitcnt lgkmcnt(0)
	s_barrier
	s_and_saveexec_b64 s[0:1], vcc
	s_cbranch_execz .LBB62_291
; %bb.290:
	scratch_load_dwordx4 v[32:35], off, off offset:1436 ; 16-byte Folded Reload
	scratch_load_dwordx4 v[36:39], off, off offset:1452 ; 16-byte Folded Reload
	;; [unrolled: 1-line block ×8, first 2 shown]
	scratch_load_dwordx2 v[0:1], off, off offset:256 ; 8-byte Folded Reload
	v_mov_b32_e32 v2, v17
	v_mov_b32_e32 v3, v18
	s_waitcnt vmcnt(0)
	v_mul_f32_e32 v48, v1, v64
	ds_read2_b32 v[0:1], v214 offset0:17 offset1:18
	ds_read2_b32 v[4:5], v214 offset0:19 offset1:20
	;; [unrolled: 1-line block ×4, first 2 shown]
	v_mov_b64_e32 v[112:113], v[62:63]
	v_mov_b64_e32 v[100:101], v[50:51]
	;; [unrolled: 1-line block ×3, first 2 shown]
	s_waitcnt lgkmcnt(3)
	v_pk_fma_f32 v[216:217], v[48:49], v[0:1], v[2:3] op_sel_hi:[0,1,1] neg_lo:[1,0,0] neg_hi:[1,0,0]
	v_mov_b32_e32 v0, v19
	v_mov_b32_e32 v1, v20
	s_waitcnt lgkmcnt(2)
	v_pk_fma_f32 v[160:161], v[48:49], v[4:5], v[0:1] op_sel_hi:[0,1,1] neg_lo:[1,0,0] neg_hi:[1,0,0]
	v_mov_b32_e32 v0, v21
	v_mov_b32_e32 v1, v22
	s_waitcnt lgkmcnt(1)
	v_pk_fma_f32 v[206:207], v[48:49], v[6:7], v[0:1] op_sel_hi:[0,1,1] neg_lo:[1,0,0] neg_hi:[1,0,0]
	v_mov_b32_e32 v0, v23
	v_mov_b32_e32 v1, v24
	s_waitcnt lgkmcnt(0)
	v_pk_fma_f32 v[204:205], v[48:49], v[8:9], v[0:1] op_sel_hi:[0,1,1] neg_lo:[1,0,0] neg_hi:[1,0,0]
	ds_read2_b32 v[0:1], v214 offset0:25 offset1:26
	ds_read2_b32 v[4:5], v214 offset0:27 offset1:28
	;; [unrolled: 1-line block ×3, first 2 shown]
	ds_read_b32 v8, v214 offset:124
	v_mov_b32_e32 v2, v25
	v_mov_b32_e32 v3, v26
	v_mov_b64_e32 v[82:83], v[32:33]
	s_waitcnt lgkmcnt(3)
	v_pk_fma_f32 v[210:211], v[48:49], v[0:1], v[2:3] op_sel_hi:[0,1,1] neg_lo:[1,0,0] neg_hi:[1,0,0]
	v_mov_b32_e32 v0, v27
	v_mov_b32_e32 v1, v28
	s_waitcnt lgkmcnt(2)
	v_pk_fma_f32 v[208:209], v[48:49], v[4:5], v[0:1] op_sel_hi:[0,1,1] neg_lo:[1,0,0] neg_hi:[1,0,0]
	v_mov_b32_e32 v0, v29
	v_mov_b32_e32 v1, v30
	s_waitcnt lgkmcnt(1)
	v_pk_fma_f32 v[218:219], v[48:49], v[6:7], v[0:1] op_sel_hi:[0,1,1] neg_lo:[1,0,0] neg_hi:[1,0,0]
	s_waitcnt lgkmcnt(0)
	v_fma_f32 v255, -v48, v8, v255
	v_mov_b64_e32 v[110:111], v[60:61]
	v_mov_b64_e32 v[108:109], v[58:59]
	;; [unrolled: 1-line block ×12, first 2 shown]
	v_mov_b32_e32 v99, v216
	v_mov_b64_e32 v[0:1], v[82:83]
	v_mov_b32_e32 v19, v101
	v_mov_b64_e32 v[2:3], v[84:85]
	v_mov_b64_e32 v[4:5], v[86:87]
	;; [unrolled: 1-line block ×7, first 2 shown]
	v_mov_b32_e32 v20, v102
	v_mov_b32_e32 v21, v103
	;; [unrolled: 1-line block ×11, first 2 shown]
	v_mov_b64_e32 v[16:17], v[98:99]
	v_mov_b32_e32 v31, v113
	scratch_store_dwordx4 off, v[0:3], off offset:1168 ; 16-byte Folded Spill
	s_nop 0
	scratch_store_dwordx4 off, v[4:7], off offset:1184 ; 16-byte Folded Spill
	scratch_store_dwordx4 off, v[8:11], off offset:1200 ; 16-byte Folded Spill
	;; [unrolled: 1-line block ×7, first 2 shown]
	v_mov_b32_e32 v100, v217
	v_mov_b64_e32 v[20:21], v[102:103]
	v_mov_b32_e32 v16, v98
	v_mov_b64_e32 v[22:23], v[104:105]
	v_mov_b64_e32 v[24:25], v[106:107]
	;; [unrolled: 1-line block ×5, first 2 shown]
	v_mov_b32_e32 v17, v99
	v_mov_b32_e32 v18, v100
	;; [unrolled: 1-line block ×6, first 2 shown]
	scratch_store_dwordx4 off, v[0:3], off offset:1040 ; 16-byte Folded Spill
	s_nop 0
	scratch_store_dwordx4 off, v[4:7], off offset:1056 ; 16-byte Folded Spill
	scratch_store_dwordx4 off, v[8:11], off offset:1072 ; 16-byte Folded Spill
	;; [unrolled: 1-line block ×7, first 2 shown]
	v_mov_b64_e32 v[16:17], v[98:99]
	v_mov_b64_e32 v[18:19], v[100:101]
	scratch_store_dwordx4 off, v[0:3], off offset:912 ; 16-byte Folded Spill
	s_nop 0
	scratch_store_dwordx4 off, v[4:7], off offset:928 ; 16-byte Folded Spill
	scratch_store_dwordx4 off, v[8:11], off offset:944 ; 16-byte Folded Spill
	;; [unrolled: 1-line block ×7, first 2 shown]
	v_mov_b64_e32 v[22:23], v[104:105]
	v_mov_b32_e32 v16, v98
	v_mov_b64_e32 v[24:25], v[106:107]
	v_mov_b64_e32 v[26:27], v[108:109]
	;; [unrolled: 1-line block ×4, first 2 shown]
	v_mov_b32_e32 v17, v99
	v_mov_b32_e32 v18, v100
	;; [unrolled: 1-line block ×5, first 2 shown]
	scratch_store_dwordx4 off, v[0:3], off offset:784 ; 16-byte Folded Spill
	s_nop 0
	scratch_store_dwordx4 off, v[4:7], off offset:800 ; 16-byte Folded Spill
	scratch_store_dwordx4 off, v[8:11], off offset:816 ; 16-byte Folded Spill
	;; [unrolled: 1-line block ×7, first 2 shown]
	v_mov_b32_e32 v23, v105
	v_mov_b64_e32 v[16:17], v[98:99]
	v_mov_b32_e32 v24, v106
	v_mov_b32_e32 v25, v107
	;; [unrolled: 1-line block ×8, first 2 shown]
	v_mov_b64_e32 v[18:19], v[100:101]
	v_mov_b64_e32 v[20:21], v[102:103]
	v_mov_b32_e32 v105, v204
	scratch_store_dwordx4 off, v[0:3], off offset:656 ; 16-byte Folded Spill
	s_nop 0
	scratch_store_dwordx4 off, v[4:7], off offset:672 ; 16-byte Folded Spill
	scratch_store_dwordx4 off, v[8:11], off offset:688 ; 16-byte Folded Spill
	;; [unrolled: 1-line block ×7, first 2 shown]
	s_nop 0
	v_mov_b64_e32 v[24:25], v[106:107]
	v_mov_b32_e32 v16, v98
	v_mov_b64_e32 v[26:27], v[108:109]
	v_mov_b64_e32 v[28:29], v[110:111]
	;; [unrolled: 1-line block ×3, first 2 shown]
	v_mov_b32_e32 v17, v99
	v_mov_b32_e32 v18, v100
	;; [unrolled: 1-line block ×7, first 2 shown]
	scratch_store_dwordx4 off, v[0:3], off offset:528 ; 16-byte Folded Spill
	s_nop 0
	scratch_store_dwordx4 off, v[4:7], off offset:544 ; 16-byte Folded Spill
	scratch_store_dwordx4 off, v[8:11], off offset:560 ; 16-byte Folded Spill
	;; [unrolled: 1-line block ×7, first 2 shown]
	v_mov_b64_e32 v[16:17], v[98:99]
	v_mov_b32_e32 v25, v107
	v_mov_b64_e32 v[18:19], v[100:101]
	v_mov_b64_e32 v[20:21], v[102:103]
	v_mov_b64_e32 v[22:23], v[104:105]
	v_mov_b32_e32 v26, v108
	v_mov_b32_e32 v27, v109
	;; [unrolled: 1-line block ×7, first 2 shown]
	scratch_store_dwordx4 off, v[0:3], off offset:392 ; 16-byte Folded Spill
	s_nop 0
	scratch_store_dwordx4 off, v[4:7], off offset:408 ; 16-byte Folded Spill
	scratch_store_dwordx4 off, v[8:11], off offset:424 ; 16-byte Folded Spill
	;; [unrolled: 1-line block ×7, first 2 shown]
	v_mov_b32_e32 v16, v98
	v_mov_b64_e32 v[26:27], v[108:109]
	v_mov_b32_e32 v17, v99
	v_mov_b32_e32 v18, v100
	;; [unrolled: 1-line block ×8, first 2 shown]
	v_mov_b64_e32 v[28:29], v[110:111]
	v_mov_b64_e32 v[30:31], v[112:113]
	scratch_store_dwordx4 off, v[0:3], off offset:264 ; 16-byte Folded Spill
	s_nop 0
	scratch_store_dwordx4 off, v[4:7], off offset:280 ; 16-byte Folded Spill
	scratch_store_dwordx4 off, v[8:11], off offset:296 ; 16-byte Folded Spill
	;; [unrolled: 1-line block ×7, first 2 shown]
	v_mov_b64_e32 v[16:17], v[98:99]
	v_mov_b32_e32 v27, v109
	v_mov_b64_e32 v[18:19], v[100:101]
	v_mov_b64_e32 v[20:21], v[102:103]
	;; [unrolled: 1-line block ×4, first 2 shown]
	v_mov_b32_e32 v28, v110
	v_mov_b32_e32 v29, v111
	;; [unrolled: 1-line block ×4, first 2 shown]
	scratch_store_dwordx4 off, v[0:3], off offset:128 ; 16-byte Folded Spill
	s_nop 0
	scratch_store_dwordx4 off, v[4:7], off offset:144 ; 16-byte Folded Spill
	scratch_store_dwordx4 off, v[8:11], off offset:160 ; 16-byte Folded Spill
	;; [unrolled: 1-line block ×7, first 2 shown]
	v_mov_b64_e32 v[0:1], v[82:83]
	v_mov_b64_e32 v[26:27], v[108:109]
	;; [unrolled: 1-line block ×4, first 2 shown]
	v_mov_b32_e32 v26, v211
	v_mov_b64_e32 v[2:3], v[84:85]
	v_mov_b64_e32 v[4:5], v[86:87]
	;; [unrolled: 1-line block ×13, first 2 shown]
	v_mov_b32_e32 v90, v26
	v_mov_b64_e32 v[94:95], v[30:31]
	v_mov_b64_e32 v[76:77], v[12:13]
	;; [unrolled: 1-line block ×8, first 2 shown]
	v_mov_b32_e32 v89, v25
	v_mov_b32_e32 v88, v24
	;; [unrolled: 1-line block ×10, first 2 shown]
	v_mov_b64_e32 v[92:93], v[28:29]
	scratch_store_dwordx4 off, v[64:67], off ; 16-byte Folded Spill
	s_nop 0
	scratch_store_dwordx4 off, v[68:71], off offset:16 ; 16-byte Folded Spill
	scratch_store_dwordx4 off, v[72:75], off offset:32 ; 16-byte Folded Spill
	;; [unrolled: 1-line block ×7, first 2 shown]
	v_mov_b32_e32 v27, v208
	v_mov_b64_e32 v[112:113], v[30:31]
	v_mov_b64_e32 v[142:143], v[14:15]
	;; [unrolled: 1-line block ×3, first 2 shown]
	v_mov_b32_e32 v159, v31
	v_mov_b64_e32 v[110:111], v[28:29]
	v_mov_b64_e32 v[82:83], v[0:1]
	;; [unrolled: 1-line block ×14, first 2 shown]
	v_mov_b32_e32 v158, v30
	v_mov_b32_e32 v157, v29
	v_mov_b64_e32 v[108:109], v[26:27]
	v_mov_b64_e32 v[106:107], v[24:25]
	v_mov_b64_e32 v[104:105], v[22:23]
	v_mov_b64_e32 v[102:103], v[20:21]
	v_mov_b64_e32 v[100:101], v[18:19]
	v_mov_b64_e32 v[98:99], v[16:17]
	v_mov_b64_e32 v[96:97], v[14:15]
	v_mov_b64_e32 v[94:95], v[12:13]
	v_mov_b64_e32 v[92:93], v[10:11]
	v_mov_b64_e32 v[90:91], v[8:9]
	v_mov_b64_e32 v[88:89], v[6:7]
	v_mov_b64_e32 v[86:87], v[4:5]
	v_mov_b64_e32 v[84:85], v[2:3]
	v_mov_b32_e32 v110, v209
	v_mov_b32_e32 v111, v218
	v_mov_b64_e32 v[0:1], v[82:83]
	v_mov_b64_e32 v[236:237], v[96:97]
	;; [unrolled: 1-line block ×31, first 2 shown]
	v_mov_b32_e32 v30, v219
	v_mov_b32_e32 v31, v255
	scratch_store_dwordx4 off, v[32:35], off offset:1308 ; 16-byte Folded Spill
	s_nop 0
	scratch_store_dwordx4 off, v[36:39], off offset:1324 ; 16-byte Folded Spill
	scratch_store_dwordx4 off, v[40:43], off offset:1340 ; 16-byte Folded Spill
	;; [unrolled: 1-line block ×7, first 2 shown]
.LBB62_291:
	s_or_b64 exec, exec, s[0:1]
	s_nop 0
	v_lshl_add_u32 v62, v221, 2, v214
	s_waitcnt vmcnt(63) expcnt(7) lgkmcnt(15)
	s_barrier
	ds_write_b32 v62, v216
	s_waitcnt lgkmcnt(0)
	s_barrier
	ds_read_b32 v64, v214 offset:68
	s_cmp_lt_i32 s22, 19
	v_mov_b32_e32 v62, 17
	s_cbranch_scc1 .LBB62_294
; %bb.292:
	v_add_u32_e32 v63, 0x48, v214
	v_mov_b32_e32 v62, 17
	s_mov_b32 s0, 18
.LBB62_293:                             ; =>This Inner Loop Header: Depth=1
	ds_read_b32 v65, v63
	v_add_u32_e32 v63, 4, v63
	s_waitcnt lgkmcnt(0)
	v_cmp_lt_f32_e64 vcc, |v64|, |v65|
	s_nop 1
	v_cndmask_b32_e32 v64, v64, v65, vcc
	v_mov_b32_e32 v65, s0
	s_add_i32 s0, s0, 1
	v_cndmask_b32_e32 v62, v62, v65, vcc
	s_cmp_lg_u32 s22, s0
	s_cbranch_scc1 .LBB62_293
.LBB62_294:
	s_waitcnt lgkmcnt(0)
	v_cmp_eq_f32_e32 vcc, 0, v64
	s_and_saveexec_b64 s[0:1], vcc
	s_xor_b64 s[0:1], exec, s[0:1]
; %bb.295:
	v_cmp_ne_u32_e32 vcc, 0, v220
	s_nop 1
	v_cndmask_b32_e32 v220, 18, v220, vcc
; %bb.296:
	s_andn2_saveexec_b64 s[0:1], s[0:1]
	s_cbranch_execz .LBB62_298
; %bb.297:
	v_div_scale_f32 v63, s[2:3], v64, v64, 1.0
	v_rcp_f32_e32 v65, v63
	v_div_scale_f32 v66, vcc, 1.0, v64, 1.0
	v_fma_f32 v67, -v63, v65, 1.0
	v_fmac_f32_e32 v65, v67, v65
	v_mul_f32_e32 v67, v66, v65
	v_fma_f32 v68, -v63, v67, v66
	v_fmac_f32_e32 v67, v68, v65
	v_fma_f32 v63, -v63, v67, v66
	v_div_fmas_f32 v63, v63, v65, v67
	v_div_fixup_f32 v64, v63, v64, 1.0
.LBB62_298:
	s_or_b64 exec, exec, s[0:1]
	v_cmp_ne_u32_e32 vcc, v221, v62
	s_and_saveexec_b64 s[0:1], vcc
	s_xor_b64 s[0:1], exec, s[0:1]
	s_cbranch_execz .LBB62_304
; %bb.299:
	v_cmp_eq_u32_e32 vcc, 17, v221
	s_and_saveexec_b64 s[2:3], vcc
	s_cbranch_execz .LBB62_303
; %bb.300:
	v_cmp_ne_u32_e32 vcc, 17, v62
	s_xor_b64 s[18:19], s[16:17], -1
	s_and_b64 s[20:21], s[18:19], vcc
	s_and_saveexec_b64 s[18:19], s[20:21]
	s_cbranch_execz .LBB62_302
; %bb.301:
	scratch_load_dwordx2 v[32:33], off, off offset:2076 ; 8-byte Folded Reload
	v_ashrrev_i32_e32 v63, 31, v62
	s_waitcnt vmcnt(0)
	v_lshl_add_u64 v[66:67], v[62:63], 2, v[32:33]
	global_load_dword v63, v[66:67], off
	global_load_dword v65, v[32:33], off offset:68
	s_waitcnt vmcnt(1)
	global_store_dword v[32:33], v63, off offset:68
	s_waitcnt vmcnt(1)
	global_store_dword v[66:67], v65, off
.LBB62_302:
	s_or_b64 exec, exec, s[18:19]
	v_mov_b32_e32 v32, v62
	v_mov_b32_e32 v221, v62
	scratch_store_dword off, v32, off offset:1304 ; 4-byte Folded Spill
.LBB62_303:
	s_or_b64 exec, exec, s[2:3]
.LBB62_304:
	s_andn2_saveexec_b64 s[0:1], s[0:1]
	s_cbranch_execz .LBB62_306
; %bb.305:
	v_mov_b32_e32 v221, 17
	ds_write2_b32 v214, v18, v19 offset0:18 offset1:19
	ds_write2_b32 v214, v20, v21 offset0:20 offset1:21
	;; [unrolled: 1-line block ×7, first 2 shown]
.LBB62_306:
	s_or_b64 exec, exec, s[0:1]
	v_cmp_lt_i32_e32 vcc, 17, v221
	s_waitcnt lgkmcnt(0)
	s_barrier
	s_and_saveexec_b64 s[0:1], vcc
	s_cbranch_execz .LBB62_308
; %bb.307:
	ds_read2_b32 v[0:1], v214 offset0:18 offset1:19
	ds_read2_b32 v[2:3], v214 offset0:20 offset1:21
	v_mul_f32_e32 v4, v216, v64
	ds_read2_b32 v[6:7], v214 offset0:22 offset1:23
	ds_read2_b32 v[8:9], v214 offset0:24 offset1:25
	s_waitcnt lgkmcnt(3)
	v_pk_fma_f32 v[64:65], v[4:5], v[0:1], v[18:19] op_sel_hi:[0,1,1] neg_lo:[1,0,0] neg_hi:[1,0,0]
	s_waitcnt lgkmcnt(2)
	v_pk_fma_f32 v[66:67], v[4:5], v[2:3], v[20:21] op_sel_hi:[0,1,1] neg_lo:[1,0,0] neg_hi:[1,0,0]
	ds_read2_b32 v[0:1], v214 offset0:26 offset1:27
	ds_read2_b32 v[2:3], v214 offset0:28 offset1:29
	;; [unrolled: 1-line block ×3, first 2 shown]
	scratch_load_dwordx4 v[32:35], off, off offset:1308 ; 16-byte Folded Reload
	scratch_load_dwordx4 v[36:39], off, off offset:1324 ; 16-byte Folded Reload
	;; [unrolled: 1-line block ×8, first 2 shown]
	s_waitcnt vmcnt(3)
	v_mov_b32_e32 v49, v4
	s_waitcnt lgkmcnt(4)
	v_pk_fma_f32 v[68:69], v[4:5], v[6:7], v[22:23] op_sel_hi:[0,1,1] neg_lo:[1,0,0] neg_hi:[1,0,0]
	s_waitcnt lgkmcnt(3)
	v_pk_fma_f32 v[70:71], v[4:5], v[8:9], v[24:25] op_sel_hi:[0,1,1] neg_lo:[1,0,0] neg_hi:[1,0,0]
	;; [unrolled: 2-line block ×5, first 2 shown]
	v_mov_b32_e32 v250, v74
	v_mov_b32_e32 v217, v64
	;; [unrolled: 1-line block ×14, first 2 shown]
	s_waitcnt vmcnt(0)
	v_mov_b64_e32 v[112:113], v[62:63]
	v_mov_b64_e32 v[102:103], v[52:53]
	;; [unrolled: 1-line block ×16, first 2 shown]
	v_mov_b32_e32 v100, v64
	v_mov_b64_e32 v[0:1], v[82:83]
	v_mov_b64_e32 v[20:21], v[102:103]
	v_mov_b32_e32 v16, v98
	v_mov_b64_e32 v[2:3], v[84:85]
	v_mov_b64_e32 v[4:5], v[86:87]
	;; [unrolled: 1-line block ×12, first 2 shown]
	v_mov_b32_e32 v17, v99
	v_mov_b32_e32 v18, v100
	scratch_store_dwordx4 off, v[0:3], off offset:1040 ; 16-byte Folded Spill
	s_nop 0
	scratch_store_dwordx4 off, v[4:7], off offset:1056 ; 16-byte Folded Spill
	scratch_store_dwordx4 off, v[8:11], off offset:1072 ; 16-byte Folded Spill
	;; [unrolled: 1-line block ×7, first 2 shown]
	v_mov_b32_e32 v101, v65
	v_mov_b64_e32 v[16:17], v[98:99]
	v_mov_b64_e32 v[18:19], v[100:101]
	v_mov_b32_e32 v102, v66
	v_mov_b32_e32 v103, v67
	scratch_store_dwordx4 off, v[0:3], off offset:912 ; 16-byte Folded Spill
	s_nop 0
	scratch_store_dwordx4 off, v[4:7], off offset:928 ; 16-byte Folded Spill
	scratch_store_dwordx4 off, v[8:11], off offset:944 ; 16-byte Folded Spill
	;; [unrolled: 1-line block ×7, first 2 shown]
	v_mov_b64_e32 v[22:23], v[104:105]
	v_mov_b32_e32 v16, v98
	v_mov_b64_e32 v[24:25], v[106:107]
	v_mov_b64_e32 v[26:27], v[108:109]
	;; [unrolled: 1-line block ×4, first 2 shown]
	v_mov_b32_e32 v17, v99
	v_mov_b32_e32 v18, v100
	;; [unrolled: 1-line block ×5, first 2 shown]
	scratch_store_dwordx4 off, v[0:3], off offset:784 ; 16-byte Folded Spill
	s_nop 0
	scratch_store_dwordx4 off, v[4:7], off offset:800 ; 16-byte Folded Spill
	scratch_store_dwordx4 off, v[8:11], off offset:816 ; 16-byte Folded Spill
	;; [unrolled: 1-line block ×7, first 2 shown]
	v_mov_b32_e32 v23, v105
	v_mov_b64_e32 v[16:17], v[98:99]
	v_mov_b32_e32 v24, v106
	v_mov_b32_e32 v25, v107
	;; [unrolled: 1-line block ×8, first 2 shown]
	v_mov_b64_e32 v[18:19], v[100:101]
	v_mov_b64_e32 v[20:21], v[102:103]
	v_mov_b32_e32 v105, v69
	scratch_store_dwordx4 off, v[0:3], off offset:656 ; 16-byte Folded Spill
	s_nop 0
	scratch_store_dwordx4 off, v[4:7], off offset:672 ; 16-byte Folded Spill
	scratch_store_dwordx4 off, v[8:11], off offset:688 ; 16-byte Folded Spill
	;; [unrolled: 1-line block ×7, first 2 shown]
	s_nop 0
	v_mov_b64_e32 v[24:25], v[106:107]
	v_mov_b32_e32 v16, v98
	v_mov_b64_e32 v[26:27], v[108:109]
	v_mov_b64_e32 v[28:29], v[110:111]
	;; [unrolled: 1-line block ×3, first 2 shown]
	v_mov_b32_e32 v17, v99
	v_mov_b32_e32 v18, v100
	v_mov_b32_e32 v19, v101
	v_mov_b32_e32 v20, v102
	v_mov_b32_e32 v21, v103
	v_mov_b32_e32 v22, v104
	v_mov_b32_e32 v106, v70
	scratch_store_dwordx4 off, v[0:3], off offset:528 ; 16-byte Folded Spill
	s_nop 0
	scratch_store_dwordx4 off, v[4:7], off offset:544 ; 16-byte Folded Spill
	scratch_store_dwordx4 off, v[8:11], off offset:560 ; 16-byte Folded Spill
	;; [unrolled: 1-line block ×7, first 2 shown]
	v_mov_b64_e32 v[16:17], v[98:99]
	v_mov_b32_e32 v25, v107
	v_mov_b64_e32 v[18:19], v[100:101]
	v_mov_b64_e32 v[20:21], v[102:103]
	;; [unrolled: 1-line block ×3, first 2 shown]
	v_mov_b32_e32 v26, v108
	v_mov_b32_e32 v27, v109
	;; [unrolled: 1-line block ×7, first 2 shown]
	scratch_store_dwordx4 off, v[0:3], off offset:392 ; 16-byte Folded Spill
	s_nop 0
	scratch_store_dwordx4 off, v[4:7], off offset:408 ; 16-byte Folded Spill
	scratch_store_dwordx4 off, v[8:11], off offset:424 ; 16-byte Folded Spill
	;; [unrolled: 1-line block ×7, first 2 shown]
	v_mov_b32_e32 v16, v98
	v_mov_b64_e32 v[26:27], v[108:109]
	v_mov_b32_e32 v17, v99
	v_mov_b32_e32 v18, v100
	;; [unrolled: 1-line block ×8, first 2 shown]
	v_mov_b64_e32 v[28:29], v[110:111]
	v_mov_b64_e32 v[30:31], v[112:113]
	scratch_store_dwordx4 off, v[0:3], off offset:264 ; 16-byte Folded Spill
	s_nop 0
	scratch_store_dwordx4 off, v[4:7], off offset:280 ; 16-byte Folded Spill
	scratch_store_dwordx4 off, v[8:11], off offset:296 ; 16-byte Folded Spill
	;; [unrolled: 1-line block ×7, first 2 shown]
	v_mov_b64_e32 v[16:17], v[98:99]
	v_mov_b32_e32 v27, v109
	v_mov_b64_e32 v[18:19], v[100:101]
	v_mov_b64_e32 v[20:21], v[102:103]
	;; [unrolled: 1-line block ×4, first 2 shown]
	v_mov_b32_e32 v28, v110
	v_mov_b32_e32 v29, v111
	;; [unrolled: 1-line block ×4, first 2 shown]
	scratch_store_dwordx4 off, v[0:3], off offset:128 ; 16-byte Folded Spill
	s_nop 0
	scratch_store_dwordx4 off, v[4:7], off offset:144 ; 16-byte Folded Spill
	scratch_store_dwordx4 off, v[8:11], off offset:160 ; 16-byte Folded Spill
	;; [unrolled: 1-line block ×7, first 2 shown]
	v_mov_b64_e32 v[0:1], v[82:83]
	v_mov_b64_e32 v[26:27], v[108:109]
	v_mov_b64_e32 v[14:15], v[96:97]
	v_mov_b64_e32 v[30:31], v[112:113]
	v_mov_b32_e32 v26, v72
	v_mov_b64_e32 v[2:3], v[84:85]
	v_mov_b64_e32 v[4:5], v[86:87]
	;; [unrolled: 1-line block ×13, first 2 shown]
	v_mov_b32_e32 v102, v26
	v_mov_b64_e32 v[106:107], v[30:31]
	v_mov_b64_e32 v[88:89], v[12:13]
	;; [unrolled: 1-line block ×8, first 2 shown]
	v_mov_b32_e32 v101, v25
	v_mov_b32_e32 v100, v24
	;; [unrolled: 1-line block ×10, first 2 shown]
	v_mov_b64_e32 v[104:105], v[28:29]
	scratch_store_dwordx4 off, v[76:79], off ; 16-byte Folded Spill
	s_nop 0
	scratch_store_dwordx4 off, v[80:83], off offset:16 ; 16-byte Folded Spill
	scratch_store_dwordx4 off, v[84:87], off offset:32 ; 16-byte Folded Spill
	;; [unrolled: 1-line block ×7, first 2 shown]
	v_mov_b32_e32 v27, v73
	v_mov_b64_e32 v[112:113], v[30:31]
	v_mov_b64_e32 v[142:143], v[14:15]
	;; [unrolled: 1-line block ×3, first 2 shown]
	v_mov_b32_e32 v159, v31
	v_mov_b64_e32 v[110:111], v[28:29]
	v_mov_b64_e32 v[82:83], v[0:1]
	;; [unrolled: 1-line block ×14, first 2 shown]
	v_mov_b32_e32 v158, v30
	v_mov_b32_e32 v157, v29
	v_mov_b64_e32 v[108:109], v[26:27]
	v_mov_b64_e32 v[106:107], v[24:25]
	;; [unrolled: 1-line block ×13, first 2 shown]
	v_mov_b32_e32 v110, v74
	v_mov_b32_e32 v111, v75
	v_mov_b64_e32 v[0:1], v[82:83]
	v_mov_b64_e32 v[236:237], v[96:97]
	;; [unrolled: 1-line block ×31, first 2 shown]
	v_mov_b32_e32 v30, v254
	v_mov_b32_e32 v31, v255
	scratch_store_dwordx4 off, v[32:35], off offset:1168 ; 16-byte Folded Spill
	s_nop 0
	scratch_store_dwordx4 off, v[36:39], off offset:1184 ; 16-byte Folded Spill
	scratch_store_dwordx4 off, v[40:43], off offset:1200 ; 16-byte Folded Spill
	;; [unrolled: 1-line block ×7, first 2 shown]
.LBB62_308:
	s_or_b64 exec, exec, s[0:1]
	s_nop 0
	v_lshl_add_u32 v62, v221, 2, v214
	s_waitcnt vmcnt(63) expcnt(7) lgkmcnt(15)
	s_barrier
	ds_write_b32 v62, v217
	s_waitcnt lgkmcnt(0)
	s_barrier
	ds_read_b32 v64, v214 offset:72
	s_cmp_lt_i32 s22, 20
	v_mov_b32_e32 v62, 18
	s_cbranch_scc1 .LBB62_311
; %bb.309:
	v_add_u32_e32 v63, 0x4c, v214
	v_mov_b32_e32 v62, 18
	s_mov_b32 s0, 19
.LBB62_310:                             ; =>This Inner Loop Header: Depth=1
	ds_read_b32 v65, v63
	v_add_u32_e32 v63, 4, v63
	s_waitcnt lgkmcnt(0)
	v_cmp_lt_f32_e64 vcc, |v64|, |v65|
	s_nop 1
	v_cndmask_b32_e32 v64, v64, v65, vcc
	v_mov_b32_e32 v65, s0
	s_add_i32 s0, s0, 1
	v_cndmask_b32_e32 v62, v62, v65, vcc
	s_cmp_lg_u32 s22, s0
	s_cbranch_scc1 .LBB62_310
.LBB62_311:
	s_waitcnt lgkmcnt(0)
	v_cmp_eq_f32_e32 vcc, 0, v64
	s_and_saveexec_b64 s[0:1], vcc
	s_xor_b64 s[0:1], exec, s[0:1]
; %bb.312:
	v_cmp_ne_u32_e32 vcc, 0, v220
	s_nop 1
	v_cndmask_b32_e32 v220, 19, v220, vcc
; %bb.313:
	s_andn2_saveexec_b64 s[0:1], s[0:1]
	s_cbranch_execz .LBB62_315
; %bb.314:
	v_div_scale_f32 v63, s[2:3], v64, v64, 1.0
	v_rcp_f32_e32 v65, v63
	v_div_scale_f32 v66, vcc, 1.0, v64, 1.0
	v_fma_f32 v67, -v63, v65, 1.0
	v_fmac_f32_e32 v65, v67, v65
	v_mul_f32_e32 v67, v66, v65
	v_fma_f32 v68, -v63, v67, v66
	v_fmac_f32_e32 v67, v68, v65
	v_fma_f32 v63, -v63, v67, v66
	v_div_fmas_f32 v63, v63, v65, v67
	v_div_fixup_f32 v64, v63, v64, 1.0
.LBB62_315:
	s_or_b64 exec, exec, s[0:1]
	v_cmp_ne_u32_e32 vcc, v221, v62
	s_and_saveexec_b64 s[0:1], vcc
	s_xor_b64 s[0:1], exec, s[0:1]
	s_cbranch_execz .LBB62_321
; %bb.316:
	v_cmp_eq_u32_e32 vcc, 18, v221
	s_and_saveexec_b64 s[2:3], vcc
	s_cbranch_execz .LBB62_320
; %bb.317:
	v_cmp_ne_u32_e32 vcc, 18, v62
	s_xor_b64 s[18:19], s[16:17], -1
	s_and_b64 s[20:21], s[18:19], vcc
	s_and_saveexec_b64 s[18:19], s[20:21]
	s_cbranch_execz .LBB62_319
; %bb.318:
	scratch_load_dwordx2 v[32:33], off, off offset:2076 ; 8-byte Folded Reload
	v_ashrrev_i32_e32 v63, 31, v62
	s_waitcnt vmcnt(0)
	v_lshl_add_u64 v[66:67], v[62:63], 2, v[32:33]
	global_load_dword v63, v[66:67], off
	global_load_dword v65, v[32:33], off offset:72
	s_waitcnt vmcnt(1)
	global_store_dword v[32:33], v63, off offset:72
	s_waitcnt vmcnt(1)
	global_store_dword v[66:67], v65, off
.LBB62_319:
	s_or_b64 exec, exec, s[18:19]
	v_mov_b32_e32 v32, v62
	v_mov_b32_e32 v221, v62
	scratch_store_dword off, v32, off offset:1304 ; 4-byte Folded Spill
.LBB62_320:
	s_or_b64 exec, exec, s[2:3]
.LBB62_321:
	s_andn2_saveexec_b64 s[0:1], s[0:1]
	s_cbranch_execz .LBB62_323
; %bb.322:
	v_mov_b32_e32 v221, 18
	ds_write2_b32 v214, v19, v20 offset0:19 offset1:20
	ds_write2_b32 v214, v21, v22 offset0:21 offset1:22
	;; [unrolled: 1-line block ×6, first 2 shown]
	ds_write_b32 v214, v255 offset:124
.LBB62_323:
	s_or_b64 exec, exec, s[0:1]
	v_cmp_lt_i32_e32 vcc, 18, v221
	s_waitcnt lgkmcnt(0)
	s_barrier
	s_and_saveexec_b64 s[0:1], vcc
	s_cbranch_execz .LBB62_325
; %bb.324:
	scratch_load_dwordx4 v[32:35], off, off offset:1168 ; 16-byte Folded Reload
	scratch_load_dwordx4 v[36:39], off, off offset:1184 ; 16-byte Folded Reload
	;; [unrolled: 1-line block ×8, first 2 shown]
	ds_read2_b32 v[0:1], v214 offset0:19 offset1:20
	ds_read2_b32 v[4:5], v214 offset0:21 offset1:22
	;; [unrolled: 1-line block ×4, first 2 shown]
	s_waitcnt vmcnt(3)
	v_mul_f32_e32 v50, v217, v64
	v_mov_b32_e32 v2, v19
	v_mov_b32_e32 v3, v20
	s_waitcnt lgkmcnt(3)
	v_pk_fma_f32 v[160:161], v[50:51], v[0:1], v[2:3] op_sel_hi:[0,1,1] neg_lo:[1,0,0] neg_hi:[1,0,0]
	v_mov_b32_e32 v0, v21
	v_mov_b32_e32 v1, v22
	s_waitcnt lgkmcnt(2)
	v_pk_fma_f32 v[206:207], v[50:51], v[4:5], v[0:1] op_sel_hi:[0,1,1] neg_lo:[1,0,0] neg_hi:[1,0,0]
	;; [unrolled: 4-line block ×4, first 2 shown]
	ds_read2_b32 v[0:1], v214 offset0:27 offset1:28
	ds_read2_b32 v[4:5], v214 offset0:29 offset1:30
	ds_read_b32 v6, v214 offset:124
	v_mov_b32_e32 v2, v27
	v_mov_b32_e32 v3, v28
	s_waitcnt vmcnt(0)
	v_mov_b64_e32 v[112:113], v[62:63]
	s_waitcnt lgkmcnt(2)
	v_pk_fma_f32 v[208:209], v[50:51], v[0:1], v[2:3] op_sel_hi:[0,1,1] neg_lo:[1,0,0] neg_hi:[1,0,0]
	v_mov_b32_e32 v0, v29
	v_mov_b32_e32 v1, v30
	v_mov_b64_e32 v[102:103], v[52:53]
	v_mov_b64_e32 v[100:101], v[50:51]
	;; [unrolled: 1-line block ×4, first 2 shown]
	s_waitcnt lgkmcnt(1)
	v_pk_fma_f32 v[218:219], v[50:51], v[4:5], v[0:1] op_sel_hi:[0,1,1] neg_lo:[1,0,0] neg_hi:[1,0,0]
	s_waitcnt lgkmcnt(0)
	v_fma_f32 v255, -v50, v6, v255
	v_mov_b64_e32 v[110:111], v[60:61]
	v_mov_b64_e32 v[108:109], v[58:59]
	;; [unrolled: 1-line block ×11, first 2 shown]
	v_mov_b32_e32 v101, v160
	v_mov_b64_e32 v[0:1], v[82:83]
	v_mov_b32_e32 v21, v103
	v_mov_b64_e32 v[16:17], v[98:99]
	v_mov_b64_e32 v[2:3], v[84:85]
	;; [unrolled: 1-line block ×8, first 2 shown]
	v_mov_b32_e32 v22, v104
	v_mov_b32_e32 v23, v105
	;; [unrolled: 1-line block ×10, first 2 shown]
	v_mov_b64_e32 v[18:19], v[100:101]
	scratch_store_dwordx4 off, v[0:3], off offset:912 ; 16-byte Folded Spill
	s_nop 0
	scratch_store_dwordx4 off, v[4:7], off offset:928 ; 16-byte Folded Spill
	scratch_store_dwordx4 off, v[8:11], off offset:944 ; 16-byte Folded Spill
	;; [unrolled: 1-line block ×7, first 2 shown]
	v_mov_b32_e32 v102, v161
	v_mov_b32_e32 v16, v98
	;; [unrolled: 1-line block ×9, first 2 shown]
	scratch_store_dwordx4 off, v[0:3], off offset:784 ; 16-byte Folded Spill
	s_nop 0
	scratch_store_dwordx4 off, v[4:7], off offset:800 ; 16-byte Folded Spill
	scratch_store_dwordx4 off, v[8:11], off offset:816 ; 16-byte Folded Spill
	;; [unrolled: 1-line block ×7, first 2 shown]
	v_mov_b32_e32 v23, v105
	v_mov_b64_e32 v[16:17], v[98:99]
	v_mov_b32_e32 v24, v106
	v_mov_b32_e32 v25, v107
	;; [unrolled: 1-line block ×8, first 2 shown]
	v_mov_b64_e32 v[18:19], v[100:101]
	v_mov_b64_e32 v[20:21], v[102:103]
	v_mov_b32_e32 v105, v204
	scratch_store_dwordx4 off, v[0:3], off offset:656 ; 16-byte Folded Spill
	s_nop 0
	scratch_store_dwordx4 off, v[4:7], off offset:672 ; 16-byte Folded Spill
	scratch_store_dwordx4 off, v[8:11], off offset:688 ; 16-byte Folded Spill
	;; [unrolled: 1-line block ×7, first 2 shown]
	s_nop 0
	v_mov_b64_e32 v[24:25], v[106:107]
	v_mov_b32_e32 v16, v98
	v_mov_b64_e32 v[26:27], v[108:109]
	v_mov_b64_e32 v[28:29], v[110:111]
	;; [unrolled: 1-line block ×3, first 2 shown]
	v_mov_b32_e32 v17, v99
	v_mov_b32_e32 v18, v100
	;; [unrolled: 1-line block ×7, first 2 shown]
	scratch_store_dwordx4 off, v[0:3], off offset:528 ; 16-byte Folded Spill
	s_nop 0
	scratch_store_dwordx4 off, v[4:7], off offset:544 ; 16-byte Folded Spill
	scratch_store_dwordx4 off, v[8:11], off offset:560 ; 16-byte Folded Spill
	;; [unrolled: 1-line block ×7, first 2 shown]
	v_mov_b64_e32 v[16:17], v[98:99]
	v_mov_b32_e32 v25, v107
	v_mov_b64_e32 v[18:19], v[100:101]
	v_mov_b64_e32 v[20:21], v[102:103]
	;; [unrolled: 1-line block ×3, first 2 shown]
	v_mov_b32_e32 v26, v108
	v_mov_b32_e32 v27, v109
	v_mov_b32_e32 v28, v110
	v_mov_b32_e32 v29, v111
	v_mov_b32_e32 v30, v112
	v_mov_b32_e32 v31, v113
	v_mov_b32_e32 v107, v210
	scratch_store_dwordx4 off, v[0:3], off offset:392 ; 16-byte Folded Spill
	s_nop 0
	scratch_store_dwordx4 off, v[4:7], off offset:408 ; 16-byte Folded Spill
	scratch_store_dwordx4 off, v[8:11], off offset:424 ; 16-byte Folded Spill
	;; [unrolled: 1-line block ×7, first 2 shown]
	v_mov_b32_e32 v16, v98
	v_mov_b64_e32 v[26:27], v[108:109]
	v_mov_b32_e32 v17, v99
	v_mov_b32_e32 v18, v100
	;; [unrolled: 1-line block ×8, first 2 shown]
	v_mov_b64_e32 v[28:29], v[110:111]
	v_mov_b64_e32 v[30:31], v[112:113]
	scratch_store_dwordx4 off, v[0:3], off offset:264 ; 16-byte Folded Spill
	s_nop 0
	scratch_store_dwordx4 off, v[4:7], off offset:280 ; 16-byte Folded Spill
	scratch_store_dwordx4 off, v[8:11], off offset:296 ; 16-byte Folded Spill
	;; [unrolled: 1-line block ×7, first 2 shown]
	v_mov_b64_e32 v[16:17], v[98:99]
	v_mov_b32_e32 v27, v109
	v_mov_b64_e32 v[18:19], v[100:101]
	v_mov_b64_e32 v[20:21], v[102:103]
	;; [unrolled: 1-line block ×4, first 2 shown]
	v_mov_b32_e32 v28, v110
	v_mov_b32_e32 v29, v111
	;; [unrolled: 1-line block ×4, first 2 shown]
	scratch_store_dwordx4 off, v[0:3], off offset:128 ; 16-byte Folded Spill
	s_nop 0
	scratch_store_dwordx4 off, v[4:7], off offset:144 ; 16-byte Folded Spill
	scratch_store_dwordx4 off, v[8:11], off offset:160 ; 16-byte Folded Spill
	;; [unrolled: 1-line block ×7, first 2 shown]
	v_mov_b64_e32 v[0:1], v[82:83]
	v_mov_b64_e32 v[26:27], v[108:109]
	;; [unrolled: 1-line block ×4, first 2 shown]
	v_mov_b32_e32 v26, v211
	v_mov_b64_e32 v[2:3], v[84:85]
	v_mov_b64_e32 v[4:5], v[86:87]
	;; [unrolled: 1-line block ×13, first 2 shown]
	v_mov_b32_e32 v90, v26
	v_mov_b64_e32 v[94:95], v[30:31]
	v_mov_b64_e32 v[76:77], v[12:13]
	;; [unrolled: 1-line block ×8, first 2 shown]
	v_mov_b32_e32 v89, v25
	v_mov_b32_e32 v88, v24
	;; [unrolled: 1-line block ×10, first 2 shown]
	v_mov_b64_e32 v[92:93], v[28:29]
	scratch_store_dwordx4 off, v[64:67], off ; 16-byte Folded Spill
	s_nop 0
	scratch_store_dwordx4 off, v[68:71], off offset:16 ; 16-byte Folded Spill
	scratch_store_dwordx4 off, v[72:75], off offset:32 ; 16-byte Folded Spill
	;; [unrolled: 1-line block ×7, first 2 shown]
	v_mov_b32_e32 v27, v208
	v_mov_b64_e32 v[112:113], v[30:31]
	v_mov_b64_e32 v[142:143], v[14:15]
	;; [unrolled: 1-line block ×3, first 2 shown]
	v_mov_b32_e32 v159, v31
	v_mov_b64_e32 v[110:111], v[28:29]
	v_mov_b64_e32 v[82:83], v[0:1]
	v_mov_b64_e32 v[140:141], v[12:13]
	v_mov_b64_e32 v[138:139], v[10:11]
	v_mov_b64_e32 v[136:137], v[8:9]
	v_mov_b64_e32 v[134:135], v[6:7]
	v_mov_b64_e32 v[132:133], v[4:5]
	v_mov_b64_e32 v[130:131], v[2:3]
	v_mov_b64_e32 v[128:129], v[0:1]
	v_mov_b64_e32 v[152:153], v[24:25]
	v_mov_b64_e32 v[150:151], v[22:23]
	v_mov_b64_e32 v[148:149], v[20:21]
	v_mov_b64_e32 v[146:147], v[18:19]
	v_mov_b64_e32 v[144:145], v[16:17]
	v_mov_b32_e32 v158, v30
	v_mov_b32_e32 v157, v29
	v_mov_b64_e32 v[108:109], v[26:27]
	v_mov_b64_e32 v[106:107], v[24:25]
	;; [unrolled: 1-line block ×13, first 2 shown]
	v_mov_b32_e32 v110, v209
	v_mov_b32_e32 v111, v218
	v_mov_b64_e32 v[0:1], v[82:83]
	v_mov_b64_e32 v[236:237], v[96:97]
	;; [unrolled: 1-line block ×31, first 2 shown]
	v_mov_b32_e32 v30, v219
	v_mov_b32_e32 v31, v255
	scratch_store_dwordx4 off, v[32:35], off offset:1040 ; 16-byte Folded Spill
	s_nop 0
	scratch_store_dwordx4 off, v[36:39], off offset:1056 ; 16-byte Folded Spill
	scratch_store_dwordx4 off, v[40:43], off offset:1072 ; 16-byte Folded Spill
	;; [unrolled: 1-line block ×7, first 2 shown]
.LBB62_325:
	s_or_b64 exec, exec, s[0:1]
	s_nop 0
	v_lshl_add_u32 v62, v221, 2, v214
	s_waitcnt vmcnt(63) expcnt(7) lgkmcnt(15)
	s_barrier
	ds_write_b32 v62, v160
	s_waitcnt lgkmcnt(0)
	s_barrier
	ds_read_b32 v64, v214 offset:76
	s_cmp_lt_i32 s22, 21
	v_mov_b32_e32 v62, 19
	s_cbranch_scc1 .LBB62_328
; %bb.326:
	v_add_u32_e32 v63, 0x50, v214
	v_mov_b32_e32 v62, 19
	s_mov_b32 s0, 20
.LBB62_327:                             ; =>This Inner Loop Header: Depth=1
	ds_read_b32 v65, v63
	v_add_u32_e32 v63, 4, v63
	s_waitcnt lgkmcnt(0)
	v_cmp_lt_f32_e64 vcc, |v64|, |v65|
	s_nop 1
	v_cndmask_b32_e32 v64, v64, v65, vcc
	v_mov_b32_e32 v65, s0
	s_add_i32 s0, s0, 1
	v_cndmask_b32_e32 v62, v62, v65, vcc
	s_cmp_lg_u32 s22, s0
	s_cbranch_scc1 .LBB62_327
.LBB62_328:
	s_waitcnt lgkmcnt(0)
	v_cmp_eq_f32_e32 vcc, 0, v64
	s_and_saveexec_b64 s[0:1], vcc
	s_xor_b64 s[0:1], exec, s[0:1]
; %bb.329:
	v_cmp_ne_u32_e32 vcc, 0, v220
	s_nop 1
	v_cndmask_b32_e32 v220, 20, v220, vcc
; %bb.330:
	s_andn2_saveexec_b64 s[0:1], s[0:1]
	s_cbranch_execz .LBB62_332
; %bb.331:
	v_div_scale_f32 v63, s[2:3], v64, v64, 1.0
	v_rcp_f32_e32 v65, v63
	v_div_scale_f32 v66, vcc, 1.0, v64, 1.0
	v_fma_f32 v67, -v63, v65, 1.0
	v_fmac_f32_e32 v65, v67, v65
	v_mul_f32_e32 v67, v66, v65
	v_fma_f32 v68, -v63, v67, v66
	v_fmac_f32_e32 v67, v68, v65
	v_fma_f32 v63, -v63, v67, v66
	v_div_fmas_f32 v63, v63, v65, v67
	v_div_fixup_f32 v64, v63, v64, 1.0
.LBB62_332:
	s_or_b64 exec, exec, s[0:1]
	v_cmp_ne_u32_e32 vcc, v221, v62
	s_and_saveexec_b64 s[0:1], vcc
	s_xor_b64 s[0:1], exec, s[0:1]
	s_cbranch_execz .LBB62_338
; %bb.333:
	v_cmp_eq_u32_e32 vcc, 19, v221
	s_and_saveexec_b64 s[2:3], vcc
	s_cbranch_execz .LBB62_337
; %bb.334:
	v_cmp_ne_u32_e32 vcc, 19, v62
	s_xor_b64 s[18:19], s[16:17], -1
	s_and_b64 s[20:21], s[18:19], vcc
	s_and_saveexec_b64 s[18:19], s[20:21]
	s_cbranch_execz .LBB62_336
; %bb.335:
	scratch_load_dwordx2 v[32:33], off, off offset:2076 ; 8-byte Folded Reload
	v_ashrrev_i32_e32 v63, 31, v62
	s_waitcnt vmcnt(0)
	v_lshl_add_u64 v[66:67], v[62:63], 2, v[32:33]
	global_load_dword v63, v[66:67], off
	global_load_dword v65, v[32:33], off offset:76
	s_waitcnt vmcnt(1)
	global_store_dword v[32:33], v63, off offset:76
	s_waitcnt vmcnt(1)
	global_store_dword v[66:67], v65, off
.LBB62_336:
	s_or_b64 exec, exec, s[18:19]
	v_mov_b32_e32 v32, v62
	v_mov_b32_e32 v221, v62
	scratch_store_dword off, v32, off offset:1304 ; 4-byte Folded Spill
.LBB62_337:
	s_or_b64 exec, exec, s[2:3]
.LBB62_338:
	s_andn2_saveexec_b64 s[0:1], s[0:1]
	s_cbranch_execz .LBB62_340
; %bb.339:
	v_mov_b32_e32 v221, 19
	ds_write2_b32 v214, v20, v21 offset0:20 offset1:21
	ds_write2_b32 v214, v22, v23 offset0:22 offset1:23
	;; [unrolled: 1-line block ×6, first 2 shown]
.LBB62_340:
	s_or_b64 exec, exec, s[0:1]
	v_cmp_lt_i32_e32 vcc, 19, v221
	s_waitcnt lgkmcnt(0)
	s_barrier
	s_and_saveexec_b64 s[0:1], vcc
	s_cbranch_execz .LBB62_342
; %bb.341:
	ds_read2_b32 v[0:1], v214 offset0:20 offset1:21
	v_mul_f32_e32 v2, v160, v64
	ds_read2_b32 v[4:5], v214 offset0:22 offset1:23
	ds_read2_b32 v[6:7], v214 offset0:24 offset1:25
	;; [unrolled: 1-line block ×3, first 2 shown]
	s_waitcnt lgkmcnt(2)
	v_pk_fma_f32 v[66:67], v[2:3], v[4:5], v[22:23] op_sel_hi:[0,1,1] neg_lo:[1,0,0] neg_hi:[1,0,0]
	v_pk_fma_f32 v[64:65], v[2:3], v[0:1], v[20:21] op_sel_hi:[0,1,1] neg_lo:[1,0,0] neg_hi:[1,0,0]
	ds_read2_b32 v[0:1], v214 offset0:28 offset1:29
	ds_read2_b32 v[10:11], v214 offset0:30 offset1:31
	scratch_load_dwordx4 v[32:35], off, off offset:1040 ; 16-byte Folded Reload
	scratch_load_dwordx4 v[36:39], off, off offset:1056 ; 16-byte Folded Reload
	;; [unrolled: 1-line block ×8, first 2 shown]
	s_waitcnt vmcnt(3)
	v_mov_b32_e32 v51, v2
	s_waitcnt lgkmcnt(3)
	v_pk_fma_f32 v[68:69], v[2:3], v[6:7], v[24:25] op_sel_hi:[0,1,1] neg_lo:[1,0,0] neg_hi:[1,0,0]
	s_waitcnt lgkmcnt(2)
	v_pk_fma_f32 v[70:71], v[2:3], v[8:9], v[26:27] op_sel_hi:[0,1,1] neg_lo:[1,0,0] neg_hi:[1,0,0]
	;; [unrolled: 2-line block ×4, first 2 shown]
	v_mov_b32_e32 v250, v72
	v_mov_b32_e32 v161, v64
	;; [unrolled: 1-line block ×12, first 2 shown]
	s_waitcnt vmcnt(0)
	v_mov_b64_e32 v[112:113], v[62:63]
	v_mov_b64_e32 v[104:105], v[54:55]
	v_mov_b64_e32 v[102:103], v[52:53]
	v_mov_b64_e32 v[98:99], v[48:49]
	v_mov_b64_e32 v[82:83], v[32:33]
	v_mov_b64_e32 v[110:111], v[60:61]
	v_mov_b64_e32 v[108:109], v[58:59]
	v_mov_b64_e32 v[106:107], v[56:57]
	v_mov_b64_e32 v[100:101], v[50:51]
	v_mov_b64_e32 v[96:97], v[46:47]
	v_mov_b64_e32 v[94:95], v[44:45]
	v_mov_b64_e32 v[92:93], v[42:43]
	v_mov_b64_e32 v[90:91], v[40:41]
	v_mov_b64_e32 v[88:89], v[38:39]
	v_mov_b64_e32 v[86:87], v[36:37]
	v_mov_b64_e32 v[84:85], v[34:35]
	v_mov_b32_e32 v102, v64
	v_mov_b64_e32 v[0:1], v[82:83]
	v_mov_b64_e32 v[22:23], v[104:105]
	v_mov_b32_e32 v16, v98
	v_mov_b64_e32 v[2:3], v[84:85]
	v_mov_b64_e32 v[4:5], v[86:87]
	;; [unrolled: 1-line block ×11, first 2 shown]
	v_mov_b32_e32 v17, v99
	v_mov_b32_e32 v18, v100
	;; [unrolled: 1-line block ×4, first 2 shown]
	scratch_store_dwordx4 off, v[0:3], off offset:784 ; 16-byte Folded Spill
	s_nop 0
	scratch_store_dwordx4 off, v[4:7], off offset:800 ; 16-byte Folded Spill
	scratch_store_dwordx4 off, v[8:11], off offset:816 ; 16-byte Folded Spill
	;; [unrolled: 1-line block ×7, first 2 shown]
	v_mov_b32_e32 v103, v65
	v_mov_b64_e32 v[16:17], v[98:99]
	v_mov_b64_e32 v[18:19], v[100:101]
	;; [unrolled: 1-line block ×3, first 2 shown]
	v_mov_b32_e32 v104, v66
	v_mov_b32_e32 v105, v67
	scratch_store_dwordx4 off, v[0:3], off offset:656 ; 16-byte Folded Spill
	s_nop 0
	scratch_store_dwordx4 off, v[4:7], off offset:672 ; 16-byte Folded Spill
	scratch_store_dwordx4 off, v[8:11], off offset:688 ; 16-byte Folded Spill
	;; [unrolled: 1-line block ×7, first 2 shown]
	s_nop 0
	v_mov_b64_e32 v[24:25], v[106:107]
	v_mov_b32_e32 v16, v98
	v_mov_b64_e32 v[26:27], v[108:109]
	v_mov_b64_e32 v[28:29], v[110:111]
	;; [unrolled: 1-line block ×3, first 2 shown]
	v_mov_b32_e32 v17, v99
	v_mov_b32_e32 v18, v100
	;; [unrolled: 1-line block ×7, first 2 shown]
	scratch_store_dwordx4 off, v[0:3], off offset:528 ; 16-byte Folded Spill
	s_nop 0
	scratch_store_dwordx4 off, v[4:7], off offset:544 ; 16-byte Folded Spill
	scratch_store_dwordx4 off, v[8:11], off offset:560 ; 16-byte Folded Spill
	;; [unrolled: 1-line block ×7, first 2 shown]
	v_mov_b64_e32 v[16:17], v[98:99]
	v_mov_b32_e32 v25, v107
	v_mov_b64_e32 v[18:19], v[100:101]
	v_mov_b64_e32 v[20:21], v[102:103]
	;; [unrolled: 1-line block ×3, first 2 shown]
	v_mov_b32_e32 v26, v108
	v_mov_b32_e32 v27, v109
	;; [unrolled: 1-line block ×7, first 2 shown]
	scratch_store_dwordx4 off, v[0:3], off offset:392 ; 16-byte Folded Spill
	s_nop 0
	scratch_store_dwordx4 off, v[4:7], off offset:408 ; 16-byte Folded Spill
	scratch_store_dwordx4 off, v[8:11], off offset:424 ; 16-byte Folded Spill
	;; [unrolled: 1-line block ×7, first 2 shown]
	v_mov_b32_e32 v16, v98
	v_mov_b64_e32 v[26:27], v[108:109]
	v_mov_b32_e32 v17, v99
	v_mov_b32_e32 v18, v100
	;; [unrolled: 1-line block ×8, first 2 shown]
	v_mov_b64_e32 v[28:29], v[110:111]
	v_mov_b64_e32 v[30:31], v[112:113]
	scratch_store_dwordx4 off, v[0:3], off offset:264 ; 16-byte Folded Spill
	s_nop 0
	scratch_store_dwordx4 off, v[4:7], off offset:280 ; 16-byte Folded Spill
	scratch_store_dwordx4 off, v[8:11], off offset:296 ; 16-byte Folded Spill
	;; [unrolled: 1-line block ×7, first 2 shown]
	v_mov_b64_e32 v[16:17], v[98:99]
	v_mov_b32_e32 v27, v109
	v_mov_b64_e32 v[18:19], v[100:101]
	v_mov_b64_e32 v[20:21], v[102:103]
	;; [unrolled: 1-line block ×4, first 2 shown]
	v_mov_b32_e32 v28, v110
	v_mov_b32_e32 v29, v111
	;; [unrolled: 1-line block ×4, first 2 shown]
	scratch_store_dwordx4 off, v[0:3], off offset:128 ; 16-byte Folded Spill
	s_nop 0
	scratch_store_dwordx4 off, v[4:7], off offset:144 ; 16-byte Folded Spill
	scratch_store_dwordx4 off, v[8:11], off offset:160 ; 16-byte Folded Spill
	;; [unrolled: 1-line block ×7, first 2 shown]
	v_mov_b64_e32 v[0:1], v[82:83]
	v_mov_b64_e32 v[26:27], v[108:109]
	;; [unrolled: 1-line block ×4, first 2 shown]
	v_mov_b32_e32 v26, v70
	v_mov_b64_e32 v[2:3], v[84:85]
	v_mov_b64_e32 v[4:5], v[86:87]
	;; [unrolled: 1-line block ×13, first 2 shown]
	v_mov_b32_e32 v100, v26
	v_mov_b64_e32 v[104:105], v[30:31]
	v_mov_b64_e32 v[86:87], v[12:13]
	;; [unrolled: 1-line block ×8, first 2 shown]
	v_mov_b32_e32 v99, v25
	v_mov_b32_e32 v98, v24
	;; [unrolled: 1-line block ×10, first 2 shown]
	v_mov_b64_e32 v[102:103], v[28:29]
	scratch_store_dwordx4 off, v[74:77], off ; 16-byte Folded Spill
	s_nop 0
	scratch_store_dwordx4 off, v[78:81], off offset:16 ; 16-byte Folded Spill
	scratch_store_dwordx4 off, v[82:85], off offset:32 ; 16-byte Folded Spill
	;; [unrolled: 1-line block ×7, first 2 shown]
	v_mov_b32_e32 v27, v71
	v_mov_b64_e32 v[112:113], v[30:31]
	v_mov_b64_e32 v[142:143], v[14:15]
	;; [unrolled: 1-line block ×3, first 2 shown]
	v_mov_b32_e32 v159, v31
	v_mov_b64_e32 v[110:111], v[28:29]
	v_mov_b64_e32 v[82:83], v[0:1]
	;; [unrolled: 1-line block ×14, first 2 shown]
	v_mov_b32_e32 v158, v30
	v_mov_b32_e32 v157, v29
	v_mov_b64_e32 v[108:109], v[26:27]
	v_mov_b64_e32 v[106:107], v[24:25]
	;; [unrolled: 1-line block ×13, first 2 shown]
	v_mov_b32_e32 v110, v72
	v_mov_b32_e32 v111, v73
	v_mov_b64_e32 v[0:1], v[82:83]
	v_mov_b64_e32 v[236:237], v[96:97]
	;; [unrolled: 1-line block ×31, first 2 shown]
	v_mov_b32_e32 v30, v254
	v_mov_b32_e32 v31, v255
	scratch_store_dwordx4 off, v[32:35], off offset:912 ; 16-byte Folded Spill
	s_nop 0
	scratch_store_dwordx4 off, v[36:39], off offset:928 ; 16-byte Folded Spill
	scratch_store_dwordx4 off, v[40:43], off offset:944 ; 16-byte Folded Spill
	;; [unrolled: 1-line block ×7, first 2 shown]
.LBB62_342:
	s_or_b64 exec, exec, s[0:1]
	s_nop 0
	v_lshl_add_u32 v62, v221, 2, v214
	s_waitcnt vmcnt(63) expcnt(7) lgkmcnt(15)
	s_barrier
	ds_write_b32 v62, v161
	s_waitcnt lgkmcnt(0)
	s_barrier
	ds_read_b32 v64, v214 offset:80
	s_cmp_lt_i32 s22, 22
	v_mov_b32_e32 v62, 20
	s_cbranch_scc1 .LBB62_345
; %bb.343:
	v_add_u32_e32 v63, 0x54, v214
	v_mov_b32_e32 v62, 20
	s_mov_b32 s0, 21
.LBB62_344:                             ; =>This Inner Loop Header: Depth=1
	ds_read_b32 v65, v63
	v_add_u32_e32 v63, 4, v63
	s_waitcnt lgkmcnt(0)
	v_cmp_lt_f32_e64 vcc, |v64|, |v65|
	s_nop 1
	v_cndmask_b32_e32 v64, v64, v65, vcc
	v_mov_b32_e32 v65, s0
	s_add_i32 s0, s0, 1
	v_cndmask_b32_e32 v62, v62, v65, vcc
	s_cmp_lg_u32 s22, s0
	s_cbranch_scc1 .LBB62_344
.LBB62_345:
	s_waitcnt lgkmcnt(0)
	v_cmp_eq_f32_e32 vcc, 0, v64
	s_and_saveexec_b64 s[0:1], vcc
	s_xor_b64 s[0:1], exec, s[0:1]
; %bb.346:
	v_cmp_ne_u32_e32 vcc, 0, v220
	s_nop 1
	v_cndmask_b32_e32 v220, 21, v220, vcc
; %bb.347:
	s_andn2_saveexec_b64 s[0:1], s[0:1]
	s_cbranch_execz .LBB62_349
; %bb.348:
	v_div_scale_f32 v63, s[2:3], v64, v64, 1.0
	v_rcp_f32_e32 v65, v63
	v_div_scale_f32 v66, vcc, 1.0, v64, 1.0
	v_fma_f32 v67, -v63, v65, 1.0
	v_fmac_f32_e32 v65, v67, v65
	v_mul_f32_e32 v67, v66, v65
	v_fma_f32 v68, -v63, v67, v66
	v_fmac_f32_e32 v67, v68, v65
	v_fma_f32 v63, -v63, v67, v66
	v_div_fmas_f32 v63, v63, v65, v67
	v_div_fixup_f32 v64, v63, v64, 1.0
.LBB62_349:
	s_or_b64 exec, exec, s[0:1]
	v_cmp_ne_u32_e32 vcc, v221, v62
	s_and_saveexec_b64 s[0:1], vcc
	s_xor_b64 s[0:1], exec, s[0:1]
	s_cbranch_execz .LBB62_355
; %bb.350:
	v_cmp_eq_u32_e32 vcc, 20, v221
	s_and_saveexec_b64 s[2:3], vcc
	s_cbranch_execz .LBB62_354
; %bb.351:
	v_cmp_ne_u32_e32 vcc, 20, v62
	s_xor_b64 s[18:19], s[16:17], -1
	s_and_b64 s[20:21], s[18:19], vcc
	s_and_saveexec_b64 s[18:19], s[20:21]
	s_cbranch_execz .LBB62_353
; %bb.352:
	scratch_load_dwordx2 v[32:33], off, off offset:2076 ; 8-byte Folded Reload
	v_ashrrev_i32_e32 v63, 31, v62
	s_waitcnt vmcnt(0)
	v_lshl_add_u64 v[66:67], v[62:63], 2, v[32:33]
	global_load_dword v63, v[66:67], off
	global_load_dword v65, v[32:33], off offset:80
	s_waitcnt vmcnt(1)
	global_store_dword v[32:33], v63, off offset:80
	s_waitcnt vmcnt(1)
	global_store_dword v[66:67], v65, off
.LBB62_353:
	s_or_b64 exec, exec, s[18:19]
	v_mov_b32_e32 v32, v62
	v_mov_b32_e32 v221, v62
	scratch_store_dword off, v32, off offset:1304 ; 4-byte Folded Spill
.LBB62_354:
	s_or_b64 exec, exec, s[2:3]
.LBB62_355:
	s_andn2_saveexec_b64 s[0:1], s[0:1]
	s_cbranch_execz .LBB62_357
; %bb.356:
	v_mov_b32_e32 v221, 20
	ds_write2_b32 v214, v21, v22 offset0:21 offset1:22
	ds_write2_b32 v214, v23, v24 offset0:23 offset1:24
	;; [unrolled: 1-line block ×5, first 2 shown]
	ds_write_b32 v214, v255 offset:124
.LBB62_357:
	s_or_b64 exec, exec, s[0:1]
	v_cmp_lt_i32_e32 vcc, 20, v221
	s_waitcnt lgkmcnt(0)
	s_barrier
	s_and_saveexec_b64 s[0:1], vcc
	s_cbranch_execz .LBB62_359
; %bb.358:
	scratch_load_dwordx4 v[32:35], off, off offset:912 ; 16-byte Folded Reload
	scratch_load_dwordx4 v[36:39], off, off offset:928 ; 16-byte Folded Reload
	;; [unrolled: 1-line block ×8, first 2 shown]
	ds_read2_b32 v[0:1], v214 offset0:21 offset1:22
	ds_read2_b32 v[4:5], v214 offset0:23 offset1:24
	ds_read2_b32 v[6:7], v214 offset0:25 offset1:26
	ds_read2_b32 v[8:9], v214 offset0:27 offset1:28
	s_waitcnt vmcnt(2)
	v_mul_f32_e32 v52, v161, v64
	v_mov_b32_e32 v2, v21
	v_mov_b32_e32 v3, v22
	s_waitcnt lgkmcnt(3)
	v_pk_fma_f32 v[206:207], v[52:53], v[0:1], v[2:3] op_sel_hi:[0,1,1] neg_lo:[1,0,0] neg_hi:[1,0,0]
	v_mov_b32_e32 v0, v23
	v_mov_b32_e32 v1, v24
	s_waitcnt lgkmcnt(2)
	v_pk_fma_f32 v[204:205], v[52:53], v[4:5], v[0:1] op_sel_hi:[0,1,1] neg_lo:[1,0,0] neg_hi:[1,0,0]
	ds_read2_b32 v[2:3], v214 offset0:29 offset1:30
	ds_read_b32 v4, v214 offset:124
	v_mov_b32_e32 v0, v25
	v_mov_b32_e32 v1, v26
	s_waitcnt lgkmcnt(3)
	v_pk_fma_f32 v[210:211], v[52:53], v[6:7], v[0:1] op_sel_hi:[0,1,1] neg_lo:[1,0,0] neg_hi:[1,0,0]
	v_mov_b32_e32 v0, v27
	v_mov_b32_e32 v1, v28
	s_waitcnt vmcnt(0)
	v_mov_b64_e32 v[112:113], v[62:63]
	s_waitcnt lgkmcnt(2)
	v_pk_fma_f32 v[208:209], v[52:53], v[8:9], v[0:1] op_sel_hi:[0,1,1] neg_lo:[1,0,0] neg_hi:[1,0,0]
	v_mov_b32_e32 v0, v29
	v_mov_b32_e32 v1, v30
	v_mov_b64_e32 v[104:105], v[54:55]
	v_mov_b64_e32 v[102:103], v[52:53]
	;; [unrolled: 1-line block ×4, first 2 shown]
	s_waitcnt lgkmcnt(1)
	v_pk_fma_f32 v[218:219], v[52:53], v[2:3], v[0:1] op_sel_hi:[0,1,1] neg_lo:[1,0,0] neg_hi:[1,0,0]
	s_waitcnt lgkmcnt(0)
	v_fma_f32 v255, -v52, v4, v255
	v_mov_b64_e32 v[110:111], v[60:61]
	v_mov_b64_e32 v[108:109], v[58:59]
	;; [unrolled: 1-line block ×11, first 2 shown]
	v_mov_b32_e32 v103, v206
	v_mov_b64_e32 v[0:1], v[82:83]
	v_mov_b32_e32 v23, v105
	v_mov_b64_e32 v[16:17], v[98:99]
	v_mov_b64_e32 v[2:3], v[84:85]
	v_mov_b64_e32 v[4:5], v[86:87]
	v_mov_b64_e32 v[6:7], v[88:89]
	v_mov_b64_e32 v[8:9], v[90:91]
	v_mov_b64_e32 v[10:11], v[92:93]
	v_mov_b64_e32 v[12:13], v[94:95]
	v_mov_b64_e32 v[14:15], v[96:97]
	v_mov_b32_e32 v24, v106
	v_mov_b32_e32 v25, v107
	;; [unrolled: 1-line block ×8, first 2 shown]
	v_mov_b64_e32 v[18:19], v[100:101]
	v_mov_b64_e32 v[20:21], v[102:103]
	scratch_store_dwordx4 off, v[0:3], off offset:656 ; 16-byte Folded Spill
	s_nop 0
	scratch_store_dwordx4 off, v[4:7], off offset:672 ; 16-byte Folded Spill
	scratch_store_dwordx4 off, v[8:11], off offset:688 ; 16-byte Folded Spill
	;; [unrolled: 1-line block ×7, first 2 shown]
	v_mov_b32_e32 v104, v207
	v_mov_b32_e32 v16, v98
	;; [unrolled: 1-line block ×11, first 2 shown]
	scratch_store_dwordx4 off, v[0:3], off offset:528 ; 16-byte Folded Spill
	s_nop 0
	scratch_store_dwordx4 off, v[4:7], off offset:544 ; 16-byte Folded Spill
	scratch_store_dwordx4 off, v[8:11], off offset:560 ; 16-byte Folded Spill
	;; [unrolled: 1-line block ×7, first 2 shown]
	v_mov_b64_e32 v[16:17], v[98:99]
	v_mov_b32_e32 v25, v107
	v_mov_b64_e32 v[18:19], v[100:101]
	v_mov_b64_e32 v[20:21], v[102:103]
	;; [unrolled: 1-line block ×3, first 2 shown]
	v_mov_b32_e32 v26, v108
	v_mov_b32_e32 v27, v109
	;; [unrolled: 1-line block ×7, first 2 shown]
	scratch_store_dwordx4 off, v[0:3], off offset:392 ; 16-byte Folded Spill
	s_nop 0
	scratch_store_dwordx4 off, v[4:7], off offset:408 ; 16-byte Folded Spill
	scratch_store_dwordx4 off, v[8:11], off offset:424 ; 16-byte Folded Spill
	;; [unrolled: 1-line block ×7, first 2 shown]
	v_mov_b32_e32 v16, v98
	v_mov_b64_e32 v[26:27], v[108:109]
	v_mov_b32_e32 v17, v99
	v_mov_b32_e32 v18, v100
	;; [unrolled: 1-line block ×8, first 2 shown]
	v_mov_b64_e32 v[28:29], v[110:111]
	v_mov_b64_e32 v[30:31], v[112:113]
	scratch_store_dwordx4 off, v[0:3], off offset:264 ; 16-byte Folded Spill
	s_nop 0
	scratch_store_dwordx4 off, v[4:7], off offset:280 ; 16-byte Folded Spill
	scratch_store_dwordx4 off, v[8:11], off offset:296 ; 16-byte Folded Spill
	;; [unrolled: 1-line block ×7, first 2 shown]
	v_mov_b64_e32 v[16:17], v[98:99]
	v_mov_b32_e32 v27, v109
	v_mov_b64_e32 v[18:19], v[100:101]
	v_mov_b64_e32 v[20:21], v[102:103]
	;; [unrolled: 1-line block ×4, first 2 shown]
	v_mov_b32_e32 v28, v110
	v_mov_b32_e32 v29, v111
	;; [unrolled: 1-line block ×4, first 2 shown]
	scratch_store_dwordx4 off, v[0:3], off offset:128 ; 16-byte Folded Spill
	s_nop 0
	scratch_store_dwordx4 off, v[4:7], off offset:144 ; 16-byte Folded Spill
	scratch_store_dwordx4 off, v[8:11], off offset:160 ; 16-byte Folded Spill
	;; [unrolled: 1-line block ×7, first 2 shown]
	v_mov_b64_e32 v[0:1], v[82:83]
	v_mov_b64_e32 v[26:27], v[108:109]
	;; [unrolled: 1-line block ×4, first 2 shown]
	v_mov_b32_e32 v26, v211
	v_mov_b64_e32 v[2:3], v[84:85]
	v_mov_b64_e32 v[4:5], v[86:87]
	;; [unrolled: 1-line block ×13, first 2 shown]
	v_mov_b32_e32 v90, v26
	v_mov_b64_e32 v[94:95], v[30:31]
	v_mov_b64_e32 v[76:77], v[12:13]
	;; [unrolled: 1-line block ×8, first 2 shown]
	v_mov_b32_e32 v89, v25
	v_mov_b32_e32 v88, v24
	;; [unrolled: 1-line block ×10, first 2 shown]
	v_mov_b64_e32 v[92:93], v[28:29]
	scratch_store_dwordx4 off, v[64:67], off ; 16-byte Folded Spill
	s_nop 0
	scratch_store_dwordx4 off, v[68:71], off offset:16 ; 16-byte Folded Spill
	scratch_store_dwordx4 off, v[72:75], off offset:32 ; 16-byte Folded Spill
	;; [unrolled: 1-line block ×7, first 2 shown]
	v_mov_b32_e32 v27, v208
	v_mov_b64_e32 v[112:113], v[30:31]
	v_mov_b64_e32 v[142:143], v[14:15]
	;; [unrolled: 1-line block ×3, first 2 shown]
	v_mov_b32_e32 v159, v31
	v_mov_b64_e32 v[110:111], v[28:29]
	v_mov_b64_e32 v[82:83], v[0:1]
	;; [unrolled: 1-line block ×14, first 2 shown]
	v_mov_b32_e32 v158, v30
	v_mov_b32_e32 v157, v29
	v_mov_b64_e32 v[108:109], v[26:27]
	v_mov_b64_e32 v[106:107], v[24:25]
	;; [unrolled: 1-line block ×13, first 2 shown]
	v_mov_b32_e32 v110, v209
	v_mov_b32_e32 v111, v218
	v_mov_b64_e32 v[0:1], v[82:83]
	v_mov_b64_e32 v[236:237], v[96:97]
	;; [unrolled: 1-line block ×31, first 2 shown]
	v_mov_b32_e32 v30, v219
	v_mov_b32_e32 v31, v255
	scratch_store_dwordx4 off, v[32:35], off offset:784 ; 16-byte Folded Spill
	s_nop 0
	scratch_store_dwordx4 off, v[36:39], off offset:800 ; 16-byte Folded Spill
	scratch_store_dwordx4 off, v[40:43], off offset:816 ; 16-byte Folded Spill
	scratch_store_dwordx4 off, v[44:47], off offset:832 ; 16-byte Folded Spill
	scratch_store_dwordx4 off, v[48:51], off offset:848 ; 16-byte Folded Spill
	scratch_store_dwordx4 off, v[52:55], off offset:864 ; 16-byte Folded Spill
	scratch_store_dwordx4 off, v[56:59], off offset:880 ; 16-byte Folded Spill
	scratch_store_dwordx4 off, v[60:63], off offset:896 ; 16-byte Folded Spill
.LBB62_359:
	s_or_b64 exec, exec, s[0:1]
	s_nop 0
	v_lshl_add_u32 v62, v221, 2, v214
	s_barrier
	ds_write_b32 v62, v206
	s_waitcnt lgkmcnt(0)
	s_barrier
	ds_read_b32 v64, v214 offset:84
	s_cmp_lt_i32 s22, 23
	v_mov_b32_e32 v62, 21
	s_cbranch_scc1 .LBB62_362
; %bb.360:
	v_add_u32_e32 v63, 0x58, v214
	v_mov_b32_e32 v62, 21
	s_mov_b32 s0, 22
.LBB62_361:                             ; =>This Inner Loop Header: Depth=1
	ds_read_b32 v65, v63
	v_add_u32_e32 v63, 4, v63
	s_waitcnt lgkmcnt(0)
	v_cmp_lt_f32_e64 vcc, |v64|, |v65|
	s_nop 1
	v_cndmask_b32_e32 v64, v64, v65, vcc
	v_mov_b32_e32 v65, s0
	s_add_i32 s0, s0, 1
	v_cndmask_b32_e32 v62, v62, v65, vcc
	s_cmp_lg_u32 s22, s0
	s_cbranch_scc1 .LBB62_361
.LBB62_362:
	s_waitcnt lgkmcnt(0)
	v_cmp_eq_f32_e32 vcc, 0, v64
	s_and_saveexec_b64 s[0:1], vcc
	s_xor_b64 s[0:1], exec, s[0:1]
; %bb.363:
	v_cmp_ne_u32_e32 vcc, 0, v220
	s_nop 1
	v_cndmask_b32_e32 v220, 22, v220, vcc
; %bb.364:
	s_andn2_saveexec_b64 s[0:1], s[0:1]
	s_cbranch_execz .LBB62_366
; %bb.365:
	v_div_scale_f32 v63, s[2:3], v64, v64, 1.0
	v_rcp_f32_e32 v65, v63
	v_div_scale_f32 v66, vcc, 1.0, v64, 1.0
	v_fma_f32 v67, -v63, v65, 1.0
	v_fmac_f32_e32 v65, v67, v65
	v_mul_f32_e32 v67, v66, v65
	v_fma_f32 v68, -v63, v67, v66
	v_fmac_f32_e32 v67, v68, v65
	v_fma_f32 v63, -v63, v67, v66
	v_div_fmas_f32 v63, v63, v65, v67
	v_div_fixup_f32 v64, v63, v64, 1.0
.LBB62_366:
	s_or_b64 exec, exec, s[0:1]
	v_cmp_ne_u32_e32 vcc, v221, v62
	s_and_saveexec_b64 s[0:1], vcc
	s_xor_b64 s[0:1], exec, s[0:1]
	s_cbranch_execz .LBB62_372
; %bb.367:
	v_cmp_eq_u32_e32 vcc, 21, v221
	s_and_saveexec_b64 s[2:3], vcc
	s_cbranch_execz .LBB62_371
; %bb.368:
	v_cmp_ne_u32_e32 vcc, 21, v62
	s_xor_b64 s[18:19], s[16:17], -1
	s_and_b64 s[20:21], s[18:19], vcc
	s_and_saveexec_b64 s[18:19], s[20:21]
	s_cbranch_execz .LBB62_370
; %bb.369:
	scratch_load_dwordx2 v[32:33], off, off offset:2076 ; 8-byte Folded Reload
	v_ashrrev_i32_e32 v63, 31, v62
	s_waitcnt vmcnt(0)
	v_lshl_add_u64 v[66:67], v[62:63], 2, v[32:33]
	global_load_dword v63, v[66:67], off
	global_load_dword v65, v[32:33], off offset:84
	s_waitcnt vmcnt(1)
	global_store_dword v[32:33], v63, off offset:84
	s_waitcnt vmcnt(1)
	global_store_dword v[66:67], v65, off
.LBB62_370:
	s_or_b64 exec, exec, s[18:19]
	v_mov_b32_e32 v32, v62
	v_mov_b32_e32 v221, v62
	scratch_store_dword off, v32, off offset:1304 ; 4-byte Folded Spill
.LBB62_371:
	s_or_b64 exec, exec, s[2:3]
.LBB62_372:
	s_andn2_saveexec_b64 s[0:1], s[0:1]
	s_cbranch_execz .LBB62_374
; %bb.373:
	v_mov_b32_e32 v221, 21
	ds_write2_b32 v214, v22, v23 offset0:22 offset1:23
	ds_write2_b32 v214, v24, v25 offset0:24 offset1:25
	ds_write2_b32 v214, v26, v27 offset0:26 offset1:27
	ds_write2_b32 v214, v28, v29 offset0:28 offset1:29
	ds_write2_b32 v214, v30, v31 offset0:30 offset1:31
.LBB62_374:
	s_or_b64 exec, exec, s[0:1]
	v_cmp_lt_i32_e32 vcc, 21, v221
	s_waitcnt lgkmcnt(0)
	s_barrier
	s_and_saveexec_b64 s[0:1], vcc
	s_cbranch_execz .LBB62_376
; %bb.375:
	ds_read2_b32 v[2:3], v214 offset0:22 offset1:23
	ds_read2_b32 v[4:5], v214 offset0:24 offset1:25
	;; [unrolled: 1-line block ×5, first 2 shown]
	scratch_load_dwordx4 v[32:35], off, off offset:784 ; 16-byte Folded Reload
	scratch_load_dwordx4 v[36:39], off, off offset:800 ; 16-byte Folded Reload
	;; [unrolled: 1-line block ×8, first 2 shown]
	v_mul_f32_e32 v0, v206, v64
	s_waitcnt vmcnt(2)
	v_mov_b32_e32 v53, v0
	s_waitcnt lgkmcnt(4)
	v_pk_fma_f32 v[64:65], v[0:1], v[2:3], v[22:23] op_sel_hi:[0,1,1] neg_lo:[1,0,0] neg_hi:[1,0,0]
	s_waitcnt lgkmcnt(3)
	v_pk_fma_f32 v[66:67], v[0:1], v[4:5], v[24:25] op_sel_hi:[0,1,1] neg_lo:[1,0,0] neg_hi:[1,0,0]
	;; [unrolled: 2-line block ×5, first 2 shown]
	v_mov_b32_e32 v250, v70
	v_mov_b32_e32 v207, v64
	;; [unrolled: 1-line block ×10, first 2 shown]
	s_waitcnt vmcnt(0)
	v_mov_b64_e32 v[112:113], v[62:63]
	v_mov_b64_e32 v[106:107], v[56:57]
	;; [unrolled: 1-line block ×16, first 2 shown]
	v_mov_b32_e32 v104, v64
	v_mov_b64_e32 v[0:1], v[82:83]
	v_mov_b64_e32 v[24:25], v[106:107]
	v_mov_b32_e32 v16, v98
	v_mov_b64_e32 v[2:3], v[84:85]
	v_mov_b64_e32 v[4:5], v[86:87]
	;; [unrolled: 1-line block ×10, first 2 shown]
	v_mov_b32_e32 v17, v99
	v_mov_b32_e32 v18, v100
	;; [unrolled: 1-line block ×6, first 2 shown]
	scratch_store_dwordx4 off, v[0:3], off offset:528 ; 16-byte Folded Spill
	s_nop 0
	scratch_store_dwordx4 off, v[4:7], off offset:544 ; 16-byte Folded Spill
	scratch_store_dwordx4 off, v[8:11], off offset:560 ; 16-byte Folded Spill
	;; [unrolled: 1-line block ×7, first 2 shown]
	v_mov_b32_e32 v105, v65
	v_mov_b64_e32 v[16:17], v[98:99]
	v_mov_b64_e32 v[18:19], v[100:101]
	v_mov_b64_e32 v[20:21], v[102:103]
	v_mov_b64_e32 v[22:23], v[104:105]
	v_mov_b32_e32 v106, v66
	v_mov_b32_e32 v107, v67
	scratch_store_dwordx4 off, v[0:3], off offset:392 ; 16-byte Folded Spill
	s_nop 0
	scratch_store_dwordx4 off, v[4:7], off offset:408 ; 16-byte Folded Spill
	scratch_store_dwordx4 off, v[8:11], off offset:424 ; 16-byte Folded Spill
	;; [unrolled: 1-line block ×7, first 2 shown]
	v_mov_b32_e32 v16, v98
	v_mov_b64_e32 v[26:27], v[108:109]
	v_mov_b32_e32 v17, v99
	v_mov_b32_e32 v18, v100
	;; [unrolled: 1-line block ×8, first 2 shown]
	v_mov_b64_e32 v[28:29], v[110:111]
	v_mov_b64_e32 v[30:31], v[112:113]
	scratch_store_dwordx4 off, v[0:3], off offset:264 ; 16-byte Folded Spill
	s_nop 0
	scratch_store_dwordx4 off, v[4:7], off offset:280 ; 16-byte Folded Spill
	scratch_store_dwordx4 off, v[8:11], off offset:296 ; 16-byte Folded Spill
	;; [unrolled: 1-line block ×7, first 2 shown]
	v_mov_b64_e32 v[16:17], v[98:99]
	v_mov_b32_e32 v27, v109
	v_mov_b64_e32 v[18:19], v[100:101]
	v_mov_b64_e32 v[20:21], v[102:103]
	;; [unrolled: 1-line block ×4, first 2 shown]
	v_mov_b32_e32 v28, v110
	v_mov_b32_e32 v29, v111
	;; [unrolled: 1-line block ×4, first 2 shown]
	scratch_store_dwordx4 off, v[0:3], off offset:128 ; 16-byte Folded Spill
	s_nop 0
	scratch_store_dwordx4 off, v[4:7], off offset:144 ; 16-byte Folded Spill
	scratch_store_dwordx4 off, v[8:11], off offset:160 ; 16-byte Folded Spill
	;; [unrolled: 1-line block ×7, first 2 shown]
	v_mov_b64_e32 v[0:1], v[82:83]
	v_mov_b64_e32 v[26:27], v[108:109]
	v_mov_b64_e32 v[14:15], v[96:97]
	v_mov_b64_e32 v[30:31], v[112:113]
	v_mov_b32_e32 v26, v68
	v_mov_b64_e32 v[2:3], v[84:85]
	v_mov_b64_e32 v[4:5], v[86:87]
	;; [unrolled: 1-line block ×13, first 2 shown]
	v_mov_b32_e32 v98, v26
	v_mov_b64_e32 v[102:103], v[30:31]
	v_mov_b64_e32 v[84:85], v[12:13]
	;; [unrolled: 1-line block ×8, first 2 shown]
	v_mov_b32_e32 v97, v25
	v_mov_b32_e32 v96, v24
	;; [unrolled: 1-line block ×10, first 2 shown]
	v_mov_b64_e32 v[100:101], v[28:29]
	scratch_store_dwordx4 off, v[72:75], off ; 16-byte Folded Spill
	s_nop 0
	scratch_store_dwordx4 off, v[76:79], off offset:16 ; 16-byte Folded Spill
	scratch_store_dwordx4 off, v[80:83], off offset:32 ; 16-byte Folded Spill
	;; [unrolled: 1-line block ×7, first 2 shown]
	v_mov_b32_e32 v27, v69
	v_mov_b64_e32 v[112:113], v[30:31]
	v_mov_b64_e32 v[142:143], v[14:15]
	v_mov_b64_e32 v[154:155], v[26:27]
	v_mov_b32_e32 v159, v31
	v_mov_b64_e32 v[110:111], v[28:29]
	v_mov_b64_e32 v[82:83], v[0:1]
	;; [unrolled: 1-line block ×14, first 2 shown]
	v_mov_b32_e32 v158, v30
	v_mov_b32_e32 v157, v29
	v_mov_b64_e32 v[108:109], v[26:27]
	v_mov_b64_e32 v[106:107], v[24:25]
	;; [unrolled: 1-line block ×13, first 2 shown]
	v_mov_b32_e32 v110, v70
	v_mov_b32_e32 v111, v71
	v_mov_b64_e32 v[0:1], v[82:83]
	v_mov_b64_e32 v[236:237], v[96:97]
	;; [unrolled: 1-line block ×31, first 2 shown]
	v_mov_b32_e32 v30, v254
	v_mov_b32_e32 v31, v255
	scratch_store_dwordx4 off, v[32:35], off offset:656 ; 16-byte Folded Spill
	s_nop 0
	scratch_store_dwordx4 off, v[36:39], off offset:672 ; 16-byte Folded Spill
	scratch_store_dwordx4 off, v[40:43], off offset:688 ; 16-byte Folded Spill
	;; [unrolled: 1-line block ×7, first 2 shown]
.LBB62_376:
	s_or_b64 exec, exec, s[0:1]
	s_nop 0
	v_lshl_add_u32 v62, v221, 2, v214
	s_barrier
	ds_write_b32 v62, v207
	s_waitcnt lgkmcnt(0)
	s_barrier
	ds_read_b32 v64, v214 offset:88
	s_cmp_lt_i32 s22, 24
	v_mov_b32_e32 v62, 22
	s_cbranch_scc1 .LBB62_379
; %bb.377:
	v_add_u32_e32 v63, 0x5c, v214
	v_mov_b32_e32 v62, 22
	s_mov_b32 s0, 23
.LBB62_378:                             ; =>This Inner Loop Header: Depth=1
	ds_read_b32 v65, v63
	v_add_u32_e32 v63, 4, v63
	s_waitcnt lgkmcnt(0)
	v_cmp_lt_f32_e64 vcc, |v64|, |v65|
	s_nop 1
	v_cndmask_b32_e32 v64, v64, v65, vcc
	v_mov_b32_e32 v65, s0
	s_add_i32 s0, s0, 1
	v_cndmask_b32_e32 v62, v62, v65, vcc
	s_cmp_lg_u32 s22, s0
	s_cbranch_scc1 .LBB62_378
.LBB62_379:
	s_waitcnt lgkmcnt(0)
	v_cmp_eq_f32_e32 vcc, 0, v64
	s_and_saveexec_b64 s[0:1], vcc
	s_xor_b64 s[0:1], exec, s[0:1]
; %bb.380:
	v_cmp_ne_u32_e32 vcc, 0, v220
	s_nop 1
	v_cndmask_b32_e32 v220, 23, v220, vcc
; %bb.381:
	s_andn2_saveexec_b64 s[0:1], s[0:1]
	s_cbranch_execz .LBB62_383
; %bb.382:
	v_div_scale_f32 v63, s[2:3], v64, v64, 1.0
	v_rcp_f32_e32 v65, v63
	v_div_scale_f32 v66, vcc, 1.0, v64, 1.0
	v_fma_f32 v67, -v63, v65, 1.0
	v_fmac_f32_e32 v65, v67, v65
	v_mul_f32_e32 v67, v66, v65
	v_fma_f32 v68, -v63, v67, v66
	v_fmac_f32_e32 v67, v68, v65
	v_fma_f32 v63, -v63, v67, v66
	v_div_fmas_f32 v63, v63, v65, v67
	v_div_fixup_f32 v64, v63, v64, 1.0
.LBB62_383:
	s_or_b64 exec, exec, s[0:1]
	v_cmp_ne_u32_e32 vcc, v221, v62
	s_and_saveexec_b64 s[0:1], vcc
	s_xor_b64 s[0:1], exec, s[0:1]
	s_cbranch_execz .LBB62_389
; %bb.384:
	v_cmp_eq_u32_e32 vcc, 22, v221
	s_and_saveexec_b64 s[2:3], vcc
	s_cbranch_execz .LBB62_388
; %bb.385:
	v_cmp_ne_u32_e32 vcc, 22, v62
	s_xor_b64 s[18:19], s[16:17], -1
	s_and_b64 s[20:21], s[18:19], vcc
	s_and_saveexec_b64 s[18:19], s[20:21]
	s_cbranch_execz .LBB62_387
; %bb.386:
	scratch_load_dwordx2 v[32:33], off, off offset:2076 ; 8-byte Folded Reload
	v_ashrrev_i32_e32 v63, 31, v62
	s_waitcnt vmcnt(0)
	v_lshl_add_u64 v[66:67], v[62:63], 2, v[32:33]
	global_load_dword v63, v[66:67], off
	global_load_dword v65, v[32:33], off offset:88
	s_waitcnt vmcnt(1)
	global_store_dword v[32:33], v63, off offset:88
	s_waitcnt vmcnt(1)
	global_store_dword v[66:67], v65, off
.LBB62_387:
	s_or_b64 exec, exec, s[18:19]
	v_mov_b32_e32 v32, v62
	v_mov_b32_e32 v221, v62
	scratch_store_dword off, v32, off offset:1304 ; 4-byte Folded Spill
.LBB62_388:
	s_or_b64 exec, exec, s[2:3]
.LBB62_389:
	s_andn2_saveexec_b64 s[0:1], s[0:1]
	s_cbranch_execz .LBB62_391
; %bb.390:
	v_mov_b32_e32 v221, 22
	ds_write2_b32 v214, v23, v24 offset0:23 offset1:24
	ds_write2_b32 v214, v25, v26 offset0:25 offset1:26
	;; [unrolled: 1-line block ×4, first 2 shown]
	ds_write_b32 v214, v255 offset:124
.LBB62_391:
	s_or_b64 exec, exec, s[0:1]
	v_cmp_lt_i32_e32 vcc, 22, v221
	s_waitcnt lgkmcnt(0)
	s_barrier
	s_and_saveexec_b64 s[0:1], vcc
	s_cbranch_execz .LBB62_393
; %bb.392:
	scratch_load_dwordx4 v[32:35], off, off offset:656 ; 16-byte Folded Reload
	scratch_load_dwordx4 v[36:39], off, off offset:672 ; 16-byte Folded Reload
	;; [unrolled: 1-line block ×8, first 2 shown]
	ds_read2_b32 v[0:1], v214 offset0:23 offset1:24
	s_waitcnt vmcnt(2)
	v_mul_f32_e32 v54, v207, v64
	v_mov_b32_e32 v2, v23
	v_mov_b32_e32 v3, v24
	ds_read2_b32 v[4:5], v214 offset0:25 offset1:26
	ds_read2_b32 v[6:7], v214 offset0:27 offset1:28
	;; [unrolled: 1-line block ×3, first 2 shown]
	s_waitcnt lgkmcnt(3)
	v_pk_fma_f32 v[204:205], v[54:55], v[0:1], v[2:3] op_sel_hi:[0,1,1] neg_lo:[1,0,0] neg_hi:[1,0,0]
	ds_read_b32 v2, v214 offset:124
	v_mov_b32_e32 v0, v25
	v_mov_b32_e32 v1, v26
	s_waitcnt lgkmcnt(3)
	v_pk_fma_f32 v[210:211], v[54:55], v[4:5], v[0:1] op_sel_hi:[0,1,1] neg_lo:[1,0,0] neg_hi:[1,0,0]
	v_mov_b32_e32 v0, v27
	v_mov_b32_e32 v1, v28
	s_waitcnt vmcnt(0)
	v_mov_b64_e32 v[112:113], v[62:63]
	s_waitcnt lgkmcnt(2)
	v_pk_fma_f32 v[208:209], v[54:55], v[6:7], v[0:1] op_sel_hi:[0,1,1] neg_lo:[1,0,0] neg_hi:[1,0,0]
	v_mov_b32_e32 v0, v29
	v_mov_b32_e32 v1, v30
	v_mov_b64_e32 v[106:107], v[56:57]
	v_mov_b64_e32 v[104:105], v[54:55]
	v_mov_b64_e32 v[98:99], v[48:49]
	v_mov_b64_e32 v[82:83], v[32:33]
	s_waitcnt lgkmcnt(1)
	v_pk_fma_f32 v[218:219], v[54:55], v[8:9], v[0:1] op_sel_hi:[0,1,1] neg_lo:[1,0,0] neg_hi:[1,0,0]
	s_waitcnt lgkmcnt(0)
	v_fma_f32 v255, -v54, v2, v255
	v_mov_b64_e32 v[110:111], v[60:61]
	v_mov_b64_e32 v[108:109], v[58:59]
	;; [unrolled: 1-line block ×11, first 2 shown]
	v_mov_b32_e32 v105, v204
	v_mov_b64_e32 v[0:1], v[82:83]
	v_mov_b64_e32 v[16:17], v[98:99]
	v_mov_b32_e32 v25, v107
	v_mov_b64_e32 v[2:3], v[84:85]
	v_mov_b64_e32 v[4:5], v[86:87]
	;; [unrolled: 1-line block ×10, first 2 shown]
	v_mov_b32_e32 v26, v108
	v_mov_b32_e32 v27, v109
	;; [unrolled: 1-line block ×6, first 2 shown]
	scratch_store_dwordx4 off, v[0:3], off offset:392 ; 16-byte Folded Spill
	s_nop 0
	scratch_store_dwordx4 off, v[4:7], off offset:408 ; 16-byte Folded Spill
	scratch_store_dwordx4 off, v[8:11], off offset:424 ; 16-byte Folded Spill
	;; [unrolled: 1-line block ×7, first 2 shown]
	v_mov_b32_e32 v106, v205
	v_mov_b32_e32 v16, v98
	;; [unrolled: 1-line block ×12, first 2 shown]
	scratch_store_dwordx4 off, v[0:3], off offset:264 ; 16-byte Folded Spill
	s_nop 0
	scratch_store_dwordx4 off, v[4:7], off offset:280 ; 16-byte Folded Spill
	scratch_store_dwordx4 off, v[8:11], off offset:296 ; 16-byte Folded Spill
	;; [unrolled: 1-line block ×7, first 2 shown]
	v_mov_b64_e32 v[16:17], v[98:99]
	v_mov_b32_e32 v27, v109
	v_mov_b64_e32 v[18:19], v[100:101]
	v_mov_b64_e32 v[20:21], v[102:103]
	;; [unrolled: 1-line block ×4, first 2 shown]
	v_mov_b32_e32 v28, v110
	v_mov_b32_e32 v29, v111
	;; [unrolled: 1-line block ×4, first 2 shown]
	scratch_store_dwordx4 off, v[0:3], off offset:128 ; 16-byte Folded Spill
	s_nop 0
	scratch_store_dwordx4 off, v[4:7], off offset:144 ; 16-byte Folded Spill
	scratch_store_dwordx4 off, v[8:11], off offset:160 ; 16-byte Folded Spill
	;; [unrolled: 1-line block ×7, first 2 shown]
	v_mov_b64_e32 v[0:1], v[82:83]
	v_mov_b64_e32 v[26:27], v[108:109]
	;; [unrolled: 1-line block ×4, first 2 shown]
	v_mov_b32_e32 v26, v211
	v_mov_b64_e32 v[2:3], v[84:85]
	v_mov_b64_e32 v[4:5], v[86:87]
	;; [unrolled: 1-line block ×13, first 2 shown]
	v_mov_b32_e32 v90, v26
	v_mov_b64_e32 v[94:95], v[30:31]
	v_mov_b64_e32 v[76:77], v[12:13]
	v_mov_b64_e32 v[74:75], v[10:11]
	v_mov_b64_e32 v[72:73], v[8:9]
	v_mov_b64_e32 v[70:71], v[6:7]
	v_mov_b64_e32 v[68:69], v[4:5]
	v_mov_b64_e32 v[66:67], v[2:3]
	v_mov_b64_e32 v[64:65], v[0:1]
	v_mov_b32_e32 v89, v25
	v_mov_b32_e32 v88, v24
	;; [unrolled: 1-line block ×10, first 2 shown]
	v_mov_b64_e32 v[92:93], v[28:29]
	scratch_store_dwordx4 off, v[64:67], off ; 16-byte Folded Spill
	s_nop 0
	scratch_store_dwordx4 off, v[68:71], off offset:16 ; 16-byte Folded Spill
	scratch_store_dwordx4 off, v[72:75], off offset:32 ; 16-byte Folded Spill
	;; [unrolled: 1-line block ×7, first 2 shown]
	v_mov_b32_e32 v27, v208
	v_mov_b64_e32 v[112:113], v[30:31]
	v_mov_b64_e32 v[142:143], v[14:15]
	v_mov_b64_e32 v[154:155], v[26:27]
	v_mov_b32_e32 v159, v31
	v_mov_b64_e32 v[110:111], v[28:29]
	v_mov_b64_e32 v[82:83], v[0:1]
	;; [unrolled: 1-line block ×14, first 2 shown]
	v_mov_b32_e32 v158, v30
	v_mov_b32_e32 v157, v29
	v_mov_b64_e32 v[108:109], v[26:27]
	v_mov_b64_e32 v[106:107], v[24:25]
	;; [unrolled: 1-line block ×13, first 2 shown]
	v_mov_b32_e32 v110, v209
	v_mov_b32_e32 v111, v218
	v_mov_b64_e32 v[0:1], v[82:83]
	v_mov_b64_e32 v[236:237], v[96:97]
	;; [unrolled: 1-line block ×31, first 2 shown]
	v_mov_b32_e32 v30, v219
	v_mov_b32_e32 v31, v255
	scratch_store_dwordx4 off, v[32:35], off offset:528 ; 16-byte Folded Spill
	s_nop 0
	scratch_store_dwordx4 off, v[36:39], off offset:544 ; 16-byte Folded Spill
	scratch_store_dwordx4 off, v[40:43], off offset:560 ; 16-byte Folded Spill
	;; [unrolled: 1-line block ×7, first 2 shown]
.LBB62_393:
	s_or_b64 exec, exec, s[0:1]
	s_nop 0
	v_lshl_add_u32 v62, v221, 2, v214
	s_barrier
	ds_write_b32 v62, v204
	s_waitcnt lgkmcnt(0)
	s_barrier
	ds_read_b32 v64, v214 offset:92
	s_cmp_lt_i32 s22, 25
	v_mov_b32_e32 v62, 23
	s_cbranch_scc1 .LBB62_396
; %bb.394:
	v_add_u32_e32 v63, 0x60, v214
	v_mov_b32_e32 v62, 23
	s_mov_b32 s0, 24
.LBB62_395:                             ; =>This Inner Loop Header: Depth=1
	ds_read_b32 v65, v63
	v_add_u32_e32 v63, 4, v63
	s_waitcnt lgkmcnt(0)
	v_cmp_lt_f32_e64 vcc, |v64|, |v65|
	s_nop 1
	v_cndmask_b32_e32 v64, v64, v65, vcc
	v_mov_b32_e32 v65, s0
	s_add_i32 s0, s0, 1
	v_cndmask_b32_e32 v62, v62, v65, vcc
	s_cmp_lg_u32 s22, s0
	s_cbranch_scc1 .LBB62_395
.LBB62_396:
	s_waitcnt lgkmcnt(0)
	v_cmp_eq_f32_e32 vcc, 0, v64
	s_and_saveexec_b64 s[0:1], vcc
	s_xor_b64 s[0:1], exec, s[0:1]
; %bb.397:
	v_cmp_ne_u32_e32 vcc, 0, v220
	s_nop 1
	v_cndmask_b32_e32 v220, 24, v220, vcc
; %bb.398:
	s_andn2_saveexec_b64 s[0:1], s[0:1]
	s_cbranch_execz .LBB62_400
; %bb.399:
	v_div_scale_f32 v63, s[2:3], v64, v64, 1.0
	v_rcp_f32_e32 v65, v63
	v_div_scale_f32 v66, vcc, 1.0, v64, 1.0
	v_fma_f32 v67, -v63, v65, 1.0
	v_fmac_f32_e32 v65, v67, v65
	v_mul_f32_e32 v67, v66, v65
	v_fma_f32 v68, -v63, v67, v66
	v_fmac_f32_e32 v67, v68, v65
	v_fma_f32 v63, -v63, v67, v66
	v_div_fmas_f32 v63, v63, v65, v67
	v_div_fixup_f32 v64, v63, v64, 1.0
.LBB62_400:
	s_or_b64 exec, exec, s[0:1]
	v_cmp_ne_u32_e32 vcc, v221, v62
	s_and_saveexec_b64 s[0:1], vcc
	s_xor_b64 s[0:1], exec, s[0:1]
	s_cbranch_execz .LBB62_406
; %bb.401:
	v_cmp_eq_u32_e32 vcc, 23, v221
	s_and_saveexec_b64 s[2:3], vcc
	s_cbranch_execz .LBB62_405
; %bb.402:
	v_cmp_ne_u32_e32 vcc, 23, v62
	s_xor_b64 s[18:19], s[16:17], -1
	s_and_b64 s[20:21], s[18:19], vcc
	s_and_saveexec_b64 s[18:19], s[20:21]
	s_cbranch_execz .LBB62_404
; %bb.403:
	scratch_load_dwordx2 v[32:33], off, off offset:2076 ; 8-byte Folded Reload
	v_ashrrev_i32_e32 v63, 31, v62
	s_waitcnt vmcnt(0)
	v_lshl_add_u64 v[66:67], v[62:63], 2, v[32:33]
	global_load_dword v63, v[66:67], off
	global_load_dword v65, v[32:33], off offset:92
	s_waitcnt vmcnt(1)
	global_store_dword v[32:33], v63, off offset:92
	s_waitcnt vmcnt(1)
	global_store_dword v[66:67], v65, off
.LBB62_404:
	s_or_b64 exec, exec, s[18:19]
	v_mov_b32_e32 v32, v62
	v_mov_b32_e32 v221, v62
	scratch_store_dword off, v32, off offset:1304 ; 4-byte Folded Spill
.LBB62_405:
	s_or_b64 exec, exec, s[2:3]
.LBB62_406:
	s_andn2_saveexec_b64 s[0:1], s[0:1]
	s_cbranch_execz .LBB62_408
; %bb.407:
	v_mov_b32_e32 v221, 23
	ds_write2_b32 v214, v24, v25 offset0:24 offset1:25
	ds_write2_b32 v214, v26, v27 offset0:26 offset1:27
	;; [unrolled: 1-line block ×4, first 2 shown]
.LBB62_408:
	s_or_b64 exec, exec, s[0:1]
	v_cmp_lt_i32_e32 vcc, 23, v221
	s_waitcnt lgkmcnt(0)
	s_barrier
	s_and_saveexec_b64 s[0:1], vcc
	s_cbranch_execz .LBB62_410
; %bb.409:
	ds_read2_b32 v[0:1], v214 offset0:24 offset1:25
	ds_read2_b32 v[2:3], v214 offset0:26 offset1:27
	;; [unrolled: 1-line block ×4, first 2 shown]
	scratch_load_dwordx4 v[32:35], off, off offset:528 ; 16-byte Folded Reload
	scratch_load_dwordx4 v[36:39], off, off offset:544 ; 16-byte Folded Reload
	scratch_load_dwordx4 v[40:43], off, off offset:560 ; 16-byte Folded Reload
	scratch_load_dwordx4 v[44:47], off, off offset:576 ; 16-byte Folded Reload
	scratch_load_dwordx4 v[48:51], off, off offset:592 ; 16-byte Folded Reload
	scratch_load_dwordx4 v[52:55], off, off offset:608 ; 16-byte Folded Reload
	scratch_load_dwordx4 v[56:59], off, off offset:624 ; 16-byte Folded Reload
	scratch_load_dwordx4 v[60:63], off, off offset:640 ; 16-byte Folded Reload
	v_mul_f32_e32 v8, v204, v64
	s_waitcnt vmcnt(2)
	v_mov_b32_e32 v55, v8
	s_waitcnt lgkmcnt(3)
	v_pk_fma_f32 v[64:65], v[8:9], v[0:1], v[24:25] op_sel_hi:[0,1,1] neg_lo:[1,0,0] neg_hi:[1,0,0]
	s_waitcnt lgkmcnt(2)
	v_pk_fma_f32 v[66:67], v[8:9], v[2:3], v[26:27] op_sel_hi:[0,1,1] neg_lo:[1,0,0] neg_hi:[1,0,0]
	;; [unrolled: 2-line block ×4, first 2 shown]
	v_mov_b32_e32 v250, v68
	v_mov_b32_e32 v205, v64
	;; [unrolled: 1-line block ×8, first 2 shown]
	s_waitcnt vmcnt(0)
	v_mov_b64_e32 v[112:113], v[62:63]
	v_mov_b64_e32 v[108:109], v[58:59]
	;; [unrolled: 1-line block ×16, first 2 shown]
	v_mov_b32_e32 v106, v64
	v_mov_b64_e32 v[0:1], v[82:83]
	v_mov_b32_e32 v16, v98
	v_mov_b64_e32 v[26:27], v[108:109]
	v_mov_b64_e32 v[2:3], v[84:85]
	;; [unrolled: 1-line block ×8, first 2 shown]
	v_mov_b32_e32 v17, v99
	v_mov_b32_e32 v18, v100
	;; [unrolled: 1-line block ×8, first 2 shown]
	v_mov_b64_e32 v[28:29], v[110:111]
	v_mov_b64_e32 v[30:31], v[112:113]
	scratch_store_dwordx4 off, v[0:3], off offset:264 ; 16-byte Folded Spill
	s_nop 0
	scratch_store_dwordx4 off, v[4:7], off offset:280 ; 16-byte Folded Spill
	scratch_store_dwordx4 off, v[8:11], off offset:296 ; 16-byte Folded Spill
	;; [unrolled: 1-line block ×7, first 2 shown]
	v_mov_b32_e32 v107, v65
	v_mov_b64_e32 v[16:17], v[98:99]
	v_mov_b64_e32 v[18:19], v[100:101]
	;; [unrolled: 1-line block ×5, first 2 shown]
	scratch_store_dwordx4 off, v[0:3], off offset:128 ; 16-byte Folded Spill
	s_nop 0
	scratch_store_dwordx4 off, v[4:7], off offset:144 ; 16-byte Folded Spill
	scratch_store_dwordx4 off, v[8:11], off offset:160 ; 16-byte Folded Spill
	;; [unrolled: 1-line block ×7, first 2 shown]
	v_mov_b64_e32 v[0:1], v[82:83]
	v_mov_b64_e32 v[26:27], v[108:109]
	;; [unrolled: 1-line block ×4, first 2 shown]
	v_mov_b32_e32 v26, v66
	v_mov_b64_e32 v[2:3], v[84:85]
	v_mov_b64_e32 v[4:5], v[86:87]
	;; [unrolled: 1-line block ×13, first 2 shown]
	v_mov_b32_e32 v96, v26
	v_mov_b64_e32 v[100:101], v[30:31]
	v_mov_b64_e32 v[82:83], v[12:13]
	;; [unrolled: 1-line block ×8, first 2 shown]
	v_mov_b32_e32 v95, v25
	v_mov_b32_e32 v94, v24
	;; [unrolled: 1-line block ×10, first 2 shown]
	v_mov_b64_e32 v[98:99], v[28:29]
	scratch_store_dwordx4 off, v[70:73], off ; 16-byte Folded Spill
	s_nop 0
	scratch_store_dwordx4 off, v[74:77], off offset:16 ; 16-byte Folded Spill
	scratch_store_dwordx4 off, v[78:81], off offset:32 ; 16-byte Folded Spill
	;; [unrolled: 1-line block ×7, first 2 shown]
	v_mov_b32_e32 v27, v67
	v_mov_b64_e32 v[112:113], v[30:31]
	v_mov_b64_e32 v[142:143], v[14:15]
	;; [unrolled: 1-line block ×3, first 2 shown]
	v_mov_b32_e32 v159, v31
	v_mov_b64_e32 v[110:111], v[28:29]
	v_mov_b64_e32 v[82:83], v[0:1]
	;; [unrolled: 1-line block ×14, first 2 shown]
	v_mov_b32_e32 v158, v30
	v_mov_b32_e32 v157, v29
	v_mov_b64_e32 v[108:109], v[26:27]
	v_mov_b64_e32 v[106:107], v[24:25]
	;; [unrolled: 1-line block ×13, first 2 shown]
	v_mov_b32_e32 v110, v68
	v_mov_b32_e32 v111, v69
	v_mov_b64_e32 v[0:1], v[82:83]
	v_mov_b64_e32 v[236:237], v[96:97]
	v_mov_b64_e32 v[248:249], v[108:109]
	v_mov_b64_e32 v[30:31], v[112:113]
	v_mov_b64_e32 v[234:235], v[94:95]
	v_mov_b64_e32 v[232:233], v[92:93]
	v_mov_b64_e32 v[230:231], v[90:91]
	v_mov_b64_e32 v[228:229], v[88:89]
	v_mov_b64_e32 v[226:227], v[86:87]
	v_mov_b64_e32 v[224:225], v[84:85]
	v_mov_b64_e32 v[222:223], v[82:83]
	v_mov_b64_e32 v[246:247], v[106:107]
	v_mov_b64_e32 v[244:245], v[104:105]
	v_mov_b64_e32 v[242:243], v[102:103]
	v_mov_b64_e32 v[240:241], v[100:101]
	v_mov_b64_e32 v[238:239], v[98:99]
	v_mov_b64_e32 v[252:253], v[112:113]
	v_mov_b64_e32 v[2:3], v[84:85]
	v_mov_b64_e32 v[4:5], v[86:87]
	v_mov_b64_e32 v[6:7], v[88:89]
	v_mov_b64_e32 v[8:9], v[90:91]
	v_mov_b64_e32 v[10:11], v[92:93]
	v_mov_b64_e32 v[12:13], v[94:95]
	v_mov_b64_e32 v[14:15], v[96:97]
	v_mov_b64_e32 v[16:17], v[98:99]
	v_mov_b64_e32 v[18:19], v[100:101]
	v_mov_b64_e32 v[20:21], v[102:103]
	v_mov_b64_e32 v[22:23], v[104:105]
	v_mov_b64_e32 v[24:25], v[106:107]
	v_mov_b64_e32 v[26:27], v[108:109]
	v_mov_b64_e32 v[28:29], v[110:111]
	v_mov_b32_e32 v30, v254
	v_mov_b32_e32 v31, v255
	scratch_store_dwordx4 off, v[32:35], off offset:392 ; 16-byte Folded Spill
	s_nop 0
	scratch_store_dwordx4 off, v[36:39], off offset:408 ; 16-byte Folded Spill
	scratch_store_dwordx4 off, v[40:43], off offset:424 ; 16-byte Folded Spill
	;; [unrolled: 1-line block ×7, first 2 shown]
.LBB62_410:
	s_or_b64 exec, exec, s[0:1]
	s_nop 0
	v_lshl_add_u32 v62, v221, 2, v214
	s_barrier
	ds_write_b32 v62, v205
	s_waitcnt lgkmcnt(0)
	s_barrier
	ds_read_b32 v64, v214 offset:96
	s_cmp_lt_i32 s22, 26
	v_mov_b32_e32 v62, 24
	s_cbranch_scc1 .LBB62_413
; %bb.411:
	v_add_u32_e32 v63, 0x64, v214
	v_mov_b32_e32 v62, 24
	s_mov_b32 s0, 25
.LBB62_412:                             ; =>This Inner Loop Header: Depth=1
	ds_read_b32 v65, v63
	v_add_u32_e32 v63, 4, v63
	s_waitcnt lgkmcnt(0)
	v_cmp_lt_f32_e64 vcc, |v64|, |v65|
	s_nop 1
	v_cndmask_b32_e32 v64, v64, v65, vcc
	v_mov_b32_e32 v65, s0
	s_add_i32 s0, s0, 1
	v_cndmask_b32_e32 v62, v62, v65, vcc
	s_cmp_lg_u32 s22, s0
	s_cbranch_scc1 .LBB62_412
.LBB62_413:
	s_waitcnt lgkmcnt(0)
	v_cmp_eq_f32_e32 vcc, 0, v64
	s_and_saveexec_b64 s[0:1], vcc
	s_xor_b64 s[0:1], exec, s[0:1]
; %bb.414:
	v_cmp_ne_u32_e32 vcc, 0, v220
	s_nop 1
	v_cndmask_b32_e32 v220, 25, v220, vcc
; %bb.415:
	s_andn2_saveexec_b64 s[0:1], s[0:1]
	s_cbranch_execz .LBB62_417
; %bb.416:
	v_div_scale_f32 v63, s[2:3], v64, v64, 1.0
	v_rcp_f32_e32 v65, v63
	v_div_scale_f32 v66, vcc, 1.0, v64, 1.0
	v_fma_f32 v67, -v63, v65, 1.0
	v_fmac_f32_e32 v65, v67, v65
	v_mul_f32_e32 v67, v66, v65
	v_fma_f32 v68, -v63, v67, v66
	v_fmac_f32_e32 v67, v68, v65
	v_fma_f32 v63, -v63, v67, v66
	v_div_fmas_f32 v63, v63, v65, v67
	v_div_fixup_f32 v64, v63, v64, 1.0
.LBB62_417:
	s_or_b64 exec, exec, s[0:1]
	v_cmp_ne_u32_e32 vcc, v221, v62
	s_and_saveexec_b64 s[0:1], vcc
	s_xor_b64 s[0:1], exec, s[0:1]
	s_cbranch_execz .LBB62_423
; %bb.418:
	v_cmp_eq_u32_e32 vcc, 24, v221
	s_and_saveexec_b64 s[2:3], vcc
	s_cbranch_execz .LBB62_422
; %bb.419:
	v_cmp_ne_u32_e32 vcc, 24, v62
	s_xor_b64 s[18:19], s[16:17], -1
	s_and_b64 s[20:21], s[18:19], vcc
	s_and_saveexec_b64 s[18:19], s[20:21]
	s_cbranch_execz .LBB62_421
; %bb.420:
	scratch_load_dwordx2 v[32:33], off, off offset:2076 ; 8-byte Folded Reload
	v_ashrrev_i32_e32 v63, 31, v62
	s_waitcnt vmcnt(0)
	v_lshl_add_u64 v[66:67], v[62:63], 2, v[32:33]
	global_load_dword v63, v[66:67], off
	global_load_dword v65, v[32:33], off offset:96
	s_waitcnt vmcnt(1)
	global_store_dword v[32:33], v63, off offset:96
	s_waitcnt vmcnt(1)
	global_store_dword v[66:67], v65, off
.LBB62_421:
	s_or_b64 exec, exec, s[18:19]
	v_mov_b32_e32 v32, v62
	v_mov_b32_e32 v221, v62
	scratch_store_dword off, v32, off offset:1304 ; 4-byte Folded Spill
.LBB62_422:
	s_or_b64 exec, exec, s[2:3]
.LBB62_423:
	s_andn2_saveexec_b64 s[0:1], s[0:1]
	s_cbranch_execz .LBB62_425
; %bb.424:
	v_mov_b32_e32 v221, 24
	ds_write2_b32 v214, v25, v26 offset0:25 offset1:26
	ds_write2_b32 v214, v27, v28 offset0:27 offset1:28
	;; [unrolled: 1-line block ×3, first 2 shown]
	ds_write_b32 v214, v255 offset:124
.LBB62_425:
	s_or_b64 exec, exec, s[0:1]
	v_cmp_lt_i32_e32 vcc, 24, v221
	s_waitcnt lgkmcnt(0)
	s_barrier
	s_and_saveexec_b64 s[0:1], vcc
	s_cbranch_execz .LBB62_427
; %bb.426:
	scratch_load_dwordx4 v[82:85], off, off offset:392 ; 16-byte Folded Reload
	scratch_load_dwordx4 v[86:89], off, off offset:408 ; 16-byte Folded Reload
	;; [unrolled: 1-line block ×8, first 2 shown]
	ds_read2_b32 v[0:1], v214 offset0:25 offset1:26
	ds_read2_b32 v[4:5], v214 offset0:27 offset1:28
	;; [unrolled: 1-line block ×3, first 2 shown]
	ds_read_b32 v8, v214 offset:124
	s_waitcnt vmcnt(1)
	v_mul_f32_e32 v106, v205, v64
	v_mov_b32_e32 v2, v25
	v_mov_b32_e32 v3, v26
	s_waitcnt lgkmcnt(0)
	v_fma_f32 v255, -v106, v8, v255
	v_pk_fma_f32 v[210:211], v[106:107], v[0:1], v[2:3] op_sel_hi:[0,1,1] neg_lo:[1,0,0] neg_hi:[1,0,0]
	v_mov_b32_e32 v0, v27
	v_mov_b32_e32 v1, v28
	v_pk_fma_f32 v[208:209], v[106:107], v[4:5], v[0:1] op_sel_hi:[0,1,1] neg_lo:[1,0,0] neg_hi:[1,0,0]
	v_mov_b32_e32 v0, v29
	v_mov_b32_e32 v1, v30
	v_pk_fma_f32 v[218:219], v[106:107], v[6:7], v[0:1] op_sel_hi:[0,1,1] neg_lo:[1,0,0] neg_hi:[1,0,0]
	s_waitcnt vmcnt(0)
	v_mov_b64_e32 v[0:1], v[82:83]
	v_mov_b64_e32 v[24:25], v[106:107]
	;; [unrolled: 1-line block ×4, first 2 shown]
	v_mov_b32_e32 v25, v210
	v_mov_b64_e32 v[2:3], v[84:85]
	v_mov_b64_e32 v[4:5], v[86:87]
	;; [unrolled: 1-line block ×14, first 2 shown]
	v_mov_b32_e32 v63, v31
	v_mov_b64_e32 v[44:45], v[12:13]
	v_mov_b64_e32 v[42:43], v[10:11]
	;; [unrolled: 1-line block ×11, first 2 shown]
	v_mov_b32_e32 v62, v30
	v_mov_b32_e32 v61, v29
	;; [unrolled: 1-line block ×4, first 2 shown]
	scratch_store_dwordx4 off, v[32:35], off offset:128 ; 16-byte Folded Spill
	s_nop 0
	scratch_store_dwordx4 off, v[36:39], off offset:144 ; 16-byte Folded Spill
	scratch_store_dwordx4 off, v[40:43], off offset:160 ; 16-byte Folded Spill
	;; [unrolled: 1-line block ×7, first 2 shown]
	v_mov_b32_e32 v26, v211
	v_mov_b32_e32 v58, v26
	;; [unrolled: 1-line block ×13, first 2 shown]
	v_mov_b64_e32 v[142:143], v[14:15]
	v_mov_b64_e32 v[154:155], v[26:27]
	v_mov_b32_e32 v159, v31
	v_mov_b64_e32 v[140:141], v[12:13]
	v_mov_b64_e32 v[138:139], v[10:11]
	;; [unrolled: 1-line block ×12, first 2 shown]
	v_mov_b32_e32 v158, v30
	v_mov_b32_e32 v157, v29
	;; [unrolled: 1-line block ×3, first 2 shown]
	scratch_store_dwordx4 off, v[32:35], off ; 16-byte Folded Spill
	s_nop 0
	scratch_store_dwordx4 off, v[36:39], off offset:16 ; 16-byte Folded Spill
	scratch_store_dwordx4 off, v[40:43], off offset:32 ; 16-byte Folded Spill
	;; [unrolled: 1-line block ×7, first 2 shown]
	s_nop 1
	v_mov_b64_e32 v[62:63], v[30:31]
	v_mov_b64_e32 v[60:61], v[28:29]
	;; [unrolled: 1-line block ×16, first 2 shown]
	v_mov_b32_e32 v60, v209
	v_mov_b32_e32 v61, v218
	v_mov_b64_e32 v[0:1], v[32:33]
	scratch_store_dwordx4 off, v[82:85], off offset:264 ; 16-byte Folded Spill
	s_nop 0
	scratch_store_dwordx4 off, v[86:89], off offset:280 ; 16-byte Folded Spill
	scratch_store_dwordx4 off, v[90:93], off offset:296 ; 16-byte Folded Spill
	;; [unrolled: 1-line block ×7, first 2 shown]
	v_mov_b64_e32 v[236:237], v[46:47]
	v_mov_b64_e32 v[248:249], v[58:59]
	;; [unrolled: 1-line block ×32, first 2 shown]
	v_mov_b32_e32 v30, v219
	v_mov_b32_e32 v31, v255
	v_mov_b64_e32 v[94:95], v[44:45]
	v_mov_b64_e32 v[92:93], v[42:43]
	;; [unrolled: 1-line block ×13, first 2 shown]
.LBB62_427:
	s_or_b64 exec, exec, s[0:1]
	v_lshl_add_u32 v62, v221, 2, v214
	s_barrier
	ds_write_b32 v62, v210
	s_waitcnt lgkmcnt(0)
	s_barrier
	ds_read_b32 v64, v214 offset:100
	s_cmp_lt_i32 s22, 27
	v_mov_b32_e32 v62, 25
	s_cbranch_scc1 .LBB62_430
; %bb.428:
	v_add_u32_e32 v63, 0x68, v214
	v_mov_b32_e32 v62, 25
	s_mov_b32 s0, 26
.LBB62_429:                             ; =>This Inner Loop Header: Depth=1
	ds_read_b32 v65, v63
	v_mov_b32_e32 v66, s0
	s_add_i32 s0, s0, 1
	v_add_u32_e32 v63, 4, v63
	s_cmp_lg_u32 s22, s0
	s_waitcnt lgkmcnt(0)
	v_cmp_lt_f32_e64 vcc, |v64|, |v65|
	s_nop 1
	v_cndmask_b32_e32 v64, v64, v65, vcc
	v_cndmask_b32_e32 v62, v62, v66, vcc
	s_cbranch_scc1 .LBB62_429
.LBB62_430:
	s_waitcnt lgkmcnt(0)
	v_cmp_eq_f32_e32 vcc, 0, v64
	s_and_saveexec_b64 s[0:1], vcc
	s_xor_b64 s[0:1], exec, s[0:1]
; %bb.431:
	v_cmp_ne_u32_e32 vcc, 0, v220
	s_nop 1
	v_cndmask_b32_e32 v220, 26, v220, vcc
; %bb.432:
	s_andn2_saveexec_b64 s[0:1], s[0:1]
	s_cbranch_execz .LBB62_434
; %bb.433:
	v_div_scale_f32 v63, s[2:3], v64, v64, 1.0
	v_rcp_f32_e32 v65, v63
	v_div_scale_f32 v66, vcc, 1.0, v64, 1.0
	v_fma_f32 v67, -v63, v65, 1.0
	v_fmac_f32_e32 v65, v67, v65
	v_mul_f32_e32 v67, v66, v65
	v_fma_f32 v68, -v63, v67, v66
	v_fmac_f32_e32 v67, v68, v65
	v_fma_f32 v63, -v63, v67, v66
	v_div_fmas_f32 v63, v63, v65, v67
	v_div_fixup_f32 v64, v63, v64, 1.0
.LBB62_434:
	s_or_b64 exec, exec, s[0:1]
	v_cmp_ne_u32_e32 vcc, v221, v62
	s_and_saveexec_b64 s[0:1], vcc
	s_xor_b64 s[0:1], exec, s[0:1]
	s_cbranch_execz .LBB62_440
; %bb.435:
	v_cmp_eq_u32_e32 vcc, 25, v221
	s_and_saveexec_b64 s[2:3], vcc
	s_cbranch_execz .LBB62_439
; %bb.436:
	v_cmp_ne_u32_e32 vcc, 25, v62
	s_xor_b64 s[18:19], s[16:17], -1
	s_and_b64 s[20:21], s[18:19], vcc
	s_and_saveexec_b64 s[18:19], s[20:21]
	s_cbranch_execz .LBB62_438
; %bb.437:
	scratch_load_dwordx2 v[32:33], off, off offset:2076 ; 8-byte Folded Reload
	v_ashrrev_i32_e32 v63, 31, v62
	s_waitcnt vmcnt(0)
	v_lshl_add_u64 v[66:67], v[62:63], 2, v[32:33]
	global_load_dword v63, v[66:67], off
	global_load_dword v65, v[32:33], off offset:100
	s_waitcnt vmcnt(1)
	global_store_dword v[32:33], v63, off offset:100
	s_waitcnt vmcnt(1)
	global_store_dword v[66:67], v65, off
.LBB62_438:
	s_or_b64 exec, exec, s[18:19]
	v_mov_b32_e32 v32, v62
	v_mov_b32_e32 v221, v62
	scratch_store_dword off, v32, off offset:1304 ; 4-byte Folded Spill
.LBB62_439:
	s_or_b64 exec, exec, s[2:3]
.LBB62_440:
	s_andn2_saveexec_b64 s[0:1], s[0:1]
	s_cbranch_execz .LBB62_442
; %bb.441:
	v_mov_b32_e32 v221, 25
	ds_write2_b32 v214, v26, v27 offset0:26 offset1:27
	ds_write2_b32 v214, v28, v29 offset0:28 offset1:29
	;; [unrolled: 1-line block ×3, first 2 shown]
.LBB62_442:
	s_or_b64 exec, exec, s[0:1]
	v_cmp_lt_i32_e32 vcc, 25, v221
	s_waitcnt lgkmcnt(0)
	s_barrier
	s_and_saveexec_b64 s[0:1], vcc
	s_cbranch_execz .LBB62_444
; %bb.443:
	ds_read2_b32 v[0:1], v214 offset0:26 offset1:27
	ds_read2_b32 v[2:3], v214 offset0:28 offset1:29
	;; [unrolled: 1-line block ×3, first 2 shown]
	scratch_load_dwordx4 v[82:85], off, off offset:264 ; 16-byte Folded Reload
	scratch_load_dwordx4 v[86:89], off, off offset:280 ; 16-byte Folded Reload
	;; [unrolled: 1-line block ×8, first 2 shown]
	v_mul_f32_e32 v6, v210, v64
	s_waitcnt lgkmcnt(2)
	v_pk_fma_f32 v[64:65], v[6:7], v[0:1], v[26:27] op_sel_hi:[0,1,1] neg_lo:[1,0,0] neg_hi:[1,0,0]
	s_waitcnt lgkmcnt(1)
	v_pk_fma_f32 v[66:67], v[6:7], v[2:3], v[28:29] op_sel_hi:[0,1,1] neg_lo:[1,0,0] neg_hi:[1,0,0]
	;; [unrolled: 2-line block ×3, first 2 shown]
	s_waitcnt vmcnt(1)
	v_mov_b32_e32 v107, v6
	v_mov_b32_e32 v250, v66
	;; [unrolled: 1-line block ×7, first 2 shown]
	s_waitcnt vmcnt(0)
	v_mov_b64_e32 v[0:1], v[82:83]
	v_mov_b64_e32 v[26:27], v[108:109]
	;; [unrolled: 1-line block ×4, first 2 shown]
	v_mov_b32_e32 v26, v64
	v_mov_b64_e32 v[2:3], v[84:85]
	v_mov_b64_e32 v[4:5], v[86:87]
	;; [unrolled: 1-line block ×13, first 2 shown]
	v_mov_b32_e32 v58, v26
	v_mov_b64_e32 v[62:63], v[30:31]
	v_mov_b64_e32 v[44:45], v[12:13]
	;; [unrolled: 1-line block ×8, first 2 shown]
	v_mov_b32_e32 v57, v25
	v_mov_b32_e32 v56, v24
	;; [unrolled: 1-line block ×10, first 2 shown]
	v_mov_b64_e32 v[60:61], v[28:29]
	scratch_store_dwordx4 off, v[32:35], off ; 16-byte Folded Spill
	s_nop 0
	scratch_store_dwordx4 off, v[36:39], off offset:16 ; 16-byte Folded Spill
	scratch_store_dwordx4 off, v[40:43], off offset:32 ; 16-byte Folded Spill
	;; [unrolled: 1-line block ×7, first 2 shown]
	v_mov_b32_e32 v27, v65
	v_mov_b64_e32 v[142:143], v[14:15]
	v_mov_b64_e32 v[62:63], v[30:31]
	;; [unrolled: 1-line block ×3, first 2 shown]
	v_mov_b32_e32 v159, v31
	v_mov_b64_e32 v[60:61], v[28:29]
	v_mov_b64_e32 v[32:33], v[0:1]
	v_mov_b64_e32 v[140:141], v[12:13]
	v_mov_b64_e32 v[138:139], v[10:11]
	v_mov_b64_e32 v[136:137], v[8:9]
	v_mov_b64_e32 v[134:135], v[6:7]
	v_mov_b64_e32 v[132:133], v[4:5]
	v_mov_b64_e32 v[130:131], v[2:3]
	v_mov_b64_e32 v[128:129], v[0:1]
	v_mov_b64_e32 v[152:153], v[24:25]
	v_mov_b64_e32 v[150:151], v[22:23]
	v_mov_b64_e32 v[148:149], v[20:21]
	v_mov_b64_e32 v[146:147], v[18:19]
	v_mov_b64_e32 v[144:145], v[16:17]
	v_mov_b32_e32 v158, v30
	v_mov_b32_e32 v157, v29
	v_mov_b64_e32 v[58:59], v[26:27]
	v_mov_b64_e32 v[56:57], v[24:25]
	v_mov_b64_e32 v[54:55], v[22:23]
	v_mov_b64_e32 v[52:53], v[20:21]
	v_mov_b64_e32 v[50:51], v[18:19]
	v_mov_b64_e32 v[48:49], v[16:17]
	v_mov_b64_e32 v[46:47], v[14:15]
	v_mov_b64_e32 v[44:45], v[12:13]
	v_mov_b64_e32 v[42:43], v[10:11]
	v_mov_b64_e32 v[40:41], v[8:9]
	v_mov_b64_e32 v[38:39], v[6:7]
	v_mov_b64_e32 v[36:37], v[4:5]
	v_mov_b64_e32 v[34:35], v[2:3]
	v_mov_b32_e32 v60, v66
	v_mov_b32_e32 v61, v67
	v_mov_b64_e32 v[0:1], v[32:33]
	scratch_store_dwordx4 off, v[82:85], off offset:128 ; 16-byte Folded Spill
	s_nop 0
	scratch_store_dwordx4 off, v[86:89], off offset:144 ; 16-byte Folded Spill
	scratch_store_dwordx4 off, v[90:93], off offset:160 ; 16-byte Folded Spill
	;; [unrolled: 1-line block ×7, first 2 shown]
	v_mov_b64_e32 v[236:237], v[46:47]
	v_mov_b64_e32 v[248:249], v[58:59]
	;; [unrolled: 1-line block ×32, first 2 shown]
	v_mov_b32_e32 v30, v254
	v_mov_b32_e32 v31, v255
	v_mov_b64_e32 v[94:95], v[44:45]
	v_mov_b64_e32 v[92:93], v[42:43]
	;; [unrolled: 1-line block ×13, first 2 shown]
.LBB62_444:
	s_or_b64 exec, exec, s[0:1]
	v_lshl_add_u32 v62, v221, 2, v214
	s_barrier
	ds_write_b32 v62, v211
	s_waitcnt lgkmcnt(0)
	s_barrier
	ds_read_b32 v64, v214 offset:104
	s_cmp_lt_i32 s22, 28
	v_mov_b32_e32 v62, 26
	s_cbranch_scc1 .LBB62_447
; %bb.445:
	v_add_u32_e32 v63, 0x6c, v214
	v_mov_b32_e32 v62, 26
	s_mov_b32 s0, 27
.LBB62_446:                             ; =>This Inner Loop Header: Depth=1
	ds_read_b32 v65, v63
	v_mov_b32_e32 v66, s0
	s_add_i32 s0, s0, 1
	v_add_u32_e32 v63, 4, v63
	s_cmp_lg_u32 s22, s0
	s_waitcnt lgkmcnt(0)
	v_cmp_lt_f32_e64 vcc, |v64|, |v65|
	s_nop 1
	v_cndmask_b32_e32 v64, v64, v65, vcc
	v_cndmask_b32_e32 v62, v62, v66, vcc
	s_cbranch_scc1 .LBB62_446
.LBB62_447:
	s_waitcnt lgkmcnt(0)
	v_cmp_eq_f32_e32 vcc, 0, v64
	s_and_saveexec_b64 s[0:1], vcc
	s_xor_b64 s[0:1], exec, s[0:1]
; %bb.448:
	v_cmp_ne_u32_e32 vcc, 0, v220
	s_nop 1
	v_cndmask_b32_e32 v220, 27, v220, vcc
; %bb.449:
	s_andn2_saveexec_b64 s[0:1], s[0:1]
	s_cbranch_execz .LBB62_451
; %bb.450:
	v_div_scale_f32 v63, s[2:3], v64, v64, 1.0
	v_rcp_f32_e32 v65, v63
	v_div_scale_f32 v66, vcc, 1.0, v64, 1.0
	v_fma_f32 v67, -v63, v65, 1.0
	v_fmac_f32_e32 v65, v67, v65
	v_mul_f32_e32 v67, v66, v65
	v_fma_f32 v68, -v63, v67, v66
	v_fmac_f32_e32 v67, v68, v65
	v_fma_f32 v63, -v63, v67, v66
	v_div_fmas_f32 v63, v63, v65, v67
	v_div_fixup_f32 v64, v63, v64, 1.0
.LBB62_451:
	s_or_b64 exec, exec, s[0:1]
	v_cmp_ne_u32_e32 vcc, v221, v62
	s_and_saveexec_b64 s[0:1], vcc
	s_xor_b64 s[0:1], exec, s[0:1]
	s_cbranch_execz .LBB62_457
; %bb.452:
	v_cmp_eq_u32_e32 vcc, 26, v221
	s_and_saveexec_b64 s[2:3], vcc
	s_cbranch_execz .LBB62_456
; %bb.453:
	v_cmp_ne_u32_e32 vcc, 26, v62
	s_xor_b64 s[18:19], s[16:17], -1
	s_and_b64 s[20:21], s[18:19], vcc
	s_and_saveexec_b64 s[18:19], s[20:21]
	s_cbranch_execz .LBB62_455
; %bb.454:
	scratch_load_dwordx2 v[32:33], off, off offset:2076 ; 8-byte Folded Reload
	v_ashrrev_i32_e32 v63, 31, v62
	s_waitcnt vmcnt(0)
	v_lshl_add_u64 v[66:67], v[62:63], 2, v[32:33]
	global_load_dword v63, v[66:67], off
	global_load_dword v65, v[32:33], off offset:104
	s_waitcnt vmcnt(1)
	global_store_dword v[32:33], v63, off offset:104
	s_waitcnt vmcnt(1)
	global_store_dword v[66:67], v65, off
.LBB62_455:
	s_or_b64 exec, exec, s[18:19]
	v_mov_b32_e32 v32, v62
	v_mov_b32_e32 v221, v62
	scratch_store_dword off, v32, off offset:1304 ; 4-byte Folded Spill
.LBB62_456:
	s_or_b64 exec, exec, s[2:3]
.LBB62_457:
	s_andn2_saveexec_b64 s[0:1], s[0:1]
	s_cbranch_execz .LBB62_459
; %bb.458:
	v_mov_b32_e32 v221, 26
	ds_write2_b32 v214, v27, v28 offset0:27 offset1:28
	ds_write2_b32 v214, v29, v30 offset0:29 offset1:30
	ds_write_b32 v214, v255 offset:124
.LBB62_459:
	s_or_b64 exec, exec, s[0:1]
	v_cmp_lt_i32_e32 vcc, 26, v221
	s_waitcnt lgkmcnt(0)
	s_barrier
	s_and_saveexec_b64 s[0:1], vcc
	s_cbranch_execz .LBB62_461
; %bb.460:
	v_mov_b32_e32 v1, v211
	scratch_load_dwordx4 v[182:185], off, off offset:128 ; 16-byte Folded Reload
	scratch_load_dwordx4 v[186:189], off, off offset:144 ; 16-byte Folded Reload
	;; [unrolled: 1-line block ×8, first 2 shown]
	s_waitcnt vmcnt(1)
	v_mul_f32_e32 v208, v1, v64
	ds_read2_b32 v[0:1], v214 offset0:27 offset1:28
	ds_read2_b32 v[4:5], v214 offset0:29 offset1:30
	ds_read_b32 v6, v214 offset:124
	v_mov_b32_e32 v2, v27
	v_mov_b32_e32 v3, v28
	s_waitcnt lgkmcnt(0)
	v_fma_f32 v255, -v208, v6, v255
	v_pk_fma_f32 v[32:33], v[208:209], v[0:1], v[2:3] op_sel_hi:[0,1,1] neg_lo:[1,0,0] neg_hi:[1,0,0]
	v_mov_b32_e32 v0, v29
	v_mov_b32_e32 v1, v30
	v_pk_fma_f32 v[218:219], v[208:209], v[4:5], v[0:1] op_sel_hi:[0,1,1] neg_lo:[1,0,0] neg_hi:[1,0,0]
	s_waitcnt vmcnt(0)
	v_mov_b64_e32 v[0:1], v[182:183]
	v_mov_b64_e32 v[26:27], v[208:209]
	;; [unrolled: 1-line block ×16, first 2 shown]
	v_mov_b32_e32 v27, v32
	v_mov_b64_e32 v[112:113], v[30:31]
	v_mov_b64_e32 v[142:143], v[14:15]
	;; [unrolled: 1-line block ×3, first 2 shown]
	v_mov_b32_e32 v159, v31
	v_mov_b64_e32 v[110:111], v[28:29]
	v_mov_b64_e32 v[82:83], v[0:1]
	;; [unrolled: 1-line block ×14, first 2 shown]
	v_mov_b32_e32 v158, v30
	v_mov_b32_e32 v157, v29
	v_mov_b64_e32 v[108:109], v[26:27]
	v_mov_b64_e32 v[106:107], v[24:25]
	;; [unrolled: 1-line block ×13, first 2 shown]
	v_mov_b32_e32 v110, v33
	v_mov_b32_e32 v111, v218
	v_mov_b64_e32 v[0:1], v[82:83]
	v_mov_b64_e32 v[236:237], v[96:97]
	;; [unrolled: 1-line block ×4, first 2 shown]
	scratch_store_dwordx4 off, v[182:185], off ; 16-byte Folded Spill
	s_nop 0
	scratch_store_dwordx4 off, v[186:189], off offset:16 ; 16-byte Folded Spill
	scratch_store_dwordx4 off, v[190:193], off offset:32 ; 16-byte Folded Spill
	;; [unrolled: 1-line block ×7, first 2 shown]
	v_mov_b64_e32 v[234:235], v[94:95]
	v_mov_b64_e32 v[232:233], v[92:93]
	;; [unrolled: 1-line block ×13, first 2 shown]
	v_mov_b32_e32 v250, v33
	v_mov_b64_e32 v[2:3], v[84:85]
	v_mov_b64_e32 v[4:5], v[86:87]
	;; [unrolled: 1-line block ×14, first 2 shown]
	v_mov_b32_e32 v30, v219
	v_mov_b32_e32 v31, v255
	v_mov_b64_e32 v[208:209], v[32:33]
.LBB62_461:
	s_or_b64 exec, exec, s[0:1]
	v_lshl_add_u32 v62, v221, 2, v214
	s_barrier
	ds_write_b32 v62, v208
	s_waitcnt lgkmcnt(0)
	s_barrier
	ds_read_b32 v64, v214 offset:108
	s_cmp_lt_i32 s22, 29
	v_mov_b32_e32 v62, 27
	s_cbranch_scc1 .LBB62_464
; %bb.462:
	v_add_u32_e32 v63, 0x70, v214
	v_mov_b32_e32 v62, 27
	s_mov_b32 s0, 28
.LBB62_463:                             ; =>This Inner Loop Header: Depth=1
	ds_read_b32 v65, v63
	v_mov_b32_e32 v66, s0
	s_add_i32 s0, s0, 1
	v_add_u32_e32 v63, 4, v63
	s_cmp_lg_u32 s22, s0
	s_waitcnt lgkmcnt(0)
	v_cmp_lt_f32_e64 vcc, |v64|, |v65|
	s_nop 1
	v_cndmask_b32_e32 v64, v64, v65, vcc
	v_cndmask_b32_e32 v62, v62, v66, vcc
	s_cbranch_scc1 .LBB62_463
.LBB62_464:
	s_waitcnt lgkmcnt(0)
	v_cmp_eq_f32_e32 vcc, 0, v64
	s_and_saveexec_b64 s[0:1], vcc
	s_xor_b64 s[0:1], exec, s[0:1]
; %bb.465:
	v_cmp_ne_u32_e32 vcc, 0, v220
	s_nop 1
	v_cndmask_b32_e32 v220, 28, v220, vcc
; %bb.466:
	s_andn2_saveexec_b64 s[0:1], s[0:1]
	s_cbranch_execz .LBB62_468
; %bb.467:
	v_div_scale_f32 v63, s[2:3], v64, v64, 1.0
	v_rcp_f32_e32 v65, v63
	v_div_scale_f32 v66, vcc, 1.0, v64, 1.0
	v_fma_f32 v67, -v63, v65, 1.0
	v_fmac_f32_e32 v65, v67, v65
	v_mul_f32_e32 v67, v66, v65
	v_fma_f32 v68, -v63, v67, v66
	v_fmac_f32_e32 v67, v68, v65
	v_fma_f32 v63, -v63, v67, v66
	v_div_fmas_f32 v63, v63, v65, v67
	v_div_fixup_f32 v64, v63, v64, 1.0
.LBB62_468:
	s_or_b64 exec, exec, s[0:1]
	v_cmp_ne_u32_e32 vcc, v221, v62
	s_and_saveexec_b64 s[0:1], vcc
	s_xor_b64 s[0:1], exec, s[0:1]
	s_cbranch_execz .LBB62_474
; %bb.469:
	v_cmp_eq_u32_e32 vcc, 27, v221
	s_and_saveexec_b64 s[2:3], vcc
	s_cbranch_execz .LBB62_473
; %bb.470:
	v_cmp_ne_u32_e32 vcc, 27, v62
	s_xor_b64 s[18:19], s[16:17], -1
	s_and_b64 s[20:21], s[18:19], vcc
	s_and_saveexec_b64 s[18:19], s[20:21]
	s_cbranch_execz .LBB62_472
; %bb.471:
	scratch_load_dwordx2 v[32:33], off, off offset:2076 ; 8-byte Folded Reload
	v_ashrrev_i32_e32 v63, 31, v62
	s_waitcnt vmcnt(0)
	v_lshl_add_u64 v[66:67], v[62:63], 2, v[32:33]
	global_load_dword v63, v[66:67], off
	global_load_dword v65, v[32:33], off offset:108
	s_waitcnt vmcnt(1)
	global_store_dword v[32:33], v63, off offset:108
	s_waitcnt vmcnt(1)
	global_store_dword v[66:67], v65, off
.LBB62_472:
	s_or_b64 exec, exec, s[18:19]
	v_mov_b32_e32 v32, v62
	v_mov_b32_e32 v221, v62
	scratch_store_dword off, v32, off offset:1304 ; 4-byte Folded Spill
.LBB62_473:
	s_or_b64 exec, exec, s[2:3]
.LBB62_474:
	s_andn2_saveexec_b64 s[0:1], s[0:1]
	s_cbranch_execz .LBB62_476
; %bb.475:
	v_mov_b32_e32 v221, 27
	ds_write2_b32 v214, v28, v29 offset0:28 offset1:29
	ds_write2_b32 v214, v30, v31 offset0:30 offset1:31
.LBB62_476:
	s_or_b64 exec, exec, s[0:1]
	v_cmp_lt_i32_e32 vcc, 27, v221
	s_waitcnt lgkmcnt(0)
	s_barrier
	s_and_saveexec_b64 s[0:1], vcc
	s_cbranch_execz .LBB62_478
; %bb.477:
	ds_read2_b32 v[0:1], v214 offset0:28 offset1:29
	ds_read2_b32 v[2:3], v214 offset0:30 offset1:31
	scratch_load_dwordx4 v[160:163], off, off ; 16-byte Folded Reload
	scratch_load_dwordx4 v[164:167], off, off offset:16 ; 16-byte Folded Reload
	scratch_load_dwordx4 v[168:171], off, off offset:32 ; 16-byte Folded Reload
	;; [unrolled: 1-line block ×7, first 2 shown]
	v_mul_f32_e32 v4, v208, v64
	s_waitcnt vmcnt(1)
	v_mov_b32_e32 v187, v4
	s_waitcnt lgkmcnt(1)
	v_pk_fma_f32 v[64:65], v[4:5], v[0:1], v[28:29] op_sel_hi:[0,1,1] neg_lo:[1,0,0] neg_hi:[1,0,0]
	s_waitcnt lgkmcnt(0)
	v_pk_fma_f32 v[254:255], v[4:5], v[2:3], v[30:31] op_sel_hi:[0,1,1] neg_lo:[1,0,0] neg_hi:[1,0,0]
	v_mov_b32_e32 v209, v64
	v_mov_b32_e32 v218, v65
	;; [unrolled: 1-line block ×3, first 2 shown]
	s_waitcnt vmcnt(0)
	v_mov_b64_e32 v[252:253], v[190:191]
	v_mov_b64_e32 v[250:251], v[188:189]
	v_mov_b64_e32 v[222:223], v[160:161]
	v_mov_b64_e32 v[248:249], v[186:187]
	v_mov_b64_e32 v[246:247], v[184:185]
	v_mov_b64_e32 v[244:245], v[182:183]
	v_mov_b64_e32 v[242:243], v[180:181]
	v_mov_b64_e32 v[240:241], v[178:179]
	v_mov_b64_e32 v[238:239], v[176:177]
	v_mov_b64_e32 v[236:237], v[174:175]
	v_mov_b64_e32 v[234:235], v[172:173]
	v_mov_b64_e32 v[232:233], v[170:171]
	v_mov_b64_e32 v[230:231], v[168:169]
	v_mov_b64_e32 v[228:229], v[166:167]
	v_mov_b64_e32 v[226:227], v[164:165]
	v_mov_b64_e32 v[224:225], v[162:163]
	v_mov_b32_e32 v250, v64
	v_mov_b64_e32 v[82:83], v[222:223]
	v_mov_b64_e32 v[110:111], v[250:251]
	;; [unrolled: 1-line block ×16, first 2 shown]
	v_mov_b32_e32 v111, v65
	v_mov_b64_e32 v[0:1], v[82:83]
	v_mov_b64_e32 v[30:31], v[112:113]
	;; [unrolled: 1-line block ×17, first 2 shown]
	v_mov_b32_e32 v30, v254
	v_mov_b32_e32 v31, v255
	v_mov_b64_e32 v[130:131], v[162:163]
	v_mov_b64_e32 v[132:133], v[164:165]
	v_mov_b64_e32 v[134:135], v[166:167]
	v_mov_b64_e32 v[136:137], v[168:169]
	v_mov_b64_e32 v[138:139], v[170:171]
	v_mov_b64_e32 v[140:141], v[172:173]
	v_mov_b64_e32 v[142:143], v[174:175]
	v_mov_b64_e32 v[144:145], v[176:177]
	v_mov_b64_e32 v[146:147], v[178:179]
	v_mov_b64_e32 v[148:149], v[180:181]
	v_mov_b64_e32 v[150:151], v[182:183]
	v_mov_b64_e32 v[152:153], v[184:185]
	v_mov_b64_e32 v[154:155], v[186:187]
	v_mov_b64_e32 v[156:157], v[188:189]
	v_mov_b64_e32 v[158:159], v[190:191]
.LBB62_478:
	s_or_b64 exec, exec, s[0:1]
	v_lshl_add_u32 v62, v221, 2, v214
	s_barrier
	ds_write_b32 v62, v209
	s_waitcnt lgkmcnt(0)
	s_barrier
	ds_read_b32 v64, v214 offset:112
	s_cmp_lt_i32 s22, 30
	v_mov_b32_e32 v62, 28
	s_cbranch_scc1 .LBB62_481
; %bb.479:
	v_add_u32_e32 v63, 0x74, v214
	v_mov_b32_e32 v62, 28
	s_mov_b32 s0, 29
.LBB62_480:                             ; =>This Inner Loop Header: Depth=1
	ds_read_b32 v65, v63
	v_mov_b32_e32 v66, s0
	s_add_i32 s0, s0, 1
	v_add_u32_e32 v63, 4, v63
	s_cmp_lg_u32 s22, s0
	s_waitcnt lgkmcnt(0)
	v_cmp_lt_f32_e64 vcc, |v64|, |v65|
	s_nop 1
	v_cndmask_b32_e32 v64, v64, v65, vcc
	v_cndmask_b32_e32 v62, v62, v66, vcc
	s_cbranch_scc1 .LBB62_480
.LBB62_481:
	s_waitcnt lgkmcnt(0)
	v_cmp_eq_f32_e32 vcc, 0, v64
	s_and_saveexec_b64 s[0:1], vcc
	s_xor_b64 s[0:1], exec, s[0:1]
; %bb.482:
	v_cmp_ne_u32_e32 vcc, 0, v220
	s_nop 1
	v_cndmask_b32_e32 v220, 29, v220, vcc
; %bb.483:
	s_andn2_saveexec_b64 s[0:1], s[0:1]
	s_cbranch_execz .LBB62_485
; %bb.484:
	v_div_scale_f32 v63, s[2:3], v64, v64, 1.0
	v_rcp_f32_e32 v65, v63
	v_div_scale_f32 v66, vcc, 1.0, v64, 1.0
	v_fma_f32 v67, -v63, v65, 1.0
	v_fmac_f32_e32 v65, v67, v65
	v_mul_f32_e32 v67, v66, v65
	v_fma_f32 v68, -v63, v67, v66
	v_fmac_f32_e32 v67, v68, v65
	v_fma_f32 v63, -v63, v67, v66
	v_div_fmas_f32 v63, v63, v65, v67
	v_div_fixup_f32 v64, v63, v64, 1.0
.LBB62_485:
	s_or_b64 exec, exec, s[0:1]
	v_cmp_ne_u32_e32 vcc, v221, v62
	s_and_saveexec_b64 s[0:1], vcc
	s_xor_b64 s[0:1], exec, s[0:1]
	s_cbranch_execz .LBB62_491
; %bb.486:
	v_cmp_eq_u32_e32 vcc, 28, v221
	s_and_saveexec_b64 s[2:3], vcc
	s_cbranch_execz .LBB62_490
; %bb.487:
	v_cmp_ne_u32_e32 vcc, 28, v62
	s_xor_b64 s[18:19], s[16:17], -1
	s_and_b64 s[20:21], s[18:19], vcc
	s_and_saveexec_b64 s[18:19], s[20:21]
	s_cbranch_execz .LBB62_489
; %bb.488:
	scratch_load_dwordx2 v[32:33], off, off offset:2076 ; 8-byte Folded Reload
	v_ashrrev_i32_e32 v63, 31, v62
	s_waitcnt vmcnt(0)
	v_lshl_add_u64 v[66:67], v[62:63], 2, v[32:33]
	global_load_dword v63, v[66:67], off
	global_load_dword v65, v[32:33], off offset:112
	s_waitcnt vmcnt(1)
	global_store_dword v[32:33], v63, off offset:112
	s_waitcnt vmcnt(1)
	global_store_dword v[66:67], v65, off
.LBB62_489:
	s_or_b64 exec, exec, s[18:19]
	v_mov_b32_e32 v32, v62
	v_mov_b32_e32 v221, v62
	scratch_store_dword off, v32, off offset:1304 ; 4-byte Folded Spill
.LBB62_490:
	s_or_b64 exec, exec, s[2:3]
.LBB62_491:
	s_andn2_saveexec_b64 s[0:1], s[0:1]
	s_cbranch_execz .LBB62_493
; %bb.492:
	v_mov_b32_e32 v221, 28
	ds_write2_b32 v214, v29, v30 offset0:29 offset1:30
	ds_write_b32 v214, v255 offset:124
.LBB62_493:
	s_or_b64 exec, exec, s[0:1]
	v_cmp_lt_i32_e32 vcc, 28, v221
	s_waitcnt lgkmcnt(0)
	s_barrier
	s_and_saveexec_b64 s[0:1], vcc
	s_cbranch_execz .LBB62_495
; %bb.494:
	ds_read2_b32 v[0:1], v214 offset0:29 offset1:30
	ds_read_b32 v4, v214 offset:124
	v_mul_f32_e32 v156, v209, v64
	v_mov_b32_e32 v2, v29
	v_mov_b32_e32 v3, v30
	v_mov_b64_e32 v[82:83], v[128:129]
	s_waitcnt lgkmcnt(1)
	v_pk_fma_f32 v[218:219], v[156:157], v[0:1], v[2:3] op_sel_hi:[0,1,1] neg_lo:[1,0,0] neg_hi:[1,0,0]
	v_mov_b64_e32 v[110:111], v[156:157]
	s_waitcnt lgkmcnt(0)
	v_fma_f32 v255, -v156, v4, v255
	v_mov_b64_e32 v[84:85], v[130:131]
	v_mov_b64_e32 v[86:87], v[132:133]
	;; [unrolled: 1-line block ×14, first 2 shown]
	v_mov_b32_e32 v111, v218
	v_mov_b64_e32 v[0:1], v[82:83]
	v_mov_b64_e32 v[30:31], v[112:113]
	;; [unrolled: 1-line block ×17, first 2 shown]
	v_mov_b32_e32 v30, v219
	v_mov_b32_e32 v31, v255
	v_mov_b64_e32 v[250:251], v[156:157]
	v_mov_b64_e32 v[248:249], v[154:155]
	v_mov_b64_e32 v[246:247], v[152:153]
	v_mov_b64_e32 v[244:245], v[150:151]
	v_mov_b64_e32 v[242:243], v[148:149]
	v_mov_b64_e32 v[240:241], v[146:147]
	v_mov_b64_e32 v[238:239], v[144:145]
	v_mov_b64_e32 v[236:237], v[142:143]
	v_mov_b64_e32 v[234:235], v[140:141]
	v_mov_b64_e32 v[232:233], v[138:139]
	v_mov_b64_e32 v[230:231], v[136:137]
	v_mov_b64_e32 v[228:229], v[134:135]
	v_mov_b64_e32 v[226:227], v[132:133]
	v_mov_b64_e32 v[224:225], v[130:131]
	v_mov_b64_e32 v[222:223], v[128:129]
.LBB62_495:
	s_or_b64 exec, exec, s[0:1]
	v_lshl_add_u32 v62, v221, 2, v214
	s_barrier
	ds_write_b32 v62, v218
	s_waitcnt lgkmcnt(0)
	s_barrier
	ds_read_b32 v64, v214 offset:116
	s_cmp_lt_i32 s22, 31
	v_mov_b32_e32 v62, 29
	s_cbranch_scc1 .LBB62_498
; %bb.496:
	v_add_u32_e32 v63, 0x78, v214
	v_mov_b32_e32 v62, 29
	s_mov_b32 s0, 30
.LBB62_497:                             ; =>This Inner Loop Header: Depth=1
	ds_read_b32 v65, v63
	v_mov_b32_e32 v66, s0
	s_add_i32 s0, s0, 1
	v_add_u32_e32 v63, 4, v63
	s_cmp_lg_u32 s22, s0
	s_waitcnt lgkmcnt(0)
	v_cmp_lt_f32_e64 vcc, |v64|, |v65|
	s_nop 1
	v_cndmask_b32_e32 v64, v64, v65, vcc
	v_cndmask_b32_e32 v62, v62, v66, vcc
	s_cbranch_scc1 .LBB62_497
.LBB62_498:
	s_waitcnt lgkmcnt(0)
	v_cmp_eq_f32_e32 vcc, 0, v64
	s_and_saveexec_b64 s[0:1], vcc
	s_xor_b64 s[0:1], exec, s[0:1]
; %bb.499:
	v_cmp_ne_u32_e32 vcc, 0, v220
	s_nop 1
	v_cndmask_b32_e32 v220, 30, v220, vcc
; %bb.500:
	s_andn2_saveexec_b64 s[0:1], s[0:1]
	s_cbranch_execz .LBB62_502
; %bb.501:
	v_div_scale_f32 v63, s[2:3], v64, v64, 1.0
	v_rcp_f32_e32 v65, v63
	v_div_scale_f32 v66, vcc, 1.0, v64, 1.0
	v_fma_f32 v67, -v63, v65, 1.0
	v_fmac_f32_e32 v65, v67, v65
	v_mul_f32_e32 v67, v66, v65
	v_fma_f32 v68, -v63, v67, v66
	v_fmac_f32_e32 v67, v68, v65
	v_fma_f32 v63, -v63, v67, v66
	v_div_fmas_f32 v63, v63, v65, v67
	v_div_fixup_f32 v64, v63, v64, 1.0
.LBB62_502:
	s_or_b64 exec, exec, s[0:1]
	v_cmp_ne_u32_e32 vcc, v221, v62
	s_and_saveexec_b64 s[0:1], vcc
	s_xor_b64 s[0:1], exec, s[0:1]
	s_cbranch_execz .LBB62_508
; %bb.503:
	v_cmp_eq_u32_e32 vcc, 29, v221
	s_and_saveexec_b64 s[2:3], vcc
	s_cbranch_execz .LBB62_507
; %bb.504:
	v_cmp_ne_u32_e32 vcc, 29, v62
	s_xor_b64 s[18:19], s[16:17], -1
	s_and_b64 s[20:21], s[18:19], vcc
	s_and_saveexec_b64 s[18:19], s[20:21]
	s_cbranch_execz .LBB62_506
; %bb.505:
	scratch_load_dwordx2 v[32:33], off, off offset:2076 ; 8-byte Folded Reload
	v_ashrrev_i32_e32 v63, 31, v62
	s_waitcnt vmcnt(0)
	v_lshl_add_u64 v[66:67], v[62:63], 2, v[32:33]
	global_load_dword v63, v[66:67], off
	global_load_dword v65, v[32:33], off offset:116
	s_waitcnt vmcnt(1)
	global_store_dword v[32:33], v63, off offset:116
	s_waitcnt vmcnt(1)
	global_store_dword v[66:67], v65, off
.LBB62_506:
	s_or_b64 exec, exec, s[18:19]
	v_mov_b32_e32 v32, v62
	v_mov_b32_e32 v221, v62
	scratch_store_dword off, v32, off offset:1304 ; 4-byte Folded Spill
.LBB62_507:
	s_or_b64 exec, exec, s[2:3]
.LBB62_508:
	s_andn2_saveexec_b64 s[0:1], s[0:1]
; %bb.509:
	v_mov_b32_e32 v221, 29
	ds_write2_b32 v214, v30, v31 offset0:30 offset1:31
; %bb.510:
	s_or_b64 exec, exec, s[0:1]
	v_cmp_lt_i32_e32 vcc, 29, v221
	s_waitcnt lgkmcnt(0)
	s_barrier
	s_and_saveexec_b64 s[0:1], vcc
	s_cbranch_execz .LBB62_512
; %bb.511:
	ds_read2_b32 v[0:1], v214 offset0:30 offset1:31
	v_mul_f32_e32 v2, v218, v64
	v_mov_b32_e32 v251, v2
	v_mov_b64_e32 v[82:83], v[222:223]
	v_mov_b64_e32 v[84:85], v[224:225]
	s_waitcnt lgkmcnt(0)
	v_pk_fma_f32 v[254:255], v[2:3], v[0:1], v[30:31] op_sel_hi:[0,1,1] neg_lo:[1,0,0] neg_hi:[1,0,0]
	v_mov_b64_e32 v[0:1], v[222:223]
	v_mov_b64_e32 v[30:31], v[252:253]
	;; [unrolled: 1-line block ×16, first 2 shown]
	v_mov_b32_e32 v30, v254
	v_mov_b32_e32 v31, v255
	v_mov_b64_e32 v[86:87], v[226:227]
	v_mov_b64_e32 v[88:89], v[228:229]
	;; [unrolled: 1-line block ×13, first 2 shown]
	v_mov_b32_e32 v219, v254
	v_mov_b64_e32 v[112:113], v[252:253]
.LBB62_512:
	s_or_b64 exec, exec, s[0:1]
	v_lshl_add_u32 v62, v221, 2, v214
	s_barrier
	ds_write_b32 v62, v219
	s_waitcnt lgkmcnt(0)
	s_barrier
	ds_read_b32 v64, v214 offset:120
	s_cmp_lt_i32 s22, 32
	v_mov_b32_e32 v62, 30
	s_cbranch_scc1 .LBB62_515
; %bb.513:
	v_add_u32_e32 v63, 0x7c, v214
	v_mov_b32_e32 v62, 30
	s_mov_b32 s0, 31
.LBB62_514:                             ; =>This Inner Loop Header: Depth=1
	ds_read_b32 v65, v63
	v_mov_b32_e32 v66, s0
	s_add_i32 s0, s0, 1
	v_add_u32_e32 v63, 4, v63
	s_cmp_lg_u32 s22, s0
	s_waitcnt lgkmcnt(0)
	v_cmp_lt_f32_e64 vcc, |v64|, |v65|
	s_nop 1
	v_cndmask_b32_e32 v64, v64, v65, vcc
	v_cndmask_b32_e32 v62, v62, v66, vcc
	s_cbranch_scc1 .LBB62_514
.LBB62_515:
	s_waitcnt lgkmcnt(0)
	v_cmp_eq_f32_e32 vcc, 0, v64
	s_and_saveexec_b64 s[0:1], vcc
	s_xor_b64 s[0:1], exec, s[0:1]
; %bb.516:
	v_cmp_ne_u32_e32 vcc, 0, v220
	s_nop 1
	v_cndmask_b32_e32 v220, 31, v220, vcc
; %bb.517:
	s_andn2_saveexec_b64 s[0:1], s[0:1]
	s_cbranch_execz .LBB62_519
; %bb.518:
	v_div_scale_f32 v63, s[2:3], v64, v64, 1.0
	v_rcp_f32_e32 v65, v63
	v_div_scale_f32 v66, vcc, 1.0, v64, 1.0
	v_fma_f32 v67, -v63, v65, 1.0
	v_fmac_f32_e32 v65, v67, v65
	v_mul_f32_e32 v67, v66, v65
	v_fma_f32 v68, -v63, v67, v66
	v_fmac_f32_e32 v67, v68, v65
	v_fma_f32 v63, -v63, v67, v66
	v_div_fmas_f32 v63, v63, v65, v67
	v_div_fixup_f32 v64, v63, v64, 1.0
.LBB62_519:
	s_or_b64 exec, exec, s[0:1]
	v_cmp_ne_u32_e32 vcc, v221, v62
	s_and_saveexec_b64 s[0:1], vcc
	s_xor_b64 s[0:1], exec, s[0:1]
	s_cbranch_execz .LBB62_525
; %bb.520:
	v_cmp_eq_u32_e32 vcc, 30, v221
	s_and_saveexec_b64 s[2:3], vcc
	s_cbranch_execz .LBB62_524
; %bb.521:
	v_cmp_ne_u32_e32 vcc, 30, v62
	s_xor_b64 s[18:19], s[16:17], -1
	s_and_b64 s[20:21], s[18:19], vcc
	s_and_saveexec_b64 s[18:19], s[20:21]
	s_cbranch_execz .LBB62_523
; %bb.522:
	scratch_load_dwordx2 v[32:33], off, off offset:2076 ; 8-byte Folded Reload
	v_ashrrev_i32_e32 v63, 31, v62
	s_waitcnt vmcnt(0)
	v_lshl_add_u64 v[66:67], v[62:63], 2, v[32:33]
	global_load_dword v63, v[66:67], off
	global_load_dword v65, v[32:33], off offset:120
	s_waitcnt vmcnt(1)
	global_store_dword v[32:33], v63, off offset:120
	s_waitcnt vmcnt(1)
	global_store_dword v[66:67], v65, off
.LBB62_523:
	s_or_b64 exec, exec, s[18:19]
	v_mov_b32_e32 v32, v62
	v_mov_b32_e32 v221, v62
	scratch_store_dword off, v32, off offset:1304 ; 4-byte Folded Spill
.LBB62_524:
	s_or_b64 exec, exec, s[2:3]
.LBB62_525:
	s_andn2_saveexec_b64 s[0:1], s[0:1]
; %bb.526:
	v_mov_b32_e32 v221, 30
	ds_write_b32 v214, v255 offset:124
; %bb.527:
	s_or_b64 exec, exec, s[0:1]
	v_cmp_lt_i32_e32 vcc, 30, v221
	s_waitcnt lgkmcnt(0)
	s_barrier
	s_and_saveexec_b64 s[0:1], vcc
	s_cbranch_execz .LBB62_529
; %bb.528:
	ds_read_b32 v0, v214 offset:124
	v_mul_f32_e32 v112, v219, v64
	s_waitcnt lgkmcnt(0)
	v_fma_f32 v113, -v112, v0, v255
	v_mov_b64_e32 v[0:1], v[82:83]
	v_mov_b64_e32 v[2:3], v[84:85]
	;; [unrolled: 1-line block ×16, first 2 shown]
	v_mov_b32_e32 v255, v113
.LBB62_529:
	s_or_b64 exec, exec, s[0:1]
	v_lshl_add_u32 v32, v221, 2, v214
	s_barrier
	ds_write_b32 v32, v255
	s_waitcnt lgkmcnt(0)
	s_barrier
	ds_read_b32 v36, v214 offset:124
	s_cmp_lt_i32 s22, 33
	v_mov_b32_e32 v32, 31
	s_cbranch_scc1 .LBB62_532
; %bb.530:
	v_add_u32_e32 v33, 0x80, v214
	v_mov_b32_e32 v32, 31
	s_mov_b32 s0, 32
.LBB62_531:                             ; =>This Inner Loop Header: Depth=1
	ds_read_b32 v34, v33
	v_mov_b32_e32 v35, s0
	s_add_i32 s0, s0, 1
	v_add_u32_e32 v33, 4, v33
	s_cmp_lg_u32 s22, s0
	s_waitcnt lgkmcnt(0)
	v_cmp_lt_f32_e64 vcc, |v36|, |v34|
	s_nop 1
	v_cndmask_b32_e32 v36, v36, v34, vcc
	v_cndmask_b32_e32 v32, v32, v35, vcc
	s_cbranch_scc1 .LBB62_531
.LBB62_532:
	s_waitcnt lgkmcnt(0)
	v_cmp_eq_f32_e32 vcc, 0, v36
	s_and_saveexec_b64 s[0:1], vcc
	s_xor_b64 s[0:1], exec, s[0:1]
; %bb.533:
	v_cmp_ne_u32_e32 vcc, 0, v220
	s_nop 1
	v_cndmask_b32_e32 v220, 32, v220, vcc
; %bb.534:
	s_andn2_saveexec_b64 s[0:1], s[0:1]
	s_cbranch_execz .LBB62_536
; %bb.535:
	v_div_scale_f32 v33, s[2:3], v36, v36, 1.0
	v_rcp_f32_e32 v34, v33
	v_div_scale_f32 v35, vcc, 1.0, v36, 1.0
	v_fma_f32 v37, -v33, v34, 1.0
	v_fmac_f32_e32 v34, v37, v34
	v_mul_f32_e32 v37, v35, v34
	v_fma_f32 v38, -v33, v37, v35
	v_fmac_f32_e32 v37, v38, v34
	v_fma_f32 v33, -v33, v37, v35
	v_div_fmas_f32 v33, v33, v34, v37
	v_div_fixup_f32 v36, v33, v36, 1.0
.LBB62_536:
	s_or_b64 exec, exec, s[0:1]
	v_cmp_ne_u32_e32 vcc, v221, v32
	v_mov_b32_e32 v34, 31
	s_and_saveexec_b64 s[0:1], vcc
	s_cbranch_execz .LBB62_542
; %bb.537:
	v_cmp_eq_u32_e32 vcc, 31, v221
	s_and_saveexec_b64 s[2:3], vcc
	s_cbranch_execz .LBB62_541
; %bb.538:
	v_cmp_ne_u32_e32 vcc, 31, v32
	s_xor_b64 s[16:17], s[16:17], -1
	s_and_b64 s[18:19], s[16:17], vcc
	s_and_saveexec_b64 s[16:17], s[18:19]
	s_cbranch_execz .LBB62_540
; %bb.539:
	scratch_load_dwordx2 v[38:39], off, off offset:2076 ; 8-byte Folded Reload
	v_ashrrev_i32_e32 v33, 31, v32
	s_waitcnt vmcnt(0)
	v_lshl_add_u64 v[34:35], v[32:33], 2, v[38:39]
	global_load_dword v33, v[34:35], off
	global_load_dword v37, v[38:39], off offset:124
	s_waitcnt vmcnt(1)
	global_store_dword v[38:39], v33, off offset:124
	s_waitcnt vmcnt(1)
	global_store_dword v[34:35], v37, off
.LBB62_540:
	s_or_b64 exec, exec, s[16:17]
	v_mov_b32_e32 v33, v32
	v_mov_b32_e32 v221, v32
	scratch_store_dword off, v33, off offset:1304 ; 4-byte Folded Spill
.LBB62_541:
	s_or_b64 exec, exec, s[2:3]
	v_mov_b32_e32 v34, v221
.LBB62_542:
	s_or_b64 exec, exec, s[0:1]
	v_cmp_gt_i32_e32 vcc, 32, v34
	v_ashrrev_i32_e32 v35, 31, v34
	s_waitcnt vmcnt(63) expcnt(7) lgkmcnt(15)
	s_barrier
	s_barrier
	s_and_saveexec_b64 s[0:1], vcc
	s_cbranch_execz .LBB62_544
; %bb.543:
	scratch_load_dwordx2 v[38:39], off, off offset:3116 ; 8-byte Folded Reload
	v_mov_b32_e32 v32, s6
	v_mov_b32_e32 v33, s7
	s_waitcnt vmcnt(0)
	v_mul_lo_u32 v37, s11, v38
	v_mul_lo_u32 v40, s10, v39
	v_mad_u64_u32 v[38:39], s[2:3], s10, v38, 0
	v_add3_u32 v39, v39, v40, v37
	scratch_load_dword v37, off, off offset:1304 ; 4-byte Folded Reload
	v_lshl_add_u64 v[32:33], v[38:39], 2, v[32:33]
	v_lshl_add_u64 v[32:33], s[8:9], 2, v[32:33]
	;; [unrolled: 1-line block ×3, first 2 shown]
	s_waitcnt vmcnt(0)
	v_add3_u32 v37, v37, s15, 1
	global_store_dword v[32:33], v37, off
.LBB62_544:
	s_or_b64 exec, exec, s[0:1]
	v_cmp_eq_u32_e32 vcc, 0, v34
	s_and_saveexec_b64 s[2:3], vcc
	s_cbranch_execz .LBB62_547
; %bb.545:
	scratch_load_dwordx2 v[38:39], off, off offset:3116 ; 8-byte Folded Reload
	v_mov_b32_e32 v32, s4
	v_mov_b32_e32 v33, s5
	v_cmp_ne_u32_e64 s[0:1], 0, v220
	s_waitcnt vmcnt(0)
	v_lshl_add_u64 v[32:33], v[38:39], 2, v[32:33]
	global_load_dword v37, v[32:33], off
	s_waitcnt vmcnt(0)
	v_cmp_eq_u32_e32 vcc, 0, v37
	s_and_b64 s[0:1], vcc, s[0:1]
	s_and_b64 exec, exec, s[0:1]
	s_cbranch_execz .LBB62_547
; %bb.546:
	v_add_u32_e32 v37, s15, v220
	global_store_dword v[32:33], v37, off
.LBB62_547:
	s_or_b64 exec, exec, s[2:3]
	v_mul_f32_e32 v32, v255, v36
	scratch_load_dwordx2 v[36:37], off, off offset:3108 ; 8-byte Folded Reload
	v_cmp_lt_i32_e32 vcc, 31, v34
	s_nop 1
	v_cndmask_b32_e32 v31, v31, v32, vcc
	s_waitcnt vmcnt(0)
	v_lshl_add_u64 v[32:33], v[34:35], 2, v[36:37]
	global_store_dword v[32:33], v0, off
	v_lshl_add_u64 v[32:33], s[12:13], 2, v[32:33]
	v_add_u32_e32 v0, s14, v34
	global_store_dword v[32:33], v1, off
	v_ashrrev_i32_e32 v1, 31, v0
	v_lshl_add_u64 v[32:33], v[0:1], 2, v[36:37]
	v_add_u32_e32 v0, s12, v0
	v_ashrrev_i32_e32 v1, 31, v0
	global_store_dword v[32:33], v2, off
	v_lshl_add_u64 v[32:33], v[0:1], 2, v[36:37]
	v_add_u32_e32 v0, s12, v0
	v_ashrrev_i32_e32 v1, 31, v0
	global_store_dword v[32:33], v3, off
	v_lshl_add_u64 v[2:3], v[0:1], 2, v[36:37]
	v_add_u32_e32 v0, s12, v0
	v_ashrrev_i32_e32 v1, 31, v0
	global_store_dword v[2:3], v4, off
	v_lshl_add_u64 v[2:3], v[0:1], 2, v[36:37]
	v_add_u32_e32 v0, s12, v0
	v_ashrrev_i32_e32 v1, 31, v0
	global_store_dword v[2:3], v5, off
	v_lshl_add_u64 v[2:3], v[0:1], 2, v[36:37]
	v_add_u32_e32 v0, s12, v0
	v_ashrrev_i32_e32 v1, 31, v0
	global_store_dword v[2:3], v6, off
	v_lshl_add_u64 v[2:3], v[0:1], 2, v[36:37]
	v_add_u32_e32 v0, s12, v0
	v_ashrrev_i32_e32 v1, 31, v0
	global_store_dword v[2:3], v7, off
	v_lshl_add_u64 v[2:3], v[0:1], 2, v[36:37]
	v_add_u32_e32 v0, s12, v0
	v_ashrrev_i32_e32 v1, 31, v0
	global_store_dword v[2:3], v8, off
	v_lshl_add_u64 v[2:3], v[0:1], 2, v[36:37]
	v_add_u32_e32 v0, s12, v0
	v_ashrrev_i32_e32 v1, 31, v0
	global_store_dword v[2:3], v9, off
	v_lshl_add_u64 v[2:3], v[0:1], 2, v[36:37]
	v_add_u32_e32 v0, s12, v0
	v_ashrrev_i32_e32 v1, 31, v0
	global_store_dword v[2:3], v10, off
	v_lshl_add_u64 v[2:3], v[0:1], 2, v[36:37]
	v_add_u32_e32 v0, s12, v0
	v_ashrrev_i32_e32 v1, 31, v0
	global_store_dword v[2:3], v11, off
	v_lshl_add_u64 v[2:3], v[0:1], 2, v[36:37]
	v_add_u32_e32 v0, s12, v0
	v_ashrrev_i32_e32 v1, 31, v0
	global_store_dword v[2:3], v12, off
	v_lshl_add_u64 v[2:3], v[0:1], 2, v[36:37]
	v_add_u32_e32 v0, s12, v0
	v_ashrrev_i32_e32 v1, 31, v0
	global_store_dword v[2:3], v13, off
	v_lshl_add_u64 v[2:3], v[0:1], 2, v[36:37]
	v_add_u32_e32 v0, s12, v0
	v_ashrrev_i32_e32 v1, 31, v0
	global_store_dword v[2:3], v14, off
	v_lshl_add_u64 v[2:3], v[0:1], 2, v[36:37]
	v_add_u32_e32 v0, s12, v0
	v_ashrrev_i32_e32 v1, 31, v0
	global_store_dword v[2:3], v15, off
	v_lshl_add_u64 v[2:3], v[0:1], 2, v[36:37]
	v_add_u32_e32 v0, s12, v0
	v_ashrrev_i32_e32 v1, 31, v0
	global_store_dword v[2:3], v16, off
	v_lshl_add_u64 v[2:3], v[0:1], 2, v[36:37]
	v_add_u32_e32 v0, s12, v0
	v_ashrrev_i32_e32 v1, 31, v0
	global_store_dword v[2:3], v17, off
	v_lshl_add_u64 v[2:3], v[0:1], 2, v[36:37]
	v_add_u32_e32 v0, s12, v0
	v_ashrrev_i32_e32 v1, 31, v0
	global_store_dword v[2:3], v18, off
	v_lshl_add_u64 v[2:3], v[0:1], 2, v[36:37]
	v_add_u32_e32 v0, s12, v0
	v_ashrrev_i32_e32 v1, 31, v0
	global_store_dword v[2:3], v19, off
	v_lshl_add_u64 v[2:3], v[0:1], 2, v[36:37]
	v_add_u32_e32 v0, s12, v0
	v_ashrrev_i32_e32 v1, 31, v0
	global_store_dword v[2:3], v20, off
	v_lshl_add_u64 v[2:3], v[0:1], 2, v[36:37]
	v_add_u32_e32 v0, s12, v0
	v_ashrrev_i32_e32 v1, 31, v0
	global_store_dword v[2:3], v21, off
	v_lshl_add_u64 v[2:3], v[0:1], 2, v[36:37]
	v_add_u32_e32 v0, s12, v0
	v_ashrrev_i32_e32 v1, 31, v0
	global_store_dword v[2:3], v22, off
	v_lshl_add_u64 v[2:3], v[0:1], 2, v[36:37]
	v_add_u32_e32 v0, s12, v0
	v_ashrrev_i32_e32 v1, 31, v0
	global_store_dword v[2:3], v23, off
	v_lshl_add_u64 v[2:3], v[0:1], 2, v[36:37]
	v_add_u32_e32 v0, s12, v0
	v_ashrrev_i32_e32 v1, 31, v0
	global_store_dword v[2:3], v24, off
	v_lshl_add_u64 v[2:3], v[0:1], 2, v[36:37]
	v_add_u32_e32 v0, s12, v0
	v_ashrrev_i32_e32 v1, 31, v0
	global_store_dword v[2:3], v25, off
	v_lshl_add_u64 v[2:3], v[0:1], 2, v[36:37]
	v_add_u32_e32 v0, s12, v0
	v_ashrrev_i32_e32 v1, 31, v0
	global_store_dword v[2:3], v26, off
	v_lshl_add_u64 v[2:3], v[0:1], 2, v[36:37]
	v_add_u32_e32 v0, s12, v0
	v_ashrrev_i32_e32 v1, 31, v0
	global_store_dword v[2:3], v27, off
	v_lshl_add_u64 v[2:3], v[0:1], 2, v[36:37]
	v_add_u32_e32 v0, s12, v0
	v_ashrrev_i32_e32 v1, 31, v0
	global_store_dword v[2:3], v28, off
	v_lshl_add_u64 v[2:3], v[0:1], 2, v[36:37]
	v_add_u32_e32 v0, s12, v0
	v_ashrrev_i32_e32 v1, 31, v0
	global_store_dword v[2:3], v29, off
	v_lshl_add_u64 v[2:3], v[0:1], 2, v[36:37]
	v_add_u32_e32 v0, s12, v0
	v_ashrrev_i32_e32 v1, 31, v0
	v_lshl_add_u64 v[0:1], v[0:1], 2, v[36:37]
	global_store_dword v[2:3], v30, off
	global_store_dword v[0:1], v31, off
.LBB62_548:
	s_endpgm
	.section	.rodata,"a",@progbits
	.p2align	6, 0x0
	.amdhsa_kernel _ZN9rocsolver6v33100L18getf2_small_kernelILi32EfiiPfEEvT1_T3_lS3_lPS3_llPT2_S3_S3_S5_l
		.amdhsa_group_segment_fixed_size 0
		.amdhsa_private_segment_fixed_size 3128
		.amdhsa_kernarg_size 352
		.amdhsa_user_sgpr_count 2
		.amdhsa_user_sgpr_dispatch_ptr 0
		.amdhsa_user_sgpr_queue_ptr 0
		.amdhsa_user_sgpr_kernarg_segment_ptr 1
		.amdhsa_user_sgpr_dispatch_id 0
		.amdhsa_user_sgpr_kernarg_preload_length 0
		.amdhsa_user_sgpr_kernarg_preload_offset 0
		.amdhsa_user_sgpr_private_segment_size 0
		.amdhsa_uses_dynamic_stack 0
		.amdhsa_enable_private_segment 1
		.amdhsa_system_sgpr_workgroup_id_x 1
		.amdhsa_system_sgpr_workgroup_id_y 1
		.amdhsa_system_sgpr_workgroup_id_z 0
		.amdhsa_system_sgpr_workgroup_info 0
		.amdhsa_system_vgpr_workitem_id 1
		.amdhsa_next_free_vgpr 256
		.amdhsa_next_free_sgpr 28
		.amdhsa_accum_offset 256
		.amdhsa_reserve_vcc 1
		.amdhsa_float_round_mode_32 0
		.amdhsa_float_round_mode_16_64 0
		.amdhsa_float_denorm_mode_32 3
		.amdhsa_float_denorm_mode_16_64 3
		.amdhsa_dx10_clamp 1
		.amdhsa_ieee_mode 1
		.amdhsa_fp16_overflow 0
		.amdhsa_tg_split 0
		.amdhsa_exception_fp_ieee_invalid_op 0
		.amdhsa_exception_fp_denorm_src 0
		.amdhsa_exception_fp_ieee_div_zero 0
		.amdhsa_exception_fp_ieee_overflow 0
		.amdhsa_exception_fp_ieee_underflow 0
		.amdhsa_exception_fp_ieee_inexact 0
		.amdhsa_exception_int_div_zero 0
	.end_amdhsa_kernel
	.section	.text._ZN9rocsolver6v33100L18getf2_small_kernelILi32EfiiPfEEvT1_T3_lS3_lPS3_llPT2_S3_S3_S5_l,"axG",@progbits,_ZN9rocsolver6v33100L18getf2_small_kernelILi32EfiiPfEEvT1_T3_lS3_lPS3_llPT2_S3_S3_S5_l,comdat
.Lfunc_end62:
	.size	_ZN9rocsolver6v33100L18getf2_small_kernelILi32EfiiPfEEvT1_T3_lS3_lPS3_llPT2_S3_S3_S5_l, .Lfunc_end62-_ZN9rocsolver6v33100L18getf2_small_kernelILi32EfiiPfEEvT1_T3_lS3_lPS3_llPT2_S3_S3_S5_l
                                        ; -- End function
	.set _ZN9rocsolver6v33100L18getf2_small_kernelILi32EfiiPfEEvT1_T3_lS3_lPS3_llPT2_S3_S3_S5_l.num_vgpr, 256
	.set _ZN9rocsolver6v33100L18getf2_small_kernelILi32EfiiPfEEvT1_T3_lS3_lPS3_llPT2_S3_S3_S5_l.num_agpr, 0
	.set _ZN9rocsolver6v33100L18getf2_small_kernelILi32EfiiPfEEvT1_T3_lS3_lPS3_llPT2_S3_S3_S5_l.numbered_sgpr, 28
	.set _ZN9rocsolver6v33100L18getf2_small_kernelILi32EfiiPfEEvT1_T3_lS3_lPS3_llPT2_S3_S3_S5_l.num_named_barrier, 0
	.set _ZN9rocsolver6v33100L18getf2_small_kernelILi32EfiiPfEEvT1_T3_lS3_lPS3_llPT2_S3_S3_S5_l.private_seg_size, 3128
	.set _ZN9rocsolver6v33100L18getf2_small_kernelILi32EfiiPfEEvT1_T3_lS3_lPS3_llPT2_S3_S3_S5_l.uses_vcc, 1
	.set _ZN9rocsolver6v33100L18getf2_small_kernelILi32EfiiPfEEvT1_T3_lS3_lPS3_llPT2_S3_S3_S5_l.uses_flat_scratch, 0
	.set _ZN9rocsolver6v33100L18getf2_small_kernelILi32EfiiPfEEvT1_T3_lS3_lPS3_llPT2_S3_S3_S5_l.has_dyn_sized_stack, 0
	.set _ZN9rocsolver6v33100L18getf2_small_kernelILi32EfiiPfEEvT1_T3_lS3_lPS3_llPT2_S3_S3_S5_l.has_recursion, 0
	.set _ZN9rocsolver6v33100L18getf2_small_kernelILi32EfiiPfEEvT1_T3_lS3_lPS3_llPT2_S3_S3_S5_l.has_indirect_call, 0
	.section	.AMDGPU.csdata,"",@progbits
; Kernel info:
; codeLenInByte = 85420
; TotalNumSgprs: 34
; NumVgprs: 256
; NumAgprs: 0
; TotalNumVgprs: 256
; ScratchSize: 3128
; MemoryBound: 0
; FloatMode: 240
; IeeeMode: 1
; LDSByteSize: 0 bytes/workgroup (compile time only)
; SGPRBlocks: 4
; VGPRBlocks: 31
; NumSGPRsForWavesPerEU: 34
; NumVGPRsForWavesPerEU: 256
; AccumOffset: 256
; Occupancy: 2
; WaveLimiterHint : 0
; COMPUTE_PGM_RSRC2:SCRATCH_EN: 1
; COMPUTE_PGM_RSRC2:USER_SGPR: 2
; COMPUTE_PGM_RSRC2:TRAP_HANDLER: 0
; COMPUTE_PGM_RSRC2:TGID_X_EN: 1
; COMPUTE_PGM_RSRC2:TGID_Y_EN: 1
; COMPUTE_PGM_RSRC2:TGID_Z_EN: 0
; COMPUTE_PGM_RSRC2:TIDIG_COMP_CNT: 1
; COMPUTE_PGM_RSRC3_GFX90A:ACCUM_OFFSET: 63
; COMPUTE_PGM_RSRC3_GFX90A:TG_SPLIT: 0
	.section	.text._ZN9rocsolver6v33100L23getf2_npvt_small_kernelILi32EfiiPfEEvT1_T3_lS3_lPT2_S3_S3_,"axG",@progbits,_ZN9rocsolver6v33100L23getf2_npvt_small_kernelILi32EfiiPfEEvT1_T3_lS3_lPT2_S3_S3_,comdat
	.globl	_ZN9rocsolver6v33100L23getf2_npvt_small_kernelILi32EfiiPfEEvT1_T3_lS3_lPT2_S3_S3_ ; -- Begin function _ZN9rocsolver6v33100L23getf2_npvt_small_kernelILi32EfiiPfEEvT1_T3_lS3_lPT2_S3_S3_
	.p2align	8
	.type	_ZN9rocsolver6v33100L23getf2_npvt_small_kernelILi32EfiiPfEEvT1_T3_lS3_lPT2_S3_S3_,@function
_ZN9rocsolver6v33100L23getf2_npvt_small_kernelILi32EfiiPfEEvT1_T3_lS3_lPT2_S3_S3_: ; @_ZN9rocsolver6v33100L23getf2_npvt_small_kernelILi32EfiiPfEEvT1_T3_lS3_lPT2_S3_S3_
; %bb.0:
	s_load_dword s2, s[0:1], 0x44
	s_load_dwordx2 s[8:9], s[0:1], 0x30
	v_bfe_u32 v1, v0, 10, 10
	s_waitcnt lgkmcnt(0)
	s_lshr_b32 s10, s2, 16
	s_mul_i32 s3, s3, s10
	v_add_u32_e32 v4, s3, v1
	v_cmp_gt_i32_e32 vcc, s8, v4
	s_and_saveexec_b64 s[2:3], vcc
	s_cbranch_execz .LBB63_163
; %bb.1:
	s_load_dwordx4 s[12:15], s[0:1], 0x8
	s_load_dword s2, s[0:1], 0x18
	s_load_dwordx4 s[4:7], s[0:1], 0x20
	v_ashrrev_i32_e32 v5, 31, v4
	v_and_b32_e32 v66, 0x3ff, v0
	scratch_store_dwordx2 off, v[4:5], off offset:3388 ; 8-byte Folded Spill
	s_waitcnt lgkmcnt(0)
	v_mov_b32_e32 v2, s12
	v_mul_lo_u32 v0, s5, v4
	v_mul_lo_u32 v6, s4, v5
	v_mad_u64_u32 v[4:5], s[0:1], s4, v4, 0
	v_mov_b32_e32 v3, s13
	v_add3_u32 v5, v5, v6, v0
	v_lshl_add_u64 v[2:3], v[4:5], 2, v[2:3]
	v_lshl_add_u64 v[2:3], s[14:15], 2, v[2:3]
	v_lshlrev_b32_e32 v4, 2, v66
	v_mov_b32_e32 v5, 0
	s_add_i32 s0, s2, s2
	v_lshl_add_u64 v[6:7], v[2:3], 0, v[4:5]
	v_add_u32_e32 v4, s0, v66
	v_ashrrev_i32_e32 v5, 31, v4
	v_lshl_add_u64 v[8:9], v[4:5], 2, v[2:3]
	v_add_u32_e32 v4, s2, v4
	v_ashrrev_i32_e32 v5, 31, v4
	;; [unrolled: 3-line block ×11, first 2 shown]
	v_lshl_add_u64 v[28:29], v[4:5], 2, v[2:3]
	scratch_store_dwordx2 off, v[20:21], off offset:3176 ; 8-byte Folded Spill
	global_load_dword v149, v[20:21], off
	global_load_dword v134, v[22:23], off
	;; [unrolled: 1-line block ×3, first 2 shown]
	v_add_u32_e32 v4, s2, v4
	global_load_dword v20, v[26:27], off
	global_load_dword v21, v[28:29], off
	v_ashrrev_i32_e32 v5, 31, v4
	v_lshl_add_u64 v[30:31], v[4:5], 2, v[2:3]
	v_add_u32_e32 v4, s2, v4
	v_ashrrev_i32_e32 v5, 31, v4
	v_lshl_add_u64 v[32:33], v[4:5], 2, v[2:3]
	scratch_store_dwordx2 off, v[22:23], off offset:3184 ; 8-byte Folded Spill
	scratch_store_dwordx2 off, v[24:25], off offset:3192 ; 8-byte Folded Spill
	;; [unrolled: 1-line block ×4, first 2 shown]
	v_add_u32_e32 v4, s2, v4
	v_ashrrev_i32_e32 v5, 31, v4
	v_lshl_add_u64 v[34:35], v[4:5], 2, v[2:3]
	v_add_u32_e32 v4, s2, v4
	v_ashrrev_i32_e32 v5, 31, v4
	v_lshl_add_u64 v[36:37], v[4:5], 2, v[2:3]
	;; [unrolled: 3-line block ×15, first 2 shown]
	v_add_u32_e32 v4, s2, v4
	s_waitcnt vmcnt(4)
	scratch_store_dwordx2 off, v[20:21], off offset:1048 ; 8-byte Folded Spill
	scratch_store_dwordx2 off, v[30:31], off offset:3216 ; 8-byte Folded Spill
	global_load_dword v20, v[30:31], off
	s_nop 0
	global_load_dword v21, v[32:33], off
	v_ashrrev_i32_e32 v5, 31, v4
	scratch_store_dwordx2 off, v[32:33], off offset:3224 ; 8-byte Folded Spill
	v_lshl_add_u64 v[64:65], v[4:5], 2, v[2:3]
	v_add_u32_e32 v4, s2, v4
	v_ashrrev_i32_e32 v5, 31, v4
	v_lshl_add_u64 v[2:3], v[4:5], 2, v[2:3]
	s_ashr_i32 s3, s2, 31
	v_lshl_add_u64 v[4:5], s[2:3], 2, v[6:7]
	s_lshl_b32 s0, s10, 7
	s_add_i32 s0, s0, 0
	v_lshl_add_u32 v128, v1, 7, 0
	v_lshl_add_u32 v0, v1, 2, s0
	v_cmp_ne_u32_e64 s[2:3], 0, v66
	v_cmp_eq_u32_e64 s[0:1], 0, v66
	s_waitcnt vmcnt(1)
	scratch_store_dwordx2 off, v[20:21], off offset:784 ; 8-byte Folded Spill
	scratch_store_dwordx2 off, v[34:35], off offset:3232 ; 8-byte Folded Spill
	global_load_dword v32, v[34:35], off
	global_load_dword v33, v[36:37], off
	s_nop 0
	global_load_dword v20, v[38:39], off
	global_load_dword v21, v[40:41], off
	s_nop 0
	scratch_store_dwordx2 off, v[36:37], off offset:3240 ; 8-byte Folded Spill
	scratch_store_dwordx2 off, v[38:39], off offset:3248 ; 8-byte Folded Spill
	scratch_store_dwordx2 off, v[40:41], off offset:3256 ; 8-byte Folded Spill
	s_waitcnt vmcnt(3)
	scratch_store_dwordx2 off, v[20:21], off offset:136 ; 8-byte Folded Spill
	scratch_store_dwordx2 off, v[42:43], off offset:3264 ; 8-byte Folded Spill
	global_load_dword v30, v[42:43], off
	global_load_dword v31, v[44:45], off
	;; [unrolled: 1-line block ×12, first 2 shown]
	s_nop 0
	scratch_store_dwordx2 off, v[2:3], off offset:3360 ; 8-byte Folded Spill
	global_load_dword v3, v[2:3], off
	s_nop 0
	scratch_store_dwordx2 off, v[44:45], off offset:3272 ; 8-byte Folded Spill
	scratch_store_dwordx2 off, v[46:47], off offset:3280 ; 8-byte Folded Spill
	;; [unrolled: 1-line block ×11, first 2 shown]
	s_waitcnt vmcnt(11)
	scratch_store_dwordx2 off, v[2:3], off offset:1576 ; 8-byte Folded Spill
	scratch_store_dwordx2 off, v[4:5], off offset:3368 ; 8-byte Folded Spill
	global_load_dword v68, v[4:5], off
	global_load_dword v69, v[8:9], off
	;; [unrolled: 1-line block ×8, first 2 shown]
	s_nop 0
	scratch_store_dwordx2 off, v[8:9], off offset:3128 ; 8-byte Folded Spill
	scratch_store_dwordx2 off, v[10:11], off offset:3136 ; 8-byte Folded Spill
	;; [unrolled: 1-line block ×7, first 2 shown]
	scratch_store_dword off, v0, off offset:4 ; 4-byte Folded Spill
	scratch_store_dword off, v66, off       ; 4-byte Folded Spill
	s_and_saveexec_b64 s[4:5], s[0:1]
	s_cbranch_execz .LBB63_4
; %bb.2:
	scratch_load_dword v2, off, off offset:4 ; 4-byte Folded Reload
	s_waitcnt vmcnt(0)
	ds_write_b32 v2, v224
	ds_write2_b32 v128, v68, v69 offset0:1 offset1:2
	ds_write2_b32 v128, v154, v155 offset0:3 offset1:4
	;; [unrolled: 1-line block ×5, first 2 shown]
	scratch_load_dwordx2 v[0:1], off, off offset:1048 ; 8-byte Folded Reload
	s_waitcnt vmcnt(0)
	ds_write2_b32 v128, v0, v1 offset0:11 offset1:12
	scratch_load_dwordx2 v[0:1], off, off offset:784 ; 8-byte Folded Reload
	s_waitcnt vmcnt(0)
	ds_write2_b32 v128, v0, v1 offset0:13 offset1:14
	ds_write2_b32 v128, v32, v33 offset0:15 offset1:16
	scratch_load_dwordx2 v[0:1], off, off offset:136 ; 8-byte Folded Reload
	s_waitcnt vmcnt(0)
	ds_write2_b32 v128, v0, v1 offset0:17 offset1:18
	ds_write2_b32 v128, v30, v31 offset0:19 offset1:20
	ds_write2_b32 v128, v28, v29 offset0:21 offset1:22
	ds_write2_b32 v128, v26, v27 offset0:23 offset1:24
	ds_write2_b32 v128, v24, v25 offset0:25 offset1:26
	ds_write2_b32 v128, v22, v23 offset0:27 offset1:28
	ds_write2_b32 v128, v20, v21 offset0:29 offset1:30
	scratch_load_dwordx2 v[0:1], off, off offset:1576 ; 8-byte Folded Reload
	s_waitcnt vmcnt(0)
	ds_write_b32 v128, v1 offset:124
	ds_read_b32 v0, v2
	s_waitcnt lgkmcnt(0)
	v_cmp_neq_f32_e32 vcc, 0, v0
	s_and_b64 exec, exec, vcc
	s_cbranch_execz .LBB63_4
; %bb.3:
	v_div_scale_f32 v1, s[10:11], v0, v0, 1.0
	v_rcp_f32_e32 v2, v1
	v_div_scale_f32 v3, vcc, 1.0, v0, 1.0
	v_fma_f32 v4, -v1, v2, 1.0
	v_fmac_f32_e32 v2, v4, v2
	v_mul_f32_e32 v4, v3, v2
	v_fma_f32 v5, -v1, v4, v3
	v_fmac_f32_e32 v4, v5, v2
	v_fma_f32 v1, -v1, v4, v3
	v_div_fmas_f32 v1, v1, v2, v4
	v_div_fixup_f32 v0, v1, v0, 1.0
	scratch_load_dword v1, off, off offset:4 ; 4-byte Folded Reload
	s_waitcnt vmcnt(0)
	ds_write_b32 v1, v0
.LBB63_4:
	s_or_b64 exec, exec, s[4:5]
	s_waitcnt lgkmcnt(0)
	s_barrier
	scratch_load_dword v0, off, off offset:4 ; 4-byte Folded Reload
	s_waitcnt vmcnt(0)
	ds_read_b32 v0, v0
	s_waitcnt lgkmcnt(0)
	scratch_store_dword off, v0, off offset:3376 ; 4-byte Folded Spill
	s_and_saveexec_b64 s[4:5], s[2:3]
	s_xor_b64 s[2:3], exec, s[4:5]
	s_cbranch_execz .LBB63_6
; %bb.5:
	ds_read2_b32 v[0:1], v128 offset0:1 offset1:2
	ds_read2_b32 v[2:3], v128 offset0:3 offset1:4
	;; [unrolled: 1-line block ×3, first 2 shown]
	scratch_load_dword v6, off, off offset:3376 ; 4-byte Folded Reload
	s_waitcnt vmcnt(0)
	v_mul_f32_e32 v224, v224, v6
	ds_read2_b32 v[6:7], v128 offset0:7 offset1:8
	s_waitcnt lgkmcnt(3)
	v_pk_fma_f32 v[68:69], v[224:225], v[0:1], v[68:69] op_sel_hi:[0,1,1] neg_lo:[1,0,0] neg_hi:[1,0,0]
	s_waitcnt lgkmcnt(2)
	v_pk_fma_f32 v[154:155], v[224:225], v[2:3], v[154:155] op_sel_hi:[0,1,1] neg_lo:[1,0,0] neg_hi:[1,0,0]
	;; [unrolled: 2-line block ×3, first 2 shown]
	ds_read2_b32 v[0:1], v128 offset0:9 offset1:10
	ds_read2_b32 v[2:3], v128 offset0:11 offset1:12
	;; [unrolled: 1-line block ×3, first 2 shown]
	s_waitcnt lgkmcnt(3)
	v_pk_fma_f32 v[148:149], v[224:225], v[6:7], v[148:149] op_sel_hi:[0,1,1] neg_lo:[1,0,0] neg_hi:[1,0,0]
	ds_read2_b32 v[6:7], v128 offset0:15 offset1:16
	s_waitcnt lgkmcnt(3)
	v_pk_fma_f32 v[134:135], v[224:225], v[0:1], v[134:135] op_sel_hi:[0,1,1] neg_lo:[1,0,0] neg_hi:[1,0,0]
	scratch_load_dwordx2 v[0:1], off, off offset:1048 ; 8-byte Folded Reload
	s_waitcnt lgkmcnt(0)
	v_pk_fma_f32 v[32:33], v[224:225], v[6:7], v[32:33] op_sel_hi:[0,1,1] neg_lo:[1,0,0] neg_hi:[1,0,0]
	s_waitcnt vmcnt(0)
	v_pk_fma_f32 v[0:1], v[224:225], v[2:3], v[0:1] op_sel_hi:[0,1,1] neg_lo:[1,0,0] neg_hi:[1,0,0]
	scratch_store_dwordx2 off, v[0:1], off offset:1048 ; 8-byte Folded Spill
	scratch_load_dwordx2 v[0:1], off, off offset:784 ; 8-byte Folded Reload
	s_waitcnt vmcnt(0)
	v_pk_fma_f32 v[0:1], v[224:225], v[4:5], v[0:1] op_sel_hi:[0,1,1] neg_lo:[1,0,0] neg_hi:[1,0,0]
	scratch_store_dwordx2 off, v[0:1], off offset:784 ; 8-byte Folded Spill
	ds_read2_b32 v[0:1], v128 offset0:17 offset1:18
	ds_read2_b32 v[2:3], v128 offset0:19 offset1:20
	;; [unrolled: 1-line block ×3, first 2 shown]
	scratch_load_dwordx2 v[8:9], off, off offset:136 ; 8-byte Folded Reload
	ds_read2_b32 v[6:7], v128 offset0:23 offset1:24
	s_waitcnt lgkmcnt(2)
	v_pk_fma_f32 v[30:31], v[224:225], v[2:3], v[30:31] op_sel_hi:[0,1,1] neg_lo:[1,0,0] neg_hi:[1,0,0]
	s_waitcnt lgkmcnt(1)
	v_pk_fma_f32 v[28:29], v[224:225], v[4:5], v[28:29] op_sel_hi:[0,1,1] neg_lo:[1,0,0] neg_hi:[1,0,0]
	;; [unrolled: 2-line block ×3, first 2 shown]
	s_waitcnt vmcnt(0)
	v_pk_fma_f32 v[8:9], v[224:225], v[0:1], v[8:9] op_sel_hi:[0,1,1] neg_lo:[1,0,0] neg_hi:[1,0,0]
	scratch_store_dwordx2 off, v[8:9], off offset:136 ; 8-byte Folded Spill
	ds_read2_b32 v[0:1], v128 offset0:25 offset1:26
	ds_read2_b32 v[2:3], v128 offset0:27 offset1:28
	;; [unrolled: 1-line block ×3, first 2 shown]
	ds_read_b32 v8, v128 offset:124
	s_waitcnt lgkmcnt(3)
	v_pk_fma_f32 v[24:25], v[224:225], v[0:1], v[24:25] op_sel_hi:[0,1,1] neg_lo:[1,0,0] neg_hi:[1,0,0]
	scratch_load_dwordx2 v[0:1], off, off offset:1576 ; 8-byte Folded Reload
	s_waitcnt lgkmcnt(2)
	v_pk_fma_f32 v[22:23], v[224:225], v[2:3], v[22:23] op_sel_hi:[0,1,1] neg_lo:[1,0,0] neg_hi:[1,0,0]
	s_waitcnt lgkmcnt(1)
	v_pk_fma_f32 v[20:21], v[224:225], v[4:5], v[20:21] op_sel_hi:[0,1,1] neg_lo:[1,0,0] neg_hi:[1,0,0]
	s_waitcnt vmcnt(0) lgkmcnt(0)
	v_fma_f32 v1, -v224, v8, v1
	scratch_store_dwordx2 off, v[0:1], off offset:1576 ; 8-byte Folded Spill
.LBB63_6:
	s_or_saveexec_b64 s[2:3], s[2:3]
	v_mov_b64_e32 v[146:147], v[30:31]
	v_mov_b64_e32 v[144:145], v[28:29]
	;; [unrolled: 1-line block ×6, first 2 shown]
	s_xor_b64 exec, exec, s[2:3]
	s_or_b64 exec, exec, s[2:3]
	v_mov_b32_e32 v225, v68
	v_mov_b64_e32 v[96:97], v[224:225]
	v_mov_b64_e32 v[98:99], v[226:227]
	;; [unrolled: 1-line block ×16, first 2 shown]
	v_mov_b32_e32 v98, v69
	v_mov_b64_e32 v[4:5], v[100:101]
	v_mov_b64_e32 v[20:21], v[116:117]
	v_mov_b32_e32 v0, v96
	v_mov_b64_e32 v[6:7], v[102:103]
	v_mov_b64_e32 v[8:9], v[104:105]
	;; [unrolled: 1-line block ×12, first 2 shown]
	v_mov_b32_e32 v1, v97
	v_mov_b32_e32 v2, v98
	scratch_store_dwordx4 off, v[0:3], off offset:2992 ; 16-byte Folded Spill
	s_nop 0
	scratch_store_dwordx4 off, v[4:7], off offset:3008 ; 16-byte Folded Spill
	scratch_store_dwordx4 off, v[8:11], off offset:3024 ; 16-byte Folded Spill
	;; [unrolled: 1-line block ×7, first 2 shown]
	v_mov_b32_e32 v99, v154
	v_mov_b32_e32 v5, v101
	;; [unrolled: 1-line block ×3, first 2 shown]
	v_mov_b64_e32 v[0:1], v[96:97]
	v_mov_b32_e32 v6, v102
	v_mov_b32_e32 v7, v103
	;; [unrolled: 1-line block ×25, first 2 shown]
	v_mov_b64_e32 v[2:3], v[98:99]
	v_mov_b32_e32 v100, v155
	v_mov_b32_e32 v101, v150
	;; [unrolled: 1-line block ×12, first 2 shown]
	scratch_store_dwordx4 off, v[0:3], off offset:2864 ; 16-byte Folded Spill
	s_nop 0
	scratch_store_dwordx4 off, v[4:7], off offset:2880 ; 16-byte Folded Spill
	scratch_store_dwordx4 off, v[8:11], off offset:2896 ; 16-byte Folded Spill
	;; [unrolled: 1-line block ×7, first 2 shown]
	v_mov_b64_e32 v[6:7], v[102:103]
	v_mov_b64_e32 v[22:23], v[118:119]
	v_mov_b32_e32 v0, v96
	v_mov_b64_e32 v[8:9], v[104:105]
	v_mov_b64_e32 v[10:11], v[106:107]
	;; [unrolled: 1-line block ×11, first 2 shown]
	v_mov_b32_e32 v1, v97
	v_mov_b32_e32 v2, v98
	;; [unrolled: 1-line block ×26, first 2 shown]
	v_mov_b64_e32 v[130:131], v[136:137]
	v_mov_b32_e32 v223, v127
	scratch_store_dwordx4 off, v[0:3], off offset:2736 ; 16-byte Folded Spill
	s_nop 0
	scratch_store_dwordx4 off, v[4:7], off offset:2752 ; 16-byte Folded Spill
	scratch_store_dwordx4 off, v[8:11], off offset:2768 ; 16-byte Folded Spill
	;; [unrolled: 1-line block ×7, first 2 shown]
	v_mov_b32_e32 v7, v103
	v_mov_b32_e32 v23, v119
	v_mov_b64_e32 v[0:1], v[96:97]
	v_mov_b32_e32 v8, v104
	v_mov_b32_e32 v9, v105
	;; [unrolled: 1-line block ×23, first 2 shown]
	v_mov_b64_e32 v[2:3], v[98:99]
	v_mov_b64_e32 v[4:5], v[100:101]
	v_mov_b32_e32 v103, v148
	scratch_store_dwordx4 off, v[0:3], off offset:2608 ; 16-byte Folded Spill
	s_nop 0
	scratch_store_dwordx4 off, v[4:7], off offset:2624 ; 16-byte Folded Spill
	scratch_store_dwordx4 off, v[8:11], off offset:2640 ; 16-byte Folded Spill
	;; [unrolled: 1-line block ×7, first 2 shown]
	v_mov_b64_e32 v[8:9], v[104:105]
	v_mov_b64_e32 v[24:25], v[120:121]
	v_mov_b32_e32 v0, v96
	v_mov_b64_e32 v[10:11], v[106:107]
	v_mov_b64_e32 v[12:13], v[108:109]
	;; [unrolled: 1-line block ×10, first 2 shown]
	v_mov_b32_e32 v1, v97
	v_mov_b32_e32 v2, v98
	v_mov_b32_e32 v3, v99
	v_mov_b32_e32 v4, v100
	v_mov_b32_e32 v5, v101
	v_mov_b32_e32 v6, v102
	v_mov_b32_e32 v104, v149
	scratch_store_dwordx4 off, v[0:3], off offset:2480 ; 16-byte Folded Spill
	s_nop 0
	scratch_store_dwordx4 off, v[4:7], off offset:2496 ; 16-byte Folded Spill
	scratch_store_dwordx4 off, v[8:11], off offset:2512 ; 16-byte Folded Spill
	;; [unrolled: 1-line block ×7, first 2 shown]
	v_mov_b32_e32 v9, v105
	v_mov_b64_e32 v[0:1], v[96:97]
	v_mov_b32_e32 v25, v121
	v_mov_b32_e32 v10, v106
	v_mov_b32_e32 v11, v107
	v_mov_b32_e32 v12, v108
	v_mov_b32_e32 v13, v109
	v_mov_b32_e32 v14, v110
	v_mov_b32_e32 v15, v111
	v_mov_b32_e32 v16, v112
	v_mov_b32_e32 v17, v113
	v_mov_b32_e32 v18, v114
	v_mov_b32_e32 v19, v115
	v_mov_b32_e32 v20, v116
	v_mov_b32_e32 v21, v117
	v_mov_b32_e32 v22, v118
	v_mov_b32_e32 v23, v119
	v_mov_b32_e32 v24, v120
	v_mov_b64_e32 v[2:3], v[98:99]
	v_mov_b64_e32 v[4:5], v[100:101]
	v_mov_b64_e32 v[6:7], v[102:103]
	v_mov_b32_e32 v26, v122
	v_mov_b32_e32 v27, v123
	;; [unrolled: 1-line block ×7, first 2 shown]
	scratch_store_dwordx4 off, v[0:3], off offset:2352 ; 16-byte Folded Spill
	s_nop 0
	scratch_store_dwordx4 off, v[4:7], off offset:2368 ; 16-byte Folded Spill
	scratch_store_dwordx4 off, v[8:11], off offset:2384 ; 16-byte Folded Spill
	;; [unrolled: 1-line block ×7, first 2 shown]
	v_mov_b64_e32 v[10:11], v[106:107]
	v_mov_b32_e32 v0, v96
	v_mov_b64_e32 v[26:27], v[122:123]
	v_mov_b64_e32 v[12:13], v[108:109]
	;; [unrolled: 1-line block ×8, first 2 shown]
	v_mov_b32_e32 v1, v97
	v_mov_b32_e32 v2, v98
	;; [unrolled: 1-line block ×8, first 2 shown]
	v_mov_b64_e32 v[28:29], v[124:125]
	v_mov_b64_e32 v[30:31], v[126:127]
	v_mov_b32_e32 v106, v135
	scratch_store_dwordx4 off, v[0:3], off offset:2224 ; 16-byte Folded Spill
	s_nop 0
	scratch_store_dwordx4 off, v[4:7], off offset:2240 ; 16-byte Folded Spill
	scratch_store_dwordx4 off, v[8:11], off offset:2256 ; 16-byte Folded Spill
	;; [unrolled: 1-line block ×7, first 2 shown]
	v_mov_b32_e32 v11, v107
	v_mov_b64_e32 v[0:1], v[96:97]
	v_mov_b32_e32 v27, v123
	v_mov_b32_e32 v12, v108
	;; [unrolled: 1-line block ×16, first 2 shown]
	v_mov_b64_e32 v[2:3], v[98:99]
	v_mov_b64_e32 v[4:5], v[100:101]
	;; [unrolled: 1-line block ×4, first 2 shown]
	v_mov_b32_e32 v28, v124
	v_mov_b32_e32 v29, v125
	v_mov_b32_e32 v30, v126
	v_mov_b32_e32 v31, v127
	scratch_store_dwordx4 off, v[0:3], off offset:2096 ; 16-byte Folded Spill
	s_nop 0
	scratch_store_dwordx4 off, v[4:7], off offset:2112 ; 16-byte Folded Spill
	scratch_store_dwordx4 off, v[8:11], off offset:2128 ; 16-byte Folded Spill
	scratch_store_dwordx4 off, v[12:15], off offset:2144 ; 16-byte Folded Spill
	scratch_store_dwordx4 off, v[16:19], off offset:2160 ; 16-byte Folded Spill
	scratch_store_dwordx4 off, v[20:23], off offset:2176 ; 16-byte Folded Spill
	scratch_store_dwordx4 off, v[24:27], off offset:2192 ; 16-byte Folded Spill
	scratch_store_dwordx4 off, v[28:31], off offset:2208 ; 16-byte Folded Spill
	v_mov_b64_e32 v[12:13], v[108:109]
	v_mov_b32_e32 v0, v96
	v_mov_b64_e32 v[28:29], v[124:125]
	v_mov_b64_e32 v[14:15], v[110:111]
	;; [unrolled: 1-line block ×8, first 2 shown]
	v_mov_b32_e32 v1, v97
	v_mov_b32_e32 v2, v98
	;; [unrolled: 1-line block ×10, first 2 shown]
	v_mov_b64_e32 v[30:31], v[126:127]
	scratch_store_dwordx4 off, v[0:3], off offset:1968 ; 16-byte Folded Spill
	s_nop 0
	scratch_store_dwordx4 off, v[4:7], off offset:1984 ; 16-byte Folded Spill
	scratch_store_dwordx4 off, v[8:11], off offset:2000 ; 16-byte Folded Spill
	;; [unrolled: 1-line block ×7, first 2 shown]
	scratch_load_dwordx2 v[0:1], off, off offset:1048 ; 8-byte Folded Reload
	v_mov_b64_e32 v[14:15], v[110:111]
	v_mov_b64_e32 v[16:17], v[112:113]
	;; [unrolled: 1-line block ×9, first 2 shown]
	s_waitcnt vmcnt(0)
	v_mov_b32_e32 v107, v0
	v_mov_b64_e32 v[34:35], v[96:97]
	v_mov_b32_e32 v108, v1
	v_mov_b64_e32 v[0:1], v[96:97]
	v_mov_b64_e32 v[36:37], v[98:99]
	;; [unrolled: 1-line block ×11, first 2 shown]
	v_mov_b32_e32 v12, v108
	scratch_store_dwordx4 off, v[34:37], off offset:1840 ; 16-byte Folded Spill
	s_nop 0
	scratch_store_dwordx4 off, v[38:41], off offset:1856 ; 16-byte Folded Spill
	scratch_store_dwordx4 off, v[42:45], off offset:1872 ; 16-byte Folded Spill
	;; [unrolled: 1-line block ×8, first 2 shown]
	s_nop 0
	scratch_store_dwordx4 off, v[4:7], off offset:1728 ; 16-byte Folded Spill
	scratch_store_dwordx4 off, v[8:11], off offset:1744 ; 16-byte Folded Spill
	;; [unrolled: 1-line block ×7, first 2 shown]
	scratch_load_dwordx2 v[0:1], off, off offset:784 ; 8-byte Folded Reload
	v_mov_b32_e32 v49, v111
	v_mov_b64_e32 v[16:17], v[112:113]
	v_mov_b32_e32 v50, v112
	v_mov_b32_e32 v51, v113
	;; [unrolled: 1-line block ×16, first 2 shown]
	v_mov_b64_e32 v[18:19], v[114:115]
	v_mov_b64_e32 v[20:21], v[116:117]
	;; [unrolled: 1-line block ×7, first 2 shown]
	v_mov_b32_e32 v111, v32
	v_mov_b32_e32 v112, v33
	s_waitcnt vmcnt(0)
	v_mov_b32_e32 v109, v0
	v_mov_b32_e32 v110, v1
	v_mov_b64_e32 v[0:1], v[96:97]
	v_mov_b32_e32 v12, v108
	v_mov_b64_e32 v[46:47], v[108:109]
	v_mov_b64_e32 v[2:3], v[98:99]
	;; [unrolled: 1-line block ×6, first 2 shown]
	v_mov_b32_e32 v13, v109
	v_mov_b32_e32 v14, v110
	scratch_store_dwordx4 off, v[34:37], off offset:1584 ; 16-byte Folded Spill
	s_nop 0
	scratch_store_dwordx4 off, v[38:41], off offset:1600 ; 16-byte Folded Spill
	scratch_store_dwordx4 off, v[42:45], off offset:1616 ; 16-byte Folded Spill
	;; [unrolled: 1-line block ×8, first 2 shown]
	s_nop 0
	scratch_store_dwordx4 off, v[4:7], off offset:1464 ; 16-byte Folded Spill
	scratch_store_dwordx4 off, v[8:11], off offset:1480 ; 16-byte Folded Spill
	;; [unrolled: 1-line block ×7, first 2 shown]
	v_mov_b64_e32 v[0:1], v[96:97]
	v_mov_b32_e32 v17, v113
	v_mov_b32_e32 v29, v125
	v_mov_b64_e32 v[2:3], v[98:99]
	v_mov_b64_e32 v[4:5], v[100:101]
	;; [unrolled: 1-line block ×7, first 2 shown]
	v_mov_b32_e32 v18, v114
	v_mov_b32_e32 v19, v115
	;; [unrolled: 1-line block ×13, first 2 shown]
	scratch_store_dwordx4 off, v[0:3], off offset:1320 ; 16-byte Folded Spill
	s_nop 0
	scratch_store_dwordx4 off, v[4:7], off offset:1336 ; 16-byte Folded Spill
	scratch_store_dwordx4 off, v[8:11], off offset:1352 ; 16-byte Folded Spill
	;; [unrolled: 1-line block ×7, first 2 shown]
	scratch_store_dwordx2 off, v[32:33], off offset:1056 ; 8-byte Folded Spill
	v_mov_b64_e32 v[18:19], v[114:115]
	v_mov_b64_e32 v[20:21], v[116:117]
	v_mov_b64_e32 v[22:23], v[118:119]
	v_mov_b64_e32 v[24:25], v[120:121]
	v_mov_b64_e32 v[26:27], v[122:123]
	v_mov_b64_e32 v[28:29], v[124:125]
	v_mov_b64_e32 v[30:31], v[126:127]
	v_mov_b32_e32 v16, v33
	v_mov_b64_e32 v[206:207], v[110:111]
	v_mov_b64_e32 v[204:205], v[108:109]
	;; [unrolled: 1-line block ×8, first 2 shown]
	scratch_store_dwordx4 off, v[0:3], off offset:1192 ; 16-byte Folded Spill
	s_nop 0
	scratch_store_dwordx4 off, v[4:7], off offset:1208 ; 16-byte Folded Spill
	scratch_store_dwordx4 off, v[8:11], off offset:1224 ; 16-byte Folded Spill
	;; [unrolled: 1-line block ×7, first 2 shown]
	scratch_load_dwordx2 v[0:1], off, off offset:136 ; 8-byte Folded Reload
	v_mov_b64_e32 v[20:21], v[116:117]
	v_mov_b64_e32 v[22:23], v[118:119]
	;; [unrolled: 1-line block ×6, first 2 shown]
	s_waitcnt vmcnt(0)
	v_mov_b32_e32 v113, v0
	v_mov_b32_e32 v114, v1
	v_mov_b64_e32 v[0:1], v[96:97]
	v_mov_b32_e32 v16, v112
	v_mov_b64_e32 v[2:3], v[98:99]
	v_mov_b64_e32 v[4:5], v[100:101]
	;; [unrolled: 1-line block ×7, first 2 shown]
	v_mov_b32_e32 v17, v113
	v_mov_b32_e32 v18, v114
	scratch_store_dwordx4 off, v[0:3], off offset:1064 ; 16-byte Folded Spill
	s_nop 0
	scratch_store_dwordx4 off, v[4:7], off offset:1080 ; 16-byte Folded Spill
	scratch_store_dwordx4 off, v[8:11], off offset:1096 ; 16-byte Folded Spill
	;; [unrolled: 1-line block ×7, first 2 shown]
	v_mov_b64_e32 v[0:1], v[146:147]
	v_mov_b32_e32 v115, v0
	v_mov_b64_e32 v[2:3], v[96:97]
	v_mov_b32_e32 v23, v117
	v_mov_b64_e32 v[18:19], v[112:113]
	v_mov_b64_e32 v[4:5], v[98:99]
	;; [unrolled: 1-line block ×8, first 2 shown]
	v_mov_b32_e32 v24, v118
	v_mov_b32_e32 v25, v119
	;; [unrolled: 1-line block ×10, first 2 shown]
	v_mov_b64_e32 v[20:21], v[114:115]
	scratch_store_dwordx4 off, v[2:5], off offset:920 ; 16-byte Folded Spill
	s_nop 0
	scratch_store_dwordx4 off, v[6:9], off offset:936 ; 16-byte Folded Spill
	scratch_store_dwordx4 off, v[10:13], off offset:952 ; 16-byte Folded Spill
	;; [unrolled: 1-line block ×7, first 2 shown]
	v_mov_b32_e32 v116, v1
	v_mov_b64_e32 v[0:1], v[96:97]
	v_mov_b64_e32 v[22:23], v[118:119]
	v_mov_b32_e32 v16, v112
	v_mov_b64_e32 v[2:3], v[98:99]
	v_mov_b64_e32 v[4:5], v[100:101]
	;; [unrolled: 1-line block ×11, first 2 shown]
	v_mov_b32_e32 v17, v113
	v_mov_b32_e32 v18, v114
	;; [unrolled: 1-line block ×4, first 2 shown]
	scratch_store_dwordx4 off, v[0:3], off offset:792 ; 16-byte Folded Spill
	s_nop 0
	scratch_store_dwordx4 off, v[4:7], off offset:808 ; 16-byte Folded Spill
	scratch_store_dwordx4 off, v[8:11], off offset:824 ; 16-byte Folded Spill
	;; [unrolled: 1-line block ×7, first 2 shown]
	v_mov_b64_e32 v[0:1], v[144:145]
	v_mov_b32_e32 v117, v0
	v_mov_b64_e32 v[2:3], v[96:97]
	v_mov_b32_e32 v25, v119
	v_mov_b64_e32 v[18:19], v[112:113]
	v_mov_b64_e32 v[4:5], v[98:99]
	;; [unrolled: 1-line block ×8, first 2 shown]
	v_mov_b32_e32 v26, v120
	v_mov_b32_e32 v27, v121
	;; [unrolled: 1-line block ×8, first 2 shown]
	v_mov_b64_e32 v[20:21], v[114:115]
	v_mov_b64_e32 v[22:23], v[116:117]
	scratch_store_dwordx4 off, v[2:5], off offset:656 ; 16-byte Folded Spill
	s_nop 0
	scratch_store_dwordx4 off, v[6:9], off offset:672 ; 16-byte Folded Spill
	scratch_store_dwordx4 off, v[10:13], off offset:688 ; 16-byte Folded Spill
	;; [unrolled: 1-line block ×7, first 2 shown]
	v_mov_b32_e32 v118, v1
	v_mov_b64_e32 v[0:1], v[96:97]
	v_mov_b64_e32 v[24:25], v[120:121]
	v_mov_b32_e32 v16, v112
	v_mov_b64_e32 v[2:3], v[98:99]
	v_mov_b64_e32 v[4:5], v[100:101]
	v_mov_b64_e32 v[6:7], v[102:103]
	v_mov_b64_e32 v[8:9], v[104:105]
	v_mov_b64_e32 v[10:11], v[106:107]
	v_mov_b64_e32 v[12:13], v[108:109]
	v_mov_b64_e32 v[14:15], v[110:111]
	v_mov_b64_e32 v[26:27], v[122:123]
	v_mov_b64_e32 v[28:29], v[124:125]
	v_mov_b64_e32 v[30:31], v[126:127]
	v_mov_b32_e32 v17, v113
	v_mov_b32_e32 v18, v114
	;; [unrolled: 1-line block ×6, first 2 shown]
	scratch_store_dwordx4 off, v[0:3], off offset:528 ; 16-byte Folded Spill
	s_nop 0
	scratch_store_dwordx4 off, v[4:7], off offset:544 ; 16-byte Folded Spill
	scratch_store_dwordx4 off, v[8:11], off offset:560 ; 16-byte Folded Spill
	;; [unrolled: 1-line block ×7, first 2 shown]
	v_mov_b64_e32 v[0:1], v[142:143]
	v_mov_b32_e32 v119, v0
	v_mov_b64_e32 v[2:3], v[96:97]
	v_mov_b64_e32 v[18:19], v[112:113]
	v_mov_b32_e32 v27, v121
	v_mov_b64_e32 v[4:5], v[98:99]
	v_mov_b64_e32 v[6:7], v[100:101]
	;; [unrolled: 1-line block ×10, first 2 shown]
	v_mov_b32_e32 v28, v122
	v_mov_b32_e32 v29, v123
	;; [unrolled: 1-line block ×6, first 2 shown]
	scratch_store_dwordx4 off, v[2:5], off offset:400 ; 16-byte Folded Spill
	s_nop 0
	scratch_store_dwordx4 off, v[6:9], off offset:416 ; 16-byte Folded Spill
	scratch_store_dwordx4 off, v[10:13], off offset:432 ; 16-byte Folded Spill
	;; [unrolled: 1-line block ×7, first 2 shown]
	v_mov_b32_e32 v120, v1
	v_mov_b64_e32 v[0:1], v[96:97]
	v_mov_b32_e32 v16, v112
	v_mov_b64_e32 v[26:27], v[122:123]
	v_mov_b64_e32 v[2:3], v[98:99]
	;; [unrolled: 1-line block ×8, first 2 shown]
	v_mov_b32_e32 v17, v113
	v_mov_b32_e32 v18, v114
	;; [unrolled: 1-line block ×8, first 2 shown]
	v_mov_b64_e32 v[28:29], v[124:125]
	v_mov_b64_e32 v[30:31], v[126:127]
	scratch_store_dwordx4 off, v[0:3], off offset:272 ; 16-byte Folded Spill
	s_nop 0
	scratch_store_dwordx4 off, v[4:7], off offset:288 ; 16-byte Folded Spill
	scratch_store_dwordx4 off, v[8:11], off offset:304 ; 16-byte Folded Spill
	;; [unrolled: 1-line block ×7, first 2 shown]
	v_mov_b64_e32 v[0:1], v[140:141]
	v_mov_b32_e32 v121, v0
	v_mov_b64_e32 v[2:3], v[96:97]
	v_mov_b64_e32 v[18:19], v[112:113]
	v_mov_b32_e32 v29, v123
	v_mov_b64_e32 v[4:5], v[98:99]
	v_mov_b64_e32 v[6:7], v[100:101]
	;; [unrolled: 1-line block ×11, first 2 shown]
	v_mov_b32_e32 v30, v124
	v_mov_b32_e32 v31, v125
	;; [unrolled: 1-line block ×4, first 2 shown]
	scratch_store_dwordx4 off, v[2:5], off offset:144 ; 16-byte Folded Spill
	s_nop 0
	scratch_store_dwordx4 off, v[6:9], off offset:160 ; 16-byte Folded Spill
	scratch_store_dwordx4 off, v[10:13], off offset:176 ; 16-byte Folded Spill
	;; [unrolled: 1-line block ×7, first 2 shown]
	v_mov_b32_e32 v122, v1
	v_mov_b64_e32 v[0:1], v[96:97]
	v_mov_b32_e32 v16, v112
	v_mov_b64_e32 v[28:29], v[124:125]
	v_mov_b64_e32 v[2:3], v[98:99]
	;; [unrolled: 1-line block ×8, first 2 shown]
	v_mov_b32_e32 v17, v113
	v_mov_b32_e32 v18, v114
	;; [unrolled: 1-line block ×10, first 2 shown]
	v_mov_b64_e32 v[30:31], v[126:127]
	scratch_store_dwordx4 off, v[0:3], off offset:8 ; 16-byte Folded Spill
	s_nop 0
	scratch_store_dwordx4 off, v[4:7], off offset:24 ; 16-byte Folded Spill
	scratch_store_dwordx4 off, v[8:11], off offset:40 ; 16-byte Folded Spill
	;; [unrolled: 1-line block ×7, first 2 shown]
	v_mov_b64_e32 v[0:1], v[138:139]
	v_mov_b32_e32 v123, v0
	v_mov_b64_e32 v[32:33], v[96:97]
	v_mov_b64_e32 v[60:61], v[124:125]
	;; [unrolled: 1-line block ×16, first 2 shown]
	v_mov_b32_e32 v60, v1
	v_mov_b32_e32 v188, v1
	;; [unrolled: 1-line block ×3, first 2 shown]
	v_mov_b64_e32 v[0:1], v[32:33]
	v_mov_b64_e32 v[190:191], v[62:63]
	v_mov_b64_e32 v[2:3], v[34:35]
	v_mov_b64_e32 v[4:5], v[36:37]
	v_mov_b64_e32 v[6:7], v[38:39]
	v_mov_b64_e32 v[8:9], v[40:41]
	v_mov_b64_e32 v[10:11], v[42:43]
	v_mov_b64_e32 v[12:13], v[44:45]
	v_mov_b64_e32 v[14:15], v[46:47]
	v_mov_b64_e32 v[16:17], v[48:49]
	v_mov_b64_e32 v[18:19], v[50:51]
	v_mov_b64_e32 v[20:21], v[52:53]
	v_mov_b64_e32 v[22:23], v[54:55]
	v_mov_b64_e32 v[24:25], v[56:57]
	v_mov_b64_e32 v[26:27], v[58:59]
	v_mov_b64_e32 v[28:29], v[60:61]
	v_mov_b64_e32 v[30:31], v[62:63]
	scratch_load_dwordx2 v[62:63], off, off offset:1576 ; 8-byte Folded Reload
	s_waitcnt vmcnt(63) expcnt(7) lgkmcnt(15)
	s_barrier
	scratch_load_dword v62, off, off        ; 4-byte Folded Reload
	v_mov_b64_e32 v[174:175], v[46:47]
	v_mov_b64_e32 v[186:187], v[58:59]
	;; [unrolled: 1-line block ×15, first 2 shown]
	v_mov_b32_e32 v30, v131
	s_waitcnt vmcnt(1)
	v_mov_b32_e32 v31, v63
	s_waitcnt vmcnt(0)
	v_cmp_eq_u32_e32 vcc, 1, v62
	s_and_saveexec_b64 s[2:3], vcc
	s_cbranch_execz .LBB63_9
; %bb.7:
	scratch_load_dword v93, off, off offset:4 ; 4-byte Folded Reload
	v_mov_b32_e32 v130, v30
	s_waitcnt vmcnt(0)
	ds_write_b32 v93, v68
	ds_write2_b64 v128, v[2:3], v[4:5] offset0:1 offset1:2
	ds_write2_b64 v128, v[6:7], v[8:9] offset0:3 offset1:4
	ds_write2_b64 v128, v[10:11], v[12:13] offset0:5 offset1:6
	ds_write2_b64 v128, v[14:15], v[16:17] offset0:7 offset1:8
	ds_write2_b64 v128, v[18:19], v[20:21] offset0:9 offset1:10
	ds_write2_b64 v128, v[22:23], v[24:25] offset0:11 offset1:12
	ds_write2_b64 v128, v[26:27], v[28:29] offset0:13 offset1:14
	scratch_load_dwordx2 v[62:63], off, off offset:1576 ; 8-byte Folded Reload
	s_waitcnt vmcnt(0)
	v_mov_b32_e32 v131, v63
	ds_write_b64 v128, v[130:131] offset:120
	scratch_store_dwordx2 off, v[62:63], off offset:1576 ; 8-byte Folded Spill
	ds_read_b32 v62, v93
	s_waitcnt lgkmcnt(0)
	v_cmp_neq_f32_e32 vcc, 0, v62
	s_and_b64 exec, exec, vcc
	s_cbranch_execz .LBB63_9
; %bb.8:
	v_div_scale_f32 v63, s[4:5], v62, v62, 1.0
	v_rcp_f32_e32 v93, v63
	v_div_scale_f32 v124, vcc, 1.0, v62, 1.0
	v_fma_f32 v129, -v63, v93, 1.0
	v_fmac_f32_e32 v93, v129, v93
	v_mul_f32_e32 v129, v124, v93
	v_fma_f32 v130, -v63, v129, v124
	v_fmac_f32_e32 v129, v130, v93
	v_fma_f32 v63, -v63, v129, v124
	v_div_fmas_f32 v63, v63, v93, v129
	v_div_fixup_f32 v62, v63, v62, 1.0
	scratch_load_dword v63, off, off offset:4 ; 4-byte Folded Reload
	s_waitcnt vmcnt(0)
	ds_write_b32 v63, v62
.LBB63_9:
	s_or_b64 exec, exec, s[2:3]
	s_waitcnt lgkmcnt(0)
	s_barrier
	scratch_load_dword v62, off, off offset:4 ; 4-byte Folded Reload
	s_waitcnt vmcnt(0)
	ds_read_b32 v62, v62
	s_waitcnt lgkmcnt(0)
	scratch_store_dword off, v62, off offset:3380 ; 4-byte Folded Spill
	scratch_load_dword v62, off, off        ; 4-byte Folded Reload
	s_waitcnt vmcnt(0)
	v_cmp_lt_u32_e32 vcc, 1, v62
	s_and_saveexec_b64 s[2:3], vcc
	s_cbranch_execz .LBB63_11
; %bb.10:
	ds_read2_b64 v[32:35], v128 offset0:1 offset1:2
	ds_read2_b64 v[36:39], v128 offset0:3 offset1:4
	scratch_load_dword v0, off, off offset:3380 ; 4-byte Folded Reload
	ds_read2_b64 v[40:43], v128 offset0:5 offset1:6
	s_waitcnt vmcnt(0)
	v_mul_f32_e32 v44, v68, v0
	s_waitcnt lgkmcnt(2)
	v_pk_fma_f32 v[130:131], v[44:45], v[32:33], v[2:3] op_sel_hi:[0,1,1] neg_lo:[1,0,0] neg_hi:[1,0,0]
	ds_read2_b64 v[0:3], v128 offset0:7 offset1:8
	v_pk_fma_f32 v[132:133], v[44:45], v[34:35], v[4:5] op_sel_hi:[0,1,1] neg_lo:[1,0,0] neg_hi:[1,0,0]
	s_waitcnt lgkmcnt(2)
	v_pk_fma_f32 v[134:135], v[44:45], v[36:37], v[6:7] op_sel_hi:[0,1,1] neg_lo:[1,0,0] neg_hi:[1,0,0]
	ds_read2_b64 v[4:7], v128 offset0:9 offset1:10
	v_pk_fma_f32 v[136:137], v[44:45], v[38:39], v[8:9] op_sel_hi:[0,1,1] neg_lo:[1,0,0] neg_hi:[1,0,0]
	s_waitcnt lgkmcnt(1)
	v_pk_fma_f32 v[142:143], v[44:45], v[0:1], v[14:15] op_sel_hi:[0,1,1] neg_lo:[1,0,0] neg_hi:[1,0,0]
	v_pk_fma_f32 v[144:145], v[44:45], v[2:3], v[16:17] op_sel_hi:[0,1,1] neg_lo:[1,0,0] neg_hi:[1,0,0]
	ds_read2_b64 v[0:3], v128 offset0:13 offset1:14
	v_pk_fma_f32 v[138:139], v[44:45], v[40:41], v[10:11] op_sel_hi:[0,1,1] neg_lo:[1,0,0] neg_hi:[1,0,0]
	ds_read2_b64 v[8:11], v128 offset0:11 offset1:12
	s_waitcnt lgkmcnt(2)
	v_pk_fma_f32 v[146:147], v[44:45], v[4:5], v[18:19] op_sel_hi:[0,1,1] neg_lo:[1,0,0] neg_hi:[1,0,0]
	ds_read_b64 v[4:5], v128 offset:120
	s_waitcnt lgkmcnt(2)
	v_pk_fma_f32 v[64:65], v[44:45], v[0:1], v[26:27] op_sel_hi:[0,1,1] neg_lo:[1,0,0] neg_hi:[1,0,0]
	scratch_load_dwordx2 v[0:1], off, off offset:1576 ; 8-byte Folded Reload
	v_mov_b32_e32 v225, v44
	v_mov_b64_e32 v[96:97], v[224:225]
	v_mov_b64_e32 v[98:99], v[226:227]
	;; [unrolled: 1-line block ×4, first 2 shown]
	v_pk_fma_f32 v[140:141], v[44:45], v[42:43], v[12:13] op_sel_hi:[0,1,1] neg_lo:[1,0,0] neg_hi:[1,0,0]
	v_pk_fma_f32 v[148:149], v[44:45], v[6:7], v[20:21] op_sel_hi:[0,1,1] neg_lo:[1,0,0] neg_hi:[1,0,0]
	s_waitcnt lgkmcnt(1)
	v_pk_fma_f32 v[150:151], v[44:45], v[8:9], v[22:23] op_sel_hi:[0,1,1] neg_lo:[1,0,0] neg_hi:[1,0,0]
	v_pk_fma_f32 v[152:153], v[44:45], v[10:11], v[24:25] op_sel_hi:[0,1,1] neg_lo:[1,0,0] neg_hi:[1,0,0]
	;; [unrolled: 1-line block ×3, first 2 shown]
	v_mov_b64_e32 v[102:103], v[230:231]
	v_mov_b64_e32 v[104:105], v[232:233]
	;; [unrolled: 1-line block ×12, first 2 shown]
	v_mov_b32_e32 v98, v130
	v_mov_b32_e32 v99, v131
	;; [unrolled: 1-line block ×21, first 2 shown]
	s_waitcnt vmcnt(0)
	v_mov_b32_e32 v31, v1
	s_waitcnt lgkmcnt(0)
	v_pk_fma_f32 v[158:159], v[44:45], v[4:5], v[30:31] op_sel_hi:[0,1,1] neg_lo:[1,0,0] neg_hi:[1,0,0]
	v_mov_b64_e32 v[4:5], v[100:101]
	v_mov_b64_e32 v[20:21], v[116:117]
	v_mov_b32_e32 v0, v96
	v_mov_b64_e32 v[6:7], v[102:103]
	v_mov_b64_e32 v[8:9], v[104:105]
	;; [unrolled: 1-line block ×12, first 2 shown]
	v_mov_b32_e32 v1, v97
	v_mov_b32_e32 v2, v98
	scratch_store_dwordx4 off, v[0:3], off offset:2992 ; 16-byte Folded Spill
	s_nop 0
	scratch_store_dwordx4 off, v[4:7], off offset:3008 ; 16-byte Folded Spill
	scratch_store_dwordx4 off, v[8:11], off offset:3024 ; 16-byte Folded Spill
	;; [unrolled: 1-line block ×7, first 2 shown]
	v_mov_b32_e32 v5, v101
	v_mov_b32_e32 v21, v117
	v_mov_b64_e32 v[0:1], v[96:97]
	v_mov_b32_e32 v6, v102
	v_mov_b32_e32 v7, v103
	;; [unrolled: 1-line block ×25, first 2 shown]
	v_mov_b64_e32 v[2:3], v[98:99]
	v_mov_b32_e32 v100, v132
	v_mov_b32_e32 v101, v133
	;; [unrolled: 1-line block ×4, first 2 shown]
	scratch_store_dwordx4 off, v[0:3], off offset:2864 ; 16-byte Folded Spill
	s_nop 0
	scratch_store_dwordx4 off, v[4:7], off offset:2880 ; 16-byte Folded Spill
	scratch_store_dwordx4 off, v[8:11], off offset:2896 ; 16-byte Folded Spill
	;; [unrolled: 1-line block ×7, first 2 shown]
	v_mov_b64_e32 v[6:7], v[102:103]
	v_mov_b64_e32 v[22:23], v[118:119]
	v_mov_b32_e32 v0, v96
	v_mov_b64_e32 v[8:9], v[104:105]
	v_mov_b64_e32 v[10:11], v[106:107]
	;; [unrolled: 1-line block ×11, first 2 shown]
	v_mov_b32_e32 v1, v97
	v_mov_b32_e32 v2, v98
	v_mov_b32_e32 v3, v99
	v_mov_b32_e32 v4, v100
	v_mov_b32_e32 v102, v134
	v_mov_b32_e32 v134, v137
	scratch_store_dwordx4 off, v[0:3], off offset:2736 ; 16-byte Folded Spill
	s_nop 0
	scratch_store_dwordx4 off, v[4:7], off offset:2752 ; 16-byte Folded Spill
	scratch_store_dwordx4 off, v[8:11], off offset:2768 ; 16-byte Folded Spill
	;; [unrolled: 1-line block ×7, first 2 shown]
	v_mov_b32_e32 v7, v103
	v_mov_b32_e32 v23, v119
	v_mov_b64_e32 v[0:1], v[96:97]
	v_mov_b32_e32 v8, v104
	v_mov_b32_e32 v9, v105
	;; [unrolled: 1-line block ×23, first 2 shown]
	v_mov_b64_e32 v[2:3], v[98:99]
	v_mov_b64_e32 v[4:5], v[100:101]
	v_mov_b32_e32 v103, v135
	v_mov_b32_e32 v135, v138
	scratch_store_dwordx4 off, v[0:3], off offset:2608 ; 16-byte Folded Spill
	s_nop 0
	scratch_store_dwordx4 off, v[4:7], off offset:2624 ; 16-byte Folded Spill
	scratch_store_dwordx4 off, v[8:11], off offset:2640 ; 16-byte Folded Spill
	;; [unrolled: 1-line block ×7, first 2 shown]
	v_mov_b64_e32 v[8:9], v[104:105]
	v_mov_b64_e32 v[24:25], v[120:121]
	v_mov_b32_e32 v0, v96
	v_mov_b64_e32 v[10:11], v[106:107]
	v_mov_b64_e32 v[12:13], v[108:109]
	;; [unrolled: 1-line block ×10, first 2 shown]
	v_mov_b32_e32 v1, v97
	v_mov_b32_e32 v2, v98
	;; [unrolled: 1-line block ×8, first 2 shown]
	scratch_store_dwordx4 off, v[0:3], off offset:2480 ; 16-byte Folded Spill
	s_nop 0
	scratch_store_dwordx4 off, v[4:7], off offset:2496 ; 16-byte Folded Spill
	scratch_store_dwordx4 off, v[8:11], off offset:2512 ; 16-byte Folded Spill
	;; [unrolled: 1-line block ×7, first 2 shown]
	v_mov_b32_e32 v9, v105
	v_mov_b64_e32 v[0:1], v[96:97]
	v_mov_b32_e32 v25, v121
	v_mov_b32_e32 v10, v106
	;; [unrolled: 1-line block ×16, first 2 shown]
	v_mov_b64_e32 v[2:3], v[98:99]
	v_mov_b64_e32 v[4:5], v[100:101]
	;; [unrolled: 1-line block ×3, first 2 shown]
	v_mov_b32_e32 v26, v122
	v_mov_b32_e32 v27, v123
	;; [unrolled: 1-line block ×8, first 2 shown]
	scratch_store_dwordx4 off, v[0:3], off offset:2352 ; 16-byte Folded Spill
	s_nop 0
	scratch_store_dwordx4 off, v[4:7], off offset:2368 ; 16-byte Folded Spill
	scratch_store_dwordx4 off, v[8:11], off offset:2384 ; 16-byte Folded Spill
	;; [unrolled: 1-line block ×7, first 2 shown]
	v_mov_b64_e32 v[10:11], v[106:107]
	v_mov_b32_e32 v0, v96
	v_mov_b64_e32 v[26:27], v[122:123]
	v_mov_b64_e32 v[12:13], v[108:109]
	;; [unrolled: 1-line block ×8, first 2 shown]
	v_mov_b32_e32 v1, v97
	v_mov_b32_e32 v2, v98
	;; [unrolled: 1-line block ×8, first 2 shown]
	v_mov_b64_e32 v[28:29], v[124:125]
	v_mov_b64_e32 v[30:31], v[126:127]
	v_mov_b32_e32 v106, v138
	v_mov_b32_e32 v138, v65
	scratch_store_dwordx4 off, v[0:3], off offset:2224 ; 16-byte Folded Spill
	s_nop 0
	scratch_store_dwordx4 off, v[4:7], off offset:2240 ; 16-byte Folded Spill
	scratch_store_dwordx4 off, v[8:11], off offset:2256 ; 16-byte Folded Spill
	;; [unrolled: 1-line block ×7, first 2 shown]
	v_mov_b32_e32 v11, v107
	v_mov_b64_e32 v[0:1], v[96:97]
	v_mov_b32_e32 v27, v123
	v_mov_b32_e32 v12, v108
	;; [unrolled: 1-line block ×16, first 2 shown]
	v_mov_b64_e32 v[2:3], v[98:99]
	v_mov_b64_e32 v[4:5], v[100:101]
	;; [unrolled: 1-line block ×4, first 2 shown]
	v_mov_b32_e32 v28, v124
	v_mov_b32_e32 v29, v125
	;; [unrolled: 1-line block ×5, first 2 shown]
	scratch_store_dwordx4 off, v[0:3], off offset:2096 ; 16-byte Folded Spill
	s_nop 0
	scratch_store_dwordx4 off, v[4:7], off offset:2112 ; 16-byte Folded Spill
	scratch_store_dwordx4 off, v[8:11], off offset:2128 ; 16-byte Folded Spill
	;; [unrolled: 1-line block ×7, first 2 shown]
	v_mov_b64_e32 v[12:13], v[108:109]
	v_mov_b32_e32 v0, v96
	v_mov_b64_e32 v[28:29], v[124:125]
	v_mov_b64_e32 v[14:15], v[110:111]
	;; [unrolled: 1-line block ×8, first 2 shown]
	v_mov_b32_e32 v1, v97
	v_mov_b32_e32 v2, v98
	;; [unrolled: 1-line block ×10, first 2 shown]
	v_mov_b64_e32 v[30:31], v[126:127]
	v_mov_b32_e32 v108, v140
	scratch_store_dwordx4 off, v[0:3], off offset:1968 ; 16-byte Folded Spill
	s_nop 0
	scratch_store_dwordx4 off, v[4:7], off offset:1984 ; 16-byte Folded Spill
	scratch_store_dwordx4 off, v[8:11], off offset:2000 ; 16-byte Folded Spill
	;; [unrolled: 1-line block ×7, first 2 shown]
	v_mov_b32_e32 v13, v109
	v_mov_b64_e32 v[0:1], v[96:97]
	v_mov_b32_e32 v29, v125
	v_mov_b32_e32 v14, v110
	;; [unrolled: 1-line block ×16, first 2 shown]
	v_mov_b64_e32 v[2:3], v[98:99]
	v_mov_b64_e32 v[4:5], v[100:101]
	;; [unrolled: 1-line block ×5, first 2 shown]
	v_mov_b32_e32 v30, v126
	v_mov_b32_e32 v31, v127
	;; [unrolled: 1-line block ×3, first 2 shown]
	scratch_store_dwordx4 off, v[0:3], off offset:1840 ; 16-byte Folded Spill
	s_nop 0
	scratch_store_dwordx4 off, v[4:7], off offset:1856 ; 16-byte Folded Spill
	scratch_store_dwordx4 off, v[8:11], off offset:1872 ; 16-byte Folded Spill
	;; [unrolled: 1-line block ×7, first 2 shown]
	v_mov_b64_e32 v[14:15], v[110:111]
	v_mov_b64_e32 v[16:17], v[112:113]
	v_mov_b64_e32 v[18:19], v[114:115]
	v_mov_b64_e32 v[20:21], v[116:117]
	v_mov_b64_e32 v[22:23], v[118:119]
	v_mov_b64_e32 v[24:25], v[120:121]
	v_mov_b64_e32 v[26:27], v[122:123]
	v_mov_b64_e32 v[28:29], v[124:125]
	v_mov_b64_e32 v[30:31], v[126:127]
	v_mov_b32_e32 v12, v140
	v_mov_b32_e32 v110, v142
	scratch_store_dwordx4 off, v[0:3], off offset:1712 ; 16-byte Folded Spill
	s_nop 0
	scratch_store_dwordx4 off, v[4:7], off offset:1728 ; 16-byte Folded Spill
	scratch_store_dwordx4 off, v[8:11], off offset:1744 ; 16-byte Folded Spill
	;; [unrolled: 1-line block ×7, first 2 shown]
	v_mov_b32_e32 v15, v111
	v_mov_b32_e32 v16, v112
	;; [unrolled: 1-line block ×16, first 2 shown]
	v_mov_b64_e32 v[12:13], v[108:109]
	v_mov_b32_e32 v31, v127
	v_mov_b32_e32 v111, v143
	v_mov_b64_e32 v[206:207], v[110:111]
	v_mov_b64_e32 v[204:205], v[108:109]
	;; [unrolled: 1-line block ×8, first 2 shown]
	scratch_store_dwordx4 off, v[0:3], off offset:1584 ; 16-byte Folded Spill
	s_nop 0
	scratch_store_dwordx4 off, v[4:7], off offset:1600 ; 16-byte Folded Spill
	scratch_store_dwordx4 off, v[8:11], off offset:1616 ; 16-byte Folded Spill
	;; [unrolled: 1-line block ×7, first 2 shown]
	v_mov_b64_e32 v[16:17], v[112:113]
	v_mov_b32_e32 v12, v108
	v_mov_b64_e32 v[18:19], v[114:115]
	v_mov_b64_e32 v[20:21], v[116:117]
	;; [unrolled: 1-line block ×7, first 2 shown]
	v_mov_b32_e32 v13, v109
	v_mov_b32_e32 v14, v110
	;; [unrolled: 1-line block ×3, first 2 shown]
	scratch_store_dwordx4 off, v[0:3], off offset:1448 ; 16-byte Folded Spill
	s_nop 0
	scratch_store_dwordx4 off, v[4:7], off offset:1464 ; 16-byte Folded Spill
	scratch_store_dwordx4 off, v[8:11], off offset:1480 ; 16-byte Folded Spill
	scratch_store_dwordx4 off, v[12:15], off offset:1496 ; 16-byte Folded Spill
	scratch_store_dwordx4 off, v[16:19], off offset:1512 ; 16-byte Folded Spill
	scratch_store_dwordx4 off, v[20:23], off offset:1528 ; 16-byte Folded Spill
	scratch_store_dwordx4 off, v[24:27], off offset:1544 ; 16-byte Folded Spill
	scratch_store_dwordx4 off, v[28:31], off offset:1560 ; 16-byte Folded Spill
	v_mov_b64_e32 v[0:1], v[96:97]
	v_mov_b32_e32 v17, v113
	v_mov_b32_e32 v29, v125
	v_mov_b64_e32 v[2:3], v[98:99]
	v_mov_b64_e32 v[4:5], v[100:101]
	;; [unrolled: 1-line block ×7, first 2 shown]
	v_mov_b32_e32 v18, v114
	v_mov_b32_e32 v19, v115
	;; [unrolled: 1-line block ×14, first 2 shown]
	v_mov_b64_e32 v[208:209], v[112:113]
	scratch_store_dwordx4 off, v[0:3], off offset:1320 ; 16-byte Folded Spill
	s_nop 0
	scratch_store_dwordx4 off, v[4:7], off offset:1336 ; 16-byte Folded Spill
	scratch_store_dwordx4 off, v[8:11], off offset:1352 ; 16-byte Folded Spill
	;; [unrolled: 1-line block ×7, first 2 shown]
	v_mov_b64_e32 v[18:19], v[114:115]
	v_mov_b64_e32 v[20:21], v[116:117]
	;; [unrolled: 1-line block ×7, first 2 shown]
	v_mov_b32_e32 v16, v144
	v_mov_b32_e32 v114, v146
	;; [unrolled: 1-line block ×3, first 2 shown]
	scratch_store_dwordx4 off, v[0:3], off offset:1192 ; 16-byte Folded Spill
	s_nop 0
	scratch_store_dwordx4 off, v[4:7], off offset:1208 ; 16-byte Folded Spill
	scratch_store_dwordx4 off, v[8:11], off offset:1224 ; 16-byte Folded Spill
	;; [unrolled: 1-line block ×7, first 2 shown]
	v_mov_b64_e32 v[20:21], v[116:117]
	v_mov_b32_e32 v16, v112
	v_mov_b64_e32 v[22:23], v[118:119]
	v_mov_b64_e32 v[24:25], v[120:121]
	;; [unrolled: 1-line block ×5, first 2 shown]
	v_mov_b32_e32 v17, v113
	v_mov_b32_e32 v18, v114
	;; [unrolled: 1-line block ×3, first 2 shown]
	scratch_store_dwordx4 off, v[0:3], off offset:1064 ; 16-byte Folded Spill
	s_nop 0
	scratch_store_dwordx4 off, v[4:7], off offset:1080 ; 16-byte Folded Spill
	scratch_store_dwordx4 off, v[8:11], off offset:1096 ; 16-byte Folded Spill
	;; [unrolled: 1-line block ×7, first 2 shown]
	v_mov_b32_e32 v21, v117
	v_mov_b64_e32 v[16:17], v[112:113]
	v_mov_b32_e32 v22, v118
	v_mov_b32_e32 v23, v119
	;; [unrolled: 1-line block ×10, first 2 shown]
	v_mov_b64_e32 v[18:19], v[114:115]
	v_mov_b32_e32 v117, v149
	scratch_store_dwordx4 off, v[0:3], off offset:920 ; 16-byte Folded Spill
	s_nop 0
	scratch_store_dwordx4 off, v[4:7], off offset:936 ; 16-byte Folded Spill
	scratch_store_dwordx4 off, v[8:11], off offset:952 ; 16-byte Folded Spill
	;; [unrolled: 1-line block ×7, first 2 shown]
	v_mov_b64_e32 v[22:23], v[118:119]
	v_mov_b32_e32 v16, v112
	v_mov_b64_e32 v[24:25], v[120:121]
	v_mov_b64_e32 v[26:27], v[122:123]
	;; [unrolled: 1-line block ×4, first 2 shown]
	v_mov_b32_e32 v17, v113
	v_mov_b32_e32 v18, v114
	;; [unrolled: 1-line block ×5, first 2 shown]
	scratch_store_dwordx4 off, v[0:3], off offset:792 ; 16-byte Folded Spill
	s_nop 0
	scratch_store_dwordx4 off, v[4:7], off offset:808 ; 16-byte Folded Spill
	scratch_store_dwordx4 off, v[8:11], off offset:824 ; 16-byte Folded Spill
	;; [unrolled: 1-line block ×7, first 2 shown]
	v_mov_b32_e32 v23, v119
	v_mov_b64_e32 v[16:17], v[112:113]
	v_mov_b32_e32 v24, v120
	v_mov_b32_e32 v25, v121
	;; [unrolled: 1-line block ×8, first 2 shown]
	v_mov_b64_e32 v[18:19], v[114:115]
	v_mov_b64_e32 v[20:21], v[116:117]
	v_mov_b32_e32 v119, v151
	scratch_store_dwordx4 off, v[0:3], off offset:656 ; 16-byte Folded Spill
	s_nop 0
	scratch_store_dwordx4 off, v[4:7], off offset:672 ; 16-byte Folded Spill
	scratch_store_dwordx4 off, v[8:11], off offset:688 ; 16-byte Folded Spill
	;; [unrolled: 1-line block ×7, first 2 shown]
	s_nop 0
	v_mov_b64_e32 v[24:25], v[120:121]
	v_mov_b32_e32 v16, v112
	v_mov_b64_e32 v[26:27], v[122:123]
	v_mov_b64_e32 v[28:29], v[124:125]
	;; [unrolled: 1-line block ×3, first 2 shown]
	v_mov_b32_e32 v17, v113
	v_mov_b32_e32 v18, v114
	;; [unrolled: 1-line block ×7, first 2 shown]
	scratch_store_dwordx4 off, v[0:3], off offset:528 ; 16-byte Folded Spill
	s_nop 0
	scratch_store_dwordx4 off, v[4:7], off offset:544 ; 16-byte Folded Spill
	scratch_store_dwordx4 off, v[8:11], off offset:560 ; 16-byte Folded Spill
	;; [unrolled: 1-line block ×7, first 2 shown]
	v_mov_b64_e32 v[16:17], v[112:113]
	v_mov_b32_e32 v25, v121
	v_mov_b64_e32 v[18:19], v[114:115]
	v_mov_b64_e32 v[20:21], v[116:117]
	v_mov_b64_e32 v[22:23], v[118:119]
	v_mov_b32_e32 v26, v122
	v_mov_b32_e32 v27, v123
	;; [unrolled: 1-line block ×7, first 2 shown]
	scratch_store_dwordx4 off, v[0:3], off offset:400 ; 16-byte Folded Spill
	s_nop 0
	scratch_store_dwordx4 off, v[4:7], off offset:416 ; 16-byte Folded Spill
	scratch_store_dwordx4 off, v[8:11], off offset:432 ; 16-byte Folded Spill
	;; [unrolled: 1-line block ×7, first 2 shown]
	v_mov_b32_e32 v16, v112
	v_mov_b64_e32 v[26:27], v[122:123]
	v_mov_b32_e32 v17, v113
	v_mov_b32_e32 v18, v114
	v_mov_b32_e32 v19, v115
	v_mov_b32_e32 v20, v116
	v_mov_b32_e32 v21, v117
	v_mov_b32_e32 v22, v118
	v_mov_b32_e32 v23, v119
	v_mov_b32_e32 v24, v120
	v_mov_b64_e32 v[28:29], v[124:125]
	v_mov_b64_e32 v[30:31], v[126:127]
	v_mov_b32_e32 v122, v64
	scratch_store_dwordx4 off, v[0:3], off offset:272 ; 16-byte Folded Spill
	s_nop 0
	scratch_store_dwordx4 off, v[4:7], off offset:288 ; 16-byte Folded Spill
	scratch_store_dwordx4 off, v[8:11], off offset:304 ; 16-byte Folded Spill
	;; [unrolled: 1-line block ×7, first 2 shown]
	v_mov_b64_e32 v[16:17], v[112:113]
	v_mov_b32_e32 v27, v123
	v_mov_b64_e32 v[18:19], v[114:115]
	v_mov_b64_e32 v[20:21], v[116:117]
	;; [unrolled: 1-line block ×4, first 2 shown]
	v_mov_b32_e32 v28, v124
	v_mov_b32_e32 v29, v125
	;; [unrolled: 1-line block ×5, first 2 shown]
	v_mov_b64_e32 v[32:33], v[96:97]
	v_mov_b64_e32 v[60:61], v[124:125]
	;; [unrolled: 1-line block ×16, first 2 shown]
	v_mov_b32_e32 v60, v156
	v_mov_b32_e32 v61, v157
	v_mov_b64_e32 v[190:191], v[62:63]
	v_mov_b64_e32 v[174:175], v[46:47]
	;; [unrolled: 1-line block ×15, first 2 shown]
	scratch_store_dwordx4 off, v[0:3], off offset:144 ; 16-byte Folded Spill
	s_nop 0
	scratch_store_dwordx4 off, v[4:7], off offset:160 ; 16-byte Folded Spill
	scratch_store_dwordx4 off, v[8:11], off offset:176 ; 16-byte Folded Spill
	;; [unrolled: 1-line block ×7, first 2 shown]
	v_mov_b32_e32 v16, v112
	s_nop 0
	v_mov_b64_e32 v[28:29], v[124:125]
	v_mov_b32_e32 v17, v113
	v_mov_b32_e32 v18, v114
	;; [unrolled: 1-line block ×10, first 2 shown]
	v_mov_b64_e32 v[30:31], v[126:127]
	scratch_store_dwordx4 off, v[0:3], off offset:8 ; 16-byte Folded Spill
	s_nop 0
	scratch_store_dwordx4 off, v[4:7], off offset:24 ; 16-byte Folded Spill
	scratch_store_dwordx4 off, v[8:11], off offset:40 ; 16-byte Folded Spill
	;; [unrolled: 1-line block ×7, first 2 shown]
	v_mov_b64_e32 v[0:1], v[32:33]
	v_mov_b64_e32 v[2:3], v[34:35]
	;; [unrolled: 1-line block ×16, first 2 shown]
	v_mov_b32_e32 v62, v139
	v_mov_b32_e32 v63, v140
	scratch_store_dwordx2 off, v[62:63], off offset:1048 ; 8-byte Folded Spill
	v_mov_b32_e32 v62, v141
	v_mov_b32_e32 v63, v142
	scratch_store_dwordx2 off, v[62:63], off offset:784 ; 8-byte Folded Spill
	v_mov_b32_e32 v62, v143
	v_mov_b32_e32 v63, v144
	;; [unrolled: 1-line block ×4, first 2 shown]
	scratch_store_dwordx2 off, v[62:63], off offset:1056 ; 8-byte Folded Spill
	v_mov_b32_e32 v62, v145
	v_mov_b32_e32 v63, v146
	;; [unrolled: 1-line block ×9, first 2 shown]
	v_mov_b64_e32 v[150:151], v[132:133]
	v_mov_b64_e32 v[148:149], v[130:131]
	v_mov_b32_e32 v141, v64
	v_mov_b32_e32 v139, v156
	scratch_store_dwordx2 off, v[62:63], off offset:136 ; 8-byte Folded Spill
	scratch_store_dwordx2 off, v[158:159], off offset:1576 ; 8-byte Folded Spill
.LBB63_11:
	s_or_b64 exec, exec, s[2:3]
	s_waitcnt vmcnt(63) expcnt(7) lgkmcnt(15)
	s_barrier
	scratch_load_dword v62, off, off        ; 4-byte Folded Reload
	s_waitcnt vmcnt(0)
	v_cmp_eq_u32_e32 vcc, 2, v62
	s_and_saveexec_b64 s[2:3], vcc
	s_cbranch_execz .LBB63_14
; %bb.12:
	scratch_load_dword v93, off, off offset:4 ; 4-byte Folded Reload
	s_waitcnt vmcnt(0)
	ds_write_b32 v93, v69
	ds_write2_b32 v128, v3, v4 offset0:3 offset1:4
	ds_write2_b32 v128, v5, v6 offset0:5 offset1:6
	;; [unrolled: 1-line block ×14, first 2 shown]
	scratch_load_dwordx2 v[62:63], off, off offset:1576 ; 8-byte Folded Reload
	s_waitcnt vmcnt(0)
	ds_write_b32 v128, v63 offset:124
	ds_read_b32 v62, v93
	s_waitcnt lgkmcnt(0)
	v_cmp_neq_f32_e32 vcc, 0, v62
	s_and_b64 exec, exec, vcc
	s_cbranch_execz .LBB63_14
; %bb.13:
	v_div_scale_f32 v63, s[4:5], v62, v62, 1.0
	v_rcp_f32_e32 v93, v63
	v_div_scale_f32 v124, vcc, 1.0, v62, 1.0
	v_fma_f32 v130, -v63, v93, 1.0
	v_fmac_f32_e32 v93, v130, v93
	v_mul_f32_e32 v130, v124, v93
	v_fma_f32 v131, -v63, v130, v124
	v_fmac_f32_e32 v130, v131, v93
	v_fma_f32 v63, -v63, v130, v124
	v_div_fmas_f32 v63, v63, v93, v130
	v_div_fixup_f32 v62, v63, v62, 1.0
	scratch_load_dword v63, off, off offset:4 ; 4-byte Folded Reload
	s_waitcnt vmcnt(0)
	ds_write_b32 v63, v62
.LBB63_14:
	s_or_b64 exec, exec, s[2:3]
	s_waitcnt lgkmcnt(0)
	s_barrier
	scratch_load_dword v62, off, off offset:4 ; 4-byte Folded Reload
	s_waitcnt vmcnt(0)
	ds_read_b32 v62, v62
	s_waitcnt lgkmcnt(0)
	scratch_store_dword off, v62, off offset:3384 ; 4-byte Folded Spill
	scratch_load_dword v62, off, off        ; 4-byte Folded Reload
	s_waitcnt vmcnt(0)
	v_cmp_lt_u32_e32 vcc, 2, v62
	s_and_saveexec_b64 s[2:3], vcc
	s_cbranch_execz .LBB63_16
; %bb.15:
	scratch_load_dword v0, off, off offset:3384 ; 4-byte Folded Reload
	v_mov_b32_e32 v2, v3
	v_mov_b32_e32 v3, v4
	s_waitcnt vmcnt(0)
	v_mul_f32_e32 v226, v69, v0
	ds_read2_b32 v[0:1], v128 offset0:3 offset1:4
	ds_read2_b32 v[32:33], v128 offset0:5 offset1:6
	ds_read2_b32 v[34:35], v128 offset0:7 offset1:8
	ds_read2_b32 v[36:37], v128 offset0:9 offset1:10
	v_mov_b64_e32 v[96:97], v[224:225]
	v_mov_b64_e32 v[98:99], v[226:227]
	;; [unrolled: 1-line block ×3, first 2 shown]
	s_waitcnt lgkmcnt(3)
	v_pk_fma_f32 v[154:155], v[226:227], v[0:1], v[2:3] op_sel_hi:[0,1,1] neg_lo:[1,0,0] neg_hi:[1,0,0]
	v_mov_b32_e32 v0, v5
	v_mov_b32_e32 v1, v6
	s_waitcnt lgkmcnt(2)
	v_pk_fma_f32 v[150:151], v[226:227], v[32:33], v[0:1] op_sel_hi:[0,1,1] neg_lo:[1,0,0] neg_hi:[1,0,0]
	v_mov_b32_e32 v0, v7
	v_mov_b32_e32 v1, v8
	;; [unrolled: 4-line block ×3, first 2 shown]
	s_waitcnt lgkmcnt(0)
	v_pk_fma_f32 v[134:135], v[226:227], v[36:37], v[0:1] op_sel_hi:[0,1,1] neg_lo:[1,0,0] neg_hi:[1,0,0]
	ds_read2_b32 v[0:1], v128 offset0:11 offset1:12
	ds_read2_b32 v[4:5], v128 offset0:13 offset1:14
	;; [unrolled: 1-line block ×4, first 2 shown]
	v_mov_b32_e32 v2, v11
	v_mov_b32_e32 v3, v12
	v_mov_b64_e32 v[116:117], v[244:245]
	s_waitcnt lgkmcnt(3)
	v_pk_fma_f32 v[36:37], v[226:227], v[0:1], v[2:3] op_sel_hi:[0,1,1] neg_lo:[1,0,0] neg_hi:[1,0,0]
	v_mov_b32_e32 v0, v13
	v_mov_b32_e32 v1, v14
	s_waitcnt lgkmcnt(2)
	v_pk_fma_f32 v[34:35], v[226:227], v[4:5], v[0:1] op_sel_hi:[0,1,1] neg_lo:[1,0,0] neg_hi:[1,0,0]
	v_mov_b32_e32 v0, v15
	v_mov_b32_e32 v1, v16
	;; [unrolled: 4-line block ×3, first 2 shown]
	s_waitcnt lgkmcnt(0)
	v_pk_fma_f32 v[16:17], v[226:227], v[8:9], v[0:1] op_sel_hi:[0,1,1] neg_lo:[1,0,0] neg_hi:[1,0,0]
	ds_read2_b32 v[0:1], v128 offset0:19 offset1:20
	ds_read2_b32 v[4:5], v128 offset0:21 offset1:22
	;; [unrolled: 1-line block ×4, first 2 shown]
	v_mov_b32_e32 v2, v19
	v_mov_b32_e32 v3, v20
	v_mov_b64_e32 v[102:103], v[230:231]
	s_waitcnt lgkmcnt(3)
	v_pk_fma_f32 v[14:15], v[226:227], v[0:1], v[2:3] op_sel_hi:[0,1,1] neg_lo:[1,0,0] neg_hi:[1,0,0]
	v_mov_b32_e32 v0, v21
	v_mov_b32_e32 v1, v22
	s_waitcnt lgkmcnt(2)
	v_pk_fma_f32 v[12:13], v[226:227], v[4:5], v[0:1] op_sel_hi:[0,1,1] neg_lo:[1,0,0] neg_hi:[1,0,0]
	v_mov_b32_e32 v0, v23
	v_mov_b32_e32 v1, v24
	;; [unrolled: 4-line block ×3, first 2 shown]
	s_waitcnt lgkmcnt(0)
	v_pk_fma_f32 v[8:9], v[226:227], v[8:9], v[0:1] op_sel_hi:[0,1,1] neg_lo:[1,0,0] neg_hi:[1,0,0]
	ds_read2_b32 v[0:1], v128 offset0:27 offset1:28
	ds_read2_b32 v[4:5], v128 offset0:29 offset1:30
	ds_read_b32 v6, v128 offset:124
	v_mov_b32_e32 v2, v27
	v_mov_b32_e32 v3, v28
	v_mov_b64_e32 v[104:105], v[232:233]
	v_mov_b64_e32 v[106:107], v[234:235]
	;; [unrolled: 1-line block ×11, first 2 shown]
	v_mov_b32_e32 v99, v154
	v_mov_b32_e32 v43, v101
	;; [unrolled: 1-line block ×3, first 2 shown]
	v_mov_b64_e32 v[38:39], v[96:97]
	s_waitcnt lgkmcnt(2)
	v_pk_fma_f32 v[2:3], v[226:227], v[0:1], v[2:3] op_sel_hi:[0,1,1] neg_lo:[1,0,0] neg_hi:[1,0,0]
	v_mov_b32_e32 v0, v29
	v_mov_b32_e32 v1, v30
	;; [unrolled: 1-line block ×27, first 2 shown]
	v_mov_b64_e32 v[40:41], v[98:99]
	s_waitcnt lgkmcnt(1)
	v_pk_fma_f32 v[132:133], v[226:227], v[4:5], v[0:1] op_sel_hi:[0,1,1] neg_lo:[1,0,0] neg_hi:[1,0,0]
	scratch_load_dwordx2 v[0:1], off, off offset:1576 ; 8-byte Folded Reload
	s_nop 0
	scratch_store_dwordx4 off, v[38:41], off offset:2864 ; 16-byte Folded Spill
	s_nop 0
	scratch_store_dwordx4 off, v[42:45], off offset:2880 ; 16-byte Folded Spill
	scratch_store_dwordx4 off, v[46:49], off offset:2896 ; 16-byte Folded Spill
	;; [unrolled: 1-line block ×7, first 2 shown]
	v_mov_b32_e32 v100, v155
	v_mov_b64_e32 v[44:45], v[102:103]
	v_mov_b64_e32 v[60:61], v[118:119]
	v_mov_b32_e32 v38, v96
	v_mov_b64_e32 v[46:47], v[104:105]
	v_mov_b64_e32 v[48:49], v[106:107]
	v_mov_b64_e32 v[50:51], v[108:109]
	v_mov_b64_e32 v[52:53], v[110:111]
	v_mov_b64_e32 v[54:55], v[112:113]
	v_mov_b64_e32 v[56:57], v[114:115]
	v_mov_b64_e32 v[58:59], v[116:117]
	v_mov_b64_e32 v[62:63], v[120:121]
	v_mov_b64_e32 v[64:65], v[122:123]
	v_mov_b64_e32 v[66:67], v[124:125]
	v_mov_b64_e32 v[68:69], v[126:127]
	v_mov_b32_e32 v39, v97
	v_mov_b32_e32 v40, v98
	;; [unrolled: 1-line block ×4, first 2 shown]
	scratch_store_dwordx4 off, v[38:41], off offset:2736 ; 16-byte Folded Spill
	s_nop 0
	scratch_store_dwordx4 off, v[42:45], off offset:2752 ; 16-byte Folded Spill
	scratch_store_dwordx4 off, v[46:49], off offset:2768 ; 16-byte Folded Spill
	;; [unrolled: 1-line block ×7, first 2 shown]
	v_mov_b32_e32 v101, v150
	v_mov_b32_e32 v45, v103
	;; [unrolled: 1-line block ×3, first 2 shown]
	v_mov_b64_e32 v[38:39], v[96:97]
	v_mov_b32_e32 v46, v104
	v_mov_b32_e32 v47, v105
	;; [unrolled: 1-line block ×23, first 2 shown]
	v_mov_b64_e32 v[40:41], v[98:99]
	v_mov_b64_e32 v[42:43], v[100:101]
	scratch_store_dwordx4 off, v[38:41], off offset:2608 ; 16-byte Folded Spill
	s_nop 0
	scratch_store_dwordx4 off, v[42:45], off offset:2624 ; 16-byte Folded Spill
	scratch_store_dwordx4 off, v[46:49], off offset:2640 ; 16-byte Folded Spill
	;; [unrolled: 1-line block ×7, first 2 shown]
	v_mov_b32_e32 v102, v151
	v_mov_b64_e32 v[46:47], v[104:105]
	v_mov_b64_e32 v[62:63], v[120:121]
	v_mov_b32_e32 v38, v96
	v_mov_b64_e32 v[48:49], v[106:107]
	v_mov_b64_e32 v[50:51], v[108:109]
	;; [unrolled: 1-line block ×10, first 2 shown]
	v_mov_b32_e32 v39, v97
	v_mov_b32_e32 v40, v98
	;; [unrolled: 1-line block ×6, first 2 shown]
	scratch_store_dwordx4 off, v[38:41], off offset:2480 ; 16-byte Folded Spill
	s_nop 0
	scratch_store_dwordx4 off, v[42:45], off offset:2496 ; 16-byte Folded Spill
	scratch_store_dwordx4 off, v[46:49], off offset:2512 ; 16-byte Folded Spill
	;; [unrolled: 1-line block ×7, first 2 shown]
	v_mov_b32_e32 v103, v148
	v_mov_b32_e32 v47, v105
	v_mov_b64_e32 v[38:39], v[96:97]
	v_mov_b32_e32 v63, v121
	v_mov_b32_e32 v48, v106
	;; [unrolled: 1-line block ×16, first 2 shown]
	v_mov_b64_e32 v[40:41], v[98:99]
	v_mov_b64_e32 v[42:43], v[100:101]
	;; [unrolled: 1-line block ×3, first 2 shown]
	v_mov_b32_e32 v64, v122
	v_mov_b32_e32 v65, v123
	v_mov_b32_e32 v66, v124
	v_mov_b32_e32 v67, v125
	v_mov_b32_e32 v68, v126
	v_mov_b32_e32 v69, v127
	scratch_store_dwordx4 off, v[38:41], off offset:2352 ; 16-byte Folded Spill
	s_nop 0
	scratch_store_dwordx4 off, v[42:45], off offset:2368 ; 16-byte Folded Spill
	scratch_store_dwordx4 off, v[46:49], off offset:2384 ; 16-byte Folded Spill
	scratch_store_dwordx4 off, v[50:53], off offset:2400 ; 16-byte Folded Spill
	scratch_store_dwordx4 off, v[54:57], off offset:2416 ; 16-byte Folded Spill
	scratch_store_dwordx4 off, v[58:61], off offset:2432 ; 16-byte Folded Spill
	scratch_store_dwordx4 off, v[62:65], off offset:2448 ; 16-byte Folded Spill
	scratch_store_dwordx4 off, v[66:69], off offset:2464 ; 16-byte Folded Spill
	v_mov_b32_e32 v104, v149
	v_mov_b64_e32 v[48:49], v[106:107]
	v_mov_b32_e32 v38, v96
	v_mov_b64_e32 v[64:65], v[122:123]
	v_mov_b64_e32 v[50:51], v[108:109]
	;; [unrolled: 1-line block ×8, first 2 shown]
	v_mov_b32_e32 v39, v97
	v_mov_b32_e32 v40, v98
	;; [unrolled: 1-line block ×8, first 2 shown]
	v_mov_b64_e32 v[66:67], v[124:125]
	v_mov_b64_e32 v[68:69], v[126:127]
	scratch_store_dwordx4 off, v[38:41], off offset:2224 ; 16-byte Folded Spill
	s_nop 0
	scratch_store_dwordx4 off, v[42:45], off offset:2240 ; 16-byte Folded Spill
	scratch_store_dwordx4 off, v[46:49], off offset:2256 ; 16-byte Folded Spill
	;; [unrolled: 1-line block ×7, first 2 shown]
	v_mov_b32_e32 v105, v134
	v_mov_b32_e32 v49, v107
	v_mov_b64_e32 v[38:39], v[96:97]
	v_mov_b32_e32 v65, v123
	v_mov_b32_e32 v50, v108
	;; [unrolled: 1-line block ×16, first 2 shown]
	v_mov_b64_e32 v[40:41], v[98:99]
	v_mov_b64_e32 v[42:43], v[100:101]
	;; [unrolled: 1-line block ×4, first 2 shown]
	v_mov_b32_e32 v66, v124
	v_mov_b32_e32 v67, v125
	;; [unrolled: 1-line block ×4, first 2 shown]
	scratch_store_dwordx4 off, v[38:41], off offset:2096 ; 16-byte Folded Spill
	s_nop 0
	scratch_store_dwordx4 off, v[42:45], off offset:2112 ; 16-byte Folded Spill
	scratch_store_dwordx4 off, v[46:49], off offset:2128 ; 16-byte Folded Spill
	;; [unrolled: 1-line block ×7, first 2 shown]
	v_mov_b32_e32 v106, v135
	v_mov_b64_e32 v[50:51], v[108:109]
	v_mov_b32_e32 v38, v96
	v_mov_b64_e32 v[66:67], v[124:125]
	v_mov_b64_e32 v[52:53], v[110:111]
	;; [unrolled: 1-line block ×8, first 2 shown]
	v_mov_b32_e32 v39, v97
	v_mov_b32_e32 v40, v98
	;; [unrolled: 1-line block ×10, first 2 shown]
	v_mov_b64_e32 v[68:69], v[126:127]
	scratch_store_dwordx4 off, v[38:41], off offset:1968 ; 16-byte Folded Spill
	s_nop 0
	scratch_store_dwordx4 off, v[42:45], off offset:1984 ; 16-byte Folded Spill
	scratch_store_dwordx4 off, v[46:49], off offset:2000 ; 16-byte Folded Spill
	;; [unrolled: 1-line block ×7, first 2 shown]
	v_mov_b32_e32 v107, v36
	v_mov_b32_e32 v51, v109
	v_mov_b64_e32 v[38:39], v[96:97]
	v_mov_b32_e32 v67, v125
	v_mov_b32_e32 v52, v110
	v_mov_b32_e32 v53, v111
	v_mov_b32_e32 v54, v112
	v_mov_b32_e32 v55, v113
	v_mov_b32_e32 v56, v114
	v_mov_b32_e32 v57, v115
	v_mov_b32_e32 v58, v116
	v_mov_b32_e32 v59, v117
	v_mov_b32_e32 v60, v118
	v_mov_b32_e32 v61, v119
	v_mov_b32_e32 v62, v120
	v_mov_b32_e32 v63, v121
	v_mov_b32_e32 v64, v122
	v_mov_b32_e32 v65, v123
	v_mov_b32_e32 v66, v124
	v_mov_b64_e32 v[40:41], v[98:99]
	v_mov_b64_e32 v[42:43], v[100:101]
	;; [unrolled: 1-line block ×5, first 2 shown]
	v_mov_b32_e32 v68, v126
	v_mov_b32_e32 v69, v127
	scratch_store_dwordx4 off, v[38:41], off offset:1840 ; 16-byte Folded Spill
	s_nop 0
	scratch_store_dwordx4 off, v[42:45], off offset:1856 ; 16-byte Folded Spill
	scratch_store_dwordx4 off, v[46:49], off offset:1872 ; 16-byte Folded Spill
	;; [unrolled: 1-line block ×7, first 2 shown]
	scratch_store_dwordx2 off, v[36:37], off offset:1048 ; 8-byte Folded Spill
	v_mov_b32_e32 v108, v37
	v_mov_b64_e32 v[50:51], v[110:111]
	v_mov_b64_e32 v[36:37], v[96:97]
	;; [unrolled: 1-line block ×15, first 2 shown]
	v_mov_b32_e32 v48, v108
	scratch_store_dwordx4 off, v[36:39], off offset:1712 ; 16-byte Folded Spill
	s_nop 0
	scratch_store_dwordx4 off, v[40:43], off offset:1728 ; 16-byte Folded Spill
	scratch_store_dwordx4 off, v[44:47], off offset:1744 ; 16-byte Folded Spill
	;; [unrolled: 1-line block ×7, first 2 shown]
	v_mov_b32_e32 v109, v34
	v_mov_b32_e32 v51, v111
	;; [unrolled: 1-line block ×17, first 2 shown]
	v_mov_b64_e32 v[48:49], v[108:109]
	v_mov_b32_e32 v67, v127
	scratch_store_dwordx4 off, v[36:39], off offset:1584 ; 16-byte Folded Spill
	s_nop 0
	scratch_store_dwordx4 off, v[40:43], off offset:1600 ; 16-byte Folded Spill
	scratch_store_dwordx4 off, v[44:47], off offset:1616 ; 16-byte Folded Spill
	;; [unrolled: 1-line block ×7, first 2 shown]
	scratch_store_dwordx2 off, v[34:35], off offset:784 ; 8-byte Folded Spill
	v_mov_b32_e32 v110, v35
	v_mov_b64_e32 v[50:51], v[112:113]
	v_mov_b64_e32 v[34:35], v[96:97]
	v_mov_b32_e32 v46, v108
	v_mov_b64_e32 v[52:53], v[114:115]
	v_mov_b64_e32 v[54:55], v[116:117]
	;; [unrolled: 1-line block ×12, first 2 shown]
	v_mov_b32_e32 v47, v109
	v_mov_b32_e32 v48, v110
	scratch_store_dwordx4 off, v[34:37], off offset:1448 ; 16-byte Folded Spill
	s_nop 0
	scratch_store_dwordx4 off, v[38:41], off offset:1464 ; 16-byte Folded Spill
	scratch_store_dwordx4 off, v[42:45], off offset:1480 ; 16-byte Folded Spill
	;; [unrolled: 1-line block ×7, first 2 shown]
	v_mov_b32_e32 v111, v32
	v_mov_b64_e32 v[34:35], v[96:97]
	v_mov_b64_e32 v[36:37], v[98:99]
	v_mov_b64_e32 v[38:39], v[100:101]
	v_mov_b64_e32 v[40:41], v[102:103]
	v_mov_b64_e32 v[42:43], v[104:105]
	v_mov_b64_e32 v[44:45], v[106:107]
	v_mov_b64_e32 v[46:47], v[108:109]
	v_mov_b64_e32 v[48:49], v[110:111]
	scratch_store_dwordx4 off, v[34:37], off offset:1320 ; 16-byte Folded Spill
	s_nop 0
	scratch_store_dwordx4 off, v[38:41], off offset:1336 ; 16-byte Folded Spill
	scratch_store_dwordx4 off, v[42:45], off offset:1352 ; 16-byte Folded Spill
	;; [unrolled: 1-line block ×7, first 2 shown]
	scratch_store_dwordx2 off, v[32:33], off offset:1056 ; 8-byte Folded Spill
	v_mov_b32_e32 v112, v33
	v_mov_b64_e32 v[18:19], v[96:97]
	v_mov_b64_e32 v[36:37], v[114:115]
	;; [unrolled: 1-line block ×15, first 2 shown]
	v_mov_b32_e32 v34, v112
	scratch_store_dwordx4 off, v[18:21], off offset:1192 ; 16-byte Folded Spill
	s_nop 0
	scratch_store_dwordx4 off, v[22:25], off offset:1208 ; 16-byte Folded Spill
	scratch_store_dwordx4 off, v[26:29], off offset:1224 ; 16-byte Folded Spill
	;; [unrolled: 1-line block ×7, first 2 shown]
	v_mov_b32_e32 v113, v16
	scratch_store_dwordx2 off, v[16:17], off offset:136 ; 8-byte Folded Spill
	v_mov_b32_e32 v114, v17
	v_mov_b64_e32 v[16:17], v[96:97]
	v_mov_b64_e32 v[36:37], v[116:117]
	v_mov_b32_e32 v32, v112
	v_mov_b64_e32 v[18:19], v[98:99]
	v_mov_b64_e32 v[20:21], v[100:101]
	;; [unrolled: 1-line block ×12, first 2 shown]
	v_mov_b32_e32 v33, v113
	v_mov_b32_e32 v34, v114
	scratch_store_dwordx4 off, v[16:19], off offset:1064 ; 16-byte Folded Spill
	s_nop 0
	scratch_store_dwordx4 off, v[20:23], off offset:1080 ; 16-byte Folded Spill
	scratch_store_dwordx4 off, v[24:27], off offset:1096 ; 16-byte Folded Spill
	;; [unrolled: 1-line block ×7, first 2 shown]
	v_mov_b32_e32 v222, v126
	v_mov_b32_e32 v221, v125
	;; [unrolled: 1-line block ×13, first 2 shown]
	v_mov_b64_e32 v[32:33], v[112:113]
	v_mov_b64_e32 v[34:35], v[114:115]
	scratch_store_dwordx4 off, v[16:19], off offset:920 ; 16-byte Folded Spill
	s_nop 0
	scratch_store_dwordx4 off, v[20:23], off offset:936 ; 16-byte Folded Spill
	scratch_store_dwordx4 off, v[24:27], off offset:952 ; 16-byte Folded Spill
	scratch_store_dwordx4 off, v[28:31], off offset:968 ; 16-byte Folded Spill
	scratch_store_dwordx4 off, v[32:35], off offset:984 ; 16-byte Folded Spill
	scratch_store_dwordx4 off, v[36:39], off offset:1000 ; 16-byte Folded Spill
	scratch_store_dwordx4 off, v[40:43], off offset:1016 ; 16-byte Folded Spill
	scratch_store_dwordx4 off, v[44:47], off offset:1032 ; 16-byte Folded Spill
	v_mov_b64_e32 v[146:147], v[14:15]
	v_mov_b32_e32 v116, v15
	v_mov_b64_e32 v[14:15], v[96:97]
	v_mov_b64_e32 v[36:37], v[118:119]
	v_mov_b32_e32 v30, v112
	v_mov_b64_e32 v[16:17], v[98:99]
	v_mov_b64_e32 v[18:19], v[100:101]
	;; [unrolled: 1-line block ×11, first 2 shown]
	v_mov_b32_e32 v31, v113
	v_mov_b32_e32 v32, v114
	v_mov_b32_e32 v33, v115
	v_mov_b32_e32 v34, v116
	scratch_store_dwordx4 off, v[14:17], off offset:792 ; 16-byte Folded Spill
	s_nop 0
	scratch_store_dwordx4 off, v[18:21], off offset:808 ; 16-byte Folded Spill
	scratch_store_dwordx4 off, v[22:25], off offset:824 ; 16-byte Folded Spill
	scratch_store_dwordx4 off, v[26:29], off offset:840 ; 16-byte Folded Spill
	scratch_store_dwordx4 off, v[30:33], off offset:856 ; 16-byte Folded Spill
	scratch_store_dwordx4 off, v[34:37], off offset:872 ; 16-byte Folded Spill
	scratch_store_dwordx4 off, v[38:41], off offset:888 ; 16-byte Folded Spill
	scratch_store_dwordx4 off, v[42:45], off offset:904 ; 16-byte Folded Spill
	v_mov_b32_e32 v117, v12
	v_mov_b64_e32 v[30:31], v[112:113]
	v_mov_b64_e32 v[32:33], v[114:115]
	;; [unrolled: 1-line block ×4, first 2 shown]
	v_mov_b32_e32 v118, v13
	scratch_store_dwordx4 off, v[14:17], off offset:656 ; 16-byte Folded Spill
	s_nop 0
	scratch_store_dwordx4 off, v[18:21], off offset:672 ; 16-byte Folded Spill
	scratch_store_dwordx4 off, v[22:25], off offset:688 ; 16-byte Folded Spill
	;; [unrolled: 1-line block ×7, first 2 shown]
	v_mov_b64_e32 v[12:13], v[96:97]
	v_mov_b64_e32 v[36:37], v[120:121]
	v_mov_b32_e32 v28, v112
	v_mov_b64_e32 v[14:15], v[98:99]
	v_mov_b64_e32 v[16:17], v[100:101]
	;; [unrolled: 1-line block ×10, first 2 shown]
	v_mov_b32_e32 v29, v113
	v_mov_b32_e32 v30, v114
	v_mov_b32_e32 v31, v115
	v_mov_b32_e32 v32, v116
	v_mov_b32_e32 v33, v117
	v_mov_b32_e32 v34, v118
	scratch_store_dwordx4 off, v[12:15], off offset:528 ; 16-byte Folded Spill
	s_nop 0
	scratch_store_dwordx4 off, v[16:19], off offset:544 ; 16-byte Folded Spill
	scratch_store_dwordx4 off, v[20:23], off offset:560 ; 16-byte Folded Spill
	;; [unrolled: 1-line block ×7, first 2 shown]
	v_mov_b32_e32 v119, v10
	v_mov_b64_e32 v[28:29], v[112:113]
	v_mov_b64_e32 v[30:31], v[114:115]
	;; [unrolled: 1-line block ×5, first 2 shown]
	scratch_store_dwordx4 off, v[12:15], off offset:400 ; 16-byte Folded Spill
	s_nop 0
	scratch_store_dwordx4 off, v[16:19], off offset:416 ; 16-byte Folded Spill
	scratch_store_dwordx4 off, v[20:23], off offset:432 ; 16-byte Folded Spill
	;; [unrolled: 1-line block ×7, first 2 shown]
	v_mov_b32_e32 v120, v11
	v_mov_b64_e32 v[10:11], v[96:97]
	v_mov_b32_e32 v26, v112
	v_mov_b64_e32 v[36:37], v[122:123]
	v_mov_b64_e32 v[12:13], v[98:99]
	;; [unrolled: 1-line block ×8, first 2 shown]
	v_mov_b32_e32 v27, v113
	v_mov_b32_e32 v28, v114
	;; [unrolled: 1-line block ×8, first 2 shown]
	v_mov_b64_e32 v[38:39], v[124:125]
	v_mov_b64_e32 v[40:41], v[126:127]
	scratch_store_dwordx4 off, v[10:13], off offset:272 ; 16-byte Folded Spill
	s_nop 0
	scratch_store_dwordx4 off, v[14:17], off offset:288 ; 16-byte Folded Spill
	scratch_store_dwordx4 off, v[18:21], off offset:304 ; 16-byte Folded Spill
	;; [unrolled: 1-line block ×7, first 2 shown]
	v_mov_b32_e32 v121, v8
	v_mov_b64_e32 v[26:27], v[112:113]
	v_mov_b64_e32 v[28:29], v[114:115]
	;; [unrolled: 1-line block ×5, first 2 shown]
	scratch_store_dwordx4 off, v[10:13], off offset:144 ; 16-byte Folded Spill
	s_nop 0
	scratch_store_dwordx4 off, v[14:17], off offset:160 ; 16-byte Folded Spill
	scratch_store_dwordx4 off, v[18:21], off offset:176 ; 16-byte Folded Spill
	;; [unrolled: 1-line block ×7, first 2 shown]
	s_waitcnt vmcnt(62)
	v_mov_b32_e32 v131, v1
	s_waitcnt lgkmcnt(0)
	v_fma_f32 v131, -v226, v6, v131
	v_mov_b64_e32 v[140:141], v[8:9]
	v_mov_b32_e32 v122, v9
	v_mov_b64_e32 v[4:5], v[96:97]
	v_mov_b32_e32 v20, v112
	v_mov_b64_e32 v[32:33], v[124:125]
	v_mov_b64_e32 v[6:7], v[98:99]
	;; [unrolled: 1-line block ×8, first 2 shown]
	v_mov_b32_e32 v21, v113
	v_mov_b32_e32 v22, v114
	;; [unrolled: 1-line block ×10, first 2 shown]
	v_mov_b64_e32 v[34:35], v[126:127]
	scratch_store_dwordx4 off, v[4:7], off offset:8 ; 16-byte Folded Spill
	s_nop 0
	scratch_store_dwordx4 off, v[8:11], off offset:24 ; 16-byte Folded Spill
	scratch_store_dwordx4 off, v[12:15], off offset:40 ; 16-byte Folded Spill
	;; [unrolled: 1-line block ×7, first 2 shown]
	v_mov_b32_e32 v123, v2
	s_nop 0
	v_mov_b64_e32 v[32:33], v[96:97]
	v_mov_b64_e32 v[60:61], v[124:125]
	;; [unrolled: 1-line block ×17, first 2 shown]
	v_mov_b32_e32 v60, v3
	v_mov_b32_e32 v188, v3
	;; [unrolled: 1-line block ×3, first 2 shown]
	v_mov_b64_e32 v[0:1], v[32:33]
	v_mov_b64_e32 v[206:207], v[110:111]
	;; [unrolled: 1-line block ×13, first 2 shown]
	v_mov_b32_e32 v223, v127
	v_mov_b64_e32 v[172:173], v[44:45]
	v_mov_b64_e32 v[170:171], v[42:43]
	;; [unrolled: 1-line block ×28, first 2 shown]
	v_mov_b32_e32 v30, v133
	v_mov_b32_e32 v31, v131
	scratch_store_dwordx2 off, v[30:31], off offset:1576 ; 8-byte Folded Spill
	scratch_store_dwordx4 off, v[224:227], off offset:2992 ; 16-byte Folded Spill
	s_nop 0
	scratch_store_dwordx4 off, v[228:231], off offset:3008 ; 16-byte Folded Spill
	scratch_store_dwordx4 off, v[232:235], off offset:3024 ; 16-byte Folded Spill
	;; [unrolled: 1-line block ×7, first 2 shown]
.LBB63_16:
	s_or_b64 exec, exec, s[2:3]
	s_waitcnt vmcnt(63) expcnt(7) lgkmcnt(15)
	s_barrier
	scratch_load_dword v62, off, off        ; 4-byte Folded Reload
	v_mov_b64_e32 v[228:229], v[150:151]
	v_mov_b64_e32 v[226:227], v[148:149]
	s_waitcnt vmcnt(0)
	v_cmp_eq_u32_e32 vcc, 3, v62
	s_and_saveexec_b64 s[2:3], vcc
	s_cbranch_execz .LBB63_19
; %bb.17:
	scratch_load_dword v62, off, off offset:4 ; 4-byte Folded Reload
	s_waitcnt vmcnt(0)
	ds_write_b32 v62, v154
	ds_write2_b64 v128, v[4:5], v[6:7] offset0:2 offset1:3
	ds_write2_b64 v128, v[8:9], v[10:11] offset0:4 offset1:5
	;; [unrolled: 1-line block ×7, first 2 shown]
	ds_read_b32 v62, v62
	s_waitcnt lgkmcnt(0)
	v_cmp_neq_f32_e32 vcc, 0, v62
	s_and_b64 exec, exec, vcc
	s_cbranch_execz .LBB63_19
; %bb.18:
	v_div_scale_f32 v63, s[4:5], v62, v62, 1.0
	v_rcp_f32_e32 v93, v63
	v_div_scale_f32 v124, vcc, 1.0, v62, 1.0
	v_fma_f32 v131, -v63, v93, 1.0
	v_fmac_f32_e32 v93, v131, v93
	v_mul_f32_e32 v131, v124, v93
	v_fma_f32 v132, -v63, v131, v124
	v_fmac_f32_e32 v131, v132, v93
	v_fma_f32 v63, -v63, v131, v124
	v_div_fmas_f32 v63, v63, v93, v131
	v_div_fixup_f32 v62, v63, v62, 1.0
	scratch_load_dword v63, off, off offset:4 ; 4-byte Folded Reload
	s_waitcnt vmcnt(0)
	ds_write_b32 v63, v62
.LBB63_19:
	s_or_b64 exec, exec, s[2:3]
	s_waitcnt lgkmcnt(0)
	s_barrier
	scratch_load_dword v62, off, off offset:4 ; 4-byte Folded Reload
	s_waitcnt vmcnt(0)
	ds_read_b32 v129, v62
	scratch_load_dword v62, off, off        ; 4-byte Folded Reload
	s_waitcnt vmcnt(0)
	v_cmp_lt_u32_e32 vcc, 3, v62
	s_mov_b64 s[2:3], exec
	scratch_load_dwordx2 v[158:159], off, off offset:1576 ; 8-byte Folded Reload
	s_and_b64 s[4:5], s[2:3], vcc
	s_mov_b64 exec, s[4:5]
	s_cbranch_execz .LBB63_21
; %bb.20:
	ds_read2_b64 v[0:3], v128 offset0:2 offset1:3
	ds_read2_b64 v[32:35], v128 offset0:4 offset1:5
	s_waitcnt lgkmcnt(2)
	v_mul_f32_e32 v40, v154, v129
	ds_read2_b64 v[36:39], v128 offset0:6 offset1:7
	s_waitcnt lgkmcnt(2)
	v_pk_fma_f32 v[132:133], v[40:41], v[0:1], v[4:5] op_sel_hi:[0,1,1] neg_lo:[1,0,0] neg_hi:[1,0,0]
	v_pk_fma_f32 v[134:135], v[40:41], v[2:3], v[6:7] op_sel_hi:[0,1,1] neg_lo:[1,0,0] neg_hi:[1,0,0]
	ds_read2_b64 v[0:3], v128 offset0:8 offset1:9
	s_waitcnt lgkmcnt(2)
	v_pk_fma_f32 v[136:137], v[40:41], v[32:33], v[8:9] op_sel_hi:[0,1,1] neg_lo:[1,0,0] neg_hi:[1,0,0]
	v_pk_fma_f32 v[138:139], v[40:41], v[34:35], v[10:11] op_sel_hi:[0,1,1] neg_lo:[1,0,0] neg_hi:[1,0,0]
	ds_read2_b64 v[4:7], v128 offset0:10 offset1:11
	ds_read2_b64 v[8:11], v128 offset0:12 offset1:13
	s_waitcnt lgkmcnt(2)
	v_pk_fma_f32 v[144:145], v[40:41], v[0:1], v[16:17] op_sel_hi:[0,1,1] neg_lo:[1,0,0] neg_hi:[1,0,0]
	v_pk_fma_f32 v[146:147], v[40:41], v[2:3], v[18:19] op_sel_hi:[0,1,1] neg_lo:[1,0,0] neg_hi:[1,0,0]
	ds_read2_b64 v[0:3], v128 offset0:14 offset1:15
	scratch_load_dwordx4 v[64:67], off, off offset:2992 ; 16-byte Folded Reload
	scratch_load_dwordx4 v[68:71], off, off offset:3008 ; 16-byte Folded Reload
	;; [unrolled: 1-line block ×8, first 2 shown]
	s_waitcnt vmcnt(7)
	v_mov_b32_e32 v67, v40
	v_pk_fma_f32 v[140:141], v[40:41], v[36:37], v[12:13] op_sel_hi:[0,1,1] neg_lo:[1,0,0] neg_hi:[1,0,0]
	v_pk_fma_f32 v[142:143], v[40:41], v[38:39], v[14:15] op_sel_hi:[0,1,1] neg_lo:[1,0,0] neg_hi:[1,0,0]
	s_waitcnt lgkmcnt(2)
	v_pk_fma_f32 v[148:149], v[40:41], v[4:5], v[20:21] op_sel_hi:[0,1,1] neg_lo:[1,0,0] neg_hi:[1,0,0]
	v_pk_fma_f32 v[150:151], v[40:41], v[6:7], v[22:23] op_sel_hi:[0,1,1] neg_lo:[1,0,0] neg_hi:[1,0,0]
	s_waitcnt lgkmcnt(1)
	;; [unrolled: 3-line block ×3, first 2 shown]
	v_pk_fma_f32 v[156:157], v[40:41], v[0:1], v[28:29] op_sel_hi:[0,1,1] neg_lo:[1,0,0] neg_hi:[1,0,0]
	v_pk_fma_f32 v[158:159], v[40:41], v[2:3], v[30:31] op_sel_hi:[0,1,1] neg_lo:[1,0,0] neg_hi:[1,0,0]
	v_mov_b32_e32 v188, v156
	v_mov_b32_e32 v228, v133
	;; [unrolled: 1-line block ×5, first 2 shown]
	s_waitcnt vmcnt(0)
	v_mov_b64_e32 v[126:127], v[94:95]
	v_mov_b64_e32 v[118:119], v[86:87]
	;; [unrolled: 1-line block ×16, first 2 shown]
	v_mov_b32_e32 v100, v132
	v_mov_b64_e32 v[6:7], v[102:103]
	v_mov_b64_e32 v[22:23], v[118:119]
	v_mov_b32_e32 v0, v96
	v_mov_b64_e32 v[8:9], v[104:105]
	v_mov_b64_e32 v[10:11], v[106:107]
	v_mov_b64_e32 v[12:13], v[108:109]
	v_mov_b64_e32 v[14:15], v[110:111]
	v_mov_b64_e32 v[16:17], v[112:113]
	v_mov_b64_e32 v[18:19], v[114:115]
	v_mov_b64_e32 v[20:21], v[116:117]
	v_mov_b64_e32 v[24:25], v[120:121]
	v_mov_b64_e32 v[26:27], v[122:123]
	v_mov_b64_e32 v[28:29], v[124:125]
	v_mov_b64_e32 v[30:31], v[126:127]
	v_mov_b32_e32 v1, v97
	v_mov_b32_e32 v2, v98
	;; [unrolled: 1-line block ×4, first 2 shown]
	scratch_store_dwordx4 off, v[0:3], off offset:2736 ; 16-byte Folded Spill
	s_nop 0
	scratch_store_dwordx4 off, v[4:7], off offset:2752 ; 16-byte Folded Spill
	scratch_store_dwordx4 off, v[8:11], off offset:2768 ; 16-byte Folded Spill
	;; [unrolled: 1-line block ×7, first 2 shown]
	v_mov_b32_e32 v101, v133
	v_mov_b32_e32 v7, v103
	;; [unrolled: 1-line block ×3, first 2 shown]
	v_mov_b64_e32 v[0:1], v[96:97]
	v_mov_b32_e32 v8, v104
	v_mov_b32_e32 v9, v105
	;; [unrolled: 1-line block ×23, first 2 shown]
	v_mov_b64_e32 v[2:3], v[98:99]
	v_mov_b64_e32 v[4:5], v[100:101]
	v_mov_b32_e32 v102, v134
	v_mov_b32_e32 v103, v135
	;; [unrolled: 1-line block ×7, first 2 shown]
	scratch_store_dwordx4 off, v[0:3], off offset:2608 ; 16-byte Folded Spill
	s_nop 0
	scratch_store_dwordx4 off, v[4:7], off offset:2624 ; 16-byte Folded Spill
	scratch_store_dwordx4 off, v[8:11], off offset:2640 ; 16-byte Folded Spill
	;; [unrolled: 1-line block ×7, first 2 shown]
	v_mov_b64_e32 v[8:9], v[104:105]
	v_mov_b64_e32 v[24:25], v[120:121]
	v_mov_b32_e32 v0, v96
	v_mov_b64_e32 v[10:11], v[106:107]
	v_mov_b64_e32 v[12:13], v[108:109]
	;; [unrolled: 1-line block ×10, first 2 shown]
	v_mov_b32_e32 v1, v97
	v_mov_b32_e32 v2, v98
	;; [unrolled: 1-line block ×18, first 2 shown]
	scratch_store_dwordx4 off, v[0:3], off offset:2480 ; 16-byte Folded Spill
	s_nop 0
	scratch_store_dwordx4 off, v[4:7], off offset:2496 ; 16-byte Folded Spill
	scratch_store_dwordx4 off, v[8:11], off offset:2512 ; 16-byte Folded Spill
	;; [unrolled: 1-line block ×7, first 2 shown]
	v_mov_b32_e32 v9, v105
	v_mov_b64_e32 v[0:1], v[96:97]
	v_mov_b32_e32 v25, v121
	v_mov_b32_e32 v10, v106
	;; [unrolled: 1-line block ×16, first 2 shown]
	v_mov_b64_e32 v[2:3], v[98:99]
	v_mov_b64_e32 v[4:5], v[100:101]
	;; [unrolled: 1-line block ×3, first 2 shown]
	v_mov_b32_e32 v26, v122
	v_mov_b32_e32 v27, v123
	;; [unrolled: 1-line block ×8, first 2 shown]
	scratch_store_dwordx4 off, v[0:3], off offset:2352 ; 16-byte Folded Spill
	s_nop 0
	scratch_store_dwordx4 off, v[4:7], off offset:2368 ; 16-byte Folded Spill
	scratch_store_dwordx4 off, v[8:11], off offset:2384 ; 16-byte Folded Spill
	;; [unrolled: 1-line block ×7, first 2 shown]
	v_mov_b64_e32 v[10:11], v[106:107]
	v_mov_b32_e32 v0, v96
	v_mov_b64_e32 v[26:27], v[122:123]
	v_mov_b64_e32 v[12:13], v[108:109]
	;; [unrolled: 1-line block ×8, first 2 shown]
	v_mov_b32_e32 v1, v97
	v_mov_b32_e32 v2, v98
	v_mov_b32_e32 v3, v99
	v_mov_b32_e32 v4, v100
	v_mov_b32_e32 v5, v101
	v_mov_b32_e32 v6, v102
	v_mov_b32_e32 v7, v103
	v_mov_b32_e32 v8, v104
	v_mov_b64_e32 v[28:29], v[124:125]
	v_mov_b64_e32 v[30:31], v[126:127]
	v_mov_b32_e32 v106, v138
	v_mov_b32_e32 v138, v155
	scratch_store_dwordx4 off, v[0:3], off offset:2224 ; 16-byte Folded Spill
	s_nop 0
	scratch_store_dwordx4 off, v[4:7], off offset:2240 ; 16-byte Folded Spill
	scratch_store_dwordx4 off, v[8:11], off offset:2256 ; 16-byte Folded Spill
	scratch_store_dwordx4 off, v[12:15], off offset:2272 ; 16-byte Folded Spill
	scratch_store_dwordx4 off, v[16:19], off offset:2288 ; 16-byte Folded Spill
	scratch_store_dwordx4 off, v[20:23], off offset:2304 ; 16-byte Folded Spill
	scratch_store_dwordx4 off, v[24:27], off offset:2320 ; 16-byte Folded Spill
	scratch_store_dwordx4 off, v[28:31], off offset:2336 ; 16-byte Folded Spill
	v_mov_b32_e32 v11, v107
	v_mov_b64_e32 v[0:1], v[96:97]
	v_mov_b32_e32 v27, v123
	v_mov_b32_e32 v12, v108
	v_mov_b32_e32 v13, v109
	v_mov_b32_e32 v14, v110
	v_mov_b32_e32 v15, v111
	v_mov_b32_e32 v16, v112
	v_mov_b32_e32 v17, v113
	v_mov_b32_e32 v18, v114
	v_mov_b32_e32 v19, v115
	v_mov_b32_e32 v20, v116
	v_mov_b32_e32 v21, v117
	v_mov_b32_e32 v22, v118
	v_mov_b32_e32 v23, v119
	v_mov_b32_e32 v24, v120
	v_mov_b32_e32 v25, v121
	v_mov_b32_e32 v26, v122
	v_mov_b64_e32 v[2:3], v[98:99]
	v_mov_b64_e32 v[4:5], v[100:101]
	;; [unrolled: 1-line block ×4, first 2 shown]
	v_mov_b32_e32 v28, v124
	v_mov_b32_e32 v29, v125
	;; [unrolled: 1-line block ×5, first 2 shown]
	scratch_store_dwordx4 off, v[0:3], off offset:2096 ; 16-byte Folded Spill
	s_nop 0
	scratch_store_dwordx4 off, v[4:7], off offset:2112 ; 16-byte Folded Spill
	scratch_store_dwordx4 off, v[8:11], off offset:2128 ; 16-byte Folded Spill
	;; [unrolled: 1-line block ×7, first 2 shown]
	v_mov_b64_e32 v[12:13], v[108:109]
	v_mov_b32_e32 v0, v96
	v_mov_b64_e32 v[28:29], v[124:125]
	v_mov_b64_e32 v[14:15], v[110:111]
	;; [unrolled: 1-line block ×8, first 2 shown]
	v_mov_b32_e32 v1, v97
	v_mov_b32_e32 v2, v98
	;; [unrolled: 1-line block ×10, first 2 shown]
	v_mov_b64_e32 v[30:31], v[126:127]
	v_mov_b32_e32 v108, v140
	scratch_store_dwordx4 off, v[0:3], off offset:1968 ; 16-byte Folded Spill
	s_nop 0
	scratch_store_dwordx4 off, v[4:7], off offset:1984 ; 16-byte Folded Spill
	scratch_store_dwordx4 off, v[8:11], off offset:2000 ; 16-byte Folded Spill
	;; [unrolled: 1-line block ×7, first 2 shown]
	v_mov_b32_e32 v13, v109
	v_mov_b64_e32 v[0:1], v[96:97]
	v_mov_b32_e32 v29, v125
	v_mov_b32_e32 v14, v110
	;; [unrolled: 1-line block ×16, first 2 shown]
	v_mov_b64_e32 v[2:3], v[98:99]
	v_mov_b64_e32 v[4:5], v[100:101]
	;; [unrolled: 1-line block ×5, first 2 shown]
	v_mov_b32_e32 v30, v126
	v_mov_b32_e32 v31, v127
	;; [unrolled: 1-line block ×3, first 2 shown]
	scratch_store_dwordx4 off, v[0:3], off offset:1840 ; 16-byte Folded Spill
	s_nop 0
	scratch_store_dwordx4 off, v[4:7], off offset:1856 ; 16-byte Folded Spill
	scratch_store_dwordx4 off, v[8:11], off offset:1872 ; 16-byte Folded Spill
	;; [unrolled: 1-line block ×7, first 2 shown]
	v_mov_b64_e32 v[14:15], v[110:111]
	v_mov_b64_e32 v[16:17], v[112:113]
	;; [unrolled: 1-line block ×9, first 2 shown]
	v_mov_b32_e32 v12, v140
	v_mov_b32_e32 v110, v142
	scratch_store_dwordx4 off, v[0:3], off offset:1712 ; 16-byte Folded Spill
	s_nop 0
	scratch_store_dwordx4 off, v[4:7], off offset:1728 ; 16-byte Folded Spill
	scratch_store_dwordx4 off, v[8:11], off offset:1744 ; 16-byte Folded Spill
	;; [unrolled: 1-line block ×7, first 2 shown]
	v_mov_b32_e32 v15, v111
	v_mov_b32_e32 v16, v112
	;; [unrolled: 1-line block ×16, first 2 shown]
	v_mov_b64_e32 v[12:13], v[108:109]
	v_mov_b32_e32 v31, v127
	v_mov_b32_e32 v111, v143
	v_mov_b64_e32 v[206:207], v[110:111]
	v_mov_b64_e32 v[204:205], v[108:109]
	;; [unrolled: 1-line block ×8, first 2 shown]
	scratch_store_dwordx4 off, v[0:3], off offset:1584 ; 16-byte Folded Spill
	s_nop 0
	scratch_store_dwordx4 off, v[4:7], off offset:1600 ; 16-byte Folded Spill
	scratch_store_dwordx4 off, v[8:11], off offset:1616 ; 16-byte Folded Spill
	scratch_store_dwordx4 off, v[12:15], off offset:1632 ; 16-byte Folded Spill
	scratch_store_dwordx4 off, v[16:19], off offset:1648 ; 16-byte Folded Spill
	scratch_store_dwordx4 off, v[20:23], off offset:1664 ; 16-byte Folded Spill
	scratch_store_dwordx4 off, v[24:27], off offset:1680 ; 16-byte Folded Spill
	scratch_store_dwordx4 off, v[28:31], off offset:1696 ; 16-byte Folded Spill
	v_mov_b64_e32 v[16:17], v[112:113]
	v_mov_b32_e32 v12, v108
	v_mov_b64_e32 v[18:19], v[114:115]
	v_mov_b64_e32 v[20:21], v[116:117]
	;; [unrolled: 1-line block ×7, first 2 shown]
	v_mov_b32_e32 v13, v109
	v_mov_b32_e32 v14, v110
	;; [unrolled: 1-line block ×3, first 2 shown]
	scratch_store_dwordx4 off, v[0:3], off offset:1448 ; 16-byte Folded Spill
	s_nop 0
	scratch_store_dwordx4 off, v[4:7], off offset:1464 ; 16-byte Folded Spill
	scratch_store_dwordx4 off, v[8:11], off offset:1480 ; 16-byte Folded Spill
	;; [unrolled: 1-line block ×7, first 2 shown]
	v_mov_b64_e32 v[0:1], v[96:97]
	v_mov_b32_e32 v17, v113
	v_mov_b32_e32 v29, v125
	v_mov_b64_e32 v[2:3], v[98:99]
	v_mov_b64_e32 v[4:5], v[100:101]
	;; [unrolled: 1-line block ×7, first 2 shown]
	v_mov_b32_e32 v18, v114
	v_mov_b32_e32 v19, v115
	;; [unrolled: 1-line block ×14, first 2 shown]
	v_mov_b64_e32 v[208:209], v[112:113]
	scratch_store_dwordx4 off, v[0:3], off offset:1320 ; 16-byte Folded Spill
	s_nop 0
	scratch_store_dwordx4 off, v[4:7], off offset:1336 ; 16-byte Folded Spill
	scratch_store_dwordx4 off, v[8:11], off offset:1352 ; 16-byte Folded Spill
	;; [unrolled: 1-line block ×7, first 2 shown]
	v_mov_b64_e32 v[18:19], v[114:115]
	v_mov_b64_e32 v[20:21], v[116:117]
	;; [unrolled: 1-line block ×7, first 2 shown]
	v_mov_b32_e32 v16, v144
	v_mov_b32_e32 v114, v146
	;; [unrolled: 1-line block ×3, first 2 shown]
	scratch_store_dwordx4 off, v[0:3], off offset:1192 ; 16-byte Folded Spill
	s_nop 0
	scratch_store_dwordx4 off, v[4:7], off offset:1208 ; 16-byte Folded Spill
	scratch_store_dwordx4 off, v[8:11], off offset:1224 ; 16-byte Folded Spill
	;; [unrolled: 1-line block ×7, first 2 shown]
	v_mov_b64_e32 v[20:21], v[116:117]
	v_mov_b32_e32 v16, v112
	v_mov_b64_e32 v[22:23], v[118:119]
	v_mov_b64_e32 v[24:25], v[120:121]
	;; [unrolled: 1-line block ×5, first 2 shown]
	v_mov_b32_e32 v17, v113
	v_mov_b32_e32 v18, v114
	;; [unrolled: 1-line block ×3, first 2 shown]
	scratch_store_dwordx4 off, v[0:3], off offset:1064 ; 16-byte Folded Spill
	s_nop 0
	scratch_store_dwordx4 off, v[4:7], off offset:1080 ; 16-byte Folded Spill
	scratch_store_dwordx4 off, v[8:11], off offset:1096 ; 16-byte Folded Spill
	;; [unrolled: 1-line block ×7, first 2 shown]
	v_mov_b32_e32 v21, v117
	v_mov_b64_e32 v[16:17], v[112:113]
	v_mov_b32_e32 v22, v118
	v_mov_b32_e32 v23, v119
	;; [unrolled: 1-line block ×10, first 2 shown]
	v_mov_b64_e32 v[18:19], v[114:115]
	v_mov_b32_e32 v117, v149
	scratch_store_dwordx4 off, v[0:3], off offset:920 ; 16-byte Folded Spill
	s_nop 0
	scratch_store_dwordx4 off, v[4:7], off offset:936 ; 16-byte Folded Spill
	scratch_store_dwordx4 off, v[8:11], off offset:952 ; 16-byte Folded Spill
	;; [unrolled: 1-line block ×7, first 2 shown]
	v_mov_b64_e32 v[22:23], v[118:119]
	v_mov_b32_e32 v16, v112
	v_mov_b64_e32 v[24:25], v[120:121]
	v_mov_b64_e32 v[26:27], v[122:123]
	;; [unrolled: 1-line block ×4, first 2 shown]
	v_mov_b32_e32 v17, v113
	v_mov_b32_e32 v18, v114
	;; [unrolled: 1-line block ×5, first 2 shown]
	scratch_store_dwordx4 off, v[0:3], off offset:792 ; 16-byte Folded Spill
	s_nop 0
	scratch_store_dwordx4 off, v[4:7], off offset:808 ; 16-byte Folded Spill
	scratch_store_dwordx4 off, v[8:11], off offset:824 ; 16-byte Folded Spill
	;; [unrolled: 1-line block ×7, first 2 shown]
	v_mov_b32_e32 v23, v119
	v_mov_b64_e32 v[16:17], v[112:113]
	v_mov_b32_e32 v24, v120
	v_mov_b32_e32 v25, v121
	;; [unrolled: 1-line block ×8, first 2 shown]
	v_mov_b64_e32 v[18:19], v[114:115]
	v_mov_b64_e32 v[20:21], v[116:117]
	v_mov_b32_e32 v119, v151
	scratch_store_dwordx4 off, v[0:3], off offset:656 ; 16-byte Folded Spill
	s_nop 0
	scratch_store_dwordx4 off, v[4:7], off offset:672 ; 16-byte Folded Spill
	scratch_store_dwordx4 off, v[8:11], off offset:688 ; 16-byte Folded Spill
	;; [unrolled: 1-line block ×7, first 2 shown]
	s_nop 0
	v_mov_b64_e32 v[24:25], v[120:121]
	v_mov_b32_e32 v16, v112
	v_mov_b64_e32 v[26:27], v[122:123]
	v_mov_b64_e32 v[28:29], v[124:125]
	;; [unrolled: 1-line block ×3, first 2 shown]
	v_mov_b32_e32 v17, v113
	v_mov_b32_e32 v18, v114
	;; [unrolled: 1-line block ×7, first 2 shown]
	scratch_store_dwordx4 off, v[0:3], off offset:528 ; 16-byte Folded Spill
	s_nop 0
	scratch_store_dwordx4 off, v[4:7], off offset:544 ; 16-byte Folded Spill
	scratch_store_dwordx4 off, v[8:11], off offset:560 ; 16-byte Folded Spill
	;; [unrolled: 1-line block ×7, first 2 shown]
	v_mov_b64_e32 v[16:17], v[112:113]
	v_mov_b32_e32 v25, v121
	v_mov_b64_e32 v[18:19], v[114:115]
	v_mov_b64_e32 v[20:21], v[116:117]
	;; [unrolled: 1-line block ×3, first 2 shown]
	v_mov_b32_e32 v26, v122
	v_mov_b32_e32 v27, v123
	;; [unrolled: 1-line block ×7, first 2 shown]
	scratch_store_dwordx4 off, v[0:3], off offset:400 ; 16-byte Folded Spill
	s_nop 0
	scratch_store_dwordx4 off, v[4:7], off offset:416 ; 16-byte Folded Spill
	scratch_store_dwordx4 off, v[8:11], off offset:432 ; 16-byte Folded Spill
	;; [unrolled: 1-line block ×7, first 2 shown]
	v_mov_b32_e32 v16, v112
	v_mov_b64_e32 v[26:27], v[122:123]
	v_mov_b32_e32 v17, v113
	v_mov_b32_e32 v18, v114
	;; [unrolled: 1-line block ×8, first 2 shown]
	v_mov_b64_e32 v[28:29], v[124:125]
	v_mov_b64_e32 v[30:31], v[126:127]
	v_mov_b32_e32 v122, v154
	scratch_store_dwordx4 off, v[0:3], off offset:272 ; 16-byte Folded Spill
	s_nop 0
	scratch_store_dwordx4 off, v[4:7], off offset:288 ; 16-byte Folded Spill
	scratch_store_dwordx4 off, v[8:11], off offset:304 ; 16-byte Folded Spill
	scratch_store_dwordx4 off, v[12:15], off offset:320 ; 16-byte Folded Spill
	scratch_store_dwordx4 off, v[16:19], off offset:336 ; 16-byte Folded Spill
	scratch_store_dwordx4 off, v[20:23], off offset:352 ; 16-byte Folded Spill
	scratch_store_dwordx4 off, v[24:27], off offset:368 ; 16-byte Folded Spill
	scratch_store_dwordx4 off, v[28:31], off offset:384 ; 16-byte Folded Spill
	v_mov_b64_e32 v[16:17], v[112:113]
	v_mov_b32_e32 v27, v123
	v_mov_b64_e32 v[18:19], v[114:115]
	v_mov_b64_e32 v[20:21], v[116:117]
	;; [unrolled: 1-line block ×4, first 2 shown]
	v_mov_b32_e32 v28, v124
	v_mov_b32_e32 v29, v125
	;; [unrolled: 1-line block ×5, first 2 shown]
	v_mov_b64_e32 v[32:33], v[96:97]
	v_mov_b64_e32 v[60:61], v[124:125]
	;; [unrolled: 1-line block ×16, first 2 shown]
	v_mov_b32_e32 v60, v156
	v_mov_b32_e32 v61, v157
	v_mov_b64_e32 v[190:191], v[62:63]
	v_mov_b64_e32 v[174:175], v[46:47]
	;; [unrolled: 1-line block ×7, first 2 shown]
	scratch_store_dwordx4 off, v[0:3], off offset:144 ; 16-byte Folded Spill
	s_nop 0
	scratch_store_dwordx4 off, v[4:7], off offset:160 ; 16-byte Folded Spill
	scratch_store_dwordx4 off, v[8:11], off offset:176 ; 16-byte Folded Spill
	;; [unrolled: 1-line block ×7, first 2 shown]
	v_mov_b32_e32 v16, v112
	s_nop 0
	v_mov_b64_e32 v[28:29], v[124:125]
	v_mov_b32_e32 v17, v113
	v_mov_b32_e32 v18, v114
	;; [unrolled: 1-line block ×10, first 2 shown]
	v_mov_b64_e32 v[30:31], v[126:127]
	v_mov_b64_e32 v[164:165], v[36:37]
	;; [unrolled: 1-line block ×9, first 2 shown]
	v_mov_b32_e32 v155, v132
	scratch_store_dwordx4 off, v[0:3], off offset:8 ; 16-byte Folded Spill
	s_nop 0
	scratch_store_dwordx4 off, v[4:7], off offset:24 ; 16-byte Folded Spill
	scratch_store_dwordx4 off, v[8:11], off offset:40 ; 16-byte Folded Spill
	;; [unrolled: 1-line block ×7, first 2 shown]
	v_mov_b64_e32 v[0:1], v[32:33]
	v_mov_b64_e32 v[2:3], v[34:35]
	;; [unrolled: 1-line block ×16, first 2 shown]
	v_mov_b32_e32 v62, v139
	v_mov_b32_e32 v63, v140
	scratch_store_dwordx4 off, v[64:67], off offset:2864 ; 16-byte Folded Spill
	s_nop 0
	scratch_store_dwordx4 off, v[68:71], off offset:2880 ; 16-byte Folded Spill
	scratch_store_dwordx4 off, v[72:75], off offset:2896 ; 16-byte Folded Spill
	;; [unrolled: 1-line block ×7, first 2 shown]
	scratch_store_dwordx2 off, v[62:63], off offset:1048 ; 8-byte Folded Spill
	v_mov_b32_e32 v62, v141
	v_mov_b32_e32 v63, v142
	scratch_store_dwordx2 off, v[62:63], off offset:784 ; 8-byte Folded Spill
	v_mov_b32_e32 v62, v143
	v_mov_b32_e32 v63, v144
	;; [unrolled: 1-line block ×4, first 2 shown]
	scratch_store_dwordx2 off, v[62:63], off offset:1056 ; 8-byte Folded Spill
	v_mov_b32_e32 v62, v145
	v_mov_b32_e32 v63, v146
	;; [unrolled: 1-line block ×11, first 2 shown]
	scratch_store_dwordx2 off, v[62:63], off offset:136 ; 8-byte Folded Spill
.LBB63_21:
	s_or_b64 exec, exec, s[2:3]
	s_waitcnt lgkmcnt(0)
	s_barrier
	scratch_load_dword v62, off, off        ; 4-byte Folded Reload
	s_waitcnt vmcnt(0)
	v_cmp_eq_u32_e32 vcc, 4, v62
	s_and_saveexec_b64 s[2:3], vcc
	s_cbranch_execz .LBB63_24
; %bb.22:
	scratch_load_dword v62, off, off offset:4 ; 4-byte Folded Reload
	s_waitcnt vmcnt(0)
	ds_write_b32 v62, v155
	ds_write2_b32 v128, v5, v6 offset0:5 offset1:6
	ds_write2_b32 v128, v7, v8 offset0:7 offset1:8
	;; [unrolled: 1-line block ×13, first 2 shown]
	ds_write_b32 v128, v159 offset:124
	ds_read_b32 v62, v62
	s_waitcnt lgkmcnt(0)
	v_cmp_neq_f32_e32 vcc, 0, v62
	s_and_b64 exec, exec, vcc
	s_cbranch_execz .LBB63_24
; %bb.23:
	v_div_scale_f32 v63, s[4:5], v62, v62, 1.0
	v_rcp_f32_e32 v93, v63
	v_div_scale_f32 v124, vcc, 1.0, v62, 1.0
	v_fma_f32 v132, -v63, v93, 1.0
	v_fmac_f32_e32 v93, v132, v93
	v_mul_f32_e32 v132, v124, v93
	v_fma_f32 v133, -v63, v132, v124
	v_fmac_f32_e32 v132, v133, v93
	v_fma_f32 v63, -v63, v132, v124
	v_div_fmas_f32 v63, v63, v93, v132
	v_div_fixup_f32 v62, v63, v62, 1.0
	scratch_load_dword v63, off, off offset:4 ; 4-byte Folded Reload
	s_waitcnt vmcnt(0)
	ds_write_b32 v63, v62
.LBB63_24:
	s_or_b64 exec, exec, s[2:3]
	s_waitcnt lgkmcnt(0)
	s_barrier
	scratch_load_dword v62, off, off offset:4 ; 4-byte Folded Reload
	s_waitcnt vmcnt(0)
	ds_read_b32 v62, v62
	s_waitcnt lgkmcnt(0)
	scratch_store_dword off, v62, off offset:1576 ; 4-byte Folded Spill
	scratch_load_dword v62, off, off        ; 4-byte Folded Reload
	s_waitcnt vmcnt(0)
	v_cmp_lt_u32_e32 vcc, 4, v62
	s_mov_b64 s[2:3], exec
	s_and_b64 s[4:5], s[2:3], vcc
	v_mov_b64_e32 v[130:131], v[134:135]
	v_mov_b64_e32 v[132:133], v[226:227]
	;; [unrolled: 1-line block ×3, first 2 shown]
	s_mov_b64 exec, s[4:5]
	s_cbranch_execz .LBB63_26
; %bb.25:
	scratch_load_dword v0, off, off offset:1576 ; 4-byte Folded Reload
	scratch_load_dwordx4 v[224:227], off, off offset:2864 ; 16-byte Folded Reload
	scratch_load_dwordx4 v[228:231], off, off offset:2880 ; 16-byte Folded Reload
	scratch_load_dwordx4 v[232:235], off, off offset:2896 ; 16-byte Folded Reload
	scratch_load_dwordx4 v[236:239], off, off offset:2912 ; 16-byte Folded Reload
	scratch_load_dwordx4 v[240:243], off, off offset:2928 ; 16-byte Folded Reload
	scratch_load_dwordx4 v[244:247], off, off offset:2944 ; 16-byte Folded Reload
	scratch_load_dwordx4 v[248:251], off, off offset:2960 ; 16-byte Folded Reload
	scratch_load_dwordx4 v[252:255], off, off offset:2976 ; 16-byte Folded Reload
	v_mov_b32_e32 v2, v5
	v_mov_b32_e32 v3, v6
	s_waitcnt vmcnt(6)
	v_mul_f32_e32 v228, v155, v0
	ds_read2_b32 v[0:1], v128 offset0:5 offset1:6
	ds_read2_b32 v[4:5], v128 offset0:7 offset1:8
	ds_read2_b32 v[32:33], v128 offset0:9 offset1:10
	ds_read2_b32 v[34:35], v128 offset0:11 offset1:12
	s_waitcnt lgkmcnt(3)
	v_pk_fma_f32 v[152:153], v[228:229], v[0:1], v[2:3] op_sel_hi:[0,1,1] neg_lo:[1,0,0] neg_hi:[1,0,0]
	v_mov_b32_e32 v0, v7
	v_mov_b32_e32 v1, v8
	s_waitcnt lgkmcnt(2)
	v_pk_fma_f32 v[132:133], v[228:229], v[4:5], v[0:1] op_sel_hi:[0,1,1] neg_lo:[1,0,0] neg_hi:[1,0,0]
	v_mov_b32_e32 v0, v9
	v_mov_b32_e32 v1, v10
	;; [unrolled: 4-line block ×3, first 2 shown]
	s_waitcnt lgkmcnt(0)
	v_pk_fma_f32 v[38:39], v[228:229], v[34:35], v[0:1] op_sel_hi:[0,1,1] neg_lo:[1,0,0] neg_hi:[1,0,0]
	ds_read2_b32 v[0:1], v128 offset0:13 offset1:14
	ds_read2_b32 v[4:5], v128 offset0:15 offset1:16
	;; [unrolled: 1-line block ×4, first 2 shown]
	v_mov_b32_e32 v2, v13
	v_mov_b32_e32 v3, v14
	s_waitcnt vmcnt(0)
	v_mov_b64_e32 v[96:97], v[224:225]
	s_waitcnt lgkmcnt(3)
	v_pk_fma_f32 v[36:37], v[228:229], v[0:1], v[2:3] op_sel_hi:[0,1,1] neg_lo:[1,0,0] neg_hi:[1,0,0]
	v_mov_b32_e32 v0, v15
	v_mov_b32_e32 v1, v16
	s_waitcnt lgkmcnt(2)
	v_pk_fma_f32 v[34:35], v[228:229], v[4:5], v[0:1] op_sel_hi:[0,1,1] neg_lo:[1,0,0] neg_hi:[1,0,0]
	v_mov_b32_e32 v0, v17
	v_mov_b32_e32 v1, v18
	s_waitcnt lgkmcnt(1)
	v_pk_fma_f32 v[32:33], v[228:229], v[6:7], v[0:1] op_sel_hi:[0,1,1] neg_lo:[1,0,0] neg_hi:[1,0,0]
	v_mov_b32_e32 v0, v19
	v_mov_b32_e32 v1, v20
	s_waitcnt lgkmcnt(0)
	v_pk_fma_f32 v[16:17], v[228:229], v[8:9], v[0:1] op_sel_hi:[0,1,1] neg_lo:[1,0,0] neg_hi:[1,0,0]
	ds_read2_b32 v[0:1], v128 offset0:21 offset1:22
	ds_read2_b32 v[4:5], v128 offset0:23 offset1:24
	;; [unrolled: 1-line block ×4, first 2 shown]
	v_mov_b64_e32 v[100:101], v[228:229]
	v_mov_b64_e32 v[102:103], v[230:231]
	;; [unrolled: 1-line block ×3, first 2 shown]
	v_mov_b32_e32 v2, v21
	v_mov_b32_e32 v3, v22
	v_mov_b64_e32 v[98:99], v[226:227]
	v_mov_b64_e32 v[104:105], v[232:233]
	;; [unrolled: 1-line block ×12, first 2 shown]
	v_mov_b32_e32 v101, v152
	v_mov_b32_e32 v47, v103
	;; [unrolled: 1-line block ×3, first 2 shown]
	v_mov_b64_e32 v[40:41], v[96:97]
	s_waitcnt lgkmcnt(3)
	v_pk_fma_f32 v[14:15], v[228:229], v[0:1], v[2:3] op_sel_hi:[0,1,1] neg_lo:[1,0,0] neg_hi:[1,0,0]
	v_mov_b32_e32 v0, v23
	v_mov_b32_e32 v1, v24
	;; [unrolled: 1-line block ×25, first 2 shown]
	v_mov_b64_e32 v[42:43], v[98:99]
	v_mov_b64_e32 v[44:45], v[100:101]
	s_waitcnt lgkmcnt(2)
	v_pk_fma_f32 v[12:13], v[228:229], v[4:5], v[0:1] op_sel_hi:[0,1,1] neg_lo:[1,0,0] neg_hi:[1,0,0]
	ds_read2_b32 v[2:3], v128 offset0:29 offset1:30
	ds_read_b32 v4, v128 offset:124
	scratch_store_dwordx4 off, v[40:43], off offset:2608 ; 16-byte Folded Spill
	s_nop 0
	scratch_store_dwordx4 off, v[44:47], off offset:2624 ; 16-byte Folded Spill
	scratch_store_dwordx4 off, v[48:51], off offset:2640 ; 16-byte Folded Spill
	scratch_store_dwordx4 off, v[52:55], off offset:2656 ; 16-byte Folded Spill
	scratch_store_dwordx4 off, v[56:59], off offset:2672 ; 16-byte Folded Spill
	scratch_store_dwordx4 off, v[60:63], off offset:2688 ; 16-byte Folded Spill
	scratch_store_dwordx4 off, v[64:67], off offset:2704 ; 16-byte Folded Spill
	scratch_store_dwordx4 off, v[68:71], off offset:2720 ; 16-byte Folded Spill
	v_mov_b32_e32 v102, v153
	v_mov_b64_e32 v[48:49], v[104:105]
	v_mov_b64_e32 v[64:65], v[120:121]
	v_mov_b32_e32 v40, v96
	v_mov_b64_e32 v[50:51], v[106:107]
	v_mov_b64_e32 v[52:53], v[108:109]
	;; [unrolled: 1-line block ×10, first 2 shown]
	v_mov_b32_e32 v41, v97
	v_mov_b32_e32 v42, v98
	v_mov_b32_e32 v43, v99
	v_mov_b32_e32 v44, v100
	v_mov_b32_e32 v45, v101
	v_mov_b32_e32 v46, v102
	scratch_store_dwordx4 off, v[40:43], off offset:2480 ; 16-byte Folded Spill
	s_nop 0
	scratch_store_dwordx4 off, v[44:47], off offset:2496 ; 16-byte Folded Spill
	scratch_store_dwordx4 off, v[48:51], off offset:2512 ; 16-byte Folded Spill
	;; [unrolled: 1-line block ×7, first 2 shown]
	v_mov_b32_e32 v103, v132
	v_mov_b32_e32 v49, v105
	v_mov_b64_e32 v[40:41], v[96:97]
	v_mov_b32_e32 v65, v121
	v_mov_b32_e32 v50, v106
	;; [unrolled: 1-line block ×16, first 2 shown]
	v_mov_b64_e32 v[42:43], v[98:99]
	v_mov_b64_e32 v[44:45], v[100:101]
	;; [unrolled: 1-line block ×3, first 2 shown]
	v_mov_b32_e32 v66, v122
	v_mov_b32_e32 v67, v123
	;; [unrolled: 1-line block ×6, first 2 shown]
	scratch_store_dwordx4 off, v[40:43], off offset:2352 ; 16-byte Folded Spill
	s_nop 0
	scratch_store_dwordx4 off, v[44:47], off offset:2368 ; 16-byte Folded Spill
	scratch_store_dwordx4 off, v[48:51], off offset:2384 ; 16-byte Folded Spill
	;; [unrolled: 1-line block ×7, first 2 shown]
	v_mov_b32_e32 v104, v133
	v_mov_b64_e32 v[50:51], v[106:107]
	v_mov_b32_e32 v40, v96
	v_mov_b64_e32 v[66:67], v[122:123]
	v_mov_b64_e32 v[52:53], v[108:109]
	;; [unrolled: 1-line block ×8, first 2 shown]
	v_mov_b32_e32 v41, v97
	v_mov_b32_e32 v42, v98
	;; [unrolled: 1-line block ×8, first 2 shown]
	v_mov_b64_e32 v[68:69], v[124:125]
	v_mov_b64_e32 v[70:71], v[126:127]
	scratch_store_dwordx4 off, v[40:43], off offset:2224 ; 16-byte Folded Spill
	s_nop 0
	scratch_store_dwordx4 off, v[44:47], off offset:2240 ; 16-byte Folded Spill
	scratch_store_dwordx4 off, v[48:51], off offset:2256 ; 16-byte Folded Spill
	;; [unrolled: 1-line block ×7, first 2 shown]
	v_mov_b32_e32 v105, v130
	v_mov_b32_e32 v51, v107
	v_mov_b64_e32 v[40:41], v[96:97]
	v_mov_b32_e32 v67, v123
	v_mov_b32_e32 v52, v108
	;; [unrolled: 1-line block ×16, first 2 shown]
	v_mov_b64_e32 v[42:43], v[98:99]
	v_mov_b64_e32 v[44:45], v[100:101]
	;; [unrolled: 1-line block ×4, first 2 shown]
	v_mov_b32_e32 v68, v124
	v_mov_b32_e32 v69, v125
	;; [unrolled: 1-line block ×4, first 2 shown]
	scratch_store_dwordx4 off, v[40:43], off offset:2096 ; 16-byte Folded Spill
	s_nop 0
	scratch_store_dwordx4 off, v[44:47], off offset:2112 ; 16-byte Folded Spill
	scratch_store_dwordx4 off, v[48:51], off offset:2128 ; 16-byte Folded Spill
	;; [unrolled: 1-line block ×7, first 2 shown]
	v_mov_b32_e32 v106, v131
	v_mov_b64_e32 v[52:53], v[108:109]
	v_mov_b32_e32 v40, v96
	v_mov_b64_e32 v[68:69], v[124:125]
	v_mov_b64_e32 v[54:55], v[110:111]
	v_mov_b64_e32 v[56:57], v[112:113]
	v_mov_b64_e32 v[58:59], v[114:115]
	v_mov_b64_e32 v[60:61], v[116:117]
	v_mov_b64_e32 v[62:63], v[118:119]
	v_mov_b64_e32 v[64:65], v[120:121]
	v_mov_b64_e32 v[66:67], v[122:123]
	v_mov_b32_e32 v41, v97
	v_mov_b32_e32 v42, v98
	;; [unrolled: 1-line block ×10, first 2 shown]
	v_mov_b64_e32 v[70:71], v[126:127]
	scratch_store_dwordx4 off, v[40:43], off offset:1968 ; 16-byte Folded Spill
	s_nop 0
	scratch_store_dwordx4 off, v[44:47], off offset:1984 ; 16-byte Folded Spill
	scratch_store_dwordx4 off, v[48:51], off offset:2000 ; 16-byte Folded Spill
	;; [unrolled: 1-line block ×7, first 2 shown]
	v_mov_b32_e32 v107, v38
	v_mov_b32_e32 v53, v109
	v_mov_b64_e32 v[40:41], v[96:97]
	v_mov_b32_e32 v69, v125
	v_mov_b32_e32 v54, v110
	;; [unrolled: 1-line block ×16, first 2 shown]
	v_mov_b64_e32 v[42:43], v[98:99]
	v_mov_b64_e32 v[44:45], v[100:101]
	v_mov_b64_e32 v[46:47], v[102:103]
	v_mov_b64_e32 v[48:49], v[104:105]
	v_mov_b64_e32 v[50:51], v[106:107]
	v_mov_b32_e32 v70, v126
	v_mov_b32_e32 v71, v127
	scratch_store_dwordx4 off, v[40:43], off offset:1840 ; 16-byte Folded Spill
	s_nop 0
	scratch_store_dwordx4 off, v[44:47], off offset:1856 ; 16-byte Folded Spill
	scratch_store_dwordx4 off, v[48:51], off offset:1872 ; 16-byte Folded Spill
	;; [unrolled: 1-line block ×7, first 2 shown]
	scratch_store_dwordx2 off, v[38:39], off offset:1048 ; 8-byte Folded Spill
	v_mov_b32_e32 v108, v39
	v_mov_b64_e32 v[52:53], v[110:111]
	v_mov_b64_e32 v[38:39], v[96:97]
	;; [unrolled: 1-line block ×15, first 2 shown]
	v_mov_b32_e32 v50, v108
	scratch_store_dwordx4 off, v[38:41], off offset:1712 ; 16-byte Folded Spill
	s_nop 0
	scratch_store_dwordx4 off, v[42:45], off offset:1728 ; 16-byte Folded Spill
	scratch_store_dwordx4 off, v[46:49], off offset:1744 ; 16-byte Folded Spill
	;; [unrolled: 1-line block ×7, first 2 shown]
	v_mov_b32_e32 v109, v36
	v_mov_b32_e32 v53, v111
	v_mov_b32_e32 v54, v112
	v_mov_b32_e32 v55, v113
	v_mov_b32_e32 v56, v114
	v_mov_b32_e32 v57, v115
	v_mov_b32_e32 v58, v116
	v_mov_b32_e32 v59, v117
	v_mov_b32_e32 v60, v118
	v_mov_b32_e32 v61, v119
	v_mov_b32_e32 v62, v120
	v_mov_b32_e32 v63, v121
	v_mov_b32_e32 v64, v122
	v_mov_b32_e32 v65, v123
	v_mov_b32_e32 v66, v124
	v_mov_b32_e32 v67, v125
	v_mov_b32_e32 v68, v126
	v_mov_b64_e32 v[50:51], v[108:109]
	v_mov_b32_e32 v69, v127
	scratch_store_dwordx4 off, v[38:41], off offset:1584 ; 16-byte Folded Spill
	s_nop 0
	scratch_store_dwordx4 off, v[42:45], off offset:1600 ; 16-byte Folded Spill
	scratch_store_dwordx4 off, v[46:49], off offset:1616 ; 16-byte Folded Spill
	;; [unrolled: 1-line block ×7, first 2 shown]
	scratch_store_dwordx2 off, v[36:37], off offset:784 ; 8-byte Folded Spill
	v_mov_b32_e32 v110, v37
	v_mov_b64_e32 v[52:53], v[112:113]
	v_mov_b64_e32 v[36:37], v[96:97]
	v_mov_b32_e32 v48, v108
	v_mov_b64_e32 v[54:55], v[114:115]
	v_mov_b64_e32 v[56:57], v[116:117]
	;; [unrolled: 1-line block ×12, first 2 shown]
	v_mov_b32_e32 v49, v109
	v_mov_b32_e32 v50, v110
	scratch_store_dwordx4 off, v[36:39], off offset:1448 ; 16-byte Folded Spill
	s_nop 0
	scratch_store_dwordx4 off, v[40:43], off offset:1464 ; 16-byte Folded Spill
	scratch_store_dwordx4 off, v[44:47], off offset:1480 ; 16-byte Folded Spill
	;; [unrolled: 1-line block ×7, first 2 shown]
	v_mov_b32_e32 v111, v34
	v_mov_b64_e32 v[36:37], v[96:97]
	v_mov_b64_e32 v[38:39], v[98:99]
	;; [unrolled: 1-line block ×8, first 2 shown]
	v_mov_b32_e32 v112, v35
	scratch_store_dwordx4 off, v[36:39], off offset:1320 ; 16-byte Folded Spill
	s_nop 0
	scratch_store_dwordx4 off, v[40:43], off offset:1336 ; 16-byte Folded Spill
	scratch_store_dwordx4 off, v[44:47], off offset:1352 ; 16-byte Folded Spill
	;; [unrolled: 1-line block ×7, first 2 shown]
	scratch_store_dwordx2 off, v[34:35], off offset:1056 ; 8-byte Folded Spill
	v_mov_b64_e32 v[34:35], v[96:97]
	v_mov_b64_e32 v[52:53], v[114:115]
	v_mov_b64_e32 v[36:37], v[98:99]
	v_mov_b64_e32 v[38:39], v[100:101]
	v_mov_b64_e32 v[40:41], v[102:103]
	v_mov_b64_e32 v[42:43], v[104:105]
	v_mov_b64_e32 v[44:45], v[106:107]
	v_mov_b64_e32 v[46:47], v[108:109]
	v_mov_b64_e32 v[48:49], v[110:111]
	v_mov_b64_e32 v[54:55], v[116:117]
	v_mov_b64_e32 v[56:57], v[118:119]
	v_mov_b64_e32 v[58:59], v[120:121]
	v_mov_b64_e32 v[60:61], v[122:123]
	v_mov_b64_e32 v[62:63], v[124:125]
	v_mov_b64_e32 v[64:65], v[126:127]
	v_mov_b32_e32 v50, v112
	scratch_store_dwordx4 off, v[34:37], off offset:1192 ; 16-byte Folded Spill
	s_nop 0
	scratch_store_dwordx4 off, v[38:41], off offset:1208 ; 16-byte Folded Spill
	scratch_store_dwordx4 off, v[42:45], off offset:1224 ; 16-byte Folded Spill
	;; [unrolled: 1-line block ×7, first 2 shown]
	v_mov_b32_e32 v0, v25
	v_mov_b32_e32 v1, v26
	s_waitcnt lgkmcnt(3)
	v_pk_fma_f32 v[10:11], v[228:229], v[6:7], v[0:1] op_sel_hi:[0,1,1] neg_lo:[1,0,0] neg_hi:[1,0,0]
	v_mov_b32_e32 v0, v27
	v_mov_b32_e32 v1, v28
	s_waitcnt lgkmcnt(2)
	v_pk_fma_f32 v[6:7], v[228:229], v[8:9], v[0:1] op_sel_hi:[0,1,1] neg_lo:[1,0,0] neg_hi:[1,0,0]
	v_mov_b32_e32 v0, v29
	v_mov_b32_e32 v1, v30
	;; [unrolled: 1-line block ×3, first 2 shown]
	scratch_store_dwordx2 off, v[32:33], off offset:136 ; 8-byte Folded Spill
	v_mov_b32_e32 v114, v33
	v_mov_b64_e32 v[18:19], v[96:97]
	v_mov_b64_e32 v[38:39], v[116:117]
	v_mov_b32_e32 v34, v112
	v_mov_b64_e32 v[20:21], v[98:99]
	v_mov_b64_e32 v[22:23], v[100:101]
	;; [unrolled: 1-line block ×12, first 2 shown]
	v_mov_b32_e32 v35, v113
	v_mov_b32_e32 v36, v114
	scratch_store_dwordx4 off, v[18:21], off offset:1064 ; 16-byte Folded Spill
	s_nop 0
	scratch_store_dwordx4 off, v[22:25], off offset:1080 ; 16-byte Folded Spill
	scratch_store_dwordx4 off, v[26:29], off offset:1096 ; 16-byte Folded Spill
	;; [unrolled: 1-line block ×7, first 2 shown]
	v_mov_b32_e32 v222, v126
	v_mov_b32_e32 v221, v125
	;; [unrolled: 1-line block ×14, first 2 shown]
	v_mov_b64_e32 v[34:35], v[112:113]
	v_mov_b32_e32 v40, v118
	v_mov_b32_e32 v41, v119
	;; [unrolled: 1-line block ×10, first 2 shown]
	v_mov_b64_e32 v[36:37], v[114:115]
	scratch_store_dwordx4 off, v[18:21], off offset:920 ; 16-byte Folded Spill
	s_nop 0
	scratch_store_dwordx4 off, v[22:25], off offset:936 ; 16-byte Folded Spill
	scratch_store_dwordx4 off, v[26:29], off offset:952 ; 16-byte Folded Spill
	;; [unrolled: 1-line block ×7, first 2 shown]
	v_mov_b64_e32 v[146:147], v[16:17]
	v_mov_b32_e32 v116, v17
	v_mov_b64_e32 v[16:17], v[96:97]
	v_mov_b64_e32 v[38:39], v[118:119]
	v_mov_b32_e32 v32, v112
	v_mov_b64_e32 v[18:19], v[98:99]
	v_mov_b64_e32 v[20:21], v[100:101]
	;; [unrolled: 1-line block ×11, first 2 shown]
	v_mov_b32_e32 v33, v113
	v_mov_b32_e32 v34, v114
	v_mov_b32_e32 v35, v115
	v_mov_b32_e32 v36, v116
	scratch_store_dwordx4 off, v[16:19], off offset:792 ; 16-byte Folded Spill
	s_nop 0
	scratch_store_dwordx4 off, v[20:23], off offset:808 ; 16-byte Folded Spill
	scratch_store_dwordx4 off, v[24:27], off offset:824 ; 16-byte Folded Spill
	;; [unrolled: 1-line block ×7, first 2 shown]
	v_mov_b32_e32 v117, v14
	v_mov_b64_e32 v[32:33], v[112:113]
	v_mov_b64_e32 v[34:35], v[114:115]
	;; [unrolled: 1-line block ×4, first 2 shown]
	v_mov_b32_e32 v118, v15
	v_mov_b32_e32 v119, v12
	v_mov_b64_e32 v[142:143], v[12:13]
	v_mov_b64_e32 v[140:141], v[10:11]
	s_waitcnt lgkmcnt(1)
	v_pk_fma_f32 v[134:135], v[228:229], v[2:3], v[0:1] op_sel_hi:[0,1,1] neg_lo:[1,0,0] neg_hi:[1,0,0]
	scratch_store_dwordx4 off, v[16:19], off offset:656 ; 16-byte Folded Spill
	s_nop 0
	scratch_store_dwordx4 off, v[20:23], off offset:672 ; 16-byte Folded Spill
	scratch_store_dwordx4 off, v[24:27], off offset:688 ; 16-byte Folded Spill
	;; [unrolled: 1-line block ×7, first 2 shown]
	v_mov_b64_e32 v[14:15], v[96:97]
	v_mov_b64_e32 v[38:39], v[120:121]
	v_mov_b32_e32 v30, v112
	v_mov_b64_e32 v[16:17], v[98:99]
	v_mov_b64_e32 v[18:19], v[100:101]
	;; [unrolled: 1-line block ×10, first 2 shown]
	v_mov_b32_e32 v31, v113
	v_mov_b32_e32 v32, v114
	;; [unrolled: 1-line block ×6, first 2 shown]
	scratch_store_dwordx4 off, v[14:17], off offset:528 ; 16-byte Folded Spill
	s_nop 0
	scratch_store_dwordx4 off, v[18:21], off offset:544 ; 16-byte Folded Spill
	scratch_store_dwordx4 off, v[22:25], off offset:560 ; 16-byte Folded Spill
	;; [unrolled: 1-line block ×7, first 2 shown]
	v_mov_b64_e32 v[30:31], v[112:113]
	v_mov_b64_e32 v[32:33], v[114:115]
	;; [unrolled: 1-line block ×4, first 2 shown]
	v_mov_b32_e32 v120, v13
	v_mov_b32_e32 v121, v10
	s_waitcnt lgkmcnt(0)
	v_fma_f32 v159, -v228, v4, v159
	v_mov_b64_e32 v[138:139], v[6:7]
	v_mov_b32_e32 v188, v7
	v_mov_b64_e32 v[206:207], v[110:111]
	scratch_store_dwordx4 off, v[14:17], off offset:400 ; 16-byte Folded Spill
	s_nop 0
	scratch_store_dwordx4 off, v[18:21], off offset:416 ; 16-byte Folded Spill
	scratch_store_dwordx4 off, v[22:25], off offset:432 ; 16-byte Folded Spill
	;; [unrolled: 1-line block ×7, first 2 shown]
	v_mov_b64_e32 v[12:13], v[96:97]
	v_mov_b32_e32 v28, v112
	v_mov_b64_e32 v[38:39], v[122:123]
	v_mov_b64_e32 v[14:15], v[98:99]
	;; [unrolled: 1-line block ×8, first 2 shown]
	v_mov_b32_e32 v29, v113
	v_mov_b32_e32 v30, v114
	;; [unrolled: 1-line block ×8, first 2 shown]
	v_mov_b64_e32 v[40:41], v[124:125]
	v_mov_b64_e32 v[42:43], v[126:127]
	scratch_store_dwordx4 off, v[12:15], off offset:272 ; 16-byte Folded Spill
	s_nop 0
	scratch_store_dwordx4 off, v[16:19], off offset:288 ; 16-byte Folded Spill
	scratch_store_dwordx4 off, v[20:23], off offset:304 ; 16-byte Folded Spill
	;; [unrolled: 1-line block ×7, first 2 shown]
	v_mov_b64_e32 v[28:29], v[112:113]
	v_mov_b64_e32 v[30:31], v[114:115]
	v_mov_b64_e32 v[32:33], v[116:117]
	v_mov_b64_e32 v[34:35], v[118:119]
	v_mov_b64_e32 v[36:37], v[120:121]
	v_mov_b32_e32 v122, v11
	v_mov_b32_e32 v123, v6
	v_mov_b64_e32 v[204:205], v[108:109]
	v_mov_b64_e32 v[202:203], v[106:107]
	;; [unrolled: 1-line block ×3, first 2 shown]
	scratch_store_dwordx4 off, v[12:15], off offset:144 ; 16-byte Folded Spill
	s_nop 0
	scratch_store_dwordx4 off, v[16:19], off offset:160 ; 16-byte Folded Spill
	scratch_store_dwordx4 off, v[20:23], off offset:176 ; 16-byte Folded Spill
	scratch_store_dwordx4 off, v[24:27], off offset:192 ; 16-byte Folded Spill
	scratch_store_dwordx4 off, v[28:31], off offset:208 ; 16-byte Folded Spill
	scratch_store_dwordx4 off, v[32:35], off offset:224 ; 16-byte Folded Spill
	scratch_store_dwordx4 off, v[36:39], off offset:240 ; 16-byte Folded Spill
	scratch_store_dwordx4 off, v[40:43], off offset:256 ; 16-byte Folded Spill
	v_mov_b64_e32 v[8:9], v[96:97]
	v_mov_b32_e32 v24, v112
	v_mov_b64_e32 v[36:37], v[124:125]
	v_mov_b64_e32 v[10:11], v[98:99]
	;; [unrolled: 1-line block ×8, first 2 shown]
	v_mov_b32_e32 v25, v113
	v_mov_b32_e32 v26, v114
	;; [unrolled: 1-line block ×10, first 2 shown]
	v_mov_b64_e32 v[38:39], v[126:127]
	scratch_store_dwordx4 off, v[8:11], off offset:8 ; 16-byte Folded Spill
	s_nop 0
	scratch_store_dwordx4 off, v[12:15], off offset:24 ; 16-byte Folded Spill
	scratch_store_dwordx4 off, v[16:19], off offset:40 ; 16-byte Folded Spill
	;; [unrolled: 1-line block ×7, first 2 shown]
	s_nop 0
	v_mov_b64_e32 v[32:33], v[96:97]
	v_mov_b64_e32 v[60:61], v[124:125]
	;; [unrolled: 1-line block ×16, first 2 shown]
	v_mov_b32_e32 v60, v7
	v_mov_b32_e32 v61, v134
	v_mov_b64_e32 v[0:1], v[32:33]
	v_mov_b64_e32 v[174:175], v[46:47]
	;; [unrolled: 1-line block ×9, first 2 shown]
	v_mov_b32_e32 v223, v127
	v_mov_b64_e32 v[172:173], v[44:45]
	v_mov_b64_e32 v[170:171], v[42:43]
	;; [unrolled: 1-line block ×28, first 2 shown]
	v_mov_b32_e32 v30, v135
	v_mov_b32_e32 v31, v159
	scratch_store_dwordx4 off, v[224:227], off offset:2736 ; 16-byte Folded Spill
	s_nop 0
	scratch_store_dwordx4 off, v[228:231], off offset:2752 ; 16-byte Folded Spill
	scratch_store_dwordx4 off, v[232:235], off offset:2768 ; 16-byte Folded Spill
	scratch_store_dwordx4 off, v[236:239], off offset:2784 ; 16-byte Folded Spill
	scratch_store_dwordx4 off, v[240:243], off offset:2800 ; 16-byte Folded Spill
	scratch_store_dwordx4 off, v[244:247], off offset:2816 ; 16-byte Folded Spill
	scratch_store_dwordx4 off, v[248:251], off offset:2832 ; 16-byte Folded Spill
	scratch_store_dwordx4 off, v[252:255], off offset:2848 ; 16-byte Folded Spill
.LBB63_26:
	s_or_b64 exec, exec, s[2:3]
	s_waitcnt vmcnt(63) expcnt(7) lgkmcnt(15)
	s_barrier
	scratch_load_dword v62, off, off        ; 4-byte Folded Reload
	v_mov_b64_e32 v[226:227], v[132:133]
	v_mov_b64_e32 v[224:225], v[130:131]
	s_waitcnt vmcnt(0)
	v_cmp_eq_u32_e32 vcc, 5, v62
	s_and_saveexec_b64 s[2:3], vcc
	s_cbranch_execz .LBB63_29
; %bb.27:
	scratch_load_dword v62, off, off offset:4 ; 4-byte Folded Reload
	s_waitcnt vmcnt(0)
	ds_write_b32 v62, v152
	ds_write2_b64 v128, v[6:7], v[8:9] offset0:3 offset1:4
	ds_write2_b64 v128, v[10:11], v[12:13] offset0:5 offset1:6
	;; [unrolled: 1-line block ×6, first 2 shown]
	ds_write_b64 v128, v[30:31] offset:120
	ds_read_b32 v62, v62
	s_waitcnt lgkmcnt(0)
	v_cmp_neq_f32_e32 vcc, 0, v62
	s_and_b64 exec, exec, vcc
	s_cbranch_execz .LBB63_29
; %bb.28:
	v_div_scale_f32 v63, s[4:5], v62, v62, 1.0
	v_rcp_f32_e32 v93, v63
	v_div_scale_f32 v124, vcc, 1.0, v62, 1.0
	v_fma_f32 v133, -v63, v93, 1.0
	v_fmac_f32_e32 v93, v133, v93
	v_mul_f32_e32 v133, v124, v93
	v_fma_f32 v134, -v63, v133, v124
	v_fmac_f32_e32 v133, v134, v93
	v_fma_f32 v63, -v63, v133, v124
	v_div_fmas_f32 v63, v63, v93, v133
	v_div_fixup_f32 v62, v63, v62, 1.0
	scratch_load_dword v63, off, off offset:4 ; 4-byte Folded Reload
	s_waitcnt vmcnt(0)
	ds_write_b32 v63, v62
.LBB63_29:
	s_or_b64 exec, exec, s[2:3]
	s_waitcnt lgkmcnt(0)
	s_barrier
	scratch_load_dword v62, off, off offset:4 ; 4-byte Folded Reload
	s_waitcnt vmcnt(0)
	ds_read_b32 v62, v62
	s_waitcnt lgkmcnt(0)
	scratch_store_dword off, v62, off offset:2864 ; 4-byte Folded Spill
	scratch_load_dword v62, off, off        ; 4-byte Folded Reload
	s_waitcnt vmcnt(0)
	v_cmp_lt_u32_e32 vcc, 5, v62
	s_mov_b64 s[2:3], exec
	s_and_b64 s[4:5], s[2:3], vcc
	v_mov_b64_e32 v[130:131], v[136:137]
	v_mov_b64_e32 v[132:133], v[138:139]
	;; [unrolled: 1-line block ×4, first 2 shown]
	s_mov_b64 exec, s[4:5]
	s_cbranch_execz .LBB63_31
; %bb.30:
	ds_read2_b64 v[0:3], v128 offset0:3 offset1:4
	ds_read2_b64 v[32:35], v128 offset0:5 offset1:6
	scratch_load_dword v4, off, off offset:2864 ; 4-byte Folded Reload
	ds_read2_b64 v[36:39], v128 offset0:7 offset1:8
	s_waitcnt vmcnt(0)
	v_mul_f32_e32 v40, v152, v4
	s_waitcnt lgkmcnt(2)
	v_pk_fma_f32 v[134:135], v[40:41], v[0:1], v[6:7] op_sel_hi:[0,1,1] neg_lo:[1,0,0] neg_hi:[1,0,0]
	v_pk_fma_f32 v[136:137], v[40:41], v[2:3], v[8:9] op_sel_hi:[0,1,1] neg_lo:[1,0,0] neg_hi:[1,0,0]
	ds_read2_b64 v[0:3], v128 offset0:9 offset1:10
	s_waitcnt lgkmcnt(2)
	v_pk_fma_f32 v[138:139], v[40:41], v[32:33], v[10:11] op_sel_hi:[0,1,1] neg_lo:[1,0,0] neg_hi:[1,0,0]
	ds_read2_b64 v[4:7], v128 offset0:11 offset1:12
	ds_read2_b64 v[8:11], v128 offset0:13 offset1:14
	v_pk_fma_f32 v[140:141], v[40:41], v[34:35], v[12:13] op_sel_hi:[0,1,1] neg_lo:[1,0,0] neg_hi:[1,0,0]
	s_waitcnt lgkmcnt(2)
	v_pk_fma_f32 v[146:147], v[40:41], v[0:1], v[18:19] op_sel_hi:[0,1,1] neg_lo:[1,0,0] neg_hi:[1,0,0]
	ds_read_b64 v[0:1], v128 offset:120
	scratch_load_dwordx4 v[64:67], off, off offset:2736 ; 16-byte Folded Reload
	scratch_load_dwordx4 v[68:71], off, off offset:2752 ; 16-byte Folded Reload
	scratch_load_dwordx4 v[72:75], off, off offset:2768 ; 16-byte Folded Reload
	scratch_load_dwordx4 v[76:79], off, off offset:2784 ; 16-byte Folded Reload
	scratch_load_dwordx4 v[80:83], off, off offset:2800 ; 16-byte Folded Reload
	scratch_load_dwordx4 v[84:87], off, off offset:2816 ; 16-byte Folded Reload
	scratch_load_dwordx4 v[88:91], off, off offset:2832 ; 16-byte Folded Reload
	scratch_load_dwordx4 v[92:95], off, off offset:2848 ; 16-byte Folded Reload
	s_waitcnt vmcnt(6)
	v_mov_b32_e32 v69, v40
	v_pk_fma_f32 v[142:143], v[40:41], v[36:37], v[14:15] op_sel_hi:[0,1,1] neg_lo:[1,0,0] neg_hi:[1,0,0]
	v_pk_fma_f32 v[144:145], v[40:41], v[38:39], v[16:17] op_sel_hi:[0,1,1] neg_lo:[1,0,0] neg_hi:[1,0,0]
	;; [unrolled: 1-line block ×3, first 2 shown]
	s_waitcnt lgkmcnt(2)
	v_pk_fma_f32 v[150:151], v[40:41], v[4:5], v[22:23] op_sel_hi:[0,1,1] neg_lo:[1,0,0] neg_hi:[1,0,0]
	v_pk_fma_f32 v[152:153], v[40:41], v[6:7], v[24:25] op_sel_hi:[0,1,1] neg_lo:[1,0,0] neg_hi:[1,0,0]
	s_waitcnt lgkmcnt(1)
	v_pk_fma_f32 v[154:155], v[40:41], v[8:9], v[26:27] op_sel_hi:[0,1,1] neg_lo:[1,0,0] neg_hi:[1,0,0]
	v_pk_fma_f32 v[156:157], v[40:41], v[10:11], v[28:29] op_sel_hi:[0,1,1] neg_lo:[1,0,0] neg_hi:[1,0,0]
	s_waitcnt lgkmcnt(0)
	v_pk_fma_f32 v[158:159], v[40:41], v[0:1], v[30:31] op_sel_hi:[0,1,1] neg_lo:[1,0,0] neg_hi:[1,0,0]
	v_mov_b32_e32 v188, v156
	v_mov_b32_e32 v226, v135
	;; [unrolled: 1-line block ×9, first 2 shown]
	s_waitcnt vmcnt(0)
	v_mov_b64_e32 v[126:127], v[94:95]
	v_mov_b64_e32 v[120:121], v[88:89]
	;; [unrolled: 1-line block ×16, first 2 shown]
	v_mov_b32_e32 v102, v134
	v_mov_b64_e32 v[8:9], v[104:105]
	v_mov_b64_e32 v[24:25], v[120:121]
	v_mov_b32_e32 v0, v96
	v_mov_b64_e32 v[10:11], v[106:107]
	v_mov_b64_e32 v[12:13], v[108:109]
	v_mov_b64_e32 v[14:15], v[110:111]
	v_mov_b64_e32 v[16:17], v[112:113]
	v_mov_b64_e32 v[18:19], v[114:115]
	v_mov_b64_e32 v[20:21], v[116:117]
	v_mov_b64_e32 v[22:23], v[118:119]
	v_mov_b64_e32 v[26:27], v[122:123]
	v_mov_b64_e32 v[28:29], v[124:125]
	v_mov_b64_e32 v[30:31], v[126:127]
	v_mov_b32_e32 v1, v97
	v_mov_b32_e32 v2, v98
	;; [unrolled: 1-line block ×6, first 2 shown]
	scratch_store_dwordx4 off, v[0:3], off offset:2480 ; 16-byte Folded Spill
	s_nop 0
	scratch_store_dwordx4 off, v[4:7], off offset:2496 ; 16-byte Folded Spill
	scratch_store_dwordx4 off, v[8:11], off offset:2512 ; 16-byte Folded Spill
	;; [unrolled: 1-line block ×7, first 2 shown]
	v_mov_b32_e32 v103, v135
	v_mov_b32_e32 v9, v105
	v_mov_b64_e32 v[0:1], v[96:97]
	v_mov_b32_e32 v25, v121
	v_mov_b32_e32 v10, v106
	;; [unrolled: 1-line block ×16, first 2 shown]
	v_mov_b64_e32 v[2:3], v[98:99]
	v_mov_b64_e32 v[4:5], v[100:101]
	;; [unrolled: 1-line block ×3, first 2 shown]
	v_mov_b32_e32 v26, v122
	v_mov_b32_e32 v27, v123
	;; [unrolled: 1-line block ×13, first 2 shown]
	scratch_store_dwordx4 off, v[0:3], off offset:2352 ; 16-byte Folded Spill
	s_nop 0
	scratch_store_dwordx4 off, v[4:7], off offset:2368 ; 16-byte Folded Spill
	scratch_store_dwordx4 off, v[8:11], off offset:2384 ; 16-byte Folded Spill
	;; [unrolled: 1-line block ×7, first 2 shown]
	v_mov_b64_e32 v[10:11], v[106:107]
	v_mov_b32_e32 v0, v96
	v_mov_b64_e32 v[26:27], v[122:123]
	v_mov_b64_e32 v[12:13], v[108:109]
	;; [unrolled: 1-line block ×8, first 2 shown]
	v_mov_b32_e32 v1, v97
	v_mov_b32_e32 v2, v98
	;; [unrolled: 1-line block ×8, first 2 shown]
	v_mov_b64_e32 v[28:29], v[124:125]
	v_mov_b64_e32 v[30:31], v[126:127]
	v_mov_b32_e32 v106, v138
	v_mov_b32_e32 v217, v121
	;; [unrolled: 1-line block ×9, first 2 shown]
	scratch_store_dwordx4 off, v[0:3], off offset:2224 ; 16-byte Folded Spill
	s_nop 0
	scratch_store_dwordx4 off, v[4:7], off offset:2240 ; 16-byte Folded Spill
	scratch_store_dwordx4 off, v[8:11], off offset:2256 ; 16-byte Folded Spill
	;; [unrolled: 1-line block ×7, first 2 shown]
	v_mov_b32_e32 v11, v107
	v_mov_b64_e32 v[0:1], v[96:97]
	v_mov_b32_e32 v27, v123
	v_mov_b32_e32 v12, v108
	;; [unrolled: 1-line block ×16, first 2 shown]
	v_mov_b64_e32 v[2:3], v[98:99]
	v_mov_b64_e32 v[4:5], v[100:101]
	;; [unrolled: 1-line block ×4, first 2 shown]
	v_mov_b32_e32 v28, v124
	v_mov_b32_e32 v29, v125
	;; [unrolled: 1-line block ×5, first 2 shown]
	scratch_store_dwordx4 off, v[0:3], off offset:2096 ; 16-byte Folded Spill
	s_nop 0
	scratch_store_dwordx4 off, v[4:7], off offset:2112 ; 16-byte Folded Spill
	scratch_store_dwordx4 off, v[8:11], off offset:2128 ; 16-byte Folded Spill
	scratch_store_dwordx4 off, v[12:15], off offset:2144 ; 16-byte Folded Spill
	scratch_store_dwordx4 off, v[16:19], off offset:2160 ; 16-byte Folded Spill
	scratch_store_dwordx4 off, v[20:23], off offset:2176 ; 16-byte Folded Spill
	scratch_store_dwordx4 off, v[24:27], off offset:2192 ; 16-byte Folded Spill
	scratch_store_dwordx4 off, v[28:31], off offset:2208 ; 16-byte Folded Spill
	v_mov_b64_e32 v[12:13], v[108:109]
	v_mov_b32_e32 v0, v96
	v_mov_b64_e32 v[28:29], v[124:125]
	v_mov_b64_e32 v[14:15], v[110:111]
	v_mov_b64_e32 v[16:17], v[112:113]
	v_mov_b64_e32 v[18:19], v[114:115]
	v_mov_b64_e32 v[20:21], v[116:117]
	v_mov_b64_e32 v[22:23], v[118:119]
	v_mov_b64_e32 v[24:25], v[120:121]
	v_mov_b64_e32 v[26:27], v[122:123]
	v_mov_b32_e32 v1, v97
	v_mov_b32_e32 v2, v98
	;; [unrolled: 1-line block ×10, first 2 shown]
	v_mov_b64_e32 v[30:31], v[126:127]
	v_mov_b32_e32 v108, v140
	scratch_store_dwordx4 off, v[0:3], off offset:1968 ; 16-byte Folded Spill
	s_nop 0
	scratch_store_dwordx4 off, v[4:7], off offset:1984 ; 16-byte Folded Spill
	scratch_store_dwordx4 off, v[8:11], off offset:2000 ; 16-byte Folded Spill
	;; [unrolled: 1-line block ×7, first 2 shown]
	v_mov_b32_e32 v13, v109
	v_mov_b64_e32 v[0:1], v[96:97]
	v_mov_b32_e32 v29, v125
	v_mov_b32_e32 v14, v110
	;; [unrolled: 1-line block ×16, first 2 shown]
	v_mov_b64_e32 v[2:3], v[98:99]
	v_mov_b64_e32 v[4:5], v[100:101]
	;; [unrolled: 1-line block ×5, first 2 shown]
	v_mov_b32_e32 v30, v126
	v_mov_b32_e32 v31, v127
	v_mov_b32_e32 v109, v141
	scratch_store_dwordx4 off, v[0:3], off offset:1840 ; 16-byte Folded Spill
	s_nop 0
	scratch_store_dwordx4 off, v[4:7], off offset:1856 ; 16-byte Folded Spill
	scratch_store_dwordx4 off, v[8:11], off offset:1872 ; 16-byte Folded Spill
	;; [unrolled: 1-line block ×7, first 2 shown]
	v_mov_b64_e32 v[14:15], v[110:111]
	v_mov_b64_e32 v[16:17], v[112:113]
	;; [unrolled: 1-line block ×9, first 2 shown]
	v_mov_b32_e32 v12, v140
	v_mov_b32_e32 v110, v142
	scratch_store_dwordx4 off, v[0:3], off offset:1712 ; 16-byte Folded Spill
	s_nop 0
	scratch_store_dwordx4 off, v[4:7], off offset:1728 ; 16-byte Folded Spill
	scratch_store_dwordx4 off, v[8:11], off offset:1744 ; 16-byte Folded Spill
	scratch_store_dwordx4 off, v[12:15], off offset:1760 ; 16-byte Folded Spill
	scratch_store_dwordx4 off, v[16:19], off offset:1776 ; 16-byte Folded Spill
	scratch_store_dwordx4 off, v[20:23], off offset:1792 ; 16-byte Folded Spill
	scratch_store_dwordx4 off, v[24:27], off offset:1808 ; 16-byte Folded Spill
	scratch_store_dwordx4 off, v[28:31], off offset:1824 ; 16-byte Folded Spill
	v_mov_b32_e32 v15, v111
	v_mov_b32_e32 v16, v112
	;; [unrolled: 1-line block ×16, first 2 shown]
	v_mov_b64_e32 v[12:13], v[108:109]
	v_mov_b32_e32 v31, v127
	v_mov_b32_e32 v111, v143
	v_mov_b64_e32 v[206:207], v[110:111]
	v_mov_b64_e32 v[204:205], v[108:109]
	;; [unrolled: 1-line block ×8, first 2 shown]
	scratch_store_dwordx4 off, v[0:3], off offset:1584 ; 16-byte Folded Spill
	s_nop 0
	scratch_store_dwordx4 off, v[4:7], off offset:1600 ; 16-byte Folded Spill
	scratch_store_dwordx4 off, v[8:11], off offset:1616 ; 16-byte Folded Spill
	;; [unrolled: 1-line block ×7, first 2 shown]
	v_mov_b64_e32 v[16:17], v[112:113]
	v_mov_b32_e32 v12, v108
	v_mov_b64_e32 v[18:19], v[114:115]
	v_mov_b64_e32 v[20:21], v[116:117]
	;; [unrolled: 1-line block ×7, first 2 shown]
	v_mov_b32_e32 v13, v109
	v_mov_b32_e32 v14, v110
	;; [unrolled: 1-line block ×3, first 2 shown]
	scratch_store_dwordx4 off, v[0:3], off offset:1448 ; 16-byte Folded Spill
	s_nop 0
	scratch_store_dwordx4 off, v[4:7], off offset:1464 ; 16-byte Folded Spill
	scratch_store_dwordx4 off, v[8:11], off offset:1480 ; 16-byte Folded Spill
	;; [unrolled: 1-line block ×7, first 2 shown]
	v_mov_b64_e32 v[0:1], v[96:97]
	v_mov_b32_e32 v17, v113
	v_mov_b32_e32 v29, v125
	v_mov_b64_e32 v[2:3], v[98:99]
	v_mov_b64_e32 v[4:5], v[100:101]
	;; [unrolled: 1-line block ×7, first 2 shown]
	v_mov_b32_e32 v18, v114
	v_mov_b32_e32 v19, v115
	;; [unrolled: 1-line block ×14, first 2 shown]
	v_mov_b64_e32 v[208:209], v[112:113]
	scratch_store_dwordx4 off, v[0:3], off offset:1320 ; 16-byte Folded Spill
	s_nop 0
	scratch_store_dwordx4 off, v[4:7], off offset:1336 ; 16-byte Folded Spill
	scratch_store_dwordx4 off, v[8:11], off offset:1352 ; 16-byte Folded Spill
	;; [unrolled: 1-line block ×7, first 2 shown]
	v_mov_b64_e32 v[18:19], v[114:115]
	v_mov_b64_e32 v[20:21], v[116:117]
	;; [unrolled: 1-line block ×7, first 2 shown]
	v_mov_b32_e32 v16, v144
	v_mov_b32_e32 v114, v146
	;; [unrolled: 1-line block ×3, first 2 shown]
	scratch_store_dwordx4 off, v[0:3], off offset:1192 ; 16-byte Folded Spill
	s_nop 0
	scratch_store_dwordx4 off, v[4:7], off offset:1208 ; 16-byte Folded Spill
	scratch_store_dwordx4 off, v[8:11], off offset:1224 ; 16-byte Folded Spill
	;; [unrolled: 1-line block ×7, first 2 shown]
	v_mov_b64_e32 v[20:21], v[116:117]
	v_mov_b32_e32 v16, v112
	v_mov_b64_e32 v[22:23], v[118:119]
	v_mov_b64_e32 v[24:25], v[120:121]
	;; [unrolled: 1-line block ×5, first 2 shown]
	v_mov_b32_e32 v17, v113
	v_mov_b32_e32 v18, v114
	;; [unrolled: 1-line block ×3, first 2 shown]
	scratch_store_dwordx4 off, v[0:3], off offset:1064 ; 16-byte Folded Spill
	s_nop 0
	scratch_store_dwordx4 off, v[4:7], off offset:1080 ; 16-byte Folded Spill
	scratch_store_dwordx4 off, v[8:11], off offset:1096 ; 16-byte Folded Spill
	scratch_store_dwordx4 off, v[12:15], off offset:1112 ; 16-byte Folded Spill
	scratch_store_dwordx4 off, v[16:19], off offset:1128 ; 16-byte Folded Spill
	scratch_store_dwordx4 off, v[20:23], off offset:1144 ; 16-byte Folded Spill
	scratch_store_dwordx4 off, v[24:27], off offset:1160 ; 16-byte Folded Spill
	scratch_store_dwordx4 off, v[28:31], off offset:1176 ; 16-byte Folded Spill
	v_mov_b32_e32 v21, v117
	v_mov_b64_e32 v[16:17], v[112:113]
	v_mov_b32_e32 v22, v118
	v_mov_b32_e32 v23, v119
	;; [unrolled: 1-line block ×10, first 2 shown]
	v_mov_b64_e32 v[18:19], v[114:115]
	v_mov_b32_e32 v117, v149
	scratch_store_dwordx4 off, v[0:3], off offset:920 ; 16-byte Folded Spill
	s_nop 0
	scratch_store_dwordx4 off, v[4:7], off offset:936 ; 16-byte Folded Spill
	scratch_store_dwordx4 off, v[8:11], off offset:952 ; 16-byte Folded Spill
	;; [unrolled: 1-line block ×7, first 2 shown]
	v_mov_b64_e32 v[22:23], v[118:119]
	v_mov_b32_e32 v16, v112
	v_mov_b64_e32 v[24:25], v[120:121]
	v_mov_b64_e32 v[26:27], v[122:123]
	;; [unrolled: 1-line block ×4, first 2 shown]
	v_mov_b32_e32 v17, v113
	v_mov_b32_e32 v18, v114
	v_mov_b32_e32 v19, v115
	v_mov_b32_e32 v20, v116
	v_mov_b32_e32 v118, v150
	scratch_store_dwordx4 off, v[0:3], off offset:792 ; 16-byte Folded Spill
	s_nop 0
	scratch_store_dwordx4 off, v[4:7], off offset:808 ; 16-byte Folded Spill
	scratch_store_dwordx4 off, v[8:11], off offset:824 ; 16-byte Folded Spill
	;; [unrolled: 1-line block ×7, first 2 shown]
	v_mov_b32_e32 v23, v119
	v_mov_b64_e32 v[16:17], v[112:113]
	v_mov_b32_e32 v24, v120
	v_mov_b32_e32 v25, v121
	;; [unrolled: 1-line block ×8, first 2 shown]
	v_mov_b64_e32 v[18:19], v[114:115]
	v_mov_b64_e32 v[20:21], v[116:117]
	v_mov_b32_e32 v119, v151
	scratch_store_dwordx4 off, v[0:3], off offset:656 ; 16-byte Folded Spill
	s_nop 0
	scratch_store_dwordx4 off, v[4:7], off offset:672 ; 16-byte Folded Spill
	scratch_store_dwordx4 off, v[8:11], off offset:688 ; 16-byte Folded Spill
	;; [unrolled: 1-line block ×7, first 2 shown]
	s_nop 0
	v_mov_b64_e32 v[24:25], v[120:121]
	v_mov_b32_e32 v16, v112
	v_mov_b64_e32 v[26:27], v[122:123]
	v_mov_b64_e32 v[28:29], v[124:125]
	;; [unrolled: 1-line block ×3, first 2 shown]
	v_mov_b32_e32 v17, v113
	v_mov_b32_e32 v18, v114
	;; [unrolled: 1-line block ×7, first 2 shown]
	scratch_store_dwordx4 off, v[0:3], off offset:528 ; 16-byte Folded Spill
	s_nop 0
	scratch_store_dwordx4 off, v[4:7], off offset:544 ; 16-byte Folded Spill
	scratch_store_dwordx4 off, v[8:11], off offset:560 ; 16-byte Folded Spill
	;; [unrolled: 1-line block ×7, first 2 shown]
	v_mov_b64_e32 v[16:17], v[112:113]
	v_mov_b32_e32 v25, v121
	v_mov_b64_e32 v[18:19], v[114:115]
	v_mov_b64_e32 v[20:21], v[116:117]
	;; [unrolled: 1-line block ×3, first 2 shown]
	v_mov_b32_e32 v26, v122
	v_mov_b32_e32 v27, v123
	;; [unrolled: 1-line block ×7, first 2 shown]
	scratch_store_dwordx4 off, v[0:3], off offset:400 ; 16-byte Folded Spill
	s_nop 0
	scratch_store_dwordx4 off, v[4:7], off offset:416 ; 16-byte Folded Spill
	scratch_store_dwordx4 off, v[8:11], off offset:432 ; 16-byte Folded Spill
	;; [unrolled: 1-line block ×7, first 2 shown]
	v_mov_b32_e32 v16, v112
	v_mov_b64_e32 v[26:27], v[122:123]
	v_mov_b32_e32 v17, v113
	v_mov_b32_e32 v18, v114
	;; [unrolled: 1-line block ×8, first 2 shown]
	v_mov_b64_e32 v[28:29], v[124:125]
	v_mov_b64_e32 v[30:31], v[126:127]
	v_mov_b32_e32 v122, v154
	scratch_store_dwordx4 off, v[0:3], off offset:272 ; 16-byte Folded Spill
	s_nop 0
	scratch_store_dwordx4 off, v[4:7], off offset:288 ; 16-byte Folded Spill
	scratch_store_dwordx4 off, v[8:11], off offset:304 ; 16-byte Folded Spill
	;; [unrolled: 1-line block ×7, first 2 shown]
	v_mov_b64_e32 v[16:17], v[112:113]
	v_mov_b32_e32 v27, v123
	v_mov_b64_e32 v[18:19], v[114:115]
	v_mov_b64_e32 v[20:21], v[116:117]
	;; [unrolled: 1-line block ×4, first 2 shown]
	v_mov_b32_e32 v28, v124
	v_mov_b32_e32 v29, v125
	;; [unrolled: 1-line block ×5, first 2 shown]
	v_mov_b64_e32 v[32:33], v[96:97]
	v_mov_b64_e32 v[60:61], v[124:125]
	;; [unrolled: 1-line block ×16, first 2 shown]
	v_mov_b32_e32 v60, v156
	v_mov_b32_e32 v61, v157
	v_mov_b64_e32 v[190:191], v[62:63]
	v_mov_b64_e32 v[174:175], v[46:47]
	;; [unrolled: 1-line block ×6, first 2 shown]
	scratch_store_dwordx4 off, v[0:3], off offset:144 ; 16-byte Folded Spill
	s_nop 0
	scratch_store_dwordx4 off, v[4:7], off offset:160 ; 16-byte Folded Spill
	scratch_store_dwordx4 off, v[8:11], off offset:176 ; 16-byte Folded Spill
	;; [unrolled: 1-line block ×7, first 2 shown]
	v_mov_b32_e32 v16, v112
	s_nop 0
	v_mov_b64_e32 v[28:29], v[124:125]
	v_mov_b32_e32 v17, v113
	v_mov_b32_e32 v18, v114
	v_mov_b32_e32 v19, v115
	v_mov_b32_e32 v20, v116
	v_mov_b32_e32 v21, v117
	v_mov_b32_e32 v22, v118
	v_mov_b32_e32 v23, v119
	v_mov_b32_e32 v24, v120
	v_mov_b32_e32 v25, v121
	v_mov_b32_e32 v26, v122
	v_mov_b64_e32 v[30:31], v[126:127]
	v_mov_b64_e32 v[166:167], v[38:39]
	;; [unrolled: 1-line block ×10, first 2 shown]
	scratch_store_dwordx4 off, v[0:3], off offset:8 ; 16-byte Folded Spill
	s_nop 0
	scratch_store_dwordx4 off, v[4:7], off offset:24 ; 16-byte Folded Spill
	scratch_store_dwordx4 off, v[8:11], off offset:40 ; 16-byte Folded Spill
	;; [unrolled: 1-line block ×7, first 2 shown]
	v_mov_b64_e32 v[0:1], v[32:33]
	v_mov_b64_e32 v[2:3], v[34:35]
	;; [unrolled: 1-line block ×16, first 2 shown]
	v_mov_b32_e32 v62, v139
	v_mov_b32_e32 v63, v140
	scratch_store_dwordx4 off, v[64:67], off offset:2608 ; 16-byte Folded Spill
	s_nop 0
	scratch_store_dwordx4 off, v[68:71], off offset:2624 ; 16-byte Folded Spill
	scratch_store_dwordx4 off, v[72:75], off offset:2640 ; 16-byte Folded Spill
	;; [unrolled: 1-line block ×7, first 2 shown]
	scratch_store_dwordx2 off, v[62:63], off offset:1048 ; 8-byte Folded Spill
	v_mov_b32_e32 v62, v141
	v_mov_b32_e32 v63, v142
	scratch_store_dwordx2 off, v[62:63], off offset:784 ; 8-byte Folded Spill
	v_mov_b32_e32 v62, v143
	v_mov_b32_e32 v63, v144
	;; [unrolled: 1-line block ×4, first 2 shown]
	scratch_store_dwordx2 off, v[62:63], off offset:1056 ; 8-byte Folded Spill
	v_mov_b32_e32 v62, v145
	v_mov_b32_e32 v63, v146
	;; [unrolled: 1-line block ×11, first 2 shown]
	scratch_store_dwordx2 off, v[62:63], off offset:136 ; 8-byte Folded Spill
.LBB63_31:
	s_or_b64 exec, exec, s[2:3]
	s_waitcnt vmcnt(63) expcnt(7) lgkmcnt(15)
	s_barrier
	scratch_load_dword v62, off, off        ; 4-byte Folded Reload
	s_waitcnt vmcnt(0)
	v_cmp_eq_u32_e32 vcc, 6, v62
	s_and_saveexec_b64 s[2:3], vcc
	s_cbranch_execz .LBB63_34
; %bb.32:
	scratch_load_dword v62, off, off offset:4 ; 4-byte Folded Reload
	s_waitcnt vmcnt(0)
	ds_write_b32 v62, v153
	ds_write2_b32 v128, v7, v8 offset0:7 offset1:8
	ds_write2_b32 v128, v9, v10 offset0:9 offset1:10
	;; [unrolled: 1-line block ×12, first 2 shown]
	ds_write_b32 v128, v159 offset:124
	ds_read_b32 v62, v62
	s_waitcnt lgkmcnt(0)
	v_cmp_neq_f32_e32 vcc, 0, v62
	s_and_b64 exec, exec, vcc
	s_cbranch_execz .LBB63_34
; %bb.33:
	v_div_scale_f32 v63, s[4:5], v62, v62, 1.0
	v_rcp_f32_e32 v93, v63
	v_div_scale_f32 v124, vcc, 1.0, v62, 1.0
	v_fma_f32 v134, -v63, v93, 1.0
	v_fmac_f32_e32 v93, v134, v93
	v_mul_f32_e32 v134, v124, v93
	v_fma_f32 v135, -v63, v134, v124
	v_fmac_f32_e32 v134, v135, v93
	v_fma_f32 v63, -v63, v134, v124
	v_div_fmas_f32 v63, v63, v93, v134
	v_div_fixup_f32 v62, v63, v62, 1.0
	scratch_load_dword v63, off, off offset:4 ; 4-byte Folded Reload
	s_waitcnt vmcnt(0)
	ds_write_b32 v63, v62
.LBB63_34:
	s_or_b64 exec, exec, s[2:3]
	s_waitcnt lgkmcnt(0)
	s_barrier
	scratch_load_dword v62, off, off offset:4 ; 4-byte Folded Reload
	s_waitcnt vmcnt(0)
	ds_read_b32 v134, v62
	scratch_load_dword v62, off, off        ; 4-byte Folded Reload
	s_waitcnt vmcnt(0)
	v_cmp_lt_u32_e32 vcc, 6, v62
	s_mov_b64 s[2:3], exec
	s_and_b64 s[4:5], s[2:3], vcc
	v_mov_b64_e32 v[136:137], v[224:225]
	v_mov_b64_e32 v[138:139], v[226:227]
	s_mov_b64 exec, s[4:5]
	s_cbranch_execz .LBB63_36
; %bb.35:
	scratch_load_dwordx4 v[224:227], off, off offset:2608 ; 16-byte Folded Reload
	scratch_load_dwordx4 v[228:231], off, off offset:2624 ; 16-byte Folded Reload
	;; [unrolled: 1-line block ×8, first 2 shown]
	ds_read2_b32 v[0:1], v128 offset0:7 offset1:8
	v_mov_b32_e32 v2, v7
	ds_read2_b32 v[4:5], v128 offset0:9 offset1:10
	ds_read2_b32 v[6:7], v128 offset0:11 offset1:12
	;; [unrolled: 1-line block ×3, first 2 shown]
	s_waitcnt vmcnt(6) lgkmcnt(4)
	v_mul_f32_e32 v230, v153, v134
	v_mov_b32_e32 v3, v8
	s_waitcnt lgkmcnt(3)
	v_pk_fma_f32 v[138:139], v[230:231], v[0:1], v[2:3] op_sel_hi:[0,1,1] neg_lo:[1,0,0] neg_hi:[1,0,0]
	v_mov_b32_e32 v0, v9
	v_mov_b32_e32 v1, v10
	s_waitcnt lgkmcnt(2)
	v_pk_fma_f32 v[136:137], v[230:231], v[4:5], v[0:1] op_sel_hi:[0,1,1] neg_lo:[1,0,0] neg_hi:[1,0,0]
	v_mov_b32_e32 v0, v11
	v_mov_b32_e32 v1, v12
	s_waitcnt lgkmcnt(1)
	v_pk_fma_f32 v[34:35], v[230:231], v[6:7], v[0:1] op_sel_hi:[0,1,1] neg_lo:[1,0,0] neg_hi:[1,0,0]
	v_mov_b32_e32 v0, v13
	v_mov_b32_e32 v1, v14
	s_waitcnt lgkmcnt(0)
	v_pk_fma_f32 v[32:33], v[230:231], v[32:33], v[0:1] op_sel_hi:[0,1,1] neg_lo:[1,0,0] neg_hi:[1,0,0]
	ds_read2_b32 v[0:1], v128 offset0:15 offset1:16
	ds_read2_b32 v[4:5], v128 offset0:17 offset1:18
	ds_read2_b32 v[6:7], v128 offset0:19 offset1:20
	ds_read2_b32 v[8:9], v128 offset0:21 offset1:22
	v_mov_b32_e32 v2, v15
	v_mov_b32_e32 v3, v16
	s_waitcnt vmcnt(0)
	v_mov_b64_e32 v[96:97], v[224:225]
	s_waitcnt lgkmcnt(3)
	v_pk_fma_f32 v[12:13], v[230:231], v[0:1], v[2:3] op_sel_hi:[0,1,1] neg_lo:[1,0,0] neg_hi:[1,0,0]
	v_mov_b32_e32 v0, v17
	v_mov_b32_e32 v1, v18
	s_waitcnt lgkmcnt(2)
	v_pk_fma_f32 v[10:11], v[230:231], v[4:5], v[0:1] op_sel_hi:[0,1,1] neg_lo:[1,0,0] neg_hi:[1,0,0]
	v_mov_b32_e32 v0, v19
	v_mov_b32_e32 v1, v20
	;; [unrolled: 4-line block ×3, first 2 shown]
	s_waitcnt lgkmcnt(0)
	v_pk_fma_f32 v[144:145], v[230:231], v[8:9], v[0:1] op_sel_hi:[0,1,1] neg_lo:[1,0,0] neg_hi:[1,0,0]
	ds_read2_b32 v[0:1], v128 offset0:23 offset1:24
	v_mov_b64_e32 v[102:103], v[230:231]
	v_mov_b64_e32 v[104:105], v[232:233]
	;; [unrolled: 1-line block ×15, first 2 shown]
	v_mov_b32_e32 v103, v138
	v_mov_b32_e32 v45, v105
	v_mov_b64_e32 v[36:37], v[96:97]
	v_mov_b32_e32 v61, v121
	v_mov_b32_e32 v2, v23
	;; [unrolled: 1-line block ×18, first 2 shown]
	v_mov_b64_e32 v[38:39], v[98:99]
	v_mov_b64_e32 v[40:41], v[100:101]
	;; [unrolled: 1-line block ×3, first 2 shown]
	v_mov_b32_e32 v62, v122
	v_mov_b32_e32 v63, v123
	;; [unrolled: 1-line block ×6, first 2 shown]
	ds_read2_b32 v[4:5], v128 offset0:25 offset1:26
	ds_read2_b32 v[6:7], v128 offset0:27 offset1:28
	;; [unrolled: 1-line block ×3, first 2 shown]
	s_waitcnt lgkmcnt(3)
	v_pk_fma_f32 v[150:151], v[230:231], v[0:1], v[2:3] op_sel_hi:[0,1,1] neg_lo:[1,0,0] neg_hi:[1,0,0]
	ds_read_b32 v2, v128 offset:124
	scratch_store_dwordx4 off, v[36:39], off offset:2352 ; 16-byte Folded Spill
	s_nop 0
	scratch_store_dwordx4 off, v[40:43], off offset:2368 ; 16-byte Folded Spill
	scratch_store_dwordx4 off, v[44:47], off offset:2384 ; 16-byte Folded Spill
	;; [unrolled: 1-line block ×7, first 2 shown]
	v_mov_b32_e32 v104, v139
	v_mov_b64_e32 v[46:47], v[106:107]
	v_mov_b32_e32 v36, v96
	v_mov_b64_e32 v[62:63], v[122:123]
	v_mov_b64_e32 v[48:49], v[108:109]
	;; [unrolled: 1-line block ×8, first 2 shown]
	v_mov_b32_e32 v37, v97
	v_mov_b32_e32 v38, v98
	;; [unrolled: 1-line block ×8, first 2 shown]
	v_mov_b64_e32 v[64:65], v[124:125]
	v_mov_b64_e32 v[66:67], v[126:127]
	scratch_store_dwordx4 off, v[36:39], off offset:2224 ; 16-byte Folded Spill
	s_nop 0
	scratch_store_dwordx4 off, v[40:43], off offset:2240 ; 16-byte Folded Spill
	scratch_store_dwordx4 off, v[44:47], off offset:2256 ; 16-byte Folded Spill
	;; [unrolled: 1-line block ×7, first 2 shown]
	v_mov_b32_e32 v105, v136
	v_mov_b32_e32 v47, v107
	v_mov_b64_e32 v[36:37], v[96:97]
	v_mov_b32_e32 v63, v123
	v_mov_b32_e32 v48, v108
	;; [unrolled: 1-line block ×16, first 2 shown]
	v_mov_b64_e32 v[38:39], v[98:99]
	v_mov_b64_e32 v[40:41], v[100:101]
	;; [unrolled: 1-line block ×4, first 2 shown]
	v_mov_b32_e32 v64, v124
	v_mov_b32_e32 v65, v125
	;; [unrolled: 1-line block ×4, first 2 shown]
	scratch_store_dwordx4 off, v[36:39], off offset:2096 ; 16-byte Folded Spill
	s_nop 0
	scratch_store_dwordx4 off, v[40:43], off offset:2112 ; 16-byte Folded Spill
	scratch_store_dwordx4 off, v[44:47], off offset:2128 ; 16-byte Folded Spill
	;; [unrolled: 1-line block ×7, first 2 shown]
	v_mov_b32_e32 v106, v137
	v_mov_b64_e32 v[48:49], v[108:109]
	v_mov_b32_e32 v36, v96
	v_mov_b64_e32 v[64:65], v[124:125]
	v_mov_b64_e32 v[50:51], v[110:111]
	;; [unrolled: 1-line block ×8, first 2 shown]
	v_mov_b32_e32 v37, v97
	v_mov_b32_e32 v38, v98
	;; [unrolled: 1-line block ×10, first 2 shown]
	v_mov_b64_e32 v[66:67], v[126:127]
	scratch_store_dwordx4 off, v[36:39], off offset:1968 ; 16-byte Folded Spill
	s_nop 0
	scratch_store_dwordx4 off, v[40:43], off offset:1984 ; 16-byte Folded Spill
	scratch_store_dwordx4 off, v[44:47], off offset:2000 ; 16-byte Folded Spill
	;; [unrolled: 1-line block ×7, first 2 shown]
	v_mov_b32_e32 v107, v34
	v_mov_b32_e32 v49, v109
	v_mov_b64_e32 v[36:37], v[96:97]
	v_mov_b32_e32 v65, v125
	v_mov_b32_e32 v50, v110
	;; [unrolled: 1-line block ×16, first 2 shown]
	v_mov_b64_e32 v[38:39], v[98:99]
	v_mov_b64_e32 v[40:41], v[100:101]
	;; [unrolled: 1-line block ×5, first 2 shown]
	v_mov_b32_e32 v66, v126
	v_mov_b32_e32 v67, v127
	scratch_store_dwordx4 off, v[36:39], off offset:1840 ; 16-byte Folded Spill
	s_nop 0
	scratch_store_dwordx4 off, v[40:43], off offset:1856 ; 16-byte Folded Spill
	scratch_store_dwordx4 off, v[44:47], off offset:1872 ; 16-byte Folded Spill
	;; [unrolled: 1-line block ×7, first 2 shown]
	scratch_store_dwordx2 off, v[34:35], off offset:1048 ; 8-byte Folded Spill
	v_mov_b32_e32 v108, v35
	v_mov_b64_e32 v[48:49], v[110:111]
	v_mov_b64_e32 v[34:35], v[96:97]
	v_mov_b64_e32 v[50:51], v[112:113]
	v_mov_b64_e32 v[52:53], v[114:115]
	v_mov_b64_e32 v[54:55], v[116:117]
	v_mov_b64_e32 v[56:57], v[118:119]
	v_mov_b64_e32 v[58:59], v[120:121]
	v_mov_b64_e32 v[60:61], v[122:123]
	v_mov_b64_e32 v[62:63], v[124:125]
	v_mov_b64_e32 v[36:37], v[98:99]
	v_mov_b64_e32 v[38:39], v[100:101]
	v_mov_b64_e32 v[40:41], v[102:103]
	v_mov_b64_e32 v[42:43], v[104:105]
	v_mov_b64_e32 v[44:45], v[106:107]
	v_mov_b64_e32 v[64:65], v[126:127]
	v_mov_b32_e32 v46, v108
	scratch_store_dwordx4 off, v[34:37], off offset:1712 ; 16-byte Folded Spill
	s_nop 0
	scratch_store_dwordx4 off, v[38:41], off offset:1728 ; 16-byte Folded Spill
	scratch_store_dwordx4 off, v[42:45], off offset:1744 ; 16-byte Folded Spill
	;; [unrolled: 1-line block ×7, first 2 shown]
	v_mov_b32_e32 v109, v32
	v_mov_b32_e32 v49, v111
	;; [unrolled: 1-line block ×19, first 2 shown]
	v_mov_b64_e32 v[46:47], v[108:109]
	v_mov_b32_e32 v65, v127
	s_waitcnt lgkmcnt(3)
	v_pk_fma_f32 v[148:149], v[230:231], v[4:5], v[0:1] op_sel_hi:[0,1,1] neg_lo:[1,0,0] neg_hi:[1,0,0]
	v_mov_b32_e32 v0, v27
	v_mov_b32_e32 v1, v28
	scratch_store_dwordx4 off, v[34:37], off offset:1584 ; 16-byte Folded Spill
	s_nop 0
	scratch_store_dwordx4 off, v[38:41], off offset:1600 ; 16-byte Folded Spill
	scratch_store_dwordx4 off, v[42:45], off offset:1616 ; 16-byte Folded Spill
	;; [unrolled: 1-line block ×7, first 2 shown]
	scratch_store_dwordx2 off, v[32:33], off offset:784 ; 8-byte Folded Spill
	s_waitcnt lgkmcnt(2)
	v_pk_fma_f32 v[132:133], v[230:231], v[6:7], v[0:1] op_sel_hi:[0,1,1] neg_lo:[1,0,0] neg_hi:[1,0,0]
	v_mov_b32_e32 v1, v30
	v_mov_b32_e32 v110, v33
	v_mov_b64_e32 v[30:31], v[112:113]
	v_mov_b64_e32 v[14:15], v[96:97]
	v_mov_b32_e32 v26, v108
	v_mov_b64_e32 v[32:33], v[114:115]
	v_mov_b64_e32 v[34:35], v[116:117]
	;; [unrolled: 1-line block ×12, first 2 shown]
	v_mov_b32_e32 v27, v109
	v_mov_b32_e32 v28, v110
	;; [unrolled: 1-line block ×3, first 2 shown]
	scratch_store_dwordx4 off, v[14:17], off offset:1448 ; 16-byte Folded Spill
	s_nop 0
	scratch_store_dwordx4 off, v[18:21], off offset:1464 ; 16-byte Folded Spill
	scratch_store_dwordx4 off, v[22:25], off offset:1480 ; 16-byte Folded Spill
	;; [unrolled: 1-line block ×7, first 2 shown]
	v_mov_b32_e32 v111, v12
	v_mov_b64_e32 v[14:15], v[96:97]
	v_mov_b64_e32 v[16:17], v[98:99]
	;; [unrolled: 1-line block ×8, first 2 shown]
	scratch_store_dwordx4 off, v[14:17], off offset:1320 ; 16-byte Folded Spill
	s_nop 0
	scratch_store_dwordx4 off, v[18:21], off offset:1336 ; 16-byte Folded Spill
	scratch_store_dwordx4 off, v[22:25], off offset:1352 ; 16-byte Folded Spill
	;; [unrolled: 1-line block ×7, first 2 shown]
	scratch_store_dwordx2 off, v[12:13], off offset:1056 ; 8-byte Folded Spill
	v_mov_b32_e32 v112, v13
	v_mov_b64_e32 v[12:13], v[96:97]
	v_mov_b64_e32 v[30:31], v[114:115]
	v_mov_b64_e32 v[14:15], v[98:99]
	v_mov_b64_e32 v[16:17], v[100:101]
	v_mov_b64_e32 v[18:19], v[102:103]
	v_mov_b64_e32 v[20:21], v[104:105]
	v_mov_b64_e32 v[22:23], v[106:107]
	v_mov_b64_e32 v[24:25], v[108:109]
	v_mov_b64_e32 v[26:27], v[110:111]
	v_mov_b64_e32 v[32:33], v[116:117]
	v_mov_b64_e32 v[34:35], v[118:119]
	v_mov_b64_e32 v[36:37], v[120:121]
	v_mov_b64_e32 v[38:39], v[122:123]
	v_mov_b64_e32 v[40:41], v[124:125]
	v_mov_b64_e32 v[42:43], v[126:127]
	v_mov_b32_e32 v28, v112
	scratch_store_dwordx4 off, v[12:15], off offset:1192 ; 16-byte Folded Spill
	s_nop 0
	scratch_store_dwordx4 off, v[16:19], off offset:1208 ; 16-byte Folded Spill
	scratch_store_dwordx4 off, v[20:23], off offset:1224 ; 16-byte Folded Spill
	;; [unrolled: 1-line block ×7, first 2 shown]
	s_waitcnt lgkmcnt(1)
	v_pk_fma_f32 v[130:131], v[230:231], v[8:9], v[0:1] op_sel_hi:[0,1,1] neg_lo:[1,0,0] neg_hi:[1,0,0]
	s_waitcnt lgkmcnt(0)
	v_fma_f32 v159, -v230, v2, v159
	v_mov_b32_e32 v113, v10
	scratch_store_dwordx2 off, v[10:11], off offset:136 ; 8-byte Folded Spill
	v_mov_b32_e32 v114, v11
	v_mov_b64_e32 v[0:1], v[96:97]
	v_mov_b64_e32 v[20:21], v[116:117]
	v_mov_b32_e32 v16, v112
	v_mov_b64_e32 v[2:3], v[98:99]
	v_mov_b64_e32 v[4:5], v[100:101]
	;; [unrolled: 1-line block ×12, first 2 shown]
	v_mov_b32_e32 v17, v113
	v_mov_b32_e32 v18, v114
	scratch_store_dwordx4 off, v[0:3], off offset:1064 ; 16-byte Folded Spill
	s_nop 0
	scratch_store_dwordx4 off, v[4:7], off offset:1080 ; 16-byte Folded Spill
	scratch_store_dwordx4 off, v[8:11], off offset:1096 ; 16-byte Folded Spill
	;; [unrolled: 1-line block ×7, first 2 shown]
	v_mov_b32_e32 v222, v126
	v_mov_b32_e32 v221, v125
	v_mov_b32_e32 v220, v124
	v_mov_b32_e32 v219, v123
	v_mov_b32_e32 v218, v122
	v_mov_b32_e32 v217, v121
	v_mov_b32_e32 v216, v120
	v_mov_b32_e32 v215, v119
	v_mov_b32_e32 v214, v118
	v_mov_b32_e32 v213, v117
	v_mov_b32_e32 v212, v116
	v_mov_b32_e32 v211, v115
	v_mov_b32_e32 v115, v146
	v_mov_b32_e32 v21, v117
	v_mov_b64_e32 v[16:17], v[112:113]
	v_mov_b32_e32 v22, v118
	v_mov_b32_e32 v23, v119
	v_mov_b32_e32 v24, v120
	v_mov_b32_e32 v25, v121
	v_mov_b32_e32 v26, v122
	v_mov_b32_e32 v27, v123
	v_mov_b32_e32 v28, v124
	v_mov_b32_e32 v29, v125
	v_mov_b32_e32 v30, v126
	v_mov_b32_e32 v31, v127
	v_mov_b64_e32 v[18:19], v[114:115]
	scratch_store_dwordx4 off, v[0:3], off offset:920 ; 16-byte Folded Spill
	s_nop 0
	scratch_store_dwordx4 off, v[4:7], off offset:936 ; 16-byte Folded Spill
	scratch_store_dwordx4 off, v[8:11], off offset:952 ; 16-byte Folded Spill
	;; [unrolled: 1-line block ×7, first 2 shown]
	v_mov_b32_e32 v116, v147
	v_mov_b64_e32 v[22:23], v[118:119]
	v_mov_b32_e32 v16, v112
	v_mov_b64_e32 v[24:25], v[120:121]
	v_mov_b64_e32 v[26:27], v[122:123]
	;; [unrolled: 1-line block ×4, first 2 shown]
	v_mov_b32_e32 v17, v113
	v_mov_b32_e32 v18, v114
	;; [unrolled: 1-line block ×4, first 2 shown]
	scratch_store_dwordx4 off, v[0:3], off offset:792 ; 16-byte Folded Spill
	s_nop 0
	scratch_store_dwordx4 off, v[4:7], off offset:808 ; 16-byte Folded Spill
	scratch_store_dwordx4 off, v[8:11], off offset:824 ; 16-byte Folded Spill
	;; [unrolled: 1-line block ×7, first 2 shown]
	v_mov_b32_e32 v117, v144
	v_mov_b32_e32 v23, v119
	v_mov_b64_e32 v[16:17], v[112:113]
	v_mov_b32_e32 v24, v120
	v_mov_b32_e32 v25, v121
	;; [unrolled: 1-line block ×8, first 2 shown]
	v_mov_b64_e32 v[18:19], v[114:115]
	v_mov_b64_e32 v[20:21], v[116:117]
	scratch_store_dwordx4 off, v[0:3], off offset:656 ; 16-byte Folded Spill
	s_nop 0
	scratch_store_dwordx4 off, v[4:7], off offset:672 ; 16-byte Folded Spill
	scratch_store_dwordx4 off, v[8:11], off offset:688 ; 16-byte Folded Spill
	;; [unrolled: 1-line block ×7, first 2 shown]
	v_mov_b32_e32 v118, v145
	v_mov_b64_e32 v[24:25], v[120:121]
	v_mov_b32_e32 v16, v112
	v_mov_b64_e32 v[26:27], v[122:123]
	v_mov_b64_e32 v[28:29], v[124:125]
	;; [unrolled: 1-line block ×3, first 2 shown]
	v_mov_b32_e32 v17, v113
	v_mov_b32_e32 v18, v114
	;; [unrolled: 1-line block ×6, first 2 shown]
	scratch_store_dwordx4 off, v[0:3], off offset:528 ; 16-byte Folded Spill
	s_nop 0
	scratch_store_dwordx4 off, v[4:7], off offset:544 ; 16-byte Folded Spill
	scratch_store_dwordx4 off, v[8:11], off offset:560 ; 16-byte Folded Spill
	;; [unrolled: 1-line block ×7, first 2 shown]
	v_mov_b32_e32 v119, v150
	v_mov_b64_e32 v[16:17], v[112:113]
	v_mov_b32_e32 v25, v121
	v_mov_b64_e32 v[18:19], v[114:115]
	v_mov_b64_e32 v[20:21], v[116:117]
	;; [unrolled: 1-line block ×3, first 2 shown]
	v_mov_b32_e32 v26, v122
	v_mov_b32_e32 v27, v123
	;; [unrolled: 1-line block ×6, first 2 shown]
	scratch_store_dwordx4 off, v[0:3], off offset:400 ; 16-byte Folded Spill
	s_nop 0
	scratch_store_dwordx4 off, v[4:7], off offset:416 ; 16-byte Folded Spill
	scratch_store_dwordx4 off, v[8:11], off offset:432 ; 16-byte Folded Spill
	;; [unrolled: 1-line block ×7, first 2 shown]
	v_mov_b32_e32 v120, v151
	v_mov_b32_e32 v16, v112
	v_mov_b64_e32 v[26:27], v[122:123]
	v_mov_b32_e32 v17, v113
	v_mov_b32_e32 v18, v114
	;; [unrolled: 1-line block ×8, first 2 shown]
	v_mov_b64_e32 v[28:29], v[124:125]
	v_mov_b64_e32 v[30:31], v[126:127]
	scratch_store_dwordx4 off, v[0:3], off offset:272 ; 16-byte Folded Spill
	s_nop 0
	scratch_store_dwordx4 off, v[4:7], off offset:288 ; 16-byte Folded Spill
	scratch_store_dwordx4 off, v[8:11], off offset:304 ; 16-byte Folded Spill
	;; [unrolled: 1-line block ×7, first 2 shown]
	v_mov_b32_e32 v121, v148
	v_mov_b64_e32 v[16:17], v[112:113]
	v_mov_b32_e32 v27, v123
	v_mov_b64_e32 v[18:19], v[114:115]
	v_mov_b64_e32 v[20:21], v[116:117]
	;; [unrolled: 1-line block ×4, first 2 shown]
	v_mov_b32_e32 v28, v124
	v_mov_b32_e32 v29, v125
	;; [unrolled: 1-line block ×4, first 2 shown]
	scratch_store_dwordx4 off, v[0:3], off offset:144 ; 16-byte Folded Spill
	s_nop 0
	scratch_store_dwordx4 off, v[4:7], off offset:160 ; 16-byte Folded Spill
	scratch_store_dwordx4 off, v[8:11], off offset:176 ; 16-byte Folded Spill
	;; [unrolled: 1-line block ×7, first 2 shown]
	v_mov_b32_e32 v122, v149
	v_mov_b32_e32 v16, v112
	v_mov_b64_e32 v[28:29], v[124:125]
	v_mov_b32_e32 v17, v113
	v_mov_b32_e32 v18, v114
	;; [unrolled: 1-line block ×10, first 2 shown]
	v_mov_b64_e32 v[30:31], v[126:127]
	v_mov_b32_e32 v123, v132
	v_mov_b64_e32 v[32:33], v[96:97]
	scratch_store_dwordx4 off, v[0:3], off offset:8 ; 16-byte Folded Spill
	s_nop 0
	scratch_store_dwordx4 off, v[4:7], off offset:24 ; 16-byte Folded Spill
	scratch_store_dwordx4 off, v[8:11], off offset:40 ; 16-byte Folded Spill
	;; [unrolled: 1-line block ×7, first 2 shown]
	v_mov_b64_e32 v[60:61], v[124:125]
	v_mov_b64_e32 v[34:35], v[98:99]
	;; [unrolled: 1-line block ×15, first 2 shown]
	v_mov_b32_e32 v60, v133
	v_mov_b32_e32 v61, v130
	v_mov_b64_e32 v[0:1], v[32:33]
	v_mov_b64_e32 v[206:207], v[110:111]
	v_mov_b64_e32 v[174:175], v[46:47]
	v_mov_b64_e32 v[186:187], v[58:59]
	v_mov_b64_e32 v[30:31], v[62:63]
	v_mov_b64_e32 v[204:205], v[108:109]
	v_mov_b64_e32 v[202:203], v[106:107]
	v_mov_b64_e32 v[200:201], v[104:105]
	v_mov_b64_e32 v[198:199], v[102:103]
	v_mov_b64_e32 v[196:197], v[100:101]
	v_mov_b64_e32 v[194:195], v[98:99]
	v_mov_b64_e32 v[192:193], v[96:97]
	v_mov_b64_e32 v[208:209], v[112:113]
	v_mov_b32_e32 v223, v127
	v_mov_b64_e32 v[172:173], v[44:45]
	v_mov_b64_e32 v[170:171], v[42:43]
	v_mov_b64_e32 v[168:169], v[40:41]
	v_mov_b64_e32 v[166:167], v[38:39]
	v_mov_b64_e32 v[164:165], v[36:37]
	v_mov_b64_e32 v[162:163], v[34:35]
	v_mov_b64_e32 v[160:161], v[32:33]
	v_mov_b64_e32 v[184:185], v[56:57]
	v_mov_b64_e32 v[182:183], v[54:55]
	v_mov_b64_e32 v[180:181], v[52:53]
	v_mov_b64_e32 v[178:179], v[50:51]
	v_mov_b64_e32 v[176:177], v[48:49]
	v_mov_b64_e32 v[190:191], v[62:63]
	v_mov_b32_e32 v188, v133
	v_mov_b64_e32 v[2:3], v[34:35]
	v_mov_b64_e32 v[4:5], v[36:37]
	v_mov_b64_e32 v[6:7], v[38:39]
	v_mov_b64_e32 v[8:9], v[40:41]
	v_mov_b64_e32 v[10:11], v[42:43]
	v_mov_b64_e32 v[12:13], v[44:45]
	v_mov_b64_e32 v[14:15], v[46:47]
	v_mov_b64_e32 v[16:17], v[48:49]
	v_mov_b64_e32 v[18:19], v[50:51]
	v_mov_b64_e32 v[20:21], v[52:53]
	v_mov_b64_e32 v[22:23], v[54:55]
	v_mov_b64_e32 v[24:25], v[56:57]
	v_mov_b64_e32 v[26:27], v[58:59]
	v_mov_b64_e32 v[28:29], v[60:61]
	v_mov_b32_e32 v30, v131
	v_mov_b32_e32 v31, v159
	scratch_store_dwordx4 off, v[224:227], off offset:2480 ; 16-byte Folded Spill
	s_nop 0
	scratch_store_dwordx4 off, v[228:231], off offset:2496 ; 16-byte Folded Spill
	scratch_store_dwordx4 off, v[232:235], off offset:2512 ; 16-byte Folded Spill
	;; [unrolled: 1-line block ×7, first 2 shown]
.LBB63_36:
	s_or_b64 exec, exec, s[2:3]
	s_waitcnt lgkmcnt(0)
	s_barrier
	scratch_load_dword v62, off, off        ; 4-byte Folded Reload
	v_mov_b64_e32 v[224:225], v[136:137]
	s_waitcnt vmcnt(0)
	v_cmp_eq_u32_e32 vcc, 7, v62
	s_and_saveexec_b64 s[2:3], vcc
	s_cbranch_execz .LBB63_39
; %bb.37:
	scratch_load_dword v62, off, off offset:4 ; 4-byte Folded Reload
	s_waitcnt vmcnt(0)
	ds_write_b32 v62, v138
	ds_write2_b64 v128, v[8:9], v[10:11] offset0:4 offset1:5
	ds_write2_b64 v128, v[12:13], v[14:15] offset0:6 offset1:7
	;; [unrolled: 1-line block ×6, first 2 shown]
	ds_read_b32 v62, v62
	s_waitcnt lgkmcnt(0)
	v_cmp_neq_f32_e32 vcc, 0, v62
	s_and_b64 exec, exec, vcc
	s_cbranch_execz .LBB63_39
; %bb.38:
	v_div_scale_f32 v63, s[4:5], v62, v62, 1.0
	v_rcp_f32_e32 v93, v63
	v_div_scale_f32 v124, vcc, 1.0, v62, 1.0
	v_fma_f32 v135, -v63, v93, 1.0
	v_fmac_f32_e32 v93, v135, v93
	v_mul_f32_e32 v135, v124, v93
	v_fma_f32 v136, -v63, v135, v124
	v_fmac_f32_e32 v135, v136, v93
	v_fma_f32 v63, -v63, v135, v124
	v_div_fmas_f32 v63, v63, v93, v135
	v_div_fixup_f32 v62, v63, v62, 1.0
	scratch_load_dword v63, off, off offset:4 ; 4-byte Folded Reload
	s_waitcnt vmcnt(0)
	ds_write_b32 v63, v62
.LBB63_39:
	s_or_b64 exec, exec, s[2:3]
	s_waitcnt lgkmcnt(0)
	s_barrier
	scratch_load_dword v62, off, off offset:4 ; 4-byte Folded Reload
	s_waitcnt vmcnt(0)
	ds_read_b32 v135, v62
	scratch_load_dword v62, off, off        ; 4-byte Folded Reload
	s_waitcnt vmcnt(0)
	v_cmp_lt_u32_e32 vcc, 7, v62
	s_mov_b64 s[2:3], exec
	scratch_load_dwordx4 v[62:65], off, off offset:8 ; 16-byte Folded Reload
	scratch_load_dwordx4 v[66:69], off, off offset:24 ; 16-byte Folded Reload
	;; [unrolled: 1-line block ×8, first 2 shown]
	s_and_b64 s[4:5], s[2:3], vcc
	s_mov_b64 exec, s[4:5]
	s_cbranch_execz .LBB63_41
; %bb.40:
	ds_read2_b64 v[0:3], v128 offset0:4 offset1:5
	ds_read2_b64 v[4:7], v128 offset0:6 offset1:7
	s_waitcnt lgkmcnt(2)
	v_mul_f32_e32 v36, v138, v135
	ds_read2_b64 v[32:35], v128 offset0:8 offset1:9
	s_waitcnt lgkmcnt(2)
	v_pk_fma_f32 v[136:137], v[36:37], v[0:1], v[8:9] op_sel_hi:[0,1,1] neg_lo:[1,0,0] neg_hi:[1,0,0]
	v_pk_fma_f32 v[138:139], v[36:37], v[2:3], v[10:11] op_sel_hi:[0,1,1] neg_lo:[1,0,0] neg_hi:[1,0,0]
	s_waitcnt lgkmcnt(1)
	v_pk_fma_f32 v[140:141], v[36:37], v[4:5], v[12:13] op_sel_hi:[0,1,1] neg_lo:[1,0,0] neg_hi:[1,0,0]
	v_pk_fma_f32 v[142:143], v[36:37], v[6:7], v[14:15] op_sel_hi:[0,1,1] neg_lo:[1,0,0] neg_hi:[1,0,0]
	ds_read2_b64 v[0:3], v128 offset0:10 offset1:11
	ds_read2_b64 v[4:7], v128 offset0:12 offset1:13
	;; [unrolled: 1-line block ×3, first 2 shown]
	scratch_load_dwordx4 v[224:227], off, off offset:2480 ; 16-byte Folded Reload
	scratch_load_dwordx4 v[228:231], off, off offset:2496 ; 16-byte Folded Reload
	;; [unrolled: 1-line block ×8, first 2 shown]
	s_waitcnt vmcnt(6)
	v_mov_b32_e32 v231, v36
	s_waitcnt lgkmcnt(3)
	v_pk_fma_f32 v[144:145], v[36:37], v[32:33], v[16:17] op_sel_hi:[0,1,1] neg_lo:[1,0,0] neg_hi:[1,0,0]
	v_pk_fma_f32 v[146:147], v[36:37], v[34:35], v[18:19] op_sel_hi:[0,1,1] neg_lo:[1,0,0] neg_hi:[1,0,0]
	s_waitcnt lgkmcnt(2)
	v_pk_fma_f32 v[148:149], v[36:37], v[0:1], v[20:21] op_sel_hi:[0,1,1] neg_lo:[1,0,0] neg_hi:[1,0,0]
	v_pk_fma_f32 v[150:151], v[36:37], v[2:3], v[22:23] op_sel_hi:[0,1,1] neg_lo:[1,0,0] neg_hi:[1,0,0]
	;; [unrolled: 3-line block ×4, first 2 shown]
	v_mov_b32_e32 v132, v155
	v_mov_b32_e32 v133, v156
	;; [unrolled: 1-line block ×4, first 2 shown]
	s_waitcnt vmcnt(0)
	v_mov_b64_e32 v[160:161], v[224:225]
	v_mov_b64_e32 v[168:169], v[232:233]
	;; [unrolled: 1-line block ×16, first 2 shown]
	v_mov_b32_e32 v168, v136
	v_mov_b64_e32 v[10:11], v[170:171]
	v_mov_b32_e32 v0, v160
	v_mov_b64_e32 v[26:27], v[186:187]
	v_mov_b64_e32 v[12:13], v[172:173]
	;; [unrolled: 1-line block ×8, first 2 shown]
	v_mov_b32_e32 v1, v161
	v_mov_b32_e32 v2, v162
	;; [unrolled: 1-line block ×8, first 2 shown]
	v_mov_b64_e32 v[28:29], v[188:189]
	v_mov_b64_e32 v[30:31], v[190:191]
	scratch_store_dwordx4 off, v[0:3], off offset:2224 ; 16-byte Folded Spill
	s_nop 0
	scratch_store_dwordx4 off, v[4:7], off offset:2240 ; 16-byte Folded Spill
	scratch_store_dwordx4 off, v[8:11], off offset:2256 ; 16-byte Folded Spill
	;; [unrolled: 1-line block ×7, first 2 shown]
	v_mov_b32_e32 v169, v137
	v_mov_b32_e32 v11, v171
	v_mov_b64_e32 v[0:1], v[160:161]
	v_mov_b32_e32 v27, v187
	v_mov_b32_e32 v12, v172
	;; [unrolled: 1-line block ×16, first 2 shown]
	v_mov_b64_e32 v[2:3], v[162:163]
	v_mov_b64_e32 v[4:5], v[164:165]
	;; [unrolled: 1-line block ×4, first 2 shown]
	v_mov_b32_e32 v28, v188
	v_mov_b32_e32 v29, v189
	;; [unrolled: 1-line block ×10, first 2 shown]
	scratch_store_dwordx4 off, v[0:3], off offset:2096 ; 16-byte Folded Spill
	s_nop 0
	scratch_store_dwordx4 off, v[4:7], off offset:2112 ; 16-byte Folded Spill
	scratch_store_dwordx4 off, v[8:11], off offset:2128 ; 16-byte Folded Spill
	;; [unrolled: 1-line block ×7, first 2 shown]
	v_mov_b64_e32 v[12:13], v[172:173]
	v_mov_b32_e32 v0, v160
	v_mov_b64_e32 v[28:29], v[188:189]
	v_mov_b64_e32 v[14:15], v[174:175]
	;; [unrolled: 1-line block ×8, first 2 shown]
	v_mov_b32_e32 v1, v161
	v_mov_b32_e32 v2, v162
	;; [unrolled: 1-line block ×10, first 2 shown]
	v_mov_b64_e32 v[30:31], v[190:191]
	v_mov_b32_e32 v172, v140
	v_mov_b32_e32 v218, v186
	;; [unrolled: 1-line block ×10, first 2 shown]
	scratch_store_dwordx4 off, v[0:3], off offset:1968 ; 16-byte Folded Spill
	s_nop 0
	scratch_store_dwordx4 off, v[4:7], off offset:1984 ; 16-byte Folded Spill
	scratch_store_dwordx4 off, v[8:11], off offset:2000 ; 16-byte Folded Spill
	;; [unrolled: 1-line block ×7, first 2 shown]
	v_mov_b32_e32 v13, v173
	v_mov_b64_e32 v[0:1], v[160:161]
	v_mov_b32_e32 v29, v189
	v_mov_b32_e32 v14, v174
	;; [unrolled: 1-line block ×16, first 2 shown]
	v_mov_b64_e32 v[2:3], v[162:163]
	v_mov_b64_e32 v[4:5], v[164:165]
	;; [unrolled: 1-line block ×5, first 2 shown]
	v_mov_b32_e32 v30, v190
	v_mov_b32_e32 v31, v191
	;; [unrolled: 1-line block ×3, first 2 shown]
	scratch_store_dwordx4 off, v[0:3], off offset:1840 ; 16-byte Folded Spill
	s_nop 0
	scratch_store_dwordx4 off, v[4:7], off offset:1856 ; 16-byte Folded Spill
	scratch_store_dwordx4 off, v[8:11], off offset:1872 ; 16-byte Folded Spill
	;; [unrolled: 1-line block ×7, first 2 shown]
	v_mov_b64_e32 v[14:15], v[174:175]
	v_mov_b64_e32 v[16:17], v[176:177]
	;; [unrolled: 1-line block ×9, first 2 shown]
	v_mov_b32_e32 v12, v140
	v_mov_b32_e32 v174, v142
	scratch_store_dwordx4 off, v[0:3], off offset:1712 ; 16-byte Folded Spill
	s_nop 0
	scratch_store_dwordx4 off, v[4:7], off offset:1728 ; 16-byte Folded Spill
	scratch_store_dwordx4 off, v[8:11], off offset:1744 ; 16-byte Folded Spill
	;; [unrolled: 1-line block ×7, first 2 shown]
	v_mov_b32_e32 v15, v175
	v_mov_b32_e32 v16, v176
	;; [unrolled: 1-line block ×16, first 2 shown]
	v_mov_b64_e32 v[12:13], v[172:173]
	v_mov_b32_e32 v31, v191
	v_mov_b32_e32 v175, v143
	v_mov_b64_e32 v[206:207], v[174:175]
	v_mov_b64_e32 v[204:205], v[172:173]
	;; [unrolled: 1-line block ×8, first 2 shown]
	scratch_store_dwordx4 off, v[0:3], off offset:1584 ; 16-byte Folded Spill
	s_nop 0
	scratch_store_dwordx4 off, v[4:7], off offset:1600 ; 16-byte Folded Spill
	scratch_store_dwordx4 off, v[8:11], off offset:1616 ; 16-byte Folded Spill
	;; [unrolled: 1-line block ×7, first 2 shown]
	v_mov_b64_e32 v[16:17], v[176:177]
	v_mov_b32_e32 v12, v172
	v_mov_b64_e32 v[18:19], v[178:179]
	v_mov_b64_e32 v[20:21], v[180:181]
	;; [unrolled: 1-line block ×7, first 2 shown]
	v_mov_b32_e32 v13, v173
	v_mov_b32_e32 v14, v174
	;; [unrolled: 1-line block ×3, first 2 shown]
	scratch_store_dwordx4 off, v[0:3], off offset:1448 ; 16-byte Folded Spill
	s_nop 0
	scratch_store_dwordx4 off, v[4:7], off offset:1464 ; 16-byte Folded Spill
	scratch_store_dwordx4 off, v[8:11], off offset:1480 ; 16-byte Folded Spill
	;; [unrolled: 1-line block ×7, first 2 shown]
	v_mov_b64_e32 v[0:1], v[160:161]
	v_mov_b32_e32 v17, v177
	v_mov_b32_e32 v29, v189
	v_mov_b64_e32 v[2:3], v[162:163]
	v_mov_b64_e32 v[4:5], v[164:165]
	;; [unrolled: 1-line block ×7, first 2 shown]
	v_mov_b32_e32 v18, v178
	v_mov_b32_e32 v19, v179
	;; [unrolled: 1-line block ×14, first 2 shown]
	v_mov_b64_e32 v[208:209], v[176:177]
	scratch_store_dwordx4 off, v[0:3], off offset:1320 ; 16-byte Folded Spill
	s_nop 0
	scratch_store_dwordx4 off, v[4:7], off offset:1336 ; 16-byte Folded Spill
	scratch_store_dwordx4 off, v[8:11], off offset:1352 ; 16-byte Folded Spill
	;; [unrolled: 1-line block ×7, first 2 shown]
	v_mov_b64_e32 v[18:19], v[178:179]
	v_mov_b64_e32 v[20:21], v[180:181]
	;; [unrolled: 1-line block ×7, first 2 shown]
	v_mov_b32_e32 v16, v144
	v_mov_b32_e32 v178, v146
	;; [unrolled: 1-line block ×3, first 2 shown]
	scratch_store_dwordx4 off, v[0:3], off offset:1192 ; 16-byte Folded Spill
	s_nop 0
	scratch_store_dwordx4 off, v[4:7], off offset:1208 ; 16-byte Folded Spill
	scratch_store_dwordx4 off, v[8:11], off offset:1224 ; 16-byte Folded Spill
	;; [unrolled: 1-line block ×7, first 2 shown]
	v_mov_b64_e32 v[20:21], v[180:181]
	v_mov_b32_e32 v16, v176
	v_mov_b64_e32 v[22:23], v[182:183]
	v_mov_b64_e32 v[24:25], v[184:185]
	;; [unrolled: 1-line block ×5, first 2 shown]
	v_mov_b32_e32 v17, v177
	v_mov_b32_e32 v18, v178
	;; [unrolled: 1-line block ×3, first 2 shown]
	scratch_store_dwordx4 off, v[0:3], off offset:1064 ; 16-byte Folded Spill
	s_nop 0
	scratch_store_dwordx4 off, v[4:7], off offset:1080 ; 16-byte Folded Spill
	scratch_store_dwordx4 off, v[8:11], off offset:1096 ; 16-byte Folded Spill
	;; [unrolled: 1-line block ×7, first 2 shown]
	v_mov_b32_e32 v21, v181
	v_mov_b64_e32 v[16:17], v[176:177]
	v_mov_b32_e32 v22, v182
	v_mov_b32_e32 v23, v183
	;; [unrolled: 1-line block ×10, first 2 shown]
	v_mov_b64_e32 v[18:19], v[178:179]
	v_mov_b32_e32 v181, v149
	scratch_store_dwordx4 off, v[0:3], off offset:920 ; 16-byte Folded Spill
	s_nop 0
	scratch_store_dwordx4 off, v[4:7], off offset:936 ; 16-byte Folded Spill
	scratch_store_dwordx4 off, v[8:11], off offset:952 ; 16-byte Folded Spill
	;; [unrolled: 1-line block ×7, first 2 shown]
	v_mov_b64_e32 v[22:23], v[182:183]
	v_mov_b32_e32 v16, v176
	v_mov_b64_e32 v[24:25], v[184:185]
	v_mov_b64_e32 v[26:27], v[186:187]
	;; [unrolled: 1-line block ×4, first 2 shown]
	v_mov_b32_e32 v17, v177
	v_mov_b32_e32 v18, v178
	;; [unrolled: 1-line block ×5, first 2 shown]
	scratch_store_dwordx4 off, v[0:3], off offset:792 ; 16-byte Folded Spill
	s_nop 0
	scratch_store_dwordx4 off, v[4:7], off offset:808 ; 16-byte Folded Spill
	scratch_store_dwordx4 off, v[8:11], off offset:824 ; 16-byte Folded Spill
	;; [unrolled: 1-line block ×7, first 2 shown]
	v_mov_b32_e32 v23, v183
	v_mov_b64_e32 v[16:17], v[176:177]
	v_mov_b32_e32 v24, v184
	v_mov_b32_e32 v25, v185
	;; [unrolled: 1-line block ×8, first 2 shown]
	v_mov_b64_e32 v[18:19], v[178:179]
	v_mov_b64_e32 v[20:21], v[180:181]
	v_mov_b32_e32 v183, v151
	scratch_store_dwordx4 off, v[0:3], off offset:656 ; 16-byte Folded Spill
	s_nop 0
	scratch_store_dwordx4 off, v[4:7], off offset:672 ; 16-byte Folded Spill
	scratch_store_dwordx4 off, v[8:11], off offset:688 ; 16-byte Folded Spill
	;; [unrolled: 1-line block ×7, first 2 shown]
	s_nop 0
	v_mov_b64_e32 v[24:25], v[184:185]
	v_mov_b32_e32 v16, v176
	v_mov_b64_e32 v[26:27], v[186:187]
	v_mov_b64_e32 v[28:29], v[188:189]
	v_mov_b64_e32 v[30:31], v[190:191]
	v_mov_b32_e32 v17, v177
	v_mov_b32_e32 v18, v178
	;; [unrolled: 1-line block ×7, first 2 shown]
	scratch_store_dwordx4 off, v[0:3], off offset:528 ; 16-byte Folded Spill
	s_nop 0
	scratch_store_dwordx4 off, v[4:7], off offset:544 ; 16-byte Folded Spill
	scratch_store_dwordx4 off, v[8:11], off offset:560 ; 16-byte Folded Spill
	;; [unrolled: 1-line block ×7, first 2 shown]
	v_mov_b64_e32 v[16:17], v[176:177]
	v_mov_b32_e32 v25, v185
	v_mov_b64_e32 v[18:19], v[178:179]
	v_mov_b64_e32 v[20:21], v[180:181]
	;; [unrolled: 1-line block ×3, first 2 shown]
	v_mov_b32_e32 v26, v186
	v_mov_b32_e32 v27, v187
	;; [unrolled: 1-line block ×7, first 2 shown]
	v_mov_b64_e32 v[96:97], v[160:161]
	v_mov_b64_e32 v[112:113], v[176:177]
	;; [unrolled: 1-line block ×16, first 2 shown]
	v_mov_b32_e32 v122, v154
	v_mov_b32_e32 v123, v155
	v_mov_b64_e32 v[32:33], v[96:97]
	v_mov_b64_e32 v[60:61], v[124:125]
	;; [unrolled: 1-line block ×3, first 2 shown]
	scratch_store_dwordx4 off, v[0:3], off offset:400 ; 16-byte Folded Spill
	s_nop 0
	scratch_store_dwordx4 off, v[4:7], off offset:416 ; 16-byte Folded Spill
	scratch_store_dwordx4 off, v[8:11], off offset:432 ; 16-byte Folded Spill
	;; [unrolled: 1-line block ×7, first 2 shown]
	v_mov_b32_e32 v16, v176
	v_mov_b64_e32 v[26:27], v[186:187]
	v_mov_b32_e32 v17, v177
	v_mov_b32_e32 v18, v178
	;; [unrolled: 1-line block ×8, first 2 shown]
	v_mov_b64_e32 v[28:29], v[188:189]
	v_mov_b64_e32 v[30:31], v[190:191]
	;; [unrolled: 1-line block ×15, first 2 shown]
	v_mov_b32_e32 v60, v156
	v_mov_b32_e32 v61, v157
	v_mov_b64_e32 v[174:175], v[46:47]
	v_mov_b64_e32 v[172:173], v[44:45]
	;; [unrolled: 1-line block ×6, first 2 shown]
	scratch_store_dwordx4 off, v[0:3], off offset:272 ; 16-byte Folded Spill
	s_nop 0
	scratch_store_dwordx4 off, v[4:7], off offset:288 ; 16-byte Folded Spill
	scratch_store_dwordx4 off, v[8:11], off offset:304 ; 16-byte Folded Spill
	;; [unrolled: 1-line block ×7, first 2 shown]
	v_mov_b64_e32 v[16:17], v[176:177]
	v_mov_b32_e32 v27, v187
	v_mov_b64_e32 v[18:19], v[178:179]
	v_mov_b64_e32 v[20:21], v[180:181]
	v_mov_b64_e32 v[22:23], v[182:183]
	v_mov_b64_e32 v[24:25], v[184:185]
	v_mov_b32_e32 v28, v188
	v_mov_b32_e32 v29, v189
	;; [unrolled: 1-line block ×4, first 2 shown]
	v_mov_b64_e32 v[190:191], v[62:63]
	v_mov_b64_e32 v[186:187], v[58:59]
	;; [unrolled: 1-line block ×9, first 2 shown]
	v_mov_b32_e32 v188, v156
	scratch_store_dwordx4 off, v[0:3], off offset:144 ; 16-byte Folded Spill
	s_nop 0
	scratch_store_dwordx4 off, v[4:7], off offset:160 ; 16-byte Folded Spill
	scratch_store_dwordx4 off, v[8:11], off offset:176 ; 16-byte Folded Spill
	;; [unrolled: 1-line block ×7, first 2 shown]
	v_mov_b64_e32 v[0:1], v[96:97]
	v_mov_b32_e32 v16, v112
	v_mov_b64_e32 v[28:29], v[124:125]
	v_mov_b64_e32 v[2:3], v[98:99]
	;; [unrolled: 1-line block ×8, first 2 shown]
	v_mov_b32_e32 v17, v113
	v_mov_b32_e32 v18, v114
	;; [unrolled: 1-line block ×10, first 2 shown]
	v_mov_b64_e32 v[30:31], v[126:127]
	scratch_store_dwordx4 off, v[0:3], off offset:8 ; 16-byte Folded Spill
	s_nop 0
	scratch_store_dwordx4 off, v[4:7], off offset:24 ; 16-byte Folded Spill
	scratch_store_dwordx4 off, v[8:11], off offset:40 ; 16-byte Folded Spill
	;; [unrolled: 1-line block ×7, first 2 shown]
	v_mov_b64_e32 v[0:1], v[32:33]
	v_mov_b64_e32 v[2:3], v[34:35]
	;; [unrolled: 1-line block ×16, first 2 shown]
	v_mov_b32_e32 v62, v139
	v_mov_b32_e32 v63, v140
	scratch_store_dwordx4 off, v[224:227], off offset:2352 ; 16-byte Folded Spill
	s_nop 0
	scratch_store_dwordx4 off, v[228:231], off offset:2368 ; 16-byte Folded Spill
	scratch_store_dwordx4 off, v[232:235], off offset:2384 ; 16-byte Folded Spill
	;; [unrolled: 1-line block ×7, first 2 shown]
	scratch_store_dwordx2 off, v[62:63], off offset:1048 ; 8-byte Folded Spill
	v_mov_b32_e32 v62, v141
	v_mov_b32_e32 v63, v142
	scratch_store_dwordx2 off, v[62:63], off offset:784 ; 8-byte Folded Spill
	v_mov_b32_e32 v62, v143
	v_mov_b32_e32 v63, v144
	v_mov_b32_e32 v30, v158
	v_mov_b32_e32 v31, v159
	v_mov_b32_e32 v224, v137
	v_mov_b32_e32 v225, v138
	scratch_store_dwordx2 off, v[62:63], off offset:1056 ; 8-byte Folded Spill
	v_mov_b32_e32 v62, v145
	v_mov_b32_e32 v63, v146
	;; [unrolled: 1-line block ×11, first 2 shown]
	scratch_store_dwordx2 off, v[62:63], off offset:136 ; 8-byte Folded Spill
.LBB63_41:
	s_or_b64 exec, exec, s[2:3]
	s_waitcnt lgkmcnt(0)
	s_barrier
	scratch_load_dword v62, off, off        ; 4-byte Folded Reload
	s_waitcnt vmcnt(0)
	v_cmp_eq_u32_e32 vcc, 8, v62
	s_and_saveexec_b64 s[2:3], vcc
	s_cbranch_execz .LBB63_44
; %bb.42:
	scratch_load_dword v62, off, off offset:4 ; 4-byte Folded Reload
	s_waitcnt vmcnt(0)
	ds_write_b32 v62, v139
	ds_write2_b32 v128, v9, v10 offset0:9 offset1:10
	ds_write2_b32 v128, v11, v12 offset0:11 offset1:12
	;; [unrolled: 1-line block ×11, first 2 shown]
	ds_write_b32 v128, v159 offset:124
	ds_read_b32 v62, v62
	s_waitcnt lgkmcnt(0)
	v_cmp_neq_f32_e32 vcc, 0, v62
	s_and_b64 exec, exec, vcc
	s_cbranch_execz .LBB63_44
; %bb.43:
	v_div_scale_f32 v63, s[4:5], v62, v62, 1.0
	v_rcp_f32_e32 v93, v63
	v_div_scale_f32 v124, vcc, 1.0, v62, 1.0
	v_fma_f32 v136, -v63, v93, 1.0
	v_fmac_f32_e32 v93, v136, v93
	v_mul_f32_e32 v136, v124, v93
	v_fma_f32 v137, -v63, v136, v124
	v_fmac_f32_e32 v136, v137, v93
	v_fma_f32 v63, -v63, v136, v124
	v_div_fmas_f32 v63, v63, v93, v136
	v_div_fixup_f32 v62, v63, v62, 1.0
	scratch_load_dword v63, off, off offset:4 ; 4-byte Folded Reload
	s_waitcnt vmcnt(0)
	ds_write_b32 v63, v62
.LBB63_44:
	s_or_b64 exec, exec, s[2:3]
	s_waitcnt lgkmcnt(0)
	s_barrier
	scratch_load_dword v62, off, off offset:4 ; 4-byte Folded Reload
	s_waitcnt vmcnt(0)
	ds_read_b32 v136, v62
	scratch_load_dword v62, off, off        ; 4-byte Folded Reload
	s_waitcnt vmcnt(0)
	v_cmp_lt_u32_e32 vcc, 8, v62
	s_mov_b64 s[2:3], exec
	s_and_b64 s[4:5], s[2:3], vcc
	v_mov_b64_e32 v[140:141], v[224:225]
	s_mov_b64 exec, s[4:5]
	s_cbranch_execz .LBB63_46
; %bb.45:
	scratch_load_dwordx4 v[224:227], off, off offset:2352 ; 16-byte Folded Reload
	scratch_load_dwordx4 v[228:231], off, off offset:2368 ; 16-byte Folded Reload
	;; [unrolled: 1-line block ×8, first 2 shown]
	ds_read2_b32 v[0:1], v128 offset0:9 offset1:10
	v_mov_b32_e32 v2, v9
	ds_read2_b32 v[4:5], v128 offset0:11 offset1:12
	ds_read2_b32 v[6:7], v128 offset0:13 offset1:14
	;; [unrolled: 1-line block ×3, first 2 shown]
	s_waitcnt vmcnt(5) lgkmcnt(4)
	v_mul_f32_e32 v232, v139, v136
	v_mov_b32_e32 v3, v10
	s_waitcnt lgkmcnt(3)
	v_pk_fma_f32 v[140:141], v[232:233], v[0:1], v[2:3] op_sel_hi:[0,1,1] neg_lo:[1,0,0] neg_hi:[1,0,0]
	v_mov_b32_e32 v0, v11
	v_mov_b32_e32 v1, v12
	s_waitcnt lgkmcnt(2)
	v_pk_fma_f32 v[34:35], v[232:233], v[4:5], v[0:1] op_sel_hi:[0,1,1] neg_lo:[1,0,0] neg_hi:[1,0,0]
	v_mov_b32_e32 v0, v13
	;; [unrolled: 4-line block ×3, first 2 shown]
	v_mov_b32_e32 v1, v16
	s_waitcnt lgkmcnt(0)
	v_pk_fma_f32 v[12:13], v[232:233], v[8:9], v[0:1] op_sel_hi:[0,1,1] neg_lo:[1,0,0] neg_hi:[1,0,0]
	ds_read2_b32 v[0:1], v128 offset0:17 offset1:18
	ds_read2_b32 v[4:5], v128 offset0:19 offset1:20
	;; [unrolled: 1-line block ×4, first 2 shown]
	v_mov_b32_e32 v2, v17
	v_mov_b32_e32 v3, v18
	s_waitcnt vmcnt(0)
	v_mov_b64_e32 v[160:161], v[224:225]
	s_waitcnt lgkmcnt(3)
	v_pk_fma_f32 v[10:11], v[232:233], v[0:1], v[2:3] op_sel_hi:[0,1,1] neg_lo:[1,0,0] neg_hi:[1,0,0]
	v_mov_b32_e32 v0, v19
	v_mov_b32_e32 v1, v20
	v_mov_b64_e32 v[168:169], v[232:233]
	v_mov_b64_e32 v[170:171], v[234:235]
	;; [unrolled: 1-line block ×3, first 2 shown]
	s_waitcnt lgkmcnt(2)
	v_pk_fma_f32 v[146:147], v[232:233], v[4:5], v[0:1] op_sel_hi:[0,1,1] neg_lo:[1,0,0] neg_hi:[1,0,0]
	v_mov_b32_e32 v0, v21
	v_mov_b32_e32 v1, v22
	v_mov_b64_e32 v[162:163], v[226:227]
	v_mov_b64_e32 v[164:165], v[228:229]
	;; [unrolled: 1-line block ×12, first 2 shown]
	v_mov_b32_e32 v169, v140
	v_mov_b32_e32 v47, v171
	v_mov_b64_e32 v[36:37], v[160:161]
	v_mov_b32_e32 v63, v187
	s_waitcnt lgkmcnt(1)
	v_pk_fma_f32 v[144:145], v[232:233], v[6:7], v[0:1] op_sel_hi:[0,1,1] neg_lo:[1,0,0] neg_hi:[1,0,0]
	v_mov_b32_e32 v0, v23
	v_mov_b32_e32 v1, v24
	;; [unrolled: 1-line block ×17, first 2 shown]
	v_mov_b64_e32 v[38:39], v[162:163]
	v_mov_b64_e32 v[40:41], v[164:165]
	;; [unrolled: 1-line block ×4, first 2 shown]
	v_mov_b32_e32 v64, v188
	v_mov_b32_e32 v65, v189
	;; [unrolled: 1-line block ×4, first 2 shown]
	s_waitcnt lgkmcnt(0)
	v_pk_fma_f32 v[150:151], v[232:233], v[8:9], v[0:1] op_sel_hi:[0,1,1] neg_lo:[1,0,0] neg_hi:[1,0,0]
	ds_read2_b32 v[0:1], v128 offset0:25 offset1:26
	ds_read2_b32 v[4:5], v128 offset0:27 offset1:28
	;; [unrolled: 1-line block ×3, first 2 shown]
	ds_read_b32 v8, v128 offset:124
	scratch_store_dwordx4 off, v[36:39], off offset:2096 ; 16-byte Folded Spill
	s_nop 0
	scratch_store_dwordx4 off, v[40:43], off offset:2112 ; 16-byte Folded Spill
	scratch_store_dwordx4 off, v[44:47], off offset:2128 ; 16-byte Folded Spill
	;; [unrolled: 1-line block ×7, first 2 shown]
	v_mov_b32_e32 v170, v141
	v_mov_b64_e32 v[48:49], v[172:173]
	v_mov_b32_e32 v36, v160
	v_mov_b64_e32 v[64:65], v[188:189]
	v_mov_b64_e32 v[50:51], v[174:175]
	;; [unrolled: 1-line block ×8, first 2 shown]
	v_mov_b32_e32 v37, v161
	v_mov_b32_e32 v38, v162
	;; [unrolled: 1-line block ×10, first 2 shown]
	v_mov_b64_e32 v[66:67], v[190:191]
	scratch_store_dwordx4 off, v[36:39], off offset:1968 ; 16-byte Folded Spill
	s_nop 0
	scratch_store_dwordx4 off, v[40:43], off offset:1984 ; 16-byte Folded Spill
	scratch_store_dwordx4 off, v[44:47], off offset:2000 ; 16-byte Folded Spill
	;; [unrolled: 1-line block ×7, first 2 shown]
	v_mov_b32_e32 v171, v34
	v_mov_b32_e32 v49, v173
	v_mov_b64_e32 v[36:37], v[160:161]
	v_mov_b32_e32 v65, v189
	v_mov_b32_e32 v50, v174
	;; [unrolled: 1-line block ×16, first 2 shown]
	v_mov_b64_e32 v[38:39], v[162:163]
	v_mov_b64_e32 v[40:41], v[164:165]
	;; [unrolled: 1-line block ×5, first 2 shown]
	v_mov_b32_e32 v66, v190
	v_mov_b32_e32 v67, v191
	scratch_store_dwordx4 off, v[36:39], off offset:1840 ; 16-byte Folded Spill
	s_nop 0
	scratch_store_dwordx4 off, v[40:43], off offset:1856 ; 16-byte Folded Spill
	scratch_store_dwordx4 off, v[44:47], off offset:1872 ; 16-byte Folded Spill
	;; [unrolled: 1-line block ×7, first 2 shown]
	scratch_store_dwordx2 off, v[34:35], off offset:1048 ; 8-byte Folded Spill
	v_mov_b32_e32 v172, v35
	v_mov_b64_e32 v[48:49], v[174:175]
	v_mov_b64_e32 v[34:35], v[160:161]
	;; [unrolled: 1-line block ×15, first 2 shown]
	v_mov_b32_e32 v46, v172
	scratch_store_dwordx4 off, v[34:37], off offset:1712 ; 16-byte Folded Spill
	s_nop 0
	scratch_store_dwordx4 off, v[38:41], off offset:1728 ; 16-byte Folded Spill
	scratch_store_dwordx4 off, v[42:45], off offset:1744 ; 16-byte Folded Spill
	;; [unrolled: 1-line block ×7, first 2 shown]
	v_mov_b32_e32 v173, v32
	v_mov_b32_e32 v49, v175
	;; [unrolled: 1-line block ×19, first 2 shown]
	v_mov_b64_e32 v[46:47], v[172:173]
	v_mov_b32_e32 v65, v191
	s_waitcnt lgkmcnt(3)
	v_pk_fma_f32 v[148:149], v[232:233], v[0:1], v[2:3] op_sel_hi:[0,1,1] neg_lo:[1,0,0] neg_hi:[1,0,0]
	v_mov_b32_e32 v0, v27
	v_mov_b32_e32 v1, v28
	scratch_store_dwordx4 off, v[34:37], off offset:1584 ; 16-byte Folded Spill
	s_nop 0
	scratch_store_dwordx4 off, v[38:41], off offset:1600 ; 16-byte Folded Spill
	scratch_store_dwordx4 off, v[42:45], off offset:1616 ; 16-byte Folded Spill
	;; [unrolled: 1-line block ×7, first 2 shown]
	scratch_store_dwordx2 off, v[32:33], off offset:784 ; 8-byte Folded Spill
	s_waitcnt lgkmcnt(2)
	v_pk_fma_f32 v[132:133], v[232:233], v[4:5], v[0:1] op_sel_hi:[0,1,1] neg_lo:[1,0,0] neg_hi:[1,0,0]
	v_mov_b32_e32 v1, v30
	v_mov_b32_e32 v174, v33
	v_mov_b64_e32 v[30:31], v[176:177]
	v_mov_b64_e32 v[14:15], v[160:161]
	v_mov_b32_e32 v26, v172
	v_mov_b64_e32 v[32:33], v[178:179]
	v_mov_b64_e32 v[34:35], v[180:181]
	v_mov_b64_e32 v[36:37], v[182:183]
	v_mov_b64_e32 v[38:39], v[184:185]
	v_mov_b64_e32 v[40:41], v[186:187]
	v_mov_b64_e32 v[42:43], v[188:189]
	v_mov_b64_e32 v[44:45], v[190:191]
	v_mov_b64_e32 v[16:17], v[162:163]
	v_mov_b64_e32 v[18:19], v[164:165]
	v_mov_b64_e32 v[20:21], v[166:167]
	v_mov_b64_e32 v[22:23], v[168:169]
	v_mov_b64_e32 v[24:25], v[170:171]
	v_mov_b32_e32 v27, v173
	v_mov_b32_e32 v28, v174
	v_mov_b32_e32 v0, v29
	scratch_store_dwordx4 off, v[14:17], off offset:1448 ; 16-byte Folded Spill
	s_nop 0
	scratch_store_dwordx4 off, v[18:21], off offset:1464 ; 16-byte Folded Spill
	scratch_store_dwordx4 off, v[22:25], off offset:1480 ; 16-byte Folded Spill
	;; [unrolled: 1-line block ×7, first 2 shown]
	v_mov_b32_e32 v175, v12
	v_mov_b64_e32 v[14:15], v[160:161]
	v_mov_b64_e32 v[16:17], v[162:163]
	;; [unrolled: 1-line block ×8, first 2 shown]
	scratch_store_dwordx4 off, v[14:17], off offset:1320 ; 16-byte Folded Spill
	s_nop 0
	scratch_store_dwordx4 off, v[18:21], off offset:1336 ; 16-byte Folded Spill
	scratch_store_dwordx4 off, v[22:25], off offset:1352 ; 16-byte Folded Spill
	;; [unrolled: 1-line block ×7, first 2 shown]
	scratch_store_dwordx2 off, v[12:13], off offset:1056 ; 8-byte Folded Spill
	v_mov_b32_e32 v176, v13
	v_mov_b64_e32 v[12:13], v[160:161]
	v_mov_b64_e32 v[30:31], v[178:179]
	;; [unrolled: 1-line block ×15, first 2 shown]
	v_mov_b32_e32 v28, v176
	scratch_store_dwordx4 off, v[12:15], off offset:1192 ; 16-byte Folded Spill
	s_nop 0
	scratch_store_dwordx4 off, v[16:19], off offset:1208 ; 16-byte Folded Spill
	scratch_store_dwordx4 off, v[20:23], off offset:1224 ; 16-byte Folded Spill
	;; [unrolled: 1-line block ×7, first 2 shown]
	s_waitcnt lgkmcnt(1)
	v_pk_fma_f32 v[130:131], v[232:233], v[6:7], v[0:1] op_sel_hi:[0,1,1] neg_lo:[1,0,0] neg_hi:[1,0,0]
	s_waitcnt lgkmcnt(0)
	v_fma_f32 v159, -v232, v8, v159
	v_mov_b32_e32 v177, v10
	scratch_store_dwordx2 off, v[10:11], off offset:136 ; 8-byte Folded Spill
	v_mov_b32_e32 v178, v11
	v_mov_b64_e32 v[0:1], v[160:161]
	v_mov_b64_e32 v[20:21], v[180:181]
	v_mov_b32_e32 v16, v176
	v_mov_b64_e32 v[2:3], v[162:163]
	v_mov_b64_e32 v[4:5], v[164:165]
	;; [unrolled: 1-line block ×12, first 2 shown]
	v_mov_b32_e32 v17, v177
	v_mov_b32_e32 v18, v178
	scratch_store_dwordx4 off, v[0:3], off offset:1064 ; 16-byte Folded Spill
	s_nop 0
	scratch_store_dwordx4 off, v[4:7], off offset:1080 ; 16-byte Folded Spill
	scratch_store_dwordx4 off, v[8:11], off offset:1096 ; 16-byte Folded Spill
	;; [unrolled: 1-line block ×7, first 2 shown]
	v_mov_b32_e32 v222, v190
	v_mov_b32_e32 v221, v189
	;; [unrolled: 1-line block ×14, first 2 shown]
	v_mov_b64_e32 v[16:17], v[176:177]
	v_mov_b32_e32 v22, v182
	v_mov_b32_e32 v23, v183
	;; [unrolled: 1-line block ×10, first 2 shown]
	v_mov_b64_e32 v[18:19], v[178:179]
	scratch_store_dwordx4 off, v[0:3], off offset:920 ; 16-byte Folded Spill
	s_nop 0
	scratch_store_dwordx4 off, v[4:7], off offset:936 ; 16-byte Folded Spill
	scratch_store_dwordx4 off, v[8:11], off offset:952 ; 16-byte Folded Spill
	scratch_store_dwordx4 off, v[12:15], off offset:968 ; 16-byte Folded Spill
	scratch_store_dwordx4 off, v[16:19], off offset:984 ; 16-byte Folded Spill
	scratch_store_dwordx4 off, v[20:23], off offset:1000 ; 16-byte Folded Spill
	scratch_store_dwordx4 off, v[24:27], off offset:1016 ; 16-byte Folded Spill
	scratch_store_dwordx4 off, v[28:31], off offset:1032 ; 16-byte Folded Spill
	v_mov_b32_e32 v180, v147
	v_mov_b64_e32 v[22:23], v[182:183]
	v_mov_b32_e32 v16, v176
	v_mov_b64_e32 v[24:25], v[184:185]
	v_mov_b64_e32 v[26:27], v[186:187]
	;; [unrolled: 1-line block ×4, first 2 shown]
	v_mov_b32_e32 v17, v177
	v_mov_b32_e32 v18, v178
	;; [unrolled: 1-line block ×4, first 2 shown]
	scratch_store_dwordx4 off, v[0:3], off offset:792 ; 16-byte Folded Spill
	s_nop 0
	scratch_store_dwordx4 off, v[4:7], off offset:808 ; 16-byte Folded Spill
	scratch_store_dwordx4 off, v[8:11], off offset:824 ; 16-byte Folded Spill
	;; [unrolled: 1-line block ×7, first 2 shown]
	v_mov_b32_e32 v181, v144
	v_mov_b32_e32 v23, v183
	v_mov_b64_e32 v[16:17], v[176:177]
	v_mov_b32_e32 v24, v184
	v_mov_b32_e32 v25, v185
	;; [unrolled: 1-line block ×8, first 2 shown]
	v_mov_b64_e32 v[18:19], v[178:179]
	v_mov_b64_e32 v[20:21], v[180:181]
	scratch_store_dwordx4 off, v[0:3], off offset:656 ; 16-byte Folded Spill
	s_nop 0
	scratch_store_dwordx4 off, v[4:7], off offset:672 ; 16-byte Folded Spill
	scratch_store_dwordx4 off, v[8:11], off offset:688 ; 16-byte Folded Spill
	scratch_store_dwordx4 off, v[12:15], off offset:704 ; 16-byte Folded Spill
	scratch_store_dwordx4 off, v[16:19], off offset:720 ; 16-byte Folded Spill
	scratch_store_dwordx4 off, v[20:23], off offset:736 ; 16-byte Folded Spill
	scratch_store_dwordx4 off, v[24:27], off offset:752 ; 16-byte Folded Spill
	scratch_store_dwordx4 off, v[28:31], off offset:768 ; 16-byte Folded Spill
	v_mov_b32_e32 v182, v145
	v_mov_b64_e32 v[24:25], v[184:185]
	v_mov_b32_e32 v16, v176
	v_mov_b64_e32 v[26:27], v[186:187]
	v_mov_b64_e32 v[28:29], v[188:189]
	;; [unrolled: 1-line block ×3, first 2 shown]
	v_mov_b32_e32 v17, v177
	v_mov_b32_e32 v18, v178
	;; [unrolled: 1-line block ×6, first 2 shown]
	scratch_store_dwordx4 off, v[0:3], off offset:528 ; 16-byte Folded Spill
	s_nop 0
	scratch_store_dwordx4 off, v[4:7], off offset:544 ; 16-byte Folded Spill
	scratch_store_dwordx4 off, v[8:11], off offset:560 ; 16-byte Folded Spill
	;; [unrolled: 1-line block ×7, first 2 shown]
	v_mov_b32_e32 v183, v150
	v_mov_b64_e32 v[16:17], v[176:177]
	v_mov_b32_e32 v25, v185
	v_mov_b64_e32 v[18:19], v[178:179]
	v_mov_b64_e32 v[20:21], v[180:181]
	;; [unrolled: 1-line block ×3, first 2 shown]
	v_mov_b32_e32 v26, v186
	v_mov_b32_e32 v27, v187
	;; [unrolled: 1-line block ×6, first 2 shown]
	scratch_store_dwordx4 off, v[0:3], off offset:400 ; 16-byte Folded Spill
	s_nop 0
	scratch_store_dwordx4 off, v[4:7], off offset:416 ; 16-byte Folded Spill
	scratch_store_dwordx4 off, v[8:11], off offset:432 ; 16-byte Folded Spill
	;; [unrolled: 1-line block ×7, first 2 shown]
	v_mov_b32_e32 v184, v151
	v_mov_b32_e32 v16, v176
	v_mov_b64_e32 v[26:27], v[186:187]
	v_mov_b32_e32 v17, v177
	v_mov_b32_e32 v18, v178
	;; [unrolled: 1-line block ×8, first 2 shown]
	v_mov_b64_e32 v[28:29], v[188:189]
	v_mov_b64_e32 v[30:31], v[190:191]
	scratch_store_dwordx4 off, v[0:3], off offset:272 ; 16-byte Folded Spill
	s_nop 0
	scratch_store_dwordx4 off, v[4:7], off offset:288 ; 16-byte Folded Spill
	scratch_store_dwordx4 off, v[8:11], off offset:304 ; 16-byte Folded Spill
	;; [unrolled: 1-line block ×7, first 2 shown]
	v_mov_b32_e32 v185, v148
	v_mov_b64_e32 v[16:17], v[176:177]
	v_mov_b32_e32 v27, v187
	v_mov_b64_e32 v[18:19], v[178:179]
	v_mov_b64_e32 v[20:21], v[180:181]
	v_mov_b64_e32 v[22:23], v[182:183]
	v_mov_b64_e32 v[24:25], v[184:185]
	v_mov_b32_e32 v28, v188
	v_mov_b32_e32 v29, v189
	;; [unrolled: 1-line block ×4, first 2 shown]
	scratch_store_dwordx4 off, v[0:3], off offset:144 ; 16-byte Folded Spill
	s_nop 0
	scratch_store_dwordx4 off, v[4:7], off offset:160 ; 16-byte Folded Spill
	scratch_store_dwordx4 off, v[8:11], off offset:176 ; 16-byte Folded Spill
	;; [unrolled: 1-line block ×7, first 2 shown]
	v_mov_b64_e32 v[96:97], v[160:161]
	v_mov_b64_e32 v[112:113], v[176:177]
	;; [unrolled: 1-line block ×16, first 2 shown]
	v_mov_b32_e32 v122, v149
	v_mov_b64_e32 v[0:1], v[96:97]
	v_mov_b32_e32 v16, v112
	v_mov_b64_e32 v[28:29], v[124:125]
	v_mov_b64_e32 v[2:3], v[98:99]
	;; [unrolled: 1-line block ×8, first 2 shown]
	v_mov_b32_e32 v17, v113
	v_mov_b32_e32 v18, v114
	;; [unrolled: 1-line block ×10, first 2 shown]
	v_mov_b64_e32 v[30:31], v[126:127]
	v_mov_b32_e32 v123, v132
	v_mov_b64_e32 v[32:33], v[96:97]
	scratch_store_dwordx4 off, v[0:3], off offset:8 ; 16-byte Folded Spill
	s_nop 0
	scratch_store_dwordx4 off, v[4:7], off offset:24 ; 16-byte Folded Spill
	scratch_store_dwordx4 off, v[8:11], off offset:40 ; 16-byte Folded Spill
	;; [unrolled: 1-line block ×7, first 2 shown]
	v_mov_b64_e32 v[60:61], v[124:125]
	v_mov_b64_e32 v[206:207], v[174:175]
	v_mov_b64_e32 v[34:35], v[98:99]
	v_mov_b64_e32 v[36:37], v[100:101]
	v_mov_b64_e32 v[38:39], v[102:103]
	v_mov_b64_e32 v[40:41], v[104:105]
	v_mov_b64_e32 v[42:43], v[106:107]
	v_mov_b64_e32 v[44:45], v[108:109]
	v_mov_b64_e32 v[46:47], v[110:111]
	v_mov_b64_e32 v[48:49], v[112:113]
	v_mov_b64_e32 v[50:51], v[114:115]
	v_mov_b64_e32 v[52:53], v[116:117]
	v_mov_b64_e32 v[54:55], v[118:119]
	v_mov_b64_e32 v[56:57], v[120:121]
	v_mov_b64_e32 v[58:59], v[122:123]
	v_mov_b64_e32 v[62:63], v[126:127]
	v_mov_b32_e32 v60, v133
	v_mov_b32_e32 v61, v130
	v_mov_b64_e32 v[0:1], v[32:33]
	v_mov_b64_e32 v[204:205], v[172:173]
	;; [unrolled: 1-line block ×12, first 2 shown]
	v_mov_b32_e32 v223, v191
	v_mov_b64_e32 v[172:173], v[44:45]
	v_mov_b64_e32 v[170:171], v[42:43]
	;; [unrolled: 1-line block ×13, first 2 shown]
	v_mov_b32_e32 v188, v133
	v_mov_b64_e32 v[2:3], v[34:35]
	v_mov_b64_e32 v[4:5], v[36:37]
	v_mov_b64_e32 v[6:7], v[38:39]
	v_mov_b64_e32 v[8:9], v[40:41]
	v_mov_b64_e32 v[10:11], v[42:43]
	v_mov_b64_e32 v[12:13], v[44:45]
	v_mov_b64_e32 v[14:15], v[46:47]
	v_mov_b64_e32 v[16:17], v[48:49]
	v_mov_b64_e32 v[18:19], v[50:51]
	v_mov_b64_e32 v[20:21], v[52:53]
	v_mov_b64_e32 v[22:23], v[54:55]
	v_mov_b64_e32 v[24:25], v[56:57]
	v_mov_b64_e32 v[26:27], v[58:59]
	v_mov_b64_e32 v[28:29], v[60:61]
	v_mov_b32_e32 v30, v131
	v_mov_b32_e32 v31, v159
	scratch_store_dwordx4 off, v[224:227], off offset:2224 ; 16-byte Folded Spill
	s_nop 0
	scratch_store_dwordx4 off, v[228:231], off offset:2240 ; 16-byte Folded Spill
	scratch_store_dwordx4 off, v[232:235], off offset:2256 ; 16-byte Folded Spill
	;; [unrolled: 1-line block ×7, first 2 shown]
.LBB63_46:
	s_or_b64 exec, exec, s[2:3]
	s_waitcnt lgkmcnt(0)
	s_barrier
	scratch_load_dword v62, off, off        ; 4-byte Folded Reload
	s_waitcnt vmcnt(0)
	v_cmp_eq_u32_e32 vcc, 9, v62
	s_and_saveexec_b64 s[2:3], vcc
	s_cbranch_execz .LBB63_49
; %bb.47:
	scratch_load_dword v62, off, off offset:4 ; 4-byte Folded Reload
	s_waitcnt vmcnt(0)
	ds_write_b32 v62, v140
	ds_write2_b64 v128, v[10:11], v[12:13] offset0:5 offset1:6
	ds_write2_b64 v128, v[14:15], v[16:17] offset0:7 offset1:8
	;; [unrolled: 1-line block ×5, first 2 shown]
	ds_write_b64 v128, v[30:31] offset:120
	ds_read_b32 v62, v62
	s_waitcnt lgkmcnt(0)
	v_cmp_neq_f32_e32 vcc, 0, v62
	s_and_b64 exec, exec, vcc
	s_cbranch_execz .LBB63_49
; %bb.48:
	v_div_scale_f32 v63, s[4:5], v62, v62, 1.0
	v_rcp_f32_e32 v93, v63
	v_div_scale_f32 v124, vcc, 1.0, v62, 1.0
	v_fma_f32 v137, -v63, v93, 1.0
	v_fmac_f32_e32 v93, v137, v93
	v_mul_f32_e32 v137, v124, v93
	v_fma_f32 v138, -v63, v137, v124
	v_fmac_f32_e32 v137, v138, v93
	v_fma_f32 v63, -v63, v137, v124
	v_div_fmas_f32 v63, v63, v93, v137
	v_div_fixup_f32 v62, v63, v62, 1.0
	scratch_load_dword v63, off, off offset:4 ; 4-byte Folded Reload
	s_waitcnt vmcnt(0)
	ds_write_b32 v63, v62
.LBB63_49:
	s_or_b64 exec, exec, s[2:3]
	s_waitcnt lgkmcnt(0)
	s_barrier
	scratch_load_dword v62, off, off offset:4 ; 4-byte Folded Reload
	s_waitcnt vmcnt(0)
	ds_read_b32 v137, v62
	scratch_load_dword v62, off, off        ; 4-byte Folded Reload
	s_waitcnt vmcnt(0)
	v_cmp_lt_u32_e32 vcc, 9, v62
	s_and_saveexec_b64 s[2:3], vcc
	s_cbranch_execz .LBB63_51
; %bb.50:
	ds_read2_b64 v[0:3], v128 offset0:5 offset1:6
	ds_read2_b64 v[4:7], v128 offset0:7 offset1:8
	s_waitcnt lgkmcnt(2)
	v_mul_f32_e32 v8, v140, v137
	ds_read2_b64 v[32:35], v128 offset0:9 offset1:10
	s_waitcnt lgkmcnt(2)
	v_pk_fma_f32 v[138:139], v[8:9], v[0:1], v[10:11] op_sel_hi:[0,1,1] neg_lo:[1,0,0] neg_hi:[1,0,0]
	v_pk_fma_f32 v[140:141], v[8:9], v[2:3], v[12:13] op_sel_hi:[0,1,1] neg_lo:[1,0,0] neg_hi:[1,0,0]
	s_waitcnt lgkmcnt(1)
	v_pk_fma_f32 v[142:143], v[8:9], v[4:5], v[14:15] op_sel_hi:[0,1,1] neg_lo:[1,0,0] neg_hi:[1,0,0]
	v_pk_fma_f32 v[144:145], v[8:9], v[6:7], v[16:17] op_sel_hi:[0,1,1] neg_lo:[1,0,0] neg_hi:[1,0,0]
	ds_read2_b64 v[0:3], v128 offset0:11 offset1:12
	ds_read2_b64 v[4:7], v128 offset0:13 offset1:14
	ds_read_b64 v[10:11], v128 offset:120
	scratch_load_dwordx4 v[224:227], off, off offset:2224 ; 16-byte Folded Reload
	scratch_load_dwordx4 v[228:231], off, off offset:2240 ; 16-byte Folded Reload
	;; [unrolled: 1-line block ×8, first 2 shown]
	s_waitcnt vmcnt(5)
	v_mov_b32_e32 v233, v8
	s_waitcnt lgkmcnt(3)
	v_pk_fma_f32 v[146:147], v[8:9], v[32:33], v[18:19] op_sel_hi:[0,1,1] neg_lo:[1,0,0] neg_hi:[1,0,0]
	v_pk_fma_f32 v[148:149], v[8:9], v[34:35], v[20:21] op_sel_hi:[0,1,1] neg_lo:[1,0,0] neg_hi:[1,0,0]
	s_waitcnt lgkmcnt(2)
	v_pk_fma_f32 v[150:151], v[8:9], v[0:1], v[22:23] op_sel_hi:[0,1,1] neg_lo:[1,0,0] neg_hi:[1,0,0]
	v_pk_fma_f32 v[152:153], v[8:9], v[2:3], v[24:25] op_sel_hi:[0,1,1] neg_lo:[1,0,0] neg_hi:[1,0,0]
	;; [unrolled: 3-line block ×3, first 2 shown]
	s_waitcnt lgkmcnt(0)
	v_pk_fma_f32 v[158:159], v[8:9], v[10:11], v[30:31] op_sel_hi:[0,1,1] neg_lo:[1,0,0] neg_hi:[1,0,0]
	v_mov_b32_e32 v132, v155
	v_mov_b32_e32 v133, v156
	;; [unrolled: 1-line block ×4, first 2 shown]
	s_waitcnt vmcnt(0)
	v_mov_b64_e32 v[160:161], v[224:225]
	v_mov_b64_e32 v[170:171], v[234:235]
	v_mov_b64_e32 v[172:173], v[236:237]
	v_mov_b64_e32 v[188:189], v[252:253]
	v_mov_b64_e32 v[162:163], v[226:227]
	v_mov_b64_e32 v[164:165], v[228:229]
	v_mov_b64_e32 v[166:167], v[230:231]
	v_mov_b64_e32 v[168:169], v[232:233]
	v_mov_b64_e32 v[174:175], v[238:239]
	v_mov_b64_e32 v[176:177], v[240:241]
	v_mov_b64_e32 v[178:179], v[242:243]
	v_mov_b64_e32 v[180:181], v[244:245]
	v_mov_b64_e32 v[182:183], v[246:247]
	v_mov_b64_e32 v[184:185], v[248:249]
	v_mov_b64_e32 v[186:187], v[250:251]
	v_mov_b64_e32 v[190:191], v[254:255]
	v_mov_b32_e32 v170, v138
	v_mov_b64_e32 v[12:13], v[172:173]
	v_mov_b32_e32 v0, v160
	v_mov_b64_e32 v[28:29], v[188:189]
	v_mov_b64_e32 v[14:15], v[174:175]
	v_mov_b64_e32 v[16:17], v[176:177]
	v_mov_b64_e32 v[18:19], v[178:179]
	v_mov_b64_e32 v[20:21], v[180:181]
	v_mov_b64_e32 v[22:23], v[182:183]
	v_mov_b64_e32 v[24:25], v[184:185]
	v_mov_b64_e32 v[26:27], v[186:187]
	v_mov_b32_e32 v1, v161
	v_mov_b32_e32 v2, v162
	;; [unrolled: 1-line block ×10, first 2 shown]
	v_mov_b64_e32 v[30:31], v[190:191]
	scratch_store_dwordx4 off, v[0:3], off offset:1968 ; 16-byte Folded Spill
	s_nop 0
	scratch_store_dwordx4 off, v[4:7], off offset:1984 ; 16-byte Folded Spill
	scratch_store_dwordx4 off, v[8:11], off offset:2000 ; 16-byte Folded Spill
	;; [unrolled: 1-line block ×7, first 2 shown]
	v_mov_b32_e32 v171, v139
	v_mov_b32_e32 v13, v173
	v_mov_b64_e32 v[0:1], v[160:161]
	v_mov_b32_e32 v29, v189
	v_mov_b32_e32 v14, v174
	;; [unrolled: 1-line block ×16, first 2 shown]
	v_mov_b64_e32 v[2:3], v[162:163]
	v_mov_b64_e32 v[4:5], v[164:165]
	;; [unrolled: 1-line block ×5, first 2 shown]
	v_mov_b32_e32 v30, v190
	v_mov_b32_e32 v31, v191
	;; [unrolled: 1-line block ×8, first 2 shown]
	scratch_store_dwordx4 off, v[0:3], off offset:1840 ; 16-byte Folded Spill
	s_nop 0
	scratch_store_dwordx4 off, v[4:7], off offset:1856 ; 16-byte Folded Spill
	scratch_store_dwordx4 off, v[8:11], off offset:1872 ; 16-byte Folded Spill
	;; [unrolled: 1-line block ×7, first 2 shown]
	v_mov_b64_e32 v[14:15], v[174:175]
	v_mov_b64_e32 v[16:17], v[176:177]
	;; [unrolled: 1-line block ×9, first 2 shown]
	v_mov_b32_e32 v12, v140
	v_mov_b32_e32 v174, v142
	v_mov_b32_e32 v218, v186
	v_mov_b32_e32 v217, v185
	v_mov_b32_e32 v216, v184
	v_mov_b32_e32 v215, v183
	v_mov_b32_e32 v214, v182
	v_mov_b32_e32 v213, v181
	v_mov_b32_e32 v212, v180
	v_mov_b32_e32 v211, v179
	v_mov_b32_e32 v223, v191
	scratch_store_dwordx4 off, v[0:3], off offset:1712 ; 16-byte Folded Spill
	s_nop 0
	scratch_store_dwordx4 off, v[4:7], off offset:1728 ; 16-byte Folded Spill
	scratch_store_dwordx4 off, v[8:11], off offset:1744 ; 16-byte Folded Spill
	;; [unrolled: 1-line block ×7, first 2 shown]
	v_mov_b32_e32 v15, v175
	v_mov_b32_e32 v16, v176
	;; [unrolled: 1-line block ×16, first 2 shown]
	v_mov_b64_e32 v[12:13], v[172:173]
	v_mov_b32_e32 v31, v191
	v_mov_b32_e32 v175, v143
	v_mov_b64_e32 v[206:207], v[174:175]
	v_mov_b64_e32 v[204:205], v[172:173]
	;; [unrolled: 1-line block ×8, first 2 shown]
	scratch_store_dwordx4 off, v[0:3], off offset:1584 ; 16-byte Folded Spill
	s_nop 0
	scratch_store_dwordx4 off, v[4:7], off offset:1600 ; 16-byte Folded Spill
	scratch_store_dwordx4 off, v[8:11], off offset:1616 ; 16-byte Folded Spill
	;; [unrolled: 1-line block ×7, first 2 shown]
	v_mov_b64_e32 v[16:17], v[176:177]
	v_mov_b32_e32 v12, v172
	v_mov_b64_e32 v[18:19], v[178:179]
	v_mov_b64_e32 v[20:21], v[180:181]
	;; [unrolled: 1-line block ×7, first 2 shown]
	v_mov_b32_e32 v13, v173
	v_mov_b32_e32 v14, v174
	;; [unrolled: 1-line block ×3, first 2 shown]
	scratch_store_dwordx4 off, v[0:3], off offset:1448 ; 16-byte Folded Spill
	s_nop 0
	scratch_store_dwordx4 off, v[4:7], off offset:1464 ; 16-byte Folded Spill
	scratch_store_dwordx4 off, v[8:11], off offset:1480 ; 16-byte Folded Spill
	;; [unrolled: 1-line block ×7, first 2 shown]
	v_mov_b64_e32 v[0:1], v[160:161]
	v_mov_b32_e32 v17, v177
	v_mov_b32_e32 v29, v189
	v_mov_b64_e32 v[2:3], v[162:163]
	v_mov_b64_e32 v[4:5], v[164:165]
	;; [unrolled: 1-line block ×7, first 2 shown]
	v_mov_b32_e32 v18, v178
	v_mov_b32_e32 v19, v179
	v_mov_b32_e32 v20, v180
	v_mov_b32_e32 v21, v181
	v_mov_b32_e32 v22, v182
	v_mov_b32_e32 v23, v183
	v_mov_b32_e32 v24, v184
	v_mov_b32_e32 v25, v185
	v_mov_b32_e32 v26, v186
	v_mov_b32_e32 v27, v187
	v_mov_b32_e32 v28, v188
	v_mov_b32_e32 v30, v190
	v_mov_b32_e32 v31, v191
	v_mov_b32_e32 v177, v145
	v_mov_b64_e32 v[208:209], v[176:177]
	scratch_store_dwordx4 off, v[0:3], off offset:1320 ; 16-byte Folded Spill
	s_nop 0
	scratch_store_dwordx4 off, v[4:7], off offset:1336 ; 16-byte Folded Spill
	scratch_store_dwordx4 off, v[8:11], off offset:1352 ; 16-byte Folded Spill
	;; [unrolled: 1-line block ×7, first 2 shown]
	v_mov_b64_e32 v[18:19], v[178:179]
	v_mov_b64_e32 v[20:21], v[180:181]
	;; [unrolled: 1-line block ×7, first 2 shown]
	v_mov_b32_e32 v16, v144
	v_mov_b32_e32 v178, v146
	;; [unrolled: 1-line block ×3, first 2 shown]
	scratch_store_dwordx4 off, v[0:3], off offset:1192 ; 16-byte Folded Spill
	s_nop 0
	scratch_store_dwordx4 off, v[4:7], off offset:1208 ; 16-byte Folded Spill
	scratch_store_dwordx4 off, v[8:11], off offset:1224 ; 16-byte Folded Spill
	;; [unrolled: 1-line block ×7, first 2 shown]
	v_mov_b64_e32 v[20:21], v[180:181]
	v_mov_b32_e32 v16, v176
	v_mov_b64_e32 v[22:23], v[182:183]
	v_mov_b64_e32 v[24:25], v[184:185]
	;; [unrolled: 1-line block ×5, first 2 shown]
	v_mov_b32_e32 v17, v177
	v_mov_b32_e32 v18, v178
	;; [unrolled: 1-line block ×3, first 2 shown]
	scratch_store_dwordx4 off, v[0:3], off offset:1064 ; 16-byte Folded Spill
	s_nop 0
	scratch_store_dwordx4 off, v[4:7], off offset:1080 ; 16-byte Folded Spill
	scratch_store_dwordx4 off, v[8:11], off offset:1096 ; 16-byte Folded Spill
	;; [unrolled: 1-line block ×7, first 2 shown]
	v_mov_b32_e32 v21, v181
	v_mov_b64_e32 v[16:17], v[176:177]
	v_mov_b32_e32 v22, v182
	v_mov_b32_e32 v23, v183
	;; [unrolled: 1-line block ×10, first 2 shown]
	v_mov_b64_e32 v[18:19], v[178:179]
	v_mov_b32_e32 v181, v149
	scratch_store_dwordx4 off, v[0:3], off offset:920 ; 16-byte Folded Spill
	s_nop 0
	scratch_store_dwordx4 off, v[4:7], off offset:936 ; 16-byte Folded Spill
	scratch_store_dwordx4 off, v[8:11], off offset:952 ; 16-byte Folded Spill
	;; [unrolled: 1-line block ×7, first 2 shown]
	v_mov_b64_e32 v[22:23], v[182:183]
	v_mov_b32_e32 v16, v176
	v_mov_b64_e32 v[24:25], v[184:185]
	v_mov_b64_e32 v[26:27], v[186:187]
	;; [unrolled: 1-line block ×4, first 2 shown]
	v_mov_b32_e32 v17, v177
	v_mov_b32_e32 v18, v178
	;; [unrolled: 1-line block ×5, first 2 shown]
	scratch_store_dwordx4 off, v[0:3], off offset:792 ; 16-byte Folded Spill
	s_nop 0
	scratch_store_dwordx4 off, v[4:7], off offset:808 ; 16-byte Folded Spill
	scratch_store_dwordx4 off, v[8:11], off offset:824 ; 16-byte Folded Spill
	;; [unrolled: 1-line block ×7, first 2 shown]
	v_mov_b32_e32 v23, v183
	v_mov_b64_e32 v[16:17], v[176:177]
	v_mov_b32_e32 v24, v184
	v_mov_b32_e32 v25, v185
	;; [unrolled: 1-line block ×8, first 2 shown]
	v_mov_b64_e32 v[18:19], v[178:179]
	v_mov_b64_e32 v[20:21], v[180:181]
	v_mov_b32_e32 v183, v151
	scratch_store_dwordx4 off, v[0:3], off offset:656 ; 16-byte Folded Spill
	s_nop 0
	scratch_store_dwordx4 off, v[4:7], off offset:672 ; 16-byte Folded Spill
	scratch_store_dwordx4 off, v[8:11], off offset:688 ; 16-byte Folded Spill
	;; [unrolled: 1-line block ×7, first 2 shown]
	s_nop 0
	v_mov_b64_e32 v[24:25], v[184:185]
	v_mov_b32_e32 v16, v176
	v_mov_b64_e32 v[26:27], v[186:187]
	v_mov_b64_e32 v[28:29], v[188:189]
	;; [unrolled: 1-line block ×3, first 2 shown]
	v_mov_b32_e32 v17, v177
	v_mov_b32_e32 v18, v178
	;; [unrolled: 1-line block ×7, first 2 shown]
	scratch_store_dwordx4 off, v[0:3], off offset:528 ; 16-byte Folded Spill
	s_nop 0
	scratch_store_dwordx4 off, v[4:7], off offset:544 ; 16-byte Folded Spill
	scratch_store_dwordx4 off, v[8:11], off offset:560 ; 16-byte Folded Spill
	;; [unrolled: 1-line block ×7, first 2 shown]
	v_mov_b64_e32 v[16:17], v[176:177]
	v_mov_b32_e32 v25, v185
	v_mov_b64_e32 v[18:19], v[178:179]
	v_mov_b64_e32 v[20:21], v[180:181]
	;; [unrolled: 1-line block ×3, first 2 shown]
	v_mov_b32_e32 v26, v186
	v_mov_b32_e32 v27, v187
	;; [unrolled: 1-line block ×7, first 2 shown]
	v_mov_b64_e32 v[96:97], v[160:161]
	v_mov_b64_e32 v[112:113], v[176:177]
	;; [unrolled: 1-line block ×16, first 2 shown]
	v_mov_b32_e32 v122, v154
	v_mov_b32_e32 v123, v155
	v_mov_b64_e32 v[32:33], v[96:97]
	v_mov_b64_e32 v[60:61], v[124:125]
	scratch_store_dwordx4 off, v[0:3], off offset:400 ; 16-byte Folded Spill
	s_nop 0
	scratch_store_dwordx4 off, v[4:7], off offset:416 ; 16-byte Folded Spill
	scratch_store_dwordx4 off, v[8:11], off offset:432 ; 16-byte Folded Spill
	;; [unrolled: 1-line block ×7, first 2 shown]
	v_mov_b32_e32 v16, v176
	v_mov_b64_e32 v[26:27], v[186:187]
	v_mov_b32_e32 v17, v177
	v_mov_b32_e32 v18, v178
	;; [unrolled: 1-line block ×8, first 2 shown]
	v_mov_b64_e32 v[28:29], v[188:189]
	v_mov_b64_e32 v[30:31], v[190:191]
	;; [unrolled: 1-line block ×16, first 2 shown]
	v_mov_b32_e32 v60, v156
	v_mov_b32_e32 v61, v157
	v_mov_b64_e32 v[174:175], v[46:47]
	v_mov_b64_e32 v[172:173], v[44:45]
	;; [unrolled: 1-line block ×4, first 2 shown]
	scratch_store_dwordx4 off, v[0:3], off offset:272 ; 16-byte Folded Spill
	s_nop 0
	scratch_store_dwordx4 off, v[4:7], off offset:288 ; 16-byte Folded Spill
	scratch_store_dwordx4 off, v[8:11], off offset:304 ; 16-byte Folded Spill
	;; [unrolled: 1-line block ×7, first 2 shown]
	v_mov_b64_e32 v[16:17], v[176:177]
	v_mov_b32_e32 v27, v187
	v_mov_b64_e32 v[18:19], v[178:179]
	v_mov_b64_e32 v[20:21], v[180:181]
	;; [unrolled: 1-line block ×4, first 2 shown]
	v_mov_b32_e32 v28, v188
	v_mov_b32_e32 v29, v189
	;; [unrolled: 1-line block ×4, first 2 shown]
	v_mov_b64_e32 v[190:191], v[62:63]
	v_mov_b64_e32 v[186:187], v[58:59]
	;; [unrolled: 1-line block ×11, first 2 shown]
	v_mov_b32_e32 v188, v156
	scratch_store_dwordx4 off, v[0:3], off offset:144 ; 16-byte Folded Spill
	s_nop 0
	scratch_store_dwordx4 off, v[4:7], off offset:160 ; 16-byte Folded Spill
	scratch_store_dwordx4 off, v[8:11], off offset:176 ; 16-byte Folded Spill
	;; [unrolled: 1-line block ×7, first 2 shown]
	v_mov_b64_e32 v[0:1], v[96:97]
	v_mov_b32_e32 v16, v112
	v_mov_b64_e32 v[28:29], v[124:125]
	v_mov_b64_e32 v[2:3], v[98:99]
	;; [unrolled: 1-line block ×8, first 2 shown]
	v_mov_b32_e32 v17, v113
	v_mov_b32_e32 v18, v114
	;; [unrolled: 1-line block ×10, first 2 shown]
	v_mov_b64_e32 v[30:31], v[126:127]
	scratch_store_dwordx4 off, v[0:3], off offset:8 ; 16-byte Folded Spill
	s_nop 0
	scratch_store_dwordx4 off, v[4:7], off offset:24 ; 16-byte Folded Spill
	scratch_store_dwordx4 off, v[8:11], off offset:40 ; 16-byte Folded Spill
	;; [unrolled: 1-line block ×7, first 2 shown]
	v_mov_b64_e32 v[0:1], v[32:33]
	v_mov_b64_e32 v[2:3], v[34:35]
	;; [unrolled: 1-line block ×16, first 2 shown]
	v_mov_b32_e32 v62, v139
	v_mov_b32_e32 v63, v140
	scratch_store_dwordx4 off, v[224:227], off offset:2096 ; 16-byte Folded Spill
	s_nop 0
	scratch_store_dwordx4 off, v[228:231], off offset:2112 ; 16-byte Folded Spill
	scratch_store_dwordx4 off, v[232:235], off offset:2128 ; 16-byte Folded Spill
	;; [unrolled: 1-line block ×7, first 2 shown]
	scratch_store_dwordx2 off, v[62:63], off offset:1048 ; 8-byte Folded Spill
	v_mov_b32_e32 v62, v141
	v_mov_b32_e32 v63, v142
	scratch_store_dwordx2 off, v[62:63], off offset:784 ; 8-byte Folded Spill
	v_mov_b32_e32 v62, v143
	v_mov_b32_e32 v63, v144
	;; [unrolled: 1-line block ×4, first 2 shown]
	scratch_store_dwordx2 off, v[62:63], off offset:1056 ; 8-byte Folded Spill
	v_mov_b32_e32 v62, v145
	v_mov_b32_e32 v63, v146
	;; [unrolled: 1-line block ×11, first 2 shown]
	scratch_store_dwordx2 off, v[62:63], off offset:136 ; 8-byte Folded Spill
.LBB63_51:
	s_or_b64 exec, exec, s[2:3]
	s_waitcnt lgkmcnt(0)
	s_barrier
	scratch_load_dword v62, off, off        ; 4-byte Folded Reload
	s_waitcnt vmcnt(0)
	v_cmp_eq_u32_e32 vcc, 10, v62
	s_and_saveexec_b64 s[2:3], vcc
	s_cbranch_execz .LBB63_54
; %bb.52:
	scratch_load_dword v62, off, off offset:4 ; 4-byte Folded Reload
	s_waitcnt vmcnt(0)
	ds_write_b32 v62, v141
	ds_write2_b32 v128, v11, v12 offset0:11 offset1:12
	ds_write2_b32 v128, v13, v14 offset0:13 offset1:14
	;; [unrolled: 1-line block ×10, first 2 shown]
	ds_write_b32 v128, v159 offset:124
	ds_read_b32 v62, v62
	s_waitcnt lgkmcnt(0)
	v_cmp_neq_f32_e32 vcc, 0, v62
	s_and_b64 exec, exec, vcc
	s_cbranch_execz .LBB63_54
; %bb.53:
	v_div_scale_f32 v63, s[4:5], v62, v62, 1.0
	v_rcp_f32_e32 v93, v63
	v_div_scale_f32 v124, vcc, 1.0, v62, 1.0
	v_fma_f32 v138, -v63, v93, 1.0
	v_fmac_f32_e32 v93, v138, v93
	v_mul_f32_e32 v138, v124, v93
	v_fma_f32 v139, -v63, v138, v124
	v_fmac_f32_e32 v138, v139, v93
	v_fma_f32 v63, -v63, v138, v124
	v_div_fmas_f32 v63, v63, v93, v138
	v_div_fixup_f32 v62, v63, v62, 1.0
	scratch_load_dword v63, off, off offset:4 ; 4-byte Folded Reload
	s_waitcnt vmcnt(0)
	ds_write_b32 v63, v62
.LBB63_54:
	s_or_b64 exec, exec, s[2:3]
	s_waitcnt lgkmcnt(0)
	s_barrier
	scratch_load_dword v62, off, off offset:4 ; 4-byte Folded Reload
	s_waitcnt vmcnt(0)
	ds_read_b32 v138, v62
	scratch_load_dword v62, off, off        ; 4-byte Folded Reload
	s_waitcnt vmcnt(0)
	v_cmp_lt_u32_e32 vcc, 10, v62
	s_and_saveexec_b64 s[2:3], vcc
	s_cbranch_execz .LBB63_56
; %bb.55:
	scratch_load_dwordx4 v[224:227], off, off offset:2096 ; 16-byte Folded Reload
	scratch_load_dwordx4 v[228:231], off, off offset:2112 ; 16-byte Folded Reload
	;; [unrolled: 1-line block ×8, first 2 shown]
	ds_read2_b32 v[0:1], v128 offset0:11 offset1:12
	ds_read2_b32 v[4:5], v128 offset0:13 offset1:14
	ds_read2_b32 v[6:7], v128 offset0:15 offset1:16
	ds_read2_b32 v[8:9], v128 offset0:17 offset1:18
	s_waitcnt vmcnt(5) lgkmcnt(4)
	v_mul_f32_e32 v234, v141, v138
	v_mov_b32_e32 v2, v11
	v_mov_b32_e32 v3, v12
	s_waitcnt lgkmcnt(3)
	v_pk_fma_f32 v[34:35], v[234:235], v[0:1], v[2:3] op_sel_hi:[0,1,1] neg_lo:[1,0,0] neg_hi:[1,0,0]
	v_mov_b32_e32 v0, v13
	v_mov_b32_e32 v1, v14
	s_waitcnt lgkmcnt(2)
	v_pk_fma_f32 v[32:33], v[234:235], v[4:5], v[0:1] op_sel_hi:[0,1,1] neg_lo:[1,0,0] neg_hi:[1,0,0]
	;; [unrolled: 4-line block ×4, first 2 shown]
	ds_read2_b32 v[0:1], v128 offset0:19 offset1:20
	ds_read2_b32 v[4:5], v128 offset0:21 offset1:22
	;; [unrolled: 1-line block ×4, first 2 shown]
	v_mov_b32_e32 v2, v19
	v_mov_b32_e32 v3, v20
	s_waitcnt vmcnt(0)
	v_mov_b64_e32 v[160:161], v[224:225]
	s_waitcnt lgkmcnt(3)
	v_pk_fma_f32 v[146:147], v[234:235], v[0:1], v[2:3] op_sel_hi:[0,1,1] neg_lo:[1,0,0] neg_hi:[1,0,0]
	v_mov_b32_e32 v0, v21
	v_mov_b32_e32 v1, v22
	v_mov_b64_e32 v[170:171], v[234:235]
	v_mov_b64_e32 v[172:173], v[236:237]
	;; [unrolled: 1-line block ×3, first 2 shown]
	s_waitcnt lgkmcnt(2)
	v_pk_fma_f32 v[144:145], v[234:235], v[4:5], v[0:1] op_sel_hi:[0,1,1] neg_lo:[1,0,0] neg_hi:[1,0,0]
	v_mov_b32_e32 v0, v23
	v_mov_b32_e32 v1, v24
	v_mov_b64_e32 v[162:163], v[226:227]
	v_mov_b64_e32 v[164:165], v[228:229]
	;; [unrolled: 1-line block ×12, first 2 shown]
	v_mov_b32_e32 v171, v34
	v_mov_b32_e32 v49, v173
	v_mov_b64_e32 v[36:37], v[160:161]
	v_mov_b32_e32 v65, v189
	s_waitcnt lgkmcnt(1)
	v_pk_fma_f32 v[150:151], v[234:235], v[6:7], v[0:1] op_sel_hi:[0,1,1] neg_lo:[1,0,0] neg_hi:[1,0,0]
	v_mov_b32_e32 v0, v25
	v_mov_b32_e32 v1, v26
	v_mov_b32_e32 v50, v174
	v_mov_b32_e32 v51, v175
	v_mov_b32_e32 v52, v176
	v_mov_b32_e32 v53, v177
	v_mov_b32_e32 v54, v178
	v_mov_b32_e32 v55, v179
	v_mov_b32_e32 v56, v180
	v_mov_b32_e32 v57, v181
	v_mov_b32_e32 v58, v182
	v_mov_b32_e32 v59, v183
	v_mov_b32_e32 v60, v184
	v_mov_b32_e32 v61, v185
	v_mov_b32_e32 v62, v186
	v_mov_b32_e32 v63, v187
	v_mov_b32_e32 v64, v188
	v_mov_b64_e32 v[38:39], v[162:163]
	v_mov_b64_e32 v[40:41], v[164:165]
	;; [unrolled: 1-line block ×5, first 2 shown]
	v_mov_b32_e32 v66, v190
	v_mov_b32_e32 v67, v191
	s_waitcnt lgkmcnt(0)
	v_pk_fma_f32 v[148:149], v[234:235], v[8:9], v[0:1] op_sel_hi:[0,1,1] neg_lo:[1,0,0] neg_hi:[1,0,0]
	ds_read2_b32 v[0:1], v128 offset0:27 offset1:28
	ds_read2_b32 v[4:5], v128 offset0:29 offset1:30
	ds_read_b32 v6, v128 offset:124
	scratch_store_dwordx4 off, v[36:39], off offset:1840 ; 16-byte Folded Spill
	s_nop 0
	scratch_store_dwordx4 off, v[40:43], off offset:1856 ; 16-byte Folded Spill
	scratch_store_dwordx4 off, v[44:47], off offset:1872 ; 16-byte Folded Spill
	;; [unrolled: 1-line block ×7, first 2 shown]
	scratch_store_dwordx2 off, v[34:35], off offset:1048 ; 8-byte Folded Spill
	v_mov_b32_e32 v172, v35
	v_mov_b64_e32 v[48:49], v[174:175]
	v_mov_b64_e32 v[34:35], v[160:161]
	v_mov_b64_e32 v[50:51], v[176:177]
	v_mov_b64_e32 v[52:53], v[178:179]
	v_mov_b64_e32 v[54:55], v[180:181]
	v_mov_b64_e32 v[56:57], v[182:183]
	v_mov_b64_e32 v[58:59], v[184:185]
	v_mov_b64_e32 v[60:61], v[186:187]
	v_mov_b64_e32 v[62:63], v[188:189]
	v_mov_b64_e32 v[36:37], v[162:163]
	v_mov_b64_e32 v[38:39], v[164:165]
	v_mov_b64_e32 v[40:41], v[166:167]
	v_mov_b64_e32 v[42:43], v[168:169]
	v_mov_b64_e32 v[44:45], v[170:171]
	v_mov_b64_e32 v[64:65], v[190:191]
	v_mov_b32_e32 v46, v172
	scratch_store_dwordx4 off, v[34:37], off offset:1712 ; 16-byte Folded Spill
	s_nop 0
	scratch_store_dwordx4 off, v[38:41], off offset:1728 ; 16-byte Folded Spill
	scratch_store_dwordx4 off, v[42:45], off offset:1744 ; 16-byte Folded Spill
	scratch_store_dwordx4 off, v[46:49], off offset:1760 ; 16-byte Folded Spill
	scratch_store_dwordx4 off, v[50:53], off offset:1776 ; 16-byte Folded Spill
	scratch_store_dwordx4 off, v[54:57], off offset:1792 ; 16-byte Folded Spill
	scratch_store_dwordx4 off, v[58:61], off offset:1808 ; 16-byte Folded Spill
	scratch_store_dwordx4 off, v[62:65], off offset:1824 ; 16-byte Folded Spill
	v_mov_b32_e32 v173, v32
	v_mov_b32_e32 v49, v175
	;; [unrolled: 1-line block ×17, first 2 shown]
	v_mov_b64_e32 v[46:47], v[172:173]
	v_mov_b32_e32 v65, v191
	v_mov_b32_e32 v2, v27
	;; [unrolled: 1-line block ×3, first 2 shown]
	scratch_store_dwordx4 off, v[34:37], off offset:1584 ; 16-byte Folded Spill
	s_nop 0
	scratch_store_dwordx4 off, v[38:41], off offset:1600 ; 16-byte Folded Spill
	scratch_store_dwordx4 off, v[42:45], off offset:1616 ; 16-byte Folded Spill
	;; [unrolled: 1-line block ×7, first 2 shown]
	scratch_store_dwordx2 off, v[32:33], off offset:784 ; 8-byte Folded Spill
	s_waitcnt lgkmcnt(2)
	v_pk_fma_f32 v[132:133], v[234:235], v[0:1], v[2:3] op_sel_hi:[0,1,1] neg_lo:[1,0,0] neg_hi:[1,0,0]
	v_mov_b32_e32 v1, v30
	v_mov_b32_e32 v174, v33
	v_mov_b64_e32 v[30:31], v[176:177]
	v_mov_b64_e32 v[14:15], v[160:161]
	v_mov_b32_e32 v26, v172
	v_mov_b64_e32 v[32:33], v[178:179]
	v_mov_b64_e32 v[34:35], v[180:181]
	;; [unrolled: 1-line block ×12, first 2 shown]
	v_mov_b32_e32 v27, v173
	v_mov_b32_e32 v28, v174
	;; [unrolled: 1-line block ×3, first 2 shown]
	scratch_store_dwordx4 off, v[14:17], off offset:1448 ; 16-byte Folded Spill
	s_nop 0
	scratch_store_dwordx4 off, v[18:21], off offset:1464 ; 16-byte Folded Spill
	scratch_store_dwordx4 off, v[22:25], off offset:1480 ; 16-byte Folded Spill
	;; [unrolled: 1-line block ×7, first 2 shown]
	v_mov_b32_e32 v175, v12
	v_mov_b64_e32 v[14:15], v[160:161]
	v_mov_b64_e32 v[16:17], v[162:163]
	v_mov_b64_e32 v[18:19], v[164:165]
	v_mov_b64_e32 v[20:21], v[166:167]
	v_mov_b64_e32 v[22:23], v[168:169]
	v_mov_b64_e32 v[24:25], v[170:171]
	v_mov_b64_e32 v[26:27], v[172:173]
	v_mov_b64_e32 v[28:29], v[174:175]
	scratch_store_dwordx4 off, v[14:17], off offset:1320 ; 16-byte Folded Spill
	s_nop 0
	scratch_store_dwordx4 off, v[18:21], off offset:1336 ; 16-byte Folded Spill
	scratch_store_dwordx4 off, v[22:25], off offset:1352 ; 16-byte Folded Spill
	;; [unrolled: 1-line block ×7, first 2 shown]
	scratch_store_dwordx2 off, v[12:13], off offset:1056 ; 8-byte Folded Spill
	v_mov_b32_e32 v176, v13
	v_mov_b64_e32 v[12:13], v[160:161]
	v_mov_b64_e32 v[30:31], v[178:179]
	;; [unrolled: 1-line block ×15, first 2 shown]
	v_mov_b32_e32 v28, v176
	scratch_store_dwordx4 off, v[12:15], off offset:1192 ; 16-byte Folded Spill
	s_nop 0
	scratch_store_dwordx4 off, v[16:19], off offset:1208 ; 16-byte Folded Spill
	scratch_store_dwordx4 off, v[20:23], off offset:1224 ; 16-byte Folded Spill
	;; [unrolled: 1-line block ×7, first 2 shown]
	s_waitcnt lgkmcnt(1)
	v_pk_fma_f32 v[130:131], v[234:235], v[4:5], v[0:1] op_sel_hi:[0,1,1] neg_lo:[1,0,0] neg_hi:[1,0,0]
	s_waitcnt lgkmcnt(0)
	v_fma_f32 v159, -v234, v6, v159
	v_mov_b32_e32 v177, v10
	scratch_store_dwordx2 off, v[10:11], off offset:136 ; 8-byte Folded Spill
	v_mov_b32_e32 v178, v11
	v_mov_b64_e32 v[0:1], v[160:161]
	v_mov_b64_e32 v[20:21], v[180:181]
	v_mov_b32_e32 v16, v176
	v_mov_b64_e32 v[2:3], v[162:163]
	v_mov_b64_e32 v[4:5], v[164:165]
	;; [unrolled: 1-line block ×12, first 2 shown]
	v_mov_b32_e32 v17, v177
	v_mov_b32_e32 v18, v178
	scratch_store_dwordx4 off, v[0:3], off offset:1064 ; 16-byte Folded Spill
	s_nop 0
	scratch_store_dwordx4 off, v[4:7], off offset:1080 ; 16-byte Folded Spill
	scratch_store_dwordx4 off, v[8:11], off offset:1096 ; 16-byte Folded Spill
	;; [unrolled: 1-line block ×7, first 2 shown]
	v_mov_b32_e32 v222, v190
	v_mov_b32_e32 v221, v189
	;; [unrolled: 1-line block ×14, first 2 shown]
	v_mov_b64_e32 v[16:17], v[176:177]
	v_mov_b32_e32 v22, v182
	v_mov_b32_e32 v23, v183
	;; [unrolled: 1-line block ×10, first 2 shown]
	v_mov_b64_e32 v[18:19], v[178:179]
	scratch_store_dwordx4 off, v[0:3], off offset:920 ; 16-byte Folded Spill
	s_nop 0
	scratch_store_dwordx4 off, v[4:7], off offset:936 ; 16-byte Folded Spill
	scratch_store_dwordx4 off, v[8:11], off offset:952 ; 16-byte Folded Spill
	;; [unrolled: 1-line block ×7, first 2 shown]
	v_mov_b32_e32 v180, v147
	v_mov_b64_e32 v[22:23], v[182:183]
	v_mov_b32_e32 v16, v176
	v_mov_b64_e32 v[24:25], v[184:185]
	v_mov_b64_e32 v[26:27], v[186:187]
	;; [unrolled: 1-line block ×4, first 2 shown]
	v_mov_b32_e32 v17, v177
	v_mov_b32_e32 v18, v178
	;; [unrolled: 1-line block ×4, first 2 shown]
	scratch_store_dwordx4 off, v[0:3], off offset:792 ; 16-byte Folded Spill
	s_nop 0
	scratch_store_dwordx4 off, v[4:7], off offset:808 ; 16-byte Folded Spill
	scratch_store_dwordx4 off, v[8:11], off offset:824 ; 16-byte Folded Spill
	;; [unrolled: 1-line block ×7, first 2 shown]
	v_mov_b32_e32 v181, v144
	v_mov_b32_e32 v23, v183
	v_mov_b64_e32 v[16:17], v[176:177]
	v_mov_b32_e32 v24, v184
	v_mov_b32_e32 v25, v185
	;; [unrolled: 1-line block ×8, first 2 shown]
	v_mov_b64_e32 v[18:19], v[178:179]
	v_mov_b64_e32 v[20:21], v[180:181]
	scratch_store_dwordx4 off, v[0:3], off offset:656 ; 16-byte Folded Spill
	s_nop 0
	scratch_store_dwordx4 off, v[4:7], off offset:672 ; 16-byte Folded Spill
	scratch_store_dwordx4 off, v[8:11], off offset:688 ; 16-byte Folded Spill
	;; [unrolled: 1-line block ×7, first 2 shown]
	v_mov_b32_e32 v182, v145
	v_mov_b64_e32 v[24:25], v[184:185]
	v_mov_b32_e32 v16, v176
	v_mov_b64_e32 v[26:27], v[186:187]
	v_mov_b64_e32 v[28:29], v[188:189]
	v_mov_b64_e32 v[30:31], v[190:191]
	v_mov_b32_e32 v17, v177
	v_mov_b32_e32 v18, v178
	;; [unrolled: 1-line block ×6, first 2 shown]
	scratch_store_dwordx4 off, v[0:3], off offset:528 ; 16-byte Folded Spill
	s_nop 0
	scratch_store_dwordx4 off, v[4:7], off offset:544 ; 16-byte Folded Spill
	scratch_store_dwordx4 off, v[8:11], off offset:560 ; 16-byte Folded Spill
	;; [unrolled: 1-line block ×7, first 2 shown]
	v_mov_b32_e32 v183, v150
	v_mov_b64_e32 v[16:17], v[176:177]
	v_mov_b32_e32 v25, v185
	v_mov_b64_e32 v[18:19], v[178:179]
	v_mov_b64_e32 v[20:21], v[180:181]
	;; [unrolled: 1-line block ×3, first 2 shown]
	v_mov_b32_e32 v26, v186
	v_mov_b32_e32 v27, v187
	;; [unrolled: 1-line block ×6, first 2 shown]
	scratch_store_dwordx4 off, v[0:3], off offset:400 ; 16-byte Folded Spill
	s_nop 0
	scratch_store_dwordx4 off, v[4:7], off offset:416 ; 16-byte Folded Spill
	scratch_store_dwordx4 off, v[8:11], off offset:432 ; 16-byte Folded Spill
	;; [unrolled: 1-line block ×7, first 2 shown]
	v_mov_b32_e32 v184, v151
	v_mov_b32_e32 v16, v176
	v_mov_b64_e32 v[26:27], v[186:187]
	v_mov_b32_e32 v17, v177
	v_mov_b32_e32 v18, v178
	;; [unrolled: 1-line block ×8, first 2 shown]
	v_mov_b64_e32 v[28:29], v[188:189]
	v_mov_b64_e32 v[30:31], v[190:191]
	scratch_store_dwordx4 off, v[0:3], off offset:272 ; 16-byte Folded Spill
	s_nop 0
	scratch_store_dwordx4 off, v[4:7], off offset:288 ; 16-byte Folded Spill
	scratch_store_dwordx4 off, v[8:11], off offset:304 ; 16-byte Folded Spill
	;; [unrolled: 1-line block ×7, first 2 shown]
	v_mov_b32_e32 v185, v148
	v_mov_b64_e32 v[16:17], v[176:177]
	v_mov_b32_e32 v27, v187
	v_mov_b64_e32 v[18:19], v[178:179]
	v_mov_b64_e32 v[20:21], v[180:181]
	;; [unrolled: 1-line block ×4, first 2 shown]
	v_mov_b32_e32 v28, v188
	v_mov_b32_e32 v29, v189
	;; [unrolled: 1-line block ×4, first 2 shown]
	scratch_store_dwordx4 off, v[0:3], off offset:144 ; 16-byte Folded Spill
	s_nop 0
	scratch_store_dwordx4 off, v[4:7], off offset:160 ; 16-byte Folded Spill
	scratch_store_dwordx4 off, v[8:11], off offset:176 ; 16-byte Folded Spill
	;; [unrolled: 1-line block ×7, first 2 shown]
	v_mov_b64_e32 v[96:97], v[160:161]
	v_mov_b64_e32 v[112:113], v[176:177]
	;; [unrolled: 1-line block ×16, first 2 shown]
	v_mov_b32_e32 v122, v149
	v_mov_b64_e32 v[0:1], v[96:97]
	v_mov_b32_e32 v16, v112
	v_mov_b64_e32 v[28:29], v[124:125]
	v_mov_b64_e32 v[2:3], v[98:99]
	;; [unrolled: 1-line block ×8, first 2 shown]
	v_mov_b32_e32 v17, v113
	v_mov_b32_e32 v18, v114
	;; [unrolled: 1-line block ×10, first 2 shown]
	v_mov_b64_e32 v[30:31], v[126:127]
	v_mov_b32_e32 v123, v132
	v_mov_b64_e32 v[32:33], v[96:97]
	scratch_store_dwordx4 off, v[0:3], off offset:8 ; 16-byte Folded Spill
	s_nop 0
	scratch_store_dwordx4 off, v[4:7], off offset:24 ; 16-byte Folded Spill
	scratch_store_dwordx4 off, v[8:11], off offset:40 ; 16-byte Folded Spill
	;; [unrolled: 1-line block ×7, first 2 shown]
	v_mov_b64_e32 v[60:61], v[124:125]
	v_mov_b64_e32 v[206:207], v[174:175]
	;; [unrolled: 1-line block ×16, first 2 shown]
	v_mov_b32_e32 v60, v133
	v_mov_b32_e32 v61, v130
	v_mov_b64_e32 v[0:1], v[32:33]
	v_mov_b64_e32 v[204:205], v[172:173]
	;; [unrolled: 1-line block ×12, first 2 shown]
	v_mov_b32_e32 v223, v191
	v_mov_b64_e32 v[172:173], v[44:45]
	v_mov_b64_e32 v[170:171], v[42:43]
	;; [unrolled: 1-line block ×13, first 2 shown]
	v_mov_b32_e32 v188, v133
	v_mov_b64_e32 v[2:3], v[34:35]
	v_mov_b64_e32 v[4:5], v[36:37]
	;; [unrolled: 1-line block ×14, first 2 shown]
	v_mov_b32_e32 v30, v131
	v_mov_b32_e32 v31, v159
	scratch_store_dwordx4 off, v[224:227], off offset:1968 ; 16-byte Folded Spill
	s_nop 0
	scratch_store_dwordx4 off, v[228:231], off offset:1984 ; 16-byte Folded Spill
	scratch_store_dwordx4 off, v[232:235], off offset:2000 ; 16-byte Folded Spill
	;; [unrolled: 1-line block ×7, first 2 shown]
.LBB63_56:
	s_or_b64 exec, exec, s[2:3]
	s_waitcnt lgkmcnt(0)
	s_barrier
	scratch_load_dword v62, off, off        ; 4-byte Folded Reload
	s_waitcnt vmcnt(0)
	v_cmp_eq_u32_e32 vcc, 11, v62
	s_and_saveexec_b64 s[2:3], vcc
	s_cbranch_execz .LBB63_59
; %bb.57:
	scratch_load_dword v62, off, off offset:4 ; 4-byte Folded Reload
	scratch_load_dwordx2 v[140:141], off, off offset:1048 ; 8-byte Folded Reload
	s_waitcnt vmcnt(0)
	ds_write_b32 v62, v140
	ds_write2_b64 v128, v[12:13], v[14:15] offset0:6 offset1:7
	ds_write2_b64 v128, v[16:17], v[18:19] offset0:8 offset1:9
	;; [unrolled: 1-line block ×5, first 2 shown]
	ds_read_b32 v62, v62
	s_waitcnt lgkmcnt(0)
	v_cmp_neq_f32_e32 vcc, 0, v62
	s_and_b64 exec, exec, vcc
	s_cbranch_execz .LBB63_59
; %bb.58:
	v_div_scale_f32 v63, s[4:5], v62, v62, 1.0
	v_rcp_f32_e32 v93, v63
	v_div_scale_f32 v124, vcc, 1.0, v62, 1.0
	v_fma_f32 v139, -v63, v93, 1.0
	v_fmac_f32_e32 v93, v139, v93
	v_mul_f32_e32 v139, v124, v93
	v_fma_f32 v140, -v63, v139, v124
	v_fmac_f32_e32 v139, v140, v93
	v_fma_f32 v63, -v63, v139, v124
	v_div_fmas_f32 v63, v63, v93, v139
	v_div_fixup_f32 v62, v63, v62, 1.0
	scratch_load_dword v63, off, off offset:4 ; 4-byte Folded Reload
	s_waitcnt vmcnt(0)
	ds_write_b32 v63, v62
.LBB63_59:
	s_or_b64 exec, exec, s[2:3]
	s_waitcnt lgkmcnt(0)
	s_barrier
	scratch_load_dword v62, off, off offset:4 ; 4-byte Folded Reload
	s_waitcnt vmcnt(0)
	ds_read_b32 v139, v62
	scratch_load_dword v62, off, off        ; 4-byte Folded Reload
	s_waitcnt vmcnt(0)
	v_cmp_lt_u32_e32 vcc, 11, v62
	s_and_saveexec_b64 s[2:3], vcc
	s_cbranch_execz .LBB63_61
; %bb.60:
	ds_read2_b64 v[0:3], v128 offset0:6 offset1:7
	ds_read2_b64 v[4:7], v128 offset0:8 offset1:9
	scratch_load_dwordx2 v[8:9], off, off offset:1048 ; 8-byte Folded Reload
	s_waitcnt vmcnt(0) lgkmcnt(2)
	v_mul_f32_e32 v32, v8, v139
	ds_read2_b64 v[8:11], v128 offset0:10 offset1:11
	s_waitcnt lgkmcnt(2)
	v_pk_fma_f32 v[140:141], v[32:33], v[0:1], v[12:13] op_sel_hi:[0,1,1] neg_lo:[1,0,0] neg_hi:[1,0,0]
	v_pk_fma_f32 v[142:143], v[32:33], v[2:3], v[14:15] op_sel_hi:[0,1,1] neg_lo:[1,0,0] neg_hi:[1,0,0]
	s_waitcnt lgkmcnt(1)
	v_pk_fma_f32 v[144:145], v[32:33], v[4:5], v[16:17] op_sel_hi:[0,1,1] neg_lo:[1,0,0] neg_hi:[1,0,0]
	ds_read2_b64 v[0:3], v128 offset0:12 offset1:13
	v_pk_fma_f32 v[146:147], v[32:33], v[6:7], v[18:19] op_sel_hi:[0,1,1] neg_lo:[1,0,0] neg_hi:[1,0,0]
	ds_read2_b64 v[4:7], v128 offset0:14 offset1:15
	scratch_load_dwordx4 v[224:227], off, off offset:1968 ; 16-byte Folded Reload
	scratch_load_dwordx4 v[228:231], off, off offset:1984 ; 16-byte Folded Reload
	scratch_load_dwordx4 v[232:235], off, off offset:2000 ; 16-byte Folded Reload
	scratch_load_dwordx4 v[236:239], off, off offset:2016 ; 16-byte Folded Reload
	scratch_load_dwordx4 v[240:243], off, off offset:2032 ; 16-byte Folded Reload
	scratch_load_dwordx4 v[244:247], off, off offset:2048 ; 16-byte Folded Reload
	scratch_load_dwordx4 v[248:251], off, off offset:2064 ; 16-byte Folded Reload
	scratch_load_dwordx4 v[252:255], off, off offset:2080 ; 16-byte Folded Reload
	s_waitcnt vmcnt(5)
	v_mov_b32_e32 v235, v32
	s_waitcnt lgkmcnt(2)
	v_pk_fma_f32 v[148:149], v[32:33], v[8:9], v[20:21] op_sel_hi:[0,1,1] neg_lo:[1,0,0] neg_hi:[1,0,0]
	v_pk_fma_f32 v[150:151], v[32:33], v[10:11], v[22:23] op_sel_hi:[0,1,1] neg_lo:[1,0,0] neg_hi:[1,0,0]
	s_waitcnt lgkmcnt(1)
	v_pk_fma_f32 v[152:153], v[32:33], v[0:1], v[24:25] op_sel_hi:[0,1,1] neg_lo:[1,0,0] neg_hi:[1,0,0]
	v_pk_fma_f32 v[154:155], v[32:33], v[2:3], v[26:27] op_sel_hi:[0,1,1] neg_lo:[1,0,0] neg_hi:[1,0,0]
	;; [unrolled: 3-line block ×3, first 2 shown]
	v_mov_b32_e32 v12, v140
	v_mov_b32_e32 v132, v155
	v_mov_b32_e32 v133, v156
	v_mov_b32_e32 v130, v157
	v_mov_b32_e32 v131, v158
	s_waitcnt vmcnt(0)
	v_mov_b64_e32 v[160:161], v[224:225]
	v_mov_b64_e32 v[174:175], v[238:239]
	;; [unrolled: 1-line block ×30, first 2 shown]
	scratch_store_dwordx4 off, v[0:3], off offset:1712 ; 16-byte Folded Spill
	s_nop 0
	scratch_store_dwordx4 off, v[4:7], off offset:1728 ; 16-byte Folded Spill
	scratch_store_dwordx4 off, v[8:11], off offset:1744 ; 16-byte Folded Spill
	;; [unrolled: 1-line block ×7, first 2 shown]
	v_mov_b64_e32 v[172:173], v[236:237]
	v_mov_b32_e32 v172, v140
	v_mov_b32_e32 v173, v141
	;; [unrolled: 1-line block ×18, first 2 shown]
	v_mov_b64_e32 v[12:13], v[172:173]
	v_mov_b32_e32 v31, v191
	v_mov_b32_e32 v174, v142
	;; [unrolled: 1-line block ×16, first 2 shown]
	v_mov_b64_e32 v[206:207], v[174:175]
	v_mov_b64_e32 v[204:205], v[172:173]
	scratch_store_dwordx4 off, v[0:3], off offset:1584 ; 16-byte Folded Spill
	s_nop 0
	scratch_store_dwordx4 off, v[4:7], off offset:1600 ; 16-byte Folded Spill
	scratch_store_dwordx4 off, v[8:11], off offset:1616 ; 16-byte Folded Spill
	;; [unrolled: 1-line block ×7, first 2 shown]
	v_mov_b64_e32 v[16:17], v[176:177]
	v_mov_b32_e32 v12, v172
	v_mov_b64_e32 v[18:19], v[178:179]
	v_mov_b64_e32 v[20:21], v[180:181]
	;; [unrolled: 1-line block ×7, first 2 shown]
	v_mov_b32_e32 v13, v173
	v_mov_b32_e32 v14, v174
	;; [unrolled: 1-line block ×3, first 2 shown]
	v_mov_b64_e32 v[202:203], v[170:171]
	v_mov_b64_e32 v[200:201], v[168:169]
	;; [unrolled: 1-line block ×6, first 2 shown]
	scratch_store_dwordx4 off, v[0:3], off offset:1448 ; 16-byte Folded Spill
	s_nop 0
	scratch_store_dwordx4 off, v[4:7], off offset:1464 ; 16-byte Folded Spill
	scratch_store_dwordx4 off, v[8:11], off offset:1480 ; 16-byte Folded Spill
	;; [unrolled: 1-line block ×7, first 2 shown]
	v_mov_b64_e32 v[0:1], v[160:161]
	v_mov_b32_e32 v17, v177
	v_mov_b32_e32 v29, v189
	v_mov_b64_e32 v[2:3], v[162:163]
	v_mov_b64_e32 v[4:5], v[164:165]
	;; [unrolled: 1-line block ×7, first 2 shown]
	v_mov_b32_e32 v18, v178
	v_mov_b32_e32 v19, v179
	;; [unrolled: 1-line block ×14, first 2 shown]
	v_mov_b64_e32 v[208:209], v[176:177]
	scratch_store_dwordx4 off, v[0:3], off offset:1320 ; 16-byte Folded Spill
	s_nop 0
	scratch_store_dwordx4 off, v[4:7], off offset:1336 ; 16-byte Folded Spill
	scratch_store_dwordx4 off, v[8:11], off offset:1352 ; 16-byte Folded Spill
	;; [unrolled: 1-line block ×7, first 2 shown]
	v_mov_b64_e32 v[18:19], v[178:179]
	v_mov_b64_e32 v[20:21], v[180:181]
	;; [unrolled: 1-line block ×7, first 2 shown]
	v_mov_b32_e32 v16, v144
	v_mov_b32_e32 v178, v146
	;; [unrolled: 1-line block ×3, first 2 shown]
	scratch_store_dwordx4 off, v[0:3], off offset:1192 ; 16-byte Folded Spill
	s_nop 0
	scratch_store_dwordx4 off, v[4:7], off offset:1208 ; 16-byte Folded Spill
	scratch_store_dwordx4 off, v[8:11], off offset:1224 ; 16-byte Folded Spill
	;; [unrolled: 1-line block ×7, first 2 shown]
	v_mov_b64_e32 v[20:21], v[180:181]
	v_mov_b32_e32 v16, v176
	v_mov_b64_e32 v[22:23], v[182:183]
	v_mov_b64_e32 v[24:25], v[184:185]
	;; [unrolled: 1-line block ×5, first 2 shown]
	v_mov_b32_e32 v17, v177
	v_mov_b32_e32 v18, v178
	;; [unrolled: 1-line block ×3, first 2 shown]
	scratch_store_dwordx4 off, v[0:3], off offset:1064 ; 16-byte Folded Spill
	s_nop 0
	scratch_store_dwordx4 off, v[4:7], off offset:1080 ; 16-byte Folded Spill
	scratch_store_dwordx4 off, v[8:11], off offset:1096 ; 16-byte Folded Spill
	;; [unrolled: 1-line block ×7, first 2 shown]
	v_mov_b32_e32 v21, v181
	v_mov_b64_e32 v[16:17], v[176:177]
	v_mov_b32_e32 v22, v182
	v_mov_b32_e32 v23, v183
	;; [unrolled: 1-line block ×10, first 2 shown]
	v_mov_b64_e32 v[18:19], v[178:179]
	v_mov_b32_e32 v181, v149
	scratch_store_dwordx4 off, v[0:3], off offset:920 ; 16-byte Folded Spill
	s_nop 0
	scratch_store_dwordx4 off, v[4:7], off offset:936 ; 16-byte Folded Spill
	scratch_store_dwordx4 off, v[8:11], off offset:952 ; 16-byte Folded Spill
	scratch_store_dwordx4 off, v[12:15], off offset:968 ; 16-byte Folded Spill
	scratch_store_dwordx4 off, v[16:19], off offset:984 ; 16-byte Folded Spill
	scratch_store_dwordx4 off, v[20:23], off offset:1000 ; 16-byte Folded Spill
	scratch_store_dwordx4 off, v[24:27], off offset:1016 ; 16-byte Folded Spill
	scratch_store_dwordx4 off, v[28:31], off offset:1032 ; 16-byte Folded Spill
	v_mov_b64_e32 v[22:23], v[182:183]
	v_mov_b32_e32 v16, v176
	v_mov_b64_e32 v[24:25], v[184:185]
	v_mov_b64_e32 v[26:27], v[186:187]
	;; [unrolled: 1-line block ×4, first 2 shown]
	v_mov_b32_e32 v17, v177
	v_mov_b32_e32 v18, v178
	;; [unrolled: 1-line block ×5, first 2 shown]
	scratch_store_dwordx4 off, v[0:3], off offset:792 ; 16-byte Folded Spill
	s_nop 0
	scratch_store_dwordx4 off, v[4:7], off offset:808 ; 16-byte Folded Spill
	scratch_store_dwordx4 off, v[8:11], off offset:824 ; 16-byte Folded Spill
	;; [unrolled: 1-line block ×7, first 2 shown]
	v_mov_b32_e32 v23, v183
	v_mov_b64_e32 v[16:17], v[176:177]
	v_mov_b32_e32 v24, v184
	v_mov_b32_e32 v25, v185
	;; [unrolled: 1-line block ×8, first 2 shown]
	v_mov_b64_e32 v[18:19], v[178:179]
	v_mov_b64_e32 v[20:21], v[180:181]
	v_mov_b32_e32 v183, v151
	scratch_store_dwordx4 off, v[0:3], off offset:656 ; 16-byte Folded Spill
	s_nop 0
	scratch_store_dwordx4 off, v[4:7], off offset:672 ; 16-byte Folded Spill
	scratch_store_dwordx4 off, v[8:11], off offset:688 ; 16-byte Folded Spill
	;; [unrolled: 1-line block ×7, first 2 shown]
	s_nop 0
	v_mov_b64_e32 v[24:25], v[184:185]
	v_mov_b32_e32 v16, v176
	v_mov_b64_e32 v[26:27], v[186:187]
	v_mov_b64_e32 v[28:29], v[188:189]
	v_mov_b64_e32 v[30:31], v[190:191]
	v_mov_b32_e32 v17, v177
	v_mov_b32_e32 v18, v178
	;; [unrolled: 1-line block ×7, first 2 shown]
	scratch_store_dwordx4 off, v[0:3], off offset:528 ; 16-byte Folded Spill
	s_nop 0
	scratch_store_dwordx4 off, v[4:7], off offset:544 ; 16-byte Folded Spill
	scratch_store_dwordx4 off, v[8:11], off offset:560 ; 16-byte Folded Spill
	;; [unrolled: 1-line block ×7, first 2 shown]
	v_mov_b64_e32 v[16:17], v[176:177]
	v_mov_b32_e32 v25, v185
	v_mov_b64_e32 v[18:19], v[178:179]
	v_mov_b64_e32 v[20:21], v[180:181]
	;; [unrolled: 1-line block ×3, first 2 shown]
	v_mov_b32_e32 v26, v186
	v_mov_b32_e32 v27, v187
	;; [unrolled: 1-line block ×7, first 2 shown]
	v_mov_b64_e32 v[96:97], v[160:161]
	v_mov_b64_e32 v[112:113], v[176:177]
	v_mov_b64_e32 v[122:123], v[186:187]
	v_mov_b64_e32 v[124:125], v[188:189]
	v_mov_b64_e32 v[98:99], v[162:163]
	v_mov_b64_e32 v[100:101], v[164:165]
	v_mov_b64_e32 v[102:103], v[166:167]
	v_mov_b64_e32 v[104:105], v[168:169]
	v_mov_b64_e32 v[106:107], v[170:171]
	v_mov_b64_e32 v[108:109], v[172:173]
	v_mov_b64_e32 v[110:111], v[174:175]
	v_mov_b64_e32 v[114:115], v[178:179]
	v_mov_b64_e32 v[116:117], v[180:181]
	v_mov_b64_e32 v[118:119], v[182:183]
	v_mov_b64_e32 v[120:121], v[184:185]
	v_mov_b64_e32 v[126:127], v[190:191]
	v_mov_b32_e32 v122, v154
	v_mov_b32_e32 v123, v155
	v_mov_b64_e32 v[32:33], v[96:97]
	v_mov_b64_e32 v[60:61], v[124:125]
	;; [unrolled: 1-line block ×8, first 2 shown]
	scratch_store_dwordx4 off, v[0:3], off offset:400 ; 16-byte Folded Spill
	s_nop 0
	scratch_store_dwordx4 off, v[4:7], off offset:416 ; 16-byte Folded Spill
	scratch_store_dwordx4 off, v[8:11], off offset:432 ; 16-byte Folded Spill
	scratch_store_dwordx4 off, v[12:15], off offset:448 ; 16-byte Folded Spill
	scratch_store_dwordx4 off, v[16:19], off offset:464 ; 16-byte Folded Spill
	scratch_store_dwordx4 off, v[20:23], off offset:480 ; 16-byte Folded Spill
	scratch_store_dwordx4 off, v[24:27], off offset:496 ; 16-byte Folded Spill
	scratch_store_dwordx4 off, v[28:31], off offset:512 ; 16-byte Folded Spill
	v_mov_b32_e32 v16, v176
	v_mov_b64_e32 v[26:27], v[186:187]
	v_mov_b32_e32 v17, v177
	v_mov_b32_e32 v18, v178
	;; [unrolled: 1-line block ×8, first 2 shown]
	v_mov_b64_e32 v[28:29], v[188:189]
	v_mov_b64_e32 v[30:31], v[190:191]
	;; [unrolled: 1-line block ×10, first 2 shown]
	v_mov_b32_e32 v60, v156
	v_mov_b32_e32 v61, v157
	v_mov_b64_e32 v[174:175], v[46:47]
	v_mov_b64_e32 v[172:173], v[44:45]
	;; [unrolled: 1-line block ×8, first 2 shown]
	scratch_store_dwordx4 off, v[0:3], off offset:272 ; 16-byte Folded Spill
	s_nop 0
	scratch_store_dwordx4 off, v[4:7], off offset:288 ; 16-byte Folded Spill
	scratch_store_dwordx4 off, v[8:11], off offset:304 ; 16-byte Folded Spill
	;; [unrolled: 1-line block ×7, first 2 shown]
	v_mov_b64_e32 v[16:17], v[176:177]
	v_mov_b32_e32 v27, v187
	v_mov_b64_e32 v[18:19], v[178:179]
	v_mov_b64_e32 v[20:21], v[180:181]
	;; [unrolled: 1-line block ×4, first 2 shown]
	v_mov_b32_e32 v28, v188
	v_mov_b32_e32 v29, v189
	v_mov_b32_e32 v30, v190
	v_mov_b32_e32 v31, v191
	v_mov_b64_e32 v[190:191], v[62:63]
	v_mov_b64_e32 v[186:187], v[58:59]
	;; [unrolled: 1-line block ×7, first 2 shown]
	v_mov_b32_e32 v188, v156
	scratch_store_dwordx4 off, v[0:3], off offset:144 ; 16-byte Folded Spill
	s_nop 0
	scratch_store_dwordx4 off, v[4:7], off offset:160 ; 16-byte Folded Spill
	scratch_store_dwordx4 off, v[8:11], off offset:176 ; 16-byte Folded Spill
	;; [unrolled: 1-line block ×7, first 2 shown]
	v_mov_b64_e32 v[0:1], v[96:97]
	v_mov_b32_e32 v16, v112
	v_mov_b64_e32 v[28:29], v[124:125]
	v_mov_b64_e32 v[2:3], v[98:99]
	;; [unrolled: 1-line block ×8, first 2 shown]
	v_mov_b32_e32 v17, v113
	v_mov_b32_e32 v18, v114
	;; [unrolled: 1-line block ×10, first 2 shown]
	v_mov_b64_e32 v[30:31], v[126:127]
	scratch_store_dwordx4 off, v[0:3], off offset:8 ; 16-byte Folded Spill
	s_nop 0
	scratch_store_dwordx4 off, v[4:7], off offset:24 ; 16-byte Folded Spill
	scratch_store_dwordx4 off, v[8:11], off offset:40 ; 16-byte Folded Spill
	;; [unrolled: 1-line block ×7, first 2 shown]
	v_mov_b64_e32 v[0:1], v[32:33]
	v_mov_b64_e32 v[2:3], v[34:35]
	;; [unrolled: 1-line block ×16, first 2 shown]
	v_mov_b32_e32 v63, v140
	scratch_store_dwordx4 off, v[224:227], off offset:1840 ; 16-byte Folded Spill
	s_nop 0
	scratch_store_dwordx4 off, v[228:231], off offset:1856 ; 16-byte Folded Spill
	scratch_store_dwordx4 off, v[232:235], off offset:1872 ; 16-byte Folded Spill
	;; [unrolled: 1-line block ×7, first 2 shown]
	scratch_store_dwordx2 off, v[62:63], off offset:1048 ; 8-byte Folded Spill
	v_mov_b32_e32 v62, v141
	v_mov_b32_e32 v63, v142
	scratch_store_dwordx2 off, v[62:63], off offset:784 ; 8-byte Folded Spill
	v_mov_b32_e32 v62, v143
	v_mov_b32_e32 v63, v144
	;; [unrolled: 1-line block ×4, first 2 shown]
	scratch_store_dwordx2 off, v[62:63], off offset:1056 ; 8-byte Folded Spill
	v_mov_b32_e32 v62, v145
	v_mov_b32_e32 v63, v146
	;; [unrolled: 1-line block ×10, first 2 shown]
	scratch_store_dwordx2 off, v[62:63], off offset:136 ; 8-byte Folded Spill
.LBB63_61:
	s_or_b64 exec, exec, s[2:3]
	s_waitcnt lgkmcnt(0)
	s_barrier
	scratch_load_dword v62, off, off        ; 4-byte Folded Reload
	s_waitcnt vmcnt(0)
	v_cmp_eq_u32_e32 vcc, 12, v62
	s_and_saveexec_b64 s[2:3], vcc
	s_cbranch_execz .LBB63_64
; %bb.62:
	scratch_load_dword v62, off, off offset:4 ; 4-byte Folded Reload
	scratch_load_dwordx2 v[140:141], off, off offset:1048 ; 8-byte Folded Reload
	s_waitcnt vmcnt(0)
	ds_write_b32 v62, v141
	ds_write2_b32 v128, v13, v14 offset0:13 offset1:14
	ds_write2_b32 v128, v15, v16 offset0:15 offset1:16
	;; [unrolled: 1-line block ×9, first 2 shown]
	ds_write_b32 v128, v159 offset:124
	ds_read_b32 v62, v62
	s_waitcnt lgkmcnt(0)
	v_cmp_neq_f32_e32 vcc, 0, v62
	s_and_b64 exec, exec, vcc
	s_cbranch_execz .LBB63_64
; %bb.63:
	v_div_scale_f32 v63, s[4:5], v62, v62, 1.0
	v_rcp_f32_e32 v93, v63
	v_div_scale_f32 v124, vcc, 1.0, v62, 1.0
	v_fma_f32 v140, -v63, v93, 1.0
	v_fmac_f32_e32 v93, v140, v93
	v_mul_f32_e32 v140, v124, v93
	v_fma_f32 v141, -v63, v140, v124
	v_fmac_f32_e32 v140, v141, v93
	v_fma_f32 v63, -v63, v140, v124
	v_div_fmas_f32 v63, v63, v93, v140
	v_div_fixup_f32 v62, v63, v62, 1.0
	scratch_load_dword v63, off, off offset:4 ; 4-byte Folded Reload
	s_waitcnt vmcnt(0)
	ds_write_b32 v63, v62
.LBB63_64:
	s_or_b64 exec, exec, s[2:3]
	s_waitcnt lgkmcnt(0)
	s_barrier
	scratch_load_dword v62, off, off offset:4 ; 4-byte Folded Reload
	s_waitcnt vmcnt(0)
	ds_read_b32 v140, v62
	scratch_load_dword v62, off, off        ; 4-byte Folded Reload
	s_waitcnt vmcnt(0)
	v_cmp_lt_u32_e32 vcc, 12, v62
	s_and_saveexec_b64 s[2:3], vcc
	s_cbranch_execz .LBB63_66
; %bb.65:
	scratch_load_dwordx2 v[0:1], off, off offset:1048 ; 8-byte Folded Reload
	scratch_load_dwordx4 v[224:227], off, off offset:1840 ; 16-byte Folded Reload
	scratch_load_dwordx4 v[228:231], off, off offset:1856 ; 16-byte Folded Reload
	;; [unrolled: 1-line block ×8, first 2 shown]
	v_mov_b32_e32 v2, v13
	v_mov_b32_e32 v3, v14
	s_waitcnt vmcnt(4) lgkmcnt(0)
	v_mul_f32_e32 v236, v1, v140
	ds_read2_b32 v[0:1], v128 offset0:13 offset1:14
	ds_read2_b32 v[4:5], v128 offset0:15 offset1:16
	;; [unrolled: 1-line block ×4, first 2 shown]
	s_waitcnt lgkmcnt(3)
	v_pk_fma_f32 v[32:33], v[236:237], v[0:1], v[2:3] op_sel_hi:[0,1,1] neg_lo:[1,0,0] neg_hi:[1,0,0]
	v_mov_b32_e32 v0, v15
	v_mov_b32_e32 v1, v16
	s_waitcnt lgkmcnt(2)
	v_pk_fma_f32 v[12:13], v[236:237], v[4:5], v[0:1] op_sel_hi:[0,1,1] neg_lo:[1,0,0] neg_hi:[1,0,0]
	v_mov_b32_e32 v0, v17
	v_mov_b32_e32 v1, v18
	s_waitcnt lgkmcnt(1)
	v_pk_fma_f32 v[10:11], v[236:237], v[6:7], v[0:1] op_sel_hi:[0,1,1] neg_lo:[1,0,0] neg_hi:[1,0,0]
	v_mov_b32_e32 v0, v19
	v_mov_b32_e32 v1, v20
	s_waitcnt lgkmcnt(0)
	v_pk_fma_f32 v[66:67], v[236:237], v[8:9], v[0:1] op_sel_hi:[0,1,1] neg_lo:[1,0,0] neg_hi:[1,0,0]
	ds_read2_b32 v[0:1], v128 offset0:21 offset1:22
	ds_read2_b32 v[4:5], v128 offset0:23 offset1:24
	;; [unrolled: 1-line block ×4, first 2 shown]
	s_waitcnt vmcnt(0)
	v_mov_b64_e32 v[160:161], v[224:225]
	v_mov_b32_e32 v2, v21
	v_mov_b32_e32 v3, v22
	v_mov_b64_e32 v[172:173], v[236:237]
	v_mov_b64_e32 v[174:175], v[238:239]
	s_waitcnt lgkmcnt(3)
	v_pk_fma_f32 v[144:145], v[236:237], v[0:1], v[2:3] op_sel_hi:[0,1,1] neg_lo:[1,0,0] neg_hi:[1,0,0]
	v_mov_b32_e32 v0, v23
	v_mov_b32_e32 v1, v24
	v_mov_b64_e32 v[162:163], v[226:227]
	v_mov_b64_e32 v[164:165], v[228:229]
	;; [unrolled: 1-line block ×13, first 2 shown]
	v_mov_b32_e32 v173, v32
	v_mov_b32_e32 v49, v175
	v_mov_b64_e32 v[34:35], v[160:161]
	s_waitcnt lgkmcnt(2)
	v_pk_fma_f32 v[150:151], v[236:237], v[4:5], v[0:1] op_sel_hi:[0,1,1] neg_lo:[1,0,0] neg_hi:[1,0,0]
	v_mov_b32_e32 v0, v25
	v_mov_b32_e32 v1, v26
	;; [unrolled: 1-line block ×17, first 2 shown]
	v_mov_b64_e32 v[36:37], v[162:163]
	v_mov_b64_e32 v[38:39], v[164:165]
	;; [unrolled: 1-line block ×6, first 2 shown]
	v_mov_b32_e32 v65, v191
	s_waitcnt lgkmcnt(1)
	v_pk_fma_f32 v[148:149], v[236:237], v[6:7], v[0:1] op_sel_hi:[0,1,1] neg_lo:[1,0,0] neg_hi:[1,0,0]
	v_mov_b32_e32 v0, v27
	v_mov_b32_e32 v1, v28
	ds_read2_b32 v[2:3], v128 offset0:29 offset1:30
	ds_read_b32 v4, v128 offset:124
	scratch_store_dwordx4 off, v[34:37], off offset:1584 ; 16-byte Folded Spill
	s_nop 0
	scratch_store_dwordx4 off, v[38:41], off offset:1600 ; 16-byte Folded Spill
	scratch_store_dwordx4 off, v[42:45], off offset:1616 ; 16-byte Folded Spill
	;; [unrolled: 1-line block ×7, first 2 shown]
	scratch_store_dwordx2 off, v[32:33], off offset:784 ; 8-byte Folded Spill
	s_waitcnt lgkmcnt(2)
	v_pk_fma_f32 v[132:133], v[236:237], v[8:9], v[0:1] op_sel_hi:[0,1,1] neg_lo:[1,0,0] neg_hi:[1,0,0]
	v_mov_b32_e32 v1, v30
	v_mov_b32_e32 v174, v33
	v_mov_b64_e32 v[30:31], v[176:177]
	v_mov_b64_e32 v[14:15], v[160:161]
	v_mov_b32_e32 v26, v172
	v_mov_b64_e32 v[32:33], v[178:179]
	v_mov_b64_e32 v[34:35], v[180:181]
	v_mov_b64_e32 v[36:37], v[182:183]
	v_mov_b64_e32 v[38:39], v[184:185]
	v_mov_b64_e32 v[40:41], v[186:187]
	v_mov_b64_e32 v[42:43], v[188:189]
	v_mov_b64_e32 v[44:45], v[190:191]
	v_mov_b64_e32 v[16:17], v[162:163]
	v_mov_b64_e32 v[18:19], v[164:165]
	v_mov_b64_e32 v[20:21], v[166:167]
	v_mov_b64_e32 v[22:23], v[168:169]
	v_mov_b64_e32 v[24:25], v[170:171]
	v_mov_b32_e32 v27, v173
	v_mov_b32_e32 v28, v174
	;; [unrolled: 1-line block ×3, first 2 shown]
	scratch_store_dwordx4 off, v[14:17], off offset:1448 ; 16-byte Folded Spill
	s_nop 0
	scratch_store_dwordx4 off, v[18:21], off offset:1464 ; 16-byte Folded Spill
	scratch_store_dwordx4 off, v[22:25], off offset:1480 ; 16-byte Folded Spill
	;; [unrolled: 1-line block ×7, first 2 shown]
	v_mov_b32_e32 v175, v12
	v_mov_b64_e32 v[14:15], v[160:161]
	v_mov_b64_e32 v[16:17], v[162:163]
	;; [unrolled: 1-line block ×8, first 2 shown]
	scratch_store_dwordx4 off, v[14:17], off offset:1320 ; 16-byte Folded Spill
	s_nop 0
	scratch_store_dwordx4 off, v[18:21], off offset:1336 ; 16-byte Folded Spill
	scratch_store_dwordx4 off, v[22:25], off offset:1352 ; 16-byte Folded Spill
	;; [unrolled: 1-line block ×7, first 2 shown]
	scratch_store_dwordx2 off, v[12:13], off offset:1056 ; 8-byte Folded Spill
	v_mov_b32_e32 v176, v13
	v_mov_b64_e32 v[12:13], v[160:161]
	v_mov_b64_e32 v[30:31], v[178:179]
	;; [unrolled: 1-line block ×15, first 2 shown]
	v_mov_b32_e32 v28, v176
	scratch_store_dwordx4 off, v[12:15], off offset:1192 ; 16-byte Folded Spill
	s_nop 0
	scratch_store_dwordx4 off, v[16:19], off offset:1208 ; 16-byte Folded Spill
	scratch_store_dwordx4 off, v[20:23], off offset:1224 ; 16-byte Folded Spill
	;; [unrolled: 1-line block ×7, first 2 shown]
	s_waitcnt lgkmcnt(1)
	v_pk_fma_f32 v[130:131], v[236:237], v[2:3], v[0:1] op_sel_hi:[0,1,1] neg_lo:[1,0,0] neg_hi:[1,0,0]
	s_waitcnt lgkmcnt(0)
	v_fma_f32 v159, -v236, v4, v159
	v_mov_b32_e32 v177, v10
	scratch_store_dwordx2 off, v[10:11], off offset:136 ; 8-byte Folded Spill
	v_mov_b32_e32 v178, v11
	v_mov_b64_e32 v[0:1], v[160:161]
	v_mov_b64_e32 v[20:21], v[180:181]
	v_mov_b32_e32 v16, v176
	v_mov_b64_e32 v[2:3], v[162:163]
	v_mov_b64_e32 v[4:5], v[164:165]
	;; [unrolled: 1-line block ×12, first 2 shown]
	v_mov_b32_e32 v17, v177
	v_mov_b32_e32 v18, v178
	scratch_store_dwordx4 off, v[0:3], off offset:1064 ; 16-byte Folded Spill
	s_nop 0
	scratch_store_dwordx4 off, v[4:7], off offset:1080 ; 16-byte Folded Spill
	scratch_store_dwordx4 off, v[8:11], off offset:1096 ; 16-byte Folded Spill
	;; [unrolled: 1-line block ×7, first 2 shown]
	v_mov_b32_e32 v222, v190
	v_mov_b32_e32 v221, v189
	;; [unrolled: 1-line block ×14, first 2 shown]
	v_mov_b64_e32 v[16:17], v[176:177]
	v_mov_b32_e32 v22, v182
	v_mov_b32_e32 v23, v183
	;; [unrolled: 1-line block ×10, first 2 shown]
	v_mov_b64_e32 v[18:19], v[178:179]
	scratch_store_dwordx4 off, v[0:3], off offset:920 ; 16-byte Folded Spill
	s_nop 0
	scratch_store_dwordx4 off, v[4:7], off offset:936 ; 16-byte Folded Spill
	scratch_store_dwordx4 off, v[8:11], off offset:952 ; 16-byte Folded Spill
	scratch_store_dwordx4 off, v[12:15], off offset:968 ; 16-byte Folded Spill
	scratch_store_dwordx4 off, v[16:19], off offset:984 ; 16-byte Folded Spill
	scratch_store_dwordx4 off, v[20:23], off offset:1000 ; 16-byte Folded Spill
	scratch_store_dwordx4 off, v[24:27], off offset:1016 ; 16-byte Folded Spill
	scratch_store_dwordx4 off, v[28:31], off offset:1032 ; 16-byte Folded Spill
	v_mov_b32_e32 v180, v67
	v_mov_b64_e32 v[22:23], v[182:183]
	v_mov_b32_e32 v16, v176
	v_mov_b64_e32 v[24:25], v[184:185]
	v_mov_b64_e32 v[26:27], v[186:187]
	;; [unrolled: 1-line block ×4, first 2 shown]
	v_mov_b32_e32 v17, v177
	v_mov_b32_e32 v18, v178
	;; [unrolled: 1-line block ×4, first 2 shown]
	scratch_store_dwordx4 off, v[0:3], off offset:792 ; 16-byte Folded Spill
	s_nop 0
	scratch_store_dwordx4 off, v[4:7], off offset:808 ; 16-byte Folded Spill
	scratch_store_dwordx4 off, v[8:11], off offset:824 ; 16-byte Folded Spill
	;; [unrolled: 1-line block ×7, first 2 shown]
	v_mov_b32_e32 v181, v144
	v_mov_b32_e32 v23, v183
	v_mov_b64_e32 v[16:17], v[176:177]
	v_mov_b32_e32 v24, v184
	v_mov_b32_e32 v25, v185
	;; [unrolled: 1-line block ×8, first 2 shown]
	v_mov_b64_e32 v[18:19], v[178:179]
	v_mov_b64_e32 v[20:21], v[180:181]
	scratch_store_dwordx4 off, v[0:3], off offset:656 ; 16-byte Folded Spill
	s_nop 0
	scratch_store_dwordx4 off, v[4:7], off offset:672 ; 16-byte Folded Spill
	scratch_store_dwordx4 off, v[8:11], off offset:688 ; 16-byte Folded Spill
	;; [unrolled: 1-line block ×7, first 2 shown]
	v_mov_b32_e32 v182, v145
	v_mov_b64_e32 v[24:25], v[184:185]
	v_mov_b32_e32 v16, v176
	v_mov_b64_e32 v[26:27], v[186:187]
	v_mov_b64_e32 v[28:29], v[188:189]
	;; [unrolled: 1-line block ×3, first 2 shown]
	v_mov_b32_e32 v17, v177
	v_mov_b32_e32 v18, v178
	;; [unrolled: 1-line block ×6, first 2 shown]
	scratch_store_dwordx4 off, v[0:3], off offset:528 ; 16-byte Folded Spill
	s_nop 0
	scratch_store_dwordx4 off, v[4:7], off offset:544 ; 16-byte Folded Spill
	scratch_store_dwordx4 off, v[8:11], off offset:560 ; 16-byte Folded Spill
	;; [unrolled: 1-line block ×7, first 2 shown]
	v_mov_b32_e32 v183, v150
	v_mov_b64_e32 v[16:17], v[176:177]
	v_mov_b32_e32 v25, v185
	v_mov_b64_e32 v[18:19], v[178:179]
	v_mov_b64_e32 v[20:21], v[180:181]
	;; [unrolled: 1-line block ×3, first 2 shown]
	v_mov_b32_e32 v26, v186
	v_mov_b32_e32 v27, v187
	;; [unrolled: 1-line block ×6, first 2 shown]
	scratch_store_dwordx4 off, v[0:3], off offset:400 ; 16-byte Folded Spill
	s_nop 0
	scratch_store_dwordx4 off, v[4:7], off offset:416 ; 16-byte Folded Spill
	scratch_store_dwordx4 off, v[8:11], off offset:432 ; 16-byte Folded Spill
	;; [unrolled: 1-line block ×7, first 2 shown]
	v_mov_b32_e32 v184, v151
	v_mov_b32_e32 v16, v176
	v_mov_b64_e32 v[26:27], v[186:187]
	v_mov_b32_e32 v17, v177
	v_mov_b32_e32 v18, v178
	;; [unrolled: 1-line block ×8, first 2 shown]
	v_mov_b64_e32 v[28:29], v[188:189]
	v_mov_b64_e32 v[30:31], v[190:191]
	scratch_store_dwordx4 off, v[0:3], off offset:272 ; 16-byte Folded Spill
	s_nop 0
	scratch_store_dwordx4 off, v[4:7], off offset:288 ; 16-byte Folded Spill
	scratch_store_dwordx4 off, v[8:11], off offset:304 ; 16-byte Folded Spill
	scratch_store_dwordx4 off, v[12:15], off offset:320 ; 16-byte Folded Spill
	scratch_store_dwordx4 off, v[16:19], off offset:336 ; 16-byte Folded Spill
	scratch_store_dwordx4 off, v[20:23], off offset:352 ; 16-byte Folded Spill
	scratch_store_dwordx4 off, v[24:27], off offset:368 ; 16-byte Folded Spill
	scratch_store_dwordx4 off, v[28:31], off offset:384 ; 16-byte Folded Spill
	v_mov_b32_e32 v185, v148
	v_mov_b64_e32 v[16:17], v[176:177]
	v_mov_b32_e32 v27, v187
	v_mov_b64_e32 v[18:19], v[178:179]
	v_mov_b64_e32 v[20:21], v[180:181]
	;; [unrolled: 1-line block ×4, first 2 shown]
	v_mov_b32_e32 v28, v188
	v_mov_b32_e32 v29, v189
	;; [unrolled: 1-line block ×4, first 2 shown]
	scratch_store_dwordx4 off, v[0:3], off offset:144 ; 16-byte Folded Spill
	s_nop 0
	scratch_store_dwordx4 off, v[4:7], off offset:160 ; 16-byte Folded Spill
	scratch_store_dwordx4 off, v[8:11], off offset:176 ; 16-byte Folded Spill
	;; [unrolled: 1-line block ×7, first 2 shown]
	v_mov_b64_e32 v[96:97], v[160:161]
	v_mov_b64_e32 v[112:113], v[176:177]
	;; [unrolled: 1-line block ×16, first 2 shown]
	v_mov_b32_e32 v122, v149
	v_mov_b64_e32 v[0:1], v[96:97]
	v_mov_b32_e32 v16, v112
	v_mov_b64_e32 v[28:29], v[124:125]
	v_mov_b64_e32 v[2:3], v[98:99]
	;; [unrolled: 1-line block ×8, first 2 shown]
	v_mov_b32_e32 v17, v113
	v_mov_b32_e32 v18, v114
	;; [unrolled: 1-line block ×10, first 2 shown]
	v_mov_b64_e32 v[30:31], v[126:127]
	v_mov_b32_e32 v123, v132
	v_mov_b64_e32 v[32:33], v[96:97]
	scratch_store_dwordx4 off, v[0:3], off offset:8 ; 16-byte Folded Spill
	s_nop 0
	scratch_store_dwordx4 off, v[4:7], off offset:24 ; 16-byte Folded Spill
	scratch_store_dwordx4 off, v[8:11], off offset:40 ; 16-byte Folded Spill
	;; [unrolled: 1-line block ×7, first 2 shown]
	v_mov_b64_e32 v[60:61], v[124:125]
	v_mov_b64_e32 v[206:207], v[174:175]
	;; [unrolled: 1-line block ×16, first 2 shown]
	v_mov_b32_e32 v60, v133
	v_mov_b32_e32 v61, v130
	v_mov_b64_e32 v[0:1], v[32:33]
	v_mov_b64_e32 v[204:205], v[172:173]
	;; [unrolled: 1-line block ×12, first 2 shown]
	v_mov_b32_e32 v223, v191
	v_mov_b64_e32 v[146:147], v[66:67]
	v_mov_b64_e32 v[172:173], v[44:45]
	;; [unrolled: 1-line block ×14, first 2 shown]
	v_mov_b32_e32 v188, v133
	v_mov_b64_e32 v[2:3], v[34:35]
	v_mov_b64_e32 v[4:5], v[36:37]
	;; [unrolled: 1-line block ×14, first 2 shown]
	v_mov_b32_e32 v30, v131
	v_mov_b32_e32 v31, v159
	scratch_store_dwordx4 off, v[224:227], off offset:1712 ; 16-byte Folded Spill
	s_nop 0
	scratch_store_dwordx4 off, v[228:231], off offset:1728 ; 16-byte Folded Spill
	scratch_store_dwordx4 off, v[232:235], off offset:1744 ; 16-byte Folded Spill
	;; [unrolled: 1-line block ×7, first 2 shown]
.LBB63_66:
	s_or_b64 exec, exec, s[2:3]
	s_waitcnt lgkmcnt(0)
	s_barrier
	scratch_load_dword v62, off, off        ; 4-byte Folded Reload
	s_waitcnt vmcnt(0)
	v_cmp_eq_u32_e32 vcc, 13, v62
	s_and_saveexec_b64 s[2:3], vcc
	s_cbranch_execz .LBB63_69
; %bb.67:
	scratch_load_dword v62, off, off offset:4 ; 4-byte Folded Reload
	scratch_load_dwordx2 v[142:143], off, off offset:784 ; 8-byte Folded Reload
	s_waitcnt vmcnt(0)
	ds_write_b32 v62, v142
	ds_write2_b64 v128, v[14:15], v[16:17] offset0:7 offset1:8
	ds_write2_b64 v128, v[18:19], v[20:21] offset0:9 offset1:10
	;; [unrolled: 1-line block ×4, first 2 shown]
	ds_write_b64 v128, v[30:31] offset:120
	ds_read_b32 v62, v62
	s_waitcnt lgkmcnt(0)
	v_cmp_neq_f32_e32 vcc, 0, v62
	s_and_b64 exec, exec, vcc
	s_cbranch_execz .LBB63_69
; %bb.68:
	v_div_scale_f32 v63, s[4:5], v62, v62, 1.0
	v_rcp_f32_e32 v93, v63
	v_div_scale_f32 v124, vcc, 1.0, v62, 1.0
	v_fma_f32 v141, -v63, v93, 1.0
	v_fmac_f32_e32 v93, v141, v93
	v_mul_f32_e32 v141, v124, v93
	v_fma_f32 v142, -v63, v141, v124
	v_fmac_f32_e32 v141, v142, v93
	v_fma_f32 v63, -v63, v141, v124
	v_div_fmas_f32 v63, v63, v93, v141
	v_div_fixup_f32 v62, v63, v62, 1.0
	scratch_load_dword v63, off, off offset:4 ; 4-byte Folded Reload
	s_waitcnt vmcnt(0)
	ds_write_b32 v63, v62
.LBB63_69:
	s_or_b64 exec, exec, s[2:3]
	s_waitcnt lgkmcnt(0)
	s_barrier
	scratch_load_dword v62, off, off offset:4 ; 4-byte Folded Reload
	s_waitcnt vmcnt(0)
	ds_read_b32 v141, v62
	scratch_load_dword v62, off, off        ; 4-byte Folded Reload
	s_waitcnt vmcnt(0)
	v_cmp_lt_u32_e32 vcc, 13, v62
	s_and_saveexec_b64 s[2:3], vcc
	s_cbranch_execz .LBB63_71
; %bb.70:
	ds_read2_b64 v[0:3], v128 offset0:7 offset1:8
	ds_read2_b64 v[4:7], v128 offset0:9 offset1:10
	scratch_load_dwordx2 v[8:9], off, off offset:784 ; 8-byte Folded Reload
	s_waitcnt vmcnt(0) lgkmcnt(2)
	v_mul_f32_e32 v12, v8, v141
	ds_read2_b64 v[8:11], v128 offset0:11 offset1:12
	s_waitcnt lgkmcnt(2)
	v_pk_fma_f32 v[142:143], v[12:13], v[0:1], v[14:15] op_sel_hi:[0,1,1] neg_lo:[1,0,0] neg_hi:[1,0,0]
	v_pk_fma_f32 v[144:145], v[12:13], v[2:3], v[16:17] op_sel_hi:[0,1,1] neg_lo:[1,0,0] neg_hi:[1,0,0]
	s_waitcnt lgkmcnt(1)
	v_pk_fma_f32 v[146:147], v[12:13], v[4:5], v[18:19] op_sel_hi:[0,1,1] neg_lo:[1,0,0] neg_hi:[1,0,0]
	ds_read2_b64 v[0:3], v128 offset0:13 offset1:14
	ds_read_b64 v[4:5], v128 offset:120
	scratch_load_dwordx4 v[224:227], off, off offset:1712 ; 16-byte Folded Reload
	scratch_load_dwordx4 v[228:231], off, off offset:1728 ; 16-byte Folded Reload
	;; [unrolled: 1-line block ×8, first 2 shown]
	s_waitcnt vmcnt(4)
	v_mov_b32_e32 v237, v12
	v_pk_fma_f32 v[148:149], v[12:13], v[6:7], v[20:21] op_sel_hi:[0,1,1] neg_lo:[1,0,0] neg_hi:[1,0,0]
	s_waitcnt lgkmcnt(2)
	v_pk_fma_f32 v[150:151], v[12:13], v[8:9], v[22:23] op_sel_hi:[0,1,1] neg_lo:[1,0,0] neg_hi:[1,0,0]
	v_pk_fma_f32 v[152:153], v[12:13], v[10:11], v[24:25] op_sel_hi:[0,1,1] neg_lo:[1,0,0] neg_hi:[1,0,0]
	s_waitcnt lgkmcnt(1)
	v_pk_fma_f32 v[154:155], v[12:13], v[0:1], v[26:27] op_sel_hi:[0,1,1] neg_lo:[1,0,0] neg_hi:[1,0,0]
	;; [unrolled: 3-line block ×3, first 2 shown]
	v_mov_b32_e32 v132, v155
	v_mov_b32_e32 v133, v156
	;; [unrolled: 1-line block ×4, first 2 shown]
	s_waitcnt vmcnt(0)
	v_mov_b64_e32 v[160:161], v[224:225]
	v_mov_b64_e32 v[172:173], v[236:237]
	;; [unrolled: 1-line block ×16, first 2 shown]
	v_mov_b32_e32 v174, v142
	v_mov_b64_e32 v[16:17], v[176:177]
	v_mov_b64_e32 v[0:1], v[160:161]
	v_mov_b32_e32 v12, v172
	v_mov_b64_e32 v[18:19], v[178:179]
	v_mov_b64_e32 v[20:21], v[180:181]
	;; [unrolled: 1-line block ×12, first 2 shown]
	v_mov_b32_e32 v13, v173
	v_mov_b32_e32 v14, v174
	scratch_store_dwordx4 off, v[0:3], off offset:1448 ; 16-byte Folded Spill
	s_nop 0
	scratch_store_dwordx4 off, v[4:7], off offset:1464 ; 16-byte Folded Spill
	scratch_store_dwordx4 off, v[8:11], off offset:1480 ; 16-byte Folded Spill
	;; [unrolled: 1-line block ×7, first 2 shown]
	v_mov_b32_e32 v175, v143
	v_mov_b64_e32 v[0:1], v[160:161]
	v_mov_b64_e32 v[2:3], v[162:163]
	;; [unrolled: 1-line block ×8, first 2 shown]
	v_mov_b32_e32 v176, v144
	v_mov_b32_e32 v177, v145
	;; [unrolled: 1-line block ×14, first 2 shown]
	v_mov_b64_e32 v[206:207], v[174:175]
	v_mov_b32_e32 v223, v191
	v_mov_b64_e32 v[204:205], v[172:173]
	v_mov_b64_e32 v[202:203], v[170:171]
	;; [unrolled: 1-line block ×8, first 2 shown]
	scratch_store_dwordx4 off, v[0:3], off offset:1320 ; 16-byte Folded Spill
	s_nop 0
	scratch_store_dwordx4 off, v[4:7], off offset:1336 ; 16-byte Folded Spill
	scratch_store_dwordx4 off, v[8:11], off offset:1352 ; 16-byte Folded Spill
	;; [unrolled: 1-line block ×7, first 2 shown]
	v_mov_b64_e32 v[18:19], v[178:179]
	v_mov_b64_e32 v[20:21], v[180:181]
	v_mov_b64_e32 v[22:23], v[182:183]
	v_mov_b64_e32 v[24:25], v[184:185]
	v_mov_b64_e32 v[26:27], v[186:187]
	v_mov_b64_e32 v[28:29], v[188:189]
	v_mov_b64_e32 v[30:31], v[190:191]
	v_mov_b32_e32 v16, v144
	v_mov_b32_e32 v178, v146
	;; [unrolled: 1-line block ×3, first 2 shown]
	scratch_store_dwordx4 off, v[0:3], off offset:1192 ; 16-byte Folded Spill
	s_nop 0
	scratch_store_dwordx4 off, v[4:7], off offset:1208 ; 16-byte Folded Spill
	scratch_store_dwordx4 off, v[8:11], off offset:1224 ; 16-byte Folded Spill
	scratch_store_dwordx4 off, v[12:15], off offset:1240 ; 16-byte Folded Spill
	scratch_store_dwordx4 off, v[16:19], off offset:1256 ; 16-byte Folded Spill
	scratch_store_dwordx4 off, v[20:23], off offset:1272 ; 16-byte Folded Spill
	scratch_store_dwordx4 off, v[24:27], off offset:1288 ; 16-byte Folded Spill
	scratch_store_dwordx4 off, v[28:31], off offset:1304 ; 16-byte Folded Spill
	v_mov_b64_e32 v[20:21], v[180:181]
	v_mov_b32_e32 v16, v176
	v_mov_b64_e32 v[22:23], v[182:183]
	v_mov_b64_e32 v[24:25], v[184:185]
	v_mov_b64_e32 v[26:27], v[186:187]
	v_mov_b64_e32 v[28:29], v[188:189]
	v_mov_b64_e32 v[30:31], v[190:191]
	v_mov_b32_e32 v17, v177
	v_mov_b32_e32 v18, v178
	;; [unrolled: 1-line block ×3, first 2 shown]
	scratch_store_dwordx4 off, v[0:3], off offset:1064 ; 16-byte Folded Spill
	s_nop 0
	scratch_store_dwordx4 off, v[4:7], off offset:1080 ; 16-byte Folded Spill
	scratch_store_dwordx4 off, v[8:11], off offset:1096 ; 16-byte Folded Spill
	;; [unrolled: 1-line block ×7, first 2 shown]
	v_mov_b32_e32 v21, v181
	v_mov_b64_e32 v[16:17], v[176:177]
	v_mov_b32_e32 v22, v182
	v_mov_b32_e32 v23, v183
	;; [unrolled: 1-line block ×10, first 2 shown]
	v_mov_b64_e32 v[18:19], v[178:179]
	v_mov_b32_e32 v181, v149
	scratch_store_dwordx4 off, v[0:3], off offset:920 ; 16-byte Folded Spill
	s_nop 0
	scratch_store_dwordx4 off, v[4:7], off offset:936 ; 16-byte Folded Spill
	scratch_store_dwordx4 off, v[8:11], off offset:952 ; 16-byte Folded Spill
	;; [unrolled: 1-line block ×7, first 2 shown]
	v_mov_b64_e32 v[22:23], v[182:183]
	v_mov_b32_e32 v16, v176
	v_mov_b64_e32 v[24:25], v[184:185]
	v_mov_b64_e32 v[26:27], v[186:187]
	;; [unrolled: 1-line block ×4, first 2 shown]
	v_mov_b32_e32 v17, v177
	v_mov_b32_e32 v18, v178
	;; [unrolled: 1-line block ×5, first 2 shown]
	scratch_store_dwordx4 off, v[0:3], off offset:792 ; 16-byte Folded Spill
	s_nop 0
	scratch_store_dwordx4 off, v[4:7], off offset:808 ; 16-byte Folded Spill
	scratch_store_dwordx4 off, v[8:11], off offset:824 ; 16-byte Folded Spill
	;; [unrolled: 1-line block ×7, first 2 shown]
	v_mov_b32_e32 v23, v183
	v_mov_b64_e32 v[16:17], v[176:177]
	v_mov_b32_e32 v24, v184
	v_mov_b32_e32 v25, v185
	v_mov_b32_e32 v26, v186
	v_mov_b32_e32 v27, v187
	v_mov_b32_e32 v28, v188
	v_mov_b32_e32 v29, v189
	v_mov_b32_e32 v30, v190
	v_mov_b32_e32 v31, v191
	v_mov_b64_e32 v[18:19], v[178:179]
	v_mov_b64_e32 v[20:21], v[180:181]
	v_mov_b32_e32 v183, v151
	scratch_store_dwordx4 off, v[0:3], off offset:656 ; 16-byte Folded Spill
	s_nop 0
	scratch_store_dwordx4 off, v[4:7], off offset:672 ; 16-byte Folded Spill
	scratch_store_dwordx4 off, v[8:11], off offset:688 ; 16-byte Folded Spill
	scratch_store_dwordx4 off, v[12:15], off offset:704 ; 16-byte Folded Spill
	scratch_store_dwordx4 off, v[16:19], off offset:720 ; 16-byte Folded Spill
	scratch_store_dwordx4 off, v[20:23], off offset:736 ; 16-byte Folded Spill
	scratch_store_dwordx4 off, v[24:27], off offset:752 ; 16-byte Folded Spill
	scratch_store_dwordx4 off, v[28:31], off offset:768 ; 16-byte Folded Spill
	s_nop 0
	v_mov_b64_e32 v[24:25], v[184:185]
	v_mov_b32_e32 v16, v176
	v_mov_b64_e32 v[26:27], v[186:187]
	v_mov_b64_e32 v[28:29], v[188:189]
	;; [unrolled: 1-line block ×3, first 2 shown]
	v_mov_b32_e32 v17, v177
	v_mov_b32_e32 v18, v178
	v_mov_b32_e32 v19, v179
	v_mov_b32_e32 v20, v180
	v_mov_b32_e32 v21, v181
	v_mov_b32_e32 v22, v182
	v_mov_b32_e32 v184, v152
	scratch_store_dwordx4 off, v[0:3], off offset:528 ; 16-byte Folded Spill
	s_nop 0
	scratch_store_dwordx4 off, v[4:7], off offset:544 ; 16-byte Folded Spill
	scratch_store_dwordx4 off, v[8:11], off offset:560 ; 16-byte Folded Spill
	;; [unrolled: 1-line block ×7, first 2 shown]
	v_mov_b64_e32 v[16:17], v[176:177]
	v_mov_b32_e32 v25, v185
	v_mov_b64_e32 v[18:19], v[178:179]
	v_mov_b64_e32 v[20:21], v[180:181]
	;; [unrolled: 1-line block ×3, first 2 shown]
	v_mov_b32_e32 v26, v186
	v_mov_b32_e32 v27, v187
	;; [unrolled: 1-line block ×7, first 2 shown]
	v_mov_b64_e32 v[96:97], v[160:161]
	v_mov_b64_e32 v[112:113], v[176:177]
	;; [unrolled: 1-line block ×16, first 2 shown]
	v_mov_b32_e32 v122, v154
	v_mov_b32_e32 v123, v155
	v_mov_b64_e32 v[32:33], v[96:97]
	v_mov_b64_e32 v[60:61], v[124:125]
	v_mov_b64_e32 v[34:35], v[98:99]
	v_mov_b64_e32 v[36:37], v[100:101]
	v_mov_b64_e32 v[38:39], v[102:103]
	scratch_store_dwordx4 off, v[0:3], off offset:400 ; 16-byte Folded Spill
	s_nop 0
	scratch_store_dwordx4 off, v[4:7], off offset:416 ; 16-byte Folded Spill
	scratch_store_dwordx4 off, v[8:11], off offset:432 ; 16-byte Folded Spill
	;; [unrolled: 1-line block ×7, first 2 shown]
	v_mov_b32_e32 v16, v176
	v_mov_b64_e32 v[26:27], v[186:187]
	v_mov_b32_e32 v17, v177
	v_mov_b32_e32 v18, v178
	;; [unrolled: 1-line block ×8, first 2 shown]
	v_mov_b64_e32 v[28:29], v[188:189]
	v_mov_b64_e32 v[30:31], v[190:191]
	;; [unrolled: 1-line block ×13, first 2 shown]
	v_mov_b32_e32 v60, v156
	v_mov_b32_e32 v61, v157
	v_mov_b64_e32 v[174:175], v[46:47]
	v_mov_b64_e32 v[172:173], v[44:45]
	;; [unrolled: 1-line block ×8, first 2 shown]
	scratch_store_dwordx4 off, v[0:3], off offset:272 ; 16-byte Folded Spill
	s_nop 0
	scratch_store_dwordx4 off, v[4:7], off offset:288 ; 16-byte Folded Spill
	scratch_store_dwordx4 off, v[8:11], off offset:304 ; 16-byte Folded Spill
	;; [unrolled: 1-line block ×7, first 2 shown]
	v_mov_b64_e32 v[16:17], v[176:177]
	v_mov_b32_e32 v27, v187
	v_mov_b64_e32 v[18:19], v[178:179]
	v_mov_b64_e32 v[20:21], v[180:181]
	;; [unrolled: 1-line block ×4, first 2 shown]
	v_mov_b32_e32 v28, v188
	v_mov_b32_e32 v29, v189
	;; [unrolled: 1-line block ×4, first 2 shown]
	v_mov_b64_e32 v[190:191], v[62:63]
	v_mov_b64_e32 v[186:187], v[58:59]
	;; [unrolled: 1-line block ×7, first 2 shown]
	v_mov_b32_e32 v188, v156
	scratch_store_dwordx4 off, v[0:3], off offset:144 ; 16-byte Folded Spill
	s_nop 0
	scratch_store_dwordx4 off, v[4:7], off offset:160 ; 16-byte Folded Spill
	scratch_store_dwordx4 off, v[8:11], off offset:176 ; 16-byte Folded Spill
	;; [unrolled: 1-line block ×7, first 2 shown]
	v_mov_b64_e32 v[0:1], v[96:97]
	v_mov_b32_e32 v16, v112
	v_mov_b64_e32 v[28:29], v[124:125]
	v_mov_b64_e32 v[2:3], v[98:99]
	;; [unrolled: 1-line block ×8, first 2 shown]
	v_mov_b32_e32 v17, v113
	v_mov_b32_e32 v18, v114
	;; [unrolled: 1-line block ×10, first 2 shown]
	v_mov_b64_e32 v[30:31], v[126:127]
	scratch_store_dwordx4 off, v[0:3], off offset:8 ; 16-byte Folded Spill
	s_nop 0
	scratch_store_dwordx4 off, v[4:7], off offset:24 ; 16-byte Folded Spill
	scratch_store_dwordx4 off, v[8:11], off offset:40 ; 16-byte Folded Spill
	;; [unrolled: 1-line block ×7, first 2 shown]
	v_mov_b64_e32 v[0:1], v[32:33]
	v_mov_b64_e32 v[2:3], v[34:35]
	v_mov_b64_e32 v[4:5], v[36:37]
	v_mov_b64_e32 v[6:7], v[38:39]
	v_mov_b64_e32 v[8:9], v[40:41]
	v_mov_b64_e32 v[10:11], v[42:43]
	v_mov_b64_e32 v[12:13], v[44:45]
	v_mov_b64_e32 v[14:15], v[46:47]
	v_mov_b64_e32 v[16:17], v[48:49]
	v_mov_b64_e32 v[18:19], v[50:51]
	v_mov_b64_e32 v[20:21], v[52:53]
	v_mov_b64_e32 v[22:23], v[54:55]
	v_mov_b64_e32 v[24:25], v[56:57]
	v_mov_b64_e32 v[26:27], v[58:59]
	v_mov_b64_e32 v[28:29], v[60:61]
	v_mov_b64_e32 v[30:31], v[62:63]
	v_mov_b32_e32 v63, v142
	scratch_store_dwordx4 off, v[224:227], off offset:1584 ; 16-byte Folded Spill
	s_nop 0
	scratch_store_dwordx4 off, v[228:231], off offset:1600 ; 16-byte Folded Spill
	scratch_store_dwordx4 off, v[232:235], off offset:1616 ; 16-byte Folded Spill
	;; [unrolled: 1-line block ×7, first 2 shown]
	scratch_store_dwordx2 off, v[62:63], off offset:784 ; 8-byte Folded Spill
	v_mov_b32_e32 v62, v143
	v_mov_b32_e32 v63, v144
	;; [unrolled: 1-line block ×4, first 2 shown]
	scratch_store_dwordx2 off, v[62:63], off offset:1056 ; 8-byte Folded Spill
	v_mov_b32_e32 v62, v145
	v_mov_b32_e32 v63, v146
	;; [unrolled: 1-line block ×10, first 2 shown]
	scratch_store_dwordx2 off, v[62:63], off offset:136 ; 8-byte Folded Spill
.LBB63_71:
	s_or_b64 exec, exec, s[2:3]
	s_waitcnt lgkmcnt(0)
	s_barrier
	scratch_load_dword v62, off, off        ; 4-byte Folded Reload
	v_mov_b64_e32 v[152:153], v[146:147]
	v_mov_b64_e32 v[146:147], v[144:145]
	s_waitcnt vmcnt(0)
	v_cmp_eq_u32_e32 vcc, 14, v62
	s_and_saveexec_b64 s[2:3], vcc
	s_cbranch_execz .LBB63_74
; %bb.72:
	scratch_load_dword v62, off, off offset:4 ; 4-byte Folded Reload
	scratch_load_dwordx2 v[142:143], off, off offset:784 ; 8-byte Folded Reload
	s_waitcnt vmcnt(0)
	ds_write_b32 v62, v143
	ds_write2_b32 v128, v15, v16 offset0:15 offset1:16
	ds_write2_b32 v128, v17, v18 offset0:17 offset1:18
	;; [unrolled: 1-line block ×8, first 2 shown]
	ds_write_b32 v128, v159 offset:124
	ds_read_b32 v62, v62
	s_waitcnt lgkmcnt(0)
	v_cmp_neq_f32_e32 vcc, 0, v62
	s_and_b64 exec, exec, vcc
	s_cbranch_execz .LBB63_74
; %bb.73:
	v_div_scale_f32 v63, s[4:5], v62, v62, 1.0
	v_rcp_f32_e32 v93, v63
	v_div_scale_f32 v124, vcc, 1.0, v62, 1.0
	v_fma_f32 v142, -v63, v93, 1.0
	v_fmac_f32_e32 v93, v142, v93
	v_mul_f32_e32 v142, v124, v93
	v_fma_f32 v143, -v63, v142, v124
	v_fmac_f32_e32 v142, v143, v93
	v_fma_f32 v63, -v63, v142, v124
	v_div_fmas_f32 v63, v63, v93, v142
	v_div_fixup_f32 v62, v63, v62, 1.0
	scratch_load_dword v63, off, off offset:4 ; 4-byte Folded Reload
	s_waitcnt vmcnt(0)
	ds_write_b32 v63, v62
.LBB63_74:
	s_or_b64 exec, exec, s[2:3]
	s_waitcnt lgkmcnt(0)
	s_barrier
	scratch_load_dword v62, off, off offset:4 ; 4-byte Folded Reload
	s_waitcnt vmcnt(0)
	ds_read_b32 v142, v62
	scratch_load_dword v62, off, off        ; 4-byte Folded Reload
	s_waitcnt vmcnt(0)
	v_cmp_lt_u32_e32 vcc, 14, v62
	s_and_saveexec_b64 s[2:3], vcc
	s_cbranch_execz .LBB63_76
; %bb.75:
	scratch_load_dwordx2 v[0:1], off, off offset:784 ; 8-byte Folded Reload
	scratch_load_dwordx4 v[224:227], off, off offset:1584 ; 16-byte Folded Reload
	scratch_load_dwordx4 v[228:231], off, off offset:1600 ; 16-byte Folded Reload
	;; [unrolled: 1-line block ×8, first 2 shown]
	v_mov_b32_e32 v2, v15
	v_mov_b32_e32 v3, v16
	s_waitcnt vmcnt(4) lgkmcnt(0)
	v_mul_f32_e32 v238, v1, v142
	ds_read2_b32 v[0:1], v128 offset0:15 offset1:16
	ds_read2_b32 v[4:5], v128 offset0:17 offset1:18
	;; [unrolled: 1-line block ×4, first 2 shown]
	s_waitcnt lgkmcnt(3)
	v_pk_fma_f32 v[12:13], v[238:239], v[0:1], v[2:3] op_sel_hi:[0,1,1] neg_lo:[1,0,0] neg_hi:[1,0,0]
	v_mov_b32_e32 v0, v17
	v_mov_b32_e32 v1, v18
	s_waitcnt lgkmcnt(2)
	v_pk_fma_f32 v[10:11], v[238:239], v[4:5], v[0:1] op_sel_hi:[0,1,1] neg_lo:[1,0,0] neg_hi:[1,0,0]
	v_mov_b32_e32 v0, v19
	v_mov_b32_e32 v1, v20
	;; [unrolled: 4-line block ×3, first 2 shown]
	s_waitcnt lgkmcnt(0)
	v_pk_fma_f32 v[46:47], v[238:239], v[8:9], v[0:1] op_sel_hi:[0,1,1] neg_lo:[1,0,0] neg_hi:[1,0,0]
	ds_read2_b32 v[0:1], v128 offset0:23 offset1:24
	ds_read2_b32 v[4:5], v128 offset0:25 offset1:26
	;; [unrolled: 1-line block ×4, first 2 shown]
	v_mov_b32_e32 v2, v23
	v_mov_b32_e32 v3, v24
	s_waitcnt vmcnt(0)
	v_mov_b64_e32 v[160:161], v[224:225]
	s_waitcnt lgkmcnt(3)
	v_pk_fma_f32 v[150:151], v[238:239], v[0:1], v[2:3] op_sel_hi:[0,1,1] neg_lo:[1,0,0] neg_hi:[1,0,0]
	v_mov_b32_e32 v0, v25
	v_mov_b32_e32 v1, v26
	s_waitcnt lgkmcnt(2)
	v_pk_fma_f32 v[148:149], v[238:239], v[4:5], v[0:1] op_sel_hi:[0,1,1] neg_lo:[1,0,0] neg_hi:[1,0,0]
	v_mov_b32_e32 v0, v27
	v_mov_b32_e32 v1, v28
	v_mov_b64_e32 v[174:175], v[238:239]
	v_mov_b64_e32 v[176:177], v[240:241]
	;; [unrolled: 1-line block ×3, first 2 shown]
	s_waitcnt lgkmcnt(1)
	v_pk_fma_f32 v[132:133], v[238:239], v[6:7], v[0:1] op_sel_hi:[0,1,1] neg_lo:[1,0,0] neg_hi:[1,0,0]
	v_mov_b32_e32 v0, v29
	v_mov_b64_e32 v[162:163], v[226:227]
	v_mov_b64_e32 v[164:165], v[228:229]
	;; [unrolled: 1-line block ×12, first 2 shown]
	v_mov_b32_e32 v175, v12
	v_mov_b64_e32 v[14:15], v[160:161]
	v_mov_b32_e32 v31, v177
	v_mov_b32_e32 v43, v189
	v_mov_b64_e32 v[16:17], v[162:163]
	v_mov_b64_e32 v[18:19], v[164:165]
	;; [unrolled: 1-line block ×7, first 2 shown]
	v_mov_b32_e32 v32, v178
	v_mov_b32_e32 v33, v179
	;; [unrolled: 1-line block ×13, first 2 shown]
	ds_read_b32 v2, v128 offset:124
	v_mov_b32_e32 v1, v30
	scratch_store_dwordx4 off, v[14:17], off offset:1320 ; 16-byte Folded Spill
	s_nop 0
	scratch_store_dwordx4 off, v[18:21], off offset:1336 ; 16-byte Folded Spill
	scratch_store_dwordx4 off, v[22:25], off offset:1352 ; 16-byte Folded Spill
	;; [unrolled: 1-line block ×7, first 2 shown]
	scratch_store_dwordx2 off, v[12:13], off offset:1056 ; 8-byte Folded Spill
	v_mov_b32_e32 v176, v13
	v_mov_b64_e32 v[12:13], v[160:161]
	v_mov_b64_e32 v[30:31], v[178:179]
	;; [unrolled: 1-line block ×15, first 2 shown]
	v_mov_b32_e32 v28, v176
	s_waitcnt lgkmcnt(1)
	v_pk_fma_f32 v[130:131], v[238:239], v[8:9], v[0:1] op_sel_hi:[0,1,1] neg_lo:[1,0,0] neg_hi:[1,0,0]
	scratch_store_dwordx4 off, v[12:15], off offset:1192 ; 16-byte Folded Spill
	s_nop 0
	scratch_store_dwordx4 off, v[16:19], off offset:1208 ; 16-byte Folded Spill
	scratch_store_dwordx4 off, v[20:23], off offset:1224 ; 16-byte Folded Spill
	;; [unrolled: 1-line block ×7, first 2 shown]
	s_waitcnt lgkmcnt(0)
	v_fma_f32 v159, -v238, v2, v159
	v_mov_b32_e32 v177, v10
	scratch_store_dwordx2 off, v[10:11], off offset:136 ; 8-byte Folded Spill
	v_mov_b32_e32 v178, v11
	v_mov_b64_e32 v[0:1], v[160:161]
	v_mov_b64_e32 v[20:21], v[180:181]
	v_mov_b32_e32 v16, v176
	v_mov_b64_e32 v[2:3], v[162:163]
	v_mov_b64_e32 v[4:5], v[164:165]
	;; [unrolled: 1-line block ×12, first 2 shown]
	v_mov_b32_e32 v17, v177
	v_mov_b32_e32 v18, v178
	scratch_store_dwordx4 off, v[0:3], off offset:1064 ; 16-byte Folded Spill
	s_nop 0
	scratch_store_dwordx4 off, v[4:7], off offset:1080 ; 16-byte Folded Spill
	scratch_store_dwordx4 off, v[8:11], off offset:1096 ; 16-byte Folded Spill
	;; [unrolled: 1-line block ×7, first 2 shown]
	v_mov_b32_e32 v222, v190
	v_mov_b32_e32 v221, v189
	;; [unrolled: 1-line block ×14, first 2 shown]
	v_mov_b64_e32 v[16:17], v[176:177]
	v_mov_b32_e32 v22, v182
	v_mov_b32_e32 v23, v183
	;; [unrolled: 1-line block ×10, first 2 shown]
	v_mov_b64_e32 v[18:19], v[178:179]
	scratch_store_dwordx4 off, v[0:3], off offset:920 ; 16-byte Folded Spill
	s_nop 0
	scratch_store_dwordx4 off, v[4:7], off offset:936 ; 16-byte Folded Spill
	scratch_store_dwordx4 off, v[8:11], off offset:952 ; 16-byte Folded Spill
	;; [unrolled: 1-line block ×7, first 2 shown]
	v_mov_b32_e32 v180, v49
	v_mov_b64_e32 v[22:23], v[182:183]
	v_mov_b32_e32 v16, v176
	v_mov_b64_e32 v[24:25], v[184:185]
	v_mov_b64_e32 v[26:27], v[186:187]
	;; [unrolled: 1-line block ×4, first 2 shown]
	v_mov_b32_e32 v17, v177
	v_mov_b32_e32 v18, v178
	;; [unrolled: 1-line block ×6, first 2 shown]
	v_mov_b64_e32 v[152:153], v[48:49]
	v_mov_b64_e32 v[146:147], v[46:47]
	;; [unrolled: 1-line block ×6, first 2 shown]
	scratch_store_dwordx4 off, v[0:3], off offset:792 ; 16-byte Folded Spill
	s_nop 0
	scratch_store_dwordx4 off, v[4:7], off offset:808 ; 16-byte Folded Spill
	scratch_store_dwordx4 off, v[8:11], off offset:824 ; 16-byte Folded Spill
	;; [unrolled: 1-line block ×7, first 2 shown]
	v_mov_b32_e32 v23, v183
	v_mov_b64_e32 v[16:17], v[176:177]
	v_mov_b32_e32 v24, v184
	v_mov_b32_e32 v25, v185
	;; [unrolled: 1-line block ×8, first 2 shown]
	v_mov_b64_e32 v[18:19], v[178:179]
	v_mov_b64_e32 v[20:21], v[180:181]
	v_mov_b32_e32 v183, v150
	v_mov_b64_e32 v[198:199], v[166:167]
	v_mov_b64_e32 v[196:197], v[164:165]
	;; [unrolled: 1-line block ×5, first 2 shown]
	v_mov_b32_e32 v223, v191
	scratch_store_dwordx4 off, v[0:3], off offset:656 ; 16-byte Folded Spill
	s_nop 0
	scratch_store_dwordx4 off, v[4:7], off offset:672 ; 16-byte Folded Spill
	scratch_store_dwordx4 off, v[8:11], off offset:688 ; 16-byte Folded Spill
	scratch_store_dwordx4 off, v[12:15], off offset:704 ; 16-byte Folded Spill
	scratch_store_dwordx4 off, v[16:19], off offset:720 ; 16-byte Folded Spill
	scratch_store_dwordx4 off, v[20:23], off offset:736 ; 16-byte Folded Spill
	scratch_store_dwordx4 off, v[24:27], off offset:752 ; 16-byte Folded Spill
	scratch_store_dwordx4 off, v[28:31], off offset:768 ; 16-byte Folded Spill
	s_nop 0
	v_mov_b64_e32 v[24:25], v[184:185]
	v_mov_b32_e32 v16, v176
	v_mov_b64_e32 v[26:27], v[186:187]
	v_mov_b64_e32 v[28:29], v[188:189]
	;; [unrolled: 1-line block ×3, first 2 shown]
	v_mov_b32_e32 v17, v177
	v_mov_b32_e32 v18, v178
	;; [unrolled: 1-line block ×7, first 2 shown]
	scratch_store_dwordx4 off, v[0:3], off offset:528 ; 16-byte Folded Spill
	s_nop 0
	scratch_store_dwordx4 off, v[4:7], off offset:544 ; 16-byte Folded Spill
	scratch_store_dwordx4 off, v[8:11], off offset:560 ; 16-byte Folded Spill
	;; [unrolled: 1-line block ×7, first 2 shown]
	v_mov_b64_e32 v[16:17], v[176:177]
	v_mov_b32_e32 v25, v185
	v_mov_b64_e32 v[18:19], v[178:179]
	v_mov_b64_e32 v[20:21], v[180:181]
	;; [unrolled: 1-line block ×3, first 2 shown]
	v_mov_b32_e32 v26, v186
	v_mov_b32_e32 v27, v187
	;; [unrolled: 1-line block ×7, first 2 shown]
	v_mov_b64_e32 v[96:97], v[160:161]
	v_mov_b64_e32 v[112:113], v[176:177]
	;; [unrolled: 1-line block ×7, first 2 shown]
	scratch_store_dwordx4 off, v[0:3], off offset:400 ; 16-byte Folded Spill
	s_nop 0
	scratch_store_dwordx4 off, v[4:7], off offset:416 ; 16-byte Folded Spill
	scratch_store_dwordx4 off, v[8:11], off offset:432 ; 16-byte Folded Spill
	;; [unrolled: 1-line block ×7, first 2 shown]
	v_mov_b32_e32 v16, v176
	v_mov_b64_e32 v[26:27], v[186:187]
	v_mov_b32_e32 v17, v177
	v_mov_b32_e32 v18, v178
	;; [unrolled: 1-line block ×8, first 2 shown]
	v_mov_b64_e32 v[28:29], v[188:189]
	v_mov_b64_e32 v[30:31], v[190:191]
	v_mov_b64_e32 v[104:105], v[168:169]
	v_mov_b64_e32 v[106:107], v[170:171]
	v_mov_b64_e32 v[108:109], v[172:173]
	v_mov_b64_e32 v[110:111], v[174:175]
	v_mov_b64_e32 v[114:115], v[178:179]
	v_mov_b64_e32 v[116:117], v[180:181]
	v_mov_b64_e32 v[118:119], v[182:183]
	scratch_store_dwordx4 off, v[0:3], off offset:272 ; 16-byte Folded Spill
	s_nop 0
	scratch_store_dwordx4 off, v[4:7], off offset:288 ; 16-byte Folded Spill
	scratch_store_dwordx4 off, v[8:11], off offset:304 ; 16-byte Folded Spill
	;; [unrolled: 1-line block ×7, first 2 shown]
	v_mov_b64_e32 v[16:17], v[176:177]
	v_mov_b32_e32 v27, v187
	v_mov_b64_e32 v[18:19], v[178:179]
	v_mov_b64_e32 v[20:21], v[180:181]
	;; [unrolled: 1-line block ×4, first 2 shown]
	v_mov_b32_e32 v28, v188
	v_mov_b32_e32 v29, v189
	;; [unrolled: 1-line block ×4, first 2 shown]
	v_mov_b64_e32 v[120:121], v[184:185]
	v_mov_b64_e32 v[126:127], v[190:191]
	v_mov_b32_e32 v122, v149
	v_mov_b32_e32 v123, v132
	v_mov_b64_e32 v[32:33], v[96:97]
	v_mov_b64_e32 v[60:61], v[124:125]
	;; [unrolled: 1-line block ×5, first 2 shown]
	scratch_store_dwordx4 off, v[0:3], off offset:144 ; 16-byte Folded Spill
	s_nop 0
	scratch_store_dwordx4 off, v[4:7], off offset:160 ; 16-byte Folded Spill
	scratch_store_dwordx4 off, v[8:11], off offset:176 ; 16-byte Folded Spill
	;; [unrolled: 1-line block ×7, first 2 shown]
	v_mov_b64_e32 v[0:1], v[96:97]
	v_mov_b32_e32 v16, v112
	v_mov_b64_e32 v[28:29], v[124:125]
	v_mov_b64_e32 v[2:3], v[98:99]
	;; [unrolled: 1-line block ×8, first 2 shown]
	v_mov_b32_e32 v17, v113
	v_mov_b32_e32 v18, v114
	;; [unrolled: 1-line block ×10, first 2 shown]
	v_mov_b64_e32 v[30:31], v[126:127]
	scratch_store_dwordx4 off, v[0:3], off offset:8 ; 16-byte Folded Spill
	s_nop 0
	scratch_store_dwordx4 off, v[4:7], off offset:24 ; 16-byte Folded Spill
	scratch_store_dwordx4 off, v[8:11], off offset:40 ; 16-byte Folded Spill
	;; [unrolled: 1-line block ×7, first 2 shown]
	v_mov_b64_e32 v[40:41], v[104:105]
	v_mov_b64_e32 v[42:43], v[106:107]
	;; [unrolled: 1-line block ×11, first 2 shown]
	v_mov_b32_e32 v60, v133
	v_mov_b32_e32 v61, v130
	v_mov_b64_e32 v[0:1], v[32:33]
	v_mov_b64_e32 v[174:175], v[46:47]
	v_mov_b64_e32 v[186:187], v[58:59]
	v_mov_b64_e32 v[30:31], v[62:63]
	v_mov_b64_e32 v[172:173], v[44:45]
	v_mov_b64_e32 v[170:171], v[42:43]
	v_mov_b64_e32 v[168:169], v[40:41]
	v_mov_b64_e32 v[166:167], v[38:39]
	v_mov_b64_e32 v[164:165], v[36:37]
	v_mov_b64_e32 v[162:163], v[34:35]
	v_mov_b64_e32 v[160:161], v[32:33]
	v_mov_b64_e32 v[184:185], v[56:57]
	v_mov_b64_e32 v[182:183], v[54:55]
	v_mov_b64_e32 v[180:181], v[52:53]
	v_mov_b64_e32 v[178:179], v[50:51]
	v_mov_b64_e32 v[176:177], v[48:49]
	v_mov_b64_e32 v[190:191], v[62:63]
	v_mov_b32_e32 v188, v133
	v_mov_b64_e32 v[2:3], v[34:35]
	v_mov_b64_e32 v[4:5], v[36:37]
	;; [unrolled: 1-line block ×14, first 2 shown]
	v_mov_b32_e32 v30, v131
	v_mov_b32_e32 v31, v159
	scratch_store_dwordx4 off, v[224:227], off offset:1448 ; 16-byte Folded Spill
	s_nop 0
	scratch_store_dwordx4 off, v[228:231], off offset:1464 ; 16-byte Folded Spill
	scratch_store_dwordx4 off, v[232:235], off offset:1480 ; 16-byte Folded Spill
	;; [unrolled: 1-line block ×7, first 2 shown]
.LBB63_76:
	s_or_b64 exec, exec, s[2:3]
	s_waitcnt lgkmcnt(0)
	s_barrier
	scratch_load_dword v62, off, off        ; 4-byte Folded Reload
	s_waitcnt vmcnt(0)
	v_cmp_eq_u32_e32 vcc, 15, v62
	s_and_saveexec_b64 s[2:3], vcc
	s_cbranch_execz .LBB63_79
; %bb.77:
	scratch_load_dword v62, off, off offset:4 ; 4-byte Folded Reload
	scratch_load_dwordx2 v[144:145], off, off offset:1056 ; 8-byte Folded Reload
	s_waitcnt vmcnt(0)
	ds_write_b32 v62, v144
	ds_write2_b64 v128, v[16:17], v[18:19] offset0:8 offset1:9
	ds_write2_b64 v128, v[20:21], v[22:23] offset0:10 offset1:11
	;; [unrolled: 1-line block ×4, first 2 shown]
	ds_read_b32 v62, v62
	s_waitcnt lgkmcnt(0)
	v_cmp_neq_f32_e32 vcc, 0, v62
	s_and_b64 exec, exec, vcc
	s_cbranch_execz .LBB63_79
; %bb.78:
	v_div_scale_f32 v63, s[4:5], v62, v62, 1.0
	v_rcp_f32_e32 v93, v63
	v_div_scale_f32 v124, vcc, 1.0, v62, 1.0
	v_fma_f32 v143, -v63, v93, 1.0
	v_fmac_f32_e32 v93, v143, v93
	v_mul_f32_e32 v143, v124, v93
	v_fma_f32 v144, -v63, v143, v124
	v_fmac_f32_e32 v143, v144, v93
	v_fma_f32 v63, -v63, v143, v124
	v_div_fmas_f32 v63, v63, v93, v143
	v_div_fixup_f32 v62, v63, v62, 1.0
	scratch_load_dword v63, off, off offset:4 ; 4-byte Folded Reload
	s_waitcnt vmcnt(0)
	ds_write_b32 v63, v62
.LBB63_79:
	s_or_b64 exec, exec, s[2:3]
	s_waitcnt lgkmcnt(0)
	s_barrier
	scratch_load_dword v62, off, off offset:4 ; 4-byte Folded Reload
	s_waitcnt vmcnt(0)
	ds_read_b32 v143, v62
	scratch_load_dword v62, off, off        ; 4-byte Folded Reload
	s_waitcnt vmcnt(0)
	v_cmp_lt_u32_e32 vcc, 15, v62
	s_mov_b64 s[2:3], exec
	s_and_b64 s[4:5], s[2:3], vcc
	v_mov_b64_e32 v[62:63], v[152:153]
	s_mov_b64 exec, s[4:5]
	s_cbranch_execz .LBB63_81
; %bb.80:
	scratch_load_dwordx2 v[4:5], off, off offset:1056 ; 8-byte Folded Reload
	ds_read2_b64 v[0:3], v128 offset0:8 offset1:9
	s_waitcnt vmcnt(0) lgkmcnt(1)
	v_mul_f32_e32 v12, v4, v143
	ds_read2_b64 v[4:7], v128 offset0:10 offset1:11
	ds_read2_b64 v[8:11], v128 offset0:12 offset1:13
	s_waitcnt lgkmcnt(2)
	v_pk_fma_f32 v[144:145], v[12:13], v[0:1], v[16:17] op_sel_hi:[0,1,1] neg_lo:[1,0,0] neg_hi:[1,0,0]
	v_pk_fma_f32 v[146:147], v[12:13], v[2:3], v[18:19] op_sel_hi:[0,1,1] neg_lo:[1,0,0] neg_hi:[1,0,0]
	ds_read2_b64 v[0:3], v128 offset0:14 offset1:15
	scratch_load_dwordx4 v[224:227], off, off offset:1448 ; 16-byte Folded Reload
	scratch_load_dwordx4 v[228:231], off, off offset:1464 ; 16-byte Folded Reload
	;; [unrolled: 1-line block ×8, first 2 shown]
	s_waitcnt vmcnt(4)
	v_mov_b32_e32 v239, v12
	s_waitcnt lgkmcnt(2)
	v_pk_fma_f32 v[148:149], v[12:13], v[4:5], v[20:21] op_sel_hi:[0,1,1] neg_lo:[1,0,0] neg_hi:[1,0,0]
	v_pk_fma_f32 v[150:151], v[12:13], v[6:7], v[22:23] op_sel_hi:[0,1,1] neg_lo:[1,0,0] neg_hi:[1,0,0]
	s_waitcnt lgkmcnt(1)
	v_pk_fma_f32 v[152:153], v[12:13], v[8:9], v[24:25] op_sel_hi:[0,1,1] neg_lo:[1,0,0] neg_hi:[1,0,0]
	v_pk_fma_f32 v[154:155], v[12:13], v[10:11], v[26:27] op_sel_hi:[0,1,1] neg_lo:[1,0,0] neg_hi:[1,0,0]
	;; [unrolled: 3-line block ×3, first 2 shown]
	v_mov_b32_e32 v16, v144
	v_mov_b32_e32 v132, v155
	v_mov_b32_e32 v133, v156
	v_mov_b32_e32 v130, v157
	v_mov_b32_e32 v131, v158
	s_waitcnt vmcnt(0)
	v_mov_b64_e32 v[160:161], v[224:225]
	v_mov_b64_e32 v[178:179], v[242:243]
	;; [unrolled: 1-line block ×30, first 2 shown]
	scratch_store_dwordx4 off, v[0:3], off offset:1192 ; 16-byte Folded Spill
	s_nop 0
	scratch_store_dwordx4 off, v[4:7], off offset:1208 ; 16-byte Folded Spill
	scratch_store_dwordx4 off, v[8:11], off offset:1224 ; 16-byte Folded Spill
	;; [unrolled: 1-line block ×7, first 2 shown]
	v_mov_b64_e32 v[176:177], v[240:241]
	v_mov_b32_e32 v176, v144
	v_mov_b32_e32 v177, v145
	;; [unrolled: 1-line block ×3, first 2 shown]
	v_mov_b64_e32 v[20:21], v[180:181]
	v_mov_b32_e32 v16, v176
	v_mov_b64_e32 v[22:23], v[182:183]
	v_mov_b64_e32 v[24:25], v[184:185]
	;; [unrolled: 1-line block ×5, first 2 shown]
	v_mov_b32_e32 v17, v177
	v_mov_b32_e32 v18, v178
	;; [unrolled: 1-line block ×16, first 2 shown]
	v_mov_b64_e32 v[206:207], v[174:175]
	v_mov_b32_e32 v223, v191
	v_mov_b64_e32 v[204:205], v[172:173]
	v_mov_b64_e32 v[202:203], v[170:171]
	;; [unrolled: 1-line block ×8, first 2 shown]
	scratch_store_dwordx4 off, v[0:3], off offset:1064 ; 16-byte Folded Spill
	s_nop 0
	scratch_store_dwordx4 off, v[4:7], off offset:1080 ; 16-byte Folded Spill
	scratch_store_dwordx4 off, v[8:11], off offset:1096 ; 16-byte Folded Spill
	;; [unrolled: 1-line block ×7, first 2 shown]
	v_mov_b32_e32 v21, v181
	v_mov_b64_e32 v[16:17], v[176:177]
	v_mov_b32_e32 v22, v182
	v_mov_b32_e32 v23, v183
	;; [unrolled: 1-line block ×10, first 2 shown]
	v_mov_b64_e32 v[18:19], v[178:179]
	v_mov_b32_e32 v181, v149
	scratch_store_dwordx4 off, v[0:3], off offset:920 ; 16-byte Folded Spill
	s_nop 0
	scratch_store_dwordx4 off, v[4:7], off offset:936 ; 16-byte Folded Spill
	scratch_store_dwordx4 off, v[8:11], off offset:952 ; 16-byte Folded Spill
	;; [unrolled: 1-line block ×7, first 2 shown]
	v_mov_b64_e32 v[22:23], v[182:183]
	v_mov_b32_e32 v16, v176
	v_mov_b64_e32 v[24:25], v[184:185]
	v_mov_b64_e32 v[26:27], v[186:187]
	;; [unrolled: 1-line block ×4, first 2 shown]
	v_mov_b32_e32 v17, v177
	v_mov_b32_e32 v18, v178
	;; [unrolled: 1-line block ×5, first 2 shown]
	scratch_store_dwordx4 off, v[0:3], off offset:792 ; 16-byte Folded Spill
	s_nop 0
	scratch_store_dwordx4 off, v[4:7], off offset:808 ; 16-byte Folded Spill
	scratch_store_dwordx4 off, v[8:11], off offset:824 ; 16-byte Folded Spill
	;; [unrolled: 1-line block ×7, first 2 shown]
	v_mov_b32_e32 v23, v183
	v_mov_b64_e32 v[16:17], v[176:177]
	v_mov_b32_e32 v24, v184
	v_mov_b32_e32 v25, v185
	v_mov_b32_e32 v26, v186
	v_mov_b32_e32 v27, v187
	v_mov_b32_e32 v28, v188
	v_mov_b32_e32 v29, v189
	v_mov_b32_e32 v30, v190
	v_mov_b32_e32 v31, v191
	v_mov_b64_e32 v[18:19], v[178:179]
	v_mov_b64_e32 v[20:21], v[180:181]
	v_mov_b32_e32 v183, v151
	scratch_store_dwordx4 off, v[0:3], off offset:656 ; 16-byte Folded Spill
	s_nop 0
	scratch_store_dwordx4 off, v[4:7], off offset:672 ; 16-byte Folded Spill
	scratch_store_dwordx4 off, v[8:11], off offset:688 ; 16-byte Folded Spill
	;; [unrolled: 1-line block ×7, first 2 shown]
	s_nop 0
	v_mov_b64_e32 v[24:25], v[184:185]
	v_mov_b32_e32 v16, v176
	v_mov_b64_e32 v[26:27], v[186:187]
	v_mov_b64_e32 v[28:29], v[188:189]
	;; [unrolled: 1-line block ×3, first 2 shown]
	v_mov_b32_e32 v17, v177
	v_mov_b32_e32 v18, v178
	;; [unrolled: 1-line block ×7, first 2 shown]
	scratch_store_dwordx4 off, v[0:3], off offset:528 ; 16-byte Folded Spill
	s_nop 0
	scratch_store_dwordx4 off, v[4:7], off offset:544 ; 16-byte Folded Spill
	scratch_store_dwordx4 off, v[8:11], off offset:560 ; 16-byte Folded Spill
	;; [unrolled: 1-line block ×7, first 2 shown]
	v_mov_b64_e32 v[16:17], v[176:177]
	v_mov_b32_e32 v25, v185
	v_mov_b64_e32 v[18:19], v[178:179]
	v_mov_b64_e32 v[20:21], v[180:181]
	;; [unrolled: 1-line block ×3, first 2 shown]
	v_mov_b32_e32 v26, v186
	v_mov_b32_e32 v27, v187
	;; [unrolled: 1-line block ×7, first 2 shown]
	v_mov_b64_e32 v[96:97], v[160:161]
	v_mov_b64_e32 v[112:113], v[176:177]
	;; [unrolled: 1-line block ×16, first 2 shown]
	v_mov_b32_e32 v122, v154
	v_mov_b32_e32 v123, v155
	v_mov_b64_e32 v[32:33], v[96:97]
	v_mov_b64_e32 v[60:61], v[124:125]
	;; [unrolled: 1-line block ×12, first 2 shown]
	scratch_store_dwordx4 off, v[0:3], off offset:400 ; 16-byte Folded Spill
	s_nop 0
	scratch_store_dwordx4 off, v[4:7], off offset:416 ; 16-byte Folded Spill
	scratch_store_dwordx4 off, v[8:11], off offset:432 ; 16-byte Folded Spill
	;; [unrolled: 1-line block ×7, first 2 shown]
	v_mov_b32_e32 v16, v176
	v_mov_b64_e32 v[26:27], v[186:187]
	v_mov_b32_e32 v17, v177
	v_mov_b32_e32 v18, v178
	v_mov_b32_e32 v19, v179
	v_mov_b32_e32 v20, v180
	v_mov_b32_e32 v21, v181
	v_mov_b32_e32 v22, v182
	v_mov_b32_e32 v23, v183
	v_mov_b32_e32 v24, v184
	v_mov_b64_e32 v[28:29], v[188:189]
	v_mov_b64_e32 v[30:31], v[190:191]
	;; [unrolled: 1-line block ×6, first 2 shown]
	v_mov_b32_e32 v60, v156
	v_mov_b32_e32 v61, v157
	v_mov_b64_e32 v[174:175], v[46:47]
	v_mov_b64_e32 v[172:173], v[44:45]
	v_mov_b64_e32 v[170:171], v[42:43]
	v_mov_b64_e32 v[168:169], v[40:41]
	v_mov_b64_e32 v[166:167], v[38:39]
	v_mov_b64_e32 v[164:165], v[36:37]
	v_mov_b64_e32 v[162:163], v[34:35]
	v_mov_b64_e32 v[160:161], v[32:33]
	scratch_store_dwordx4 off, v[0:3], off offset:272 ; 16-byte Folded Spill
	s_nop 0
	scratch_store_dwordx4 off, v[4:7], off offset:288 ; 16-byte Folded Spill
	scratch_store_dwordx4 off, v[8:11], off offset:304 ; 16-byte Folded Spill
	;; [unrolled: 1-line block ×7, first 2 shown]
	v_mov_b64_e32 v[16:17], v[176:177]
	v_mov_b32_e32 v27, v187
	v_mov_b64_e32 v[18:19], v[178:179]
	v_mov_b64_e32 v[20:21], v[180:181]
	;; [unrolled: 1-line block ×4, first 2 shown]
	v_mov_b32_e32 v28, v188
	v_mov_b32_e32 v29, v189
	;; [unrolled: 1-line block ×4, first 2 shown]
	v_mov_b64_e32 v[190:191], v[62:63]
	v_mov_b64_e32 v[186:187], v[58:59]
	;; [unrolled: 1-line block ×7, first 2 shown]
	v_mov_b32_e32 v188, v156
	scratch_store_dwordx4 off, v[0:3], off offset:144 ; 16-byte Folded Spill
	s_nop 0
	scratch_store_dwordx4 off, v[4:7], off offset:160 ; 16-byte Folded Spill
	scratch_store_dwordx4 off, v[8:11], off offset:176 ; 16-byte Folded Spill
	;; [unrolled: 1-line block ×7, first 2 shown]
	v_mov_b64_e32 v[0:1], v[96:97]
	v_mov_b32_e32 v16, v112
	v_mov_b64_e32 v[28:29], v[124:125]
	v_mov_b64_e32 v[2:3], v[98:99]
	v_mov_b64_e32 v[4:5], v[100:101]
	v_mov_b64_e32 v[6:7], v[102:103]
	v_mov_b64_e32 v[8:9], v[104:105]
	v_mov_b64_e32 v[10:11], v[106:107]
	v_mov_b64_e32 v[12:13], v[108:109]
	v_mov_b64_e32 v[14:15], v[110:111]
	v_mov_b32_e32 v17, v113
	v_mov_b32_e32 v18, v114
	;; [unrolled: 1-line block ×10, first 2 shown]
	v_mov_b64_e32 v[30:31], v[126:127]
	scratch_store_dwordx4 off, v[0:3], off offset:8 ; 16-byte Folded Spill
	s_nop 0
	scratch_store_dwordx4 off, v[4:7], off offset:24 ; 16-byte Folded Spill
	scratch_store_dwordx4 off, v[8:11], off offset:40 ; 16-byte Folded Spill
	;; [unrolled: 1-line block ×7, first 2 shown]
	v_mov_b64_e32 v[0:1], v[32:33]
	v_mov_b64_e32 v[2:3], v[34:35]
	;; [unrolled: 1-line block ×16, first 2 shown]
	v_mov_b32_e32 v63, v144
	scratch_store_dwordx4 off, v[224:227], off offset:1320 ; 16-byte Folded Spill
	s_nop 0
	scratch_store_dwordx4 off, v[228:231], off offset:1336 ; 16-byte Folded Spill
	scratch_store_dwordx4 off, v[232:235], off offset:1352 ; 16-byte Folded Spill
	;; [unrolled: 1-line block ×7, first 2 shown]
	scratch_store_dwordx2 off, v[62:63], off offset:1056 ; 8-byte Folded Spill
	v_mov_b32_e32 v62, v145
	v_mov_b32_e32 v63, v146
	;; [unrolled: 1-line block ×4, first 2 shown]
	scratch_store_dwordx2 off, v[62:63], off offset:136 ; 8-byte Folded Spill
	v_mov_b32_e32 v62, v147
	v_mov_b32_e32 v63, v148
	v_mov_b32_e32 v146, v149
	v_mov_b32_e32 v147, v150
	v_mov_b32_e32 v150, v151
	v_mov_b32_e32 v151, v152
	v_mov_b32_e32 v148, v153
	v_mov_b32_e32 v149, v154
.LBB63_81:
	s_or_b64 exec, exec, s[2:3]
	v_mov_b64_e32 v[154:155], v[62:63]
	s_waitcnt lgkmcnt(0)
	s_barrier
	scratch_load_dword v62, off, off        ; 4-byte Folded Reload
	v_mov_b64_e32 v[152:153], v[146:147]
	s_waitcnt vmcnt(0)
	v_cmp_eq_u32_e32 vcc, 16, v62
	s_and_saveexec_b64 s[2:3], vcc
	s_cbranch_execz .LBB63_84
; %bb.82:
	scratch_load_dword v62, off, off offset:4 ; 4-byte Folded Reload
	scratch_load_dwordx2 v[144:145], off, off offset:1056 ; 8-byte Folded Reload
	s_waitcnt vmcnt(0)
	ds_write_b32 v62, v145
	ds_write2_b32 v128, v17, v18 offset0:17 offset1:18
	ds_write2_b32 v128, v19, v20 offset0:19 offset1:20
	;; [unrolled: 1-line block ×7, first 2 shown]
	ds_write_b32 v128, v159 offset:124
	ds_read_b32 v62, v62
	s_waitcnt lgkmcnt(0)
	v_cmp_neq_f32_e32 vcc, 0, v62
	s_and_b64 exec, exec, vcc
	s_cbranch_execz .LBB63_84
; %bb.83:
	v_div_scale_f32 v63, s[4:5], v62, v62, 1.0
	v_rcp_f32_e32 v93, v63
	v_div_scale_f32 v124, vcc, 1.0, v62, 1.0
	v_fma_f32 v144, -v63, v93, 1.0
	v_fmac_f32_e32 v93, v144, v93
	v_mul_f32_e32 v144, v124, v93
	v_fma_f32 v145, -v63, v144, v124
	v_fmac_f32_e32 v144, v145, v93
	v_fma_f32 v63, -v63, v144, v124
	v_div_fmas_f32 v63, v63, v93, v144
	v_div_fixup_f32 v62, v63, v62, 1.0
	scratch_load_dword v63, off, off offset:4 ; 4-byte Folded Reload
	s_waitcnt vmcnt(0)
	ds_write_b32 v63, v62
.LBB63_84:
	s_or_b64 exec, exec, s[2:3]
	s_waitcnt lgkmcnt(0)
	s_barrier
	scratch_load_dword v62, off, off offset:4 ; 4-byte Folded Reload
	s_waitcnt vmcnt(0)
	ds_read_b32 v144, v62
	scratch_load_dword v62, off, off        ; 4-byte Folded Reload
	s_waitcnt vmcnt(0)
	v_cmp_lt_u32_e32 vcc, 16, v62
	s_and_saveexec_b64 s[2:3], vcc
	s_cbranch_execz .LBB63_86
; %bb.85:
	scratch_load_dwordx2 v[0:1], off, off offset:1056 ; 8-byte Folded Reload
	scratch_load_dwordx4 v[224:227], off, off offset:1320 ; 16-byte Folded Reload
	scratch_load_dwordx4 v[228:231], off, off offset:1336 ; 16-byte Folded Reload
	;; [unrolled: 1-line block ×8, first 2 shown]
	v_mov_b32_e32 v2, v17
	v_mov_b32_e32 v3, v18
	s_waitcnt vmcnt(3) lgkmcnt(0)
	v_mul_f32_e32 v240, v1, v144
	ds_read2_b32 v[0:1], v128 offset0:17 offset1:18
	ds_read2_b32 v[4:5], v128 offset0:19 offset1:20
	;; [unrolled: 1-line block ×4, first 2 shown]
	s_waitcnt lgkmcnt(3)
	v_pk_fma_f32 v[10:11], v[240:241], v[0:1], v[2:3] op_sel_hi:[0,1,1] neg_lo:[1,0,0] neg_hi:[1,0,0]
	v_mov_b32_e32 v0, v19
	v_mov_b32_e32 v1, v20
	s_waitcnt lgkmcnt(2)
	v_pk_fma_f32 v[38:39], v[240:241], v[4:5], v[0:1] op_sel_hi:[0,1,1] neg_lo:[1,0,0] neg_hi:[1,0,0]
	v_mov_b32_e32 v0, v21
	v_mov_b32_e32 v1, v22
	;; [unrolled: 4-line block ×3, first 2 shown]
	s_waitcnt lgkmcnt(0)
	v_pk_fma_f32 v[34:35], v[240:241], v[8:9], v[0:1] op_sel_hi:[0,1,1] neg_lo:[1,0,0] neg_hi:[1,0,0]
	ds_read2_b32 v[0:1], v128 offset0:25 offset1:26
	ds_read2_b32 v[4:5], v128 offset0:27 offset1:28
	;; [unrolled: 1-line block ×3, first 2 shown]
	ds_read_b32 v8, v128 offset:124
	v_mov_b32_e32 v2, v25
	v_mov_b32_e32 v3, v26
	s_waitcnt vmcnt(0)
	v_mov_b64_e32 v[160:161], v[224:225]
	s_waitcnt lgkmcnt(3)
	v_pk_fma_f32 v[32:33], v[240:241], v[0:1], v[2:3] op_sel_hi:[0,1,1] neg_lo:[1,0,0] neg_hi:[1,0,0]
	v_mov_b32_e32 v0, v27
	v_mov_b32_e32 v1, v28
	s_waitcnt lgkmcnt(2)
	v_pk_fma_f32 v[132:133], v[240:241], v[4:5], v[0:1] op_sel_hi:[0,1,1] neg_lo:[1,0,0] neg_hi:[1,0,0]
	v_mov_b32_e32 v0, v29
	v_mov_b32_e32 v1, v30
	v_mov_b64_e32 v[176:177], v[240:241]
	v_mov_b64_e32 v[178:179], v[242:243]
	;; [unrolled: 1-line block ×3, first 2 shown]
	s_waitcnt lgkmcnt(1)
	v_pk_fma_f32 v[130:131], v[240:241], v[6:7], v[0:1] op_sel_hi:[0,1,1] neg_lo:[1,0,0] neg_hi:[1,0,0]
	s_waitcnt lgkmcnt(0)
	v_fma_f32 v159, -v240, v8, v159
	v_mov_b64_e32 v[162:163], v[226:227]
	v_mov_b64_e32 v[164:165], v[228:229]
	v_mov_b64_e32 v[166:167], v[230:231]
	v_mov_b64_e32 v[168:169], v[232:233]
	v_mov_b64_e32 v[170:171], v[234:235]
	v_mov_b64_e32 v[172:173], v[236:237]
	v_mov_b64_e32 v[174:175], v[238:239]
	v_mov_b64_e32 v[182:183], v[246:247]
	v_mov_b64_e32 v[184:185], v[248:249]
	v_mov_b64_e32 v[186:187], v[250:251]
	v_mov_b64_e32 v[188:189], v[252:253]
	v_mov_b64_e32 v[190:191], v[254:255]
	v_mov_b32_e32 v177, v10
	scratch_store_dwordx2 off, v[10:11], off offset:136 ; 8-byte Folded Spill
	v_mov_b32_e32 v178, v11
	v_mov_b64_e32 v[0:1], v[160:161]
	v_mov_b64_e32 v[20:21], v[180:181]
	v_mov_b32_e32 v16, v176
	v_mov_b64_e32 v[2:3], v[162:163]
	v_mov_b64_e32 v[4:5], v[164:165]
	;; [unrolled: 1-line block ×12, first 2 shown]
	v_mov_b32_e32 v17, v177
	v_mov_b32_e32 v18, v178
	scratch_store_dwordx4 off, v[0:3], off offset:1064 ; 16-byte Folded Spill
	s_nop 0
	scratch_store_dwordx4 off, v[4:7], off offset:1080 ; 16-byte Folded Spill
	scratch_store_dwordx4 off, v[8:11], off offset:1096 ; 16-byte Folded Spill
	;; [unrolled: 1-line block ×7, first 2 shown]
	v_mov_b32_e32 v222, v190
	v_mov_b32_e32 v221, v189
	;; [unrolled: 1-line block ×13, first 2 shown]
	v_mov_b64_e32 v[16:17], v[176:177]
	v_mov_b64_e32 v[18:19], v[178:179]
	v_mov_b32_e32 v180, v39
	v_mov_b32_e32 v181, v36
	v_mov_b64_e32 v[154:155], v[38:39]
	v_mov_b64_e32 v[152:153], v[36:37]
	;; [unrolled: 1-line block ×8, first 2 shown]
	scratch_store_dwordx4 off, v[0:3], off offset:920 ; 16-byte Folded Spill
	s_nop 0
	scratch_store_dwordx4 off, v[4:7], off offset:936 ; 16-byte Folded Spill
	scratch_store_dwordx4 off, v[8:11], off offset:952 ; 16-byte Folded Spill
	scratch_store_dwordx4 off, v[12:15], off offset:968 ; 16-byte Folded Spill
	scratch_store_dwordx4 off, v[16:19], off offset:984 ; 16-byte Folded Spill
	scratch_store_dwordx4 off, v[20:23], off offset:1000 ; 16-byte Folded Spill
	scratch_store_dwordx4 off, v[24:27], off offset:1016 ; 16-byte Folded Spill
	scratch_store_dwordx4 off, v[28:31], off offset:1032 ; 16-byte Folded Spill
	v_mov_b64_e32 v[22:23], v[182:183]
	v_mov_b32_e32 v16, v176
	v_mov_b64_e32 v[24:25], v[184:185]
	v_mov_b64_e32 v[26:27], v[186:187]
	;; [unrolled: 1-line block ×4, first 2 shown]
	v_mov_b32_e32 v17, v177
	v_mov_b32_e32 v18, v178
	;; [unrolled: 1-line block ×5, first 2 shown]
	v_mov_b64_e32 v[198:199], v[166:167]
	v_mov_b64_e32 v[196:197], v[164:165]
	;; [unrolled: 1-line block ×5, first 2 shown]
	v_mov_b32_e32 v223, v191
	scratch_store_dwordx4 off, v[0:3], off offset:792 ; 16-byte Folded Spill
	s_nop 0
	scratch_store_dwordx4 off, v[4:7], off offset:808 ; 16-byte Folded Spill
	scratch_store_dwordx4 off, v[8:11], off offset:824 ; 16-byte Folded Spill
	;; [unrolled: 1-line block ×7, first 2 shown]
	v_mov_b32_e32 v23, v183
	v_mov_b64_e32 v[16:17], v[176:177]
	v_mov_b32_e32 v24, v184
	v_mov_b32_e32 v25, v185
	;; [unrolled: 1-line block ×8, first 2 shown]
	v_mov_b64_e32 v[18:19], v[178:179]
	v_mov_b64_e32 v[20:21], v[180:181]
	v_mov_b32_e32 v183, v34
	scratch_store_dwordx4 off, v[0:3], off offset:656 ; 16-byte Folded Spill
	s_nop 0
	scratch_store_dwordx4 off, v[4:7], off offset:672 ; 16-byte Folded Spill
	scratch_store_dwordx4 off, v[8:11], off offset:688 ; 16-byte Folded Spill
	;; [unrolled: 1-line block ×7, first 2 shown]
	s_nop 0
	v_mov_b64_e32 v[24:25], v[184:185]
	v_mov_b32_e32 v16, v176
	v_mov_b64_e32 v[26:27], v[186:187]
	v_mov_b64_e32 v[28:29], v[188:189]
	;; [unrolled: 1-line block ×3, first 2 shown]
	v_mov_b32_e32 v17, v177
	v_mov_b32_e32 v18, v178
	v_mov_b32_e32 v19, v179
	v_mov_b32_e32 v20, v180
	v_mov_b32_e32 v21, v181
	v_mov_b32_e32 v22, v182
	v_mov_b32_e32 v184, v35
	scratch_store_dwordx4 off, v[0:3], off offset:528 ; 16-byte Folded Spill
	s_nop 0
	scratch_store_dwordx4 off, v[4:7], off offset:544 ; 16-byte Folded Spill
	scratch_store_dwordx4 off, v[8:11], off offset:560 ; 16-byte Folded Spill
	;; [unrolled: 1-line block ×7, first 2 shown]
	v_mov_b64_e32 v[16:17], v[176:177]
	v_mov_b32_e32 v25, v185
	v_mov_b64_e32 v[18:19], v[178:179]
	v_mov_b64_e32 v[20:21], v[180:181]
	;; [unrolled: 1-line block ×3, first 2 shown]
	v_mov_b32_e32 v26, v186
	v_mov_b32_e32 v27, v187
	;; [unrolled: 1-line block ×7, first 2 shown]
	v_mov_b64_e32 v[96:97], v[160:161]
	v_mov_b64_e32 v[112:113], v[176:177]
	;; [unrolled: 1-line block ×13, first 2 shown]
	scratch_store_dwordx4 off, v[0:3], off offset:400 ; 16-byte Folded Spill
	s_nop 0
	scratch_store_dwordx4 off, v[4:7], off offset:416 ; 16-byte Folded Spill
	scratch_store_dwordx4 off, v[8:11], off offset:432 ; 16-byte Folded Spill
	;; [unrolled: 1-line block ×7, first 2 shown]
	v_mov_b32_e32 v16, v176
	v_mov_b64_e32 v[26:27], v[186:187]
	v_mov_b32_e32 v17, v177
	v_mov_b32_e32 v18, v178
	;; [unrolled: 1-line block ×8, first 2 shown]
	v_mov_b64_e32 v[28:29], v[188:189]
	v_mov_b64_e32 v[30:31], v[190:191]
	;; [unrolled: 1-line block ×5, first 2 shown]
	v_mov_b32_e32 v122, v33
	v_mov_b32_e32 v123, v132
	v_mov_b64_e32 v[32:33], v[96:97]
	v_mov_b64_e32 v[60:61], v[124:125]
	;; [unrolled: 1-line block ×8, first 2 shown]
	scratch_store_dwordx4 off, v[0:3], off offset:272 ; 16-byte Folded Spill
	s_nop 0
	scratch_store_dwordx4 off, v[4:7], off offset:288 ; 16-byte Folded Spill
	scratch_store_dwordx4 off, v[8:11], off offset:304 ; 16-byte Folded Spill
	;; [unrolled: 1-line block ×7, first 2 shown]
	v_mov_b64_e32 v[16:17], v[176:177]
	v_mov_b32_e32 v27, v187
	v_mov_b64_e32 v[18:19], v[178:179]
	v_mov_b64_e32 v[20:21], v[180:181]
	;; [unrolled: 1-line block ×4, first 2 shown]
	v_mov_b32_e32 v28, v188
	v_mov_b32_e32 v29, v189
	;; [unrolled: 1-line block ×4, first 2 shown]
	v_mov_b64_e32 v[46:47], v[110:111]
	v_mov_b64_e32 v[48:49], v[112:113]
	;; [unrolled: 1-line block ×8, first 2 shown]
	v_mov_b32_e32 v60, v133
	v_mov_b32_e32 v61, v130
	v_mov_b64_e32 v[174:175], v[46:47]
	v_mov_b64_e32 v[186:187], v[58:59]
	;; [unrolled: 1-line block ×5, first 2 shown]
	scratch_store_dwordx4 off, v[0:3], off offset:144 ; 16-byte Folded Spill
	s_nop 0
	scratch_store_dwordx4 off, v[4:7], off offset:160 ; 16-byte Folded Spill
	scratch_store_dwordx4 off, v[8:11], off offset:176 ; 16-byte Folded Spill
	;; [unrolled: 1-line block ×7, first 2 shown]
	v_mov_b64_e32 v[0:1], v[96:97]
	v_mov_b32_e32 v16, v112
	v_mov_b64_e32 v[28:29], v[124:125]
	v_mov_b64_e32 v[2:3], v[98:99]
	;; [unrolled: 1-line block ×8, first 2 shown]
	v_mov_b32_e32 v17, v113
	v_mov_b32_e32 v18, v114
	;; [unrolled: 1-line block ×10, first 2 shown]
	v_mov_b64_e32 v[30:31], v[126:127]
	v_mov_b64_e32 v[166:167], v[38:39]
	;; [unrolled: 1-line block ×5, first 2 shown]
	scratch_store_dwordx4 off, v[0:3], off offset:8 ; 16-byte Folded Spill
	s_nop 0
	scratch_store_dwordx4 off, v[4:7], off offset:24 ; 16-byte Folded Spill
	scratch_store_dwordx4 off, v[8:11], off offset:40 ; 16-byte Folded Spill
	;; [unrolled: 1-line block ×7, first 2 shown]
	v_mov_b64_e32 v[0:1], v[32:33]
	s_nop 0
	v_mov_b64_e32 v[30:31], v[62:63]
	v_mov_b64_e32 v[184:185], v[56:57]
	;; [unrolled: 1-line block ×7, first 2 shown]
	v_mov_b32_e32 v188, v133
	v_mov_b64_e32 v[2:3], v[34:35]
	v_mov_b64_e32 v[4:5], v[36:37]
	;; [unrolled: 1-line block ×14, first 2 shown]
	v_mov_b32_e32 v30, v131
	v_mov_b32_e32 v31, v159
	scratch_store_dwordx4 off, v[224:227], off offset:1192 ; 16-byte Folded Spill
	s_nop 0
	scratch_store_dwordx4 off, v[228:231], off offset:1208 ; 16-byte Folded Spill
	scratch_store_dwordx4 off, v[232:235], off offset:1224 ; 16-byte Folded Spill
	;; [unrolled: 1-line block ×7, first 2 shown]
.LBB63_86:
	s_or_b64 exec, exec, s[2:3]
	s_waitcnt lgkmcnt(0)
	s_barrier
	scratch_load_dword v62, off, off        ; 4-byte Folded Reload
	s_waitcnt vmcnt(0)
	v_cmp_eq_u32_e32 vcc, 17, v62
	s_and_saveexec_b64 s[2:3], vcc
	s_cbranch_execz .LBB63_89
; %bb.87:
	scratch_load_dwordx2 v[62:63], off, off offset:136 ; 8-byte Folded Reload
	scratch_load_dword v63, off, off offset:4 ; 4-byte Folded Reload
	s_waitcnt vmcnt(0)
	ds_write_b32 v63, v62
	ds_write2_b64 v128, v[18:19], v[20:21] offset0:9 offset1:10
	ds_write2_b64 v128, v[22:23], v[24:25] offset0:11 offset1:12
	;; [unrolled: 1-line block ×3, first 2 shown]
	ds_write_b64 v128, v[30:31] offset:120
	ds_read_b32 v62, v63
	s_waitcnt lgkmcnt(0)
	v_cmp_neq_f32_e32 vcc, 0, v62
	s_and_b64 exec, exec, vcc
	s_cbranch_execz .LBB63_89
; %bb.88:
	v_div_scale_f32 v63, s[4:5], v62, v62, 1.0
	v_rcp_f32_e32 v93, v63
	v_div_scale_f32 v124, vcc, 1.0, v62, 1.0
	v_fma_f32 v145, -v63, v93, 1.0
	v_fmac_f32_e32 v93, v145, v93
	v_mul_f32_e32 v145, v124, v93
	v_fma_f32 v146, -v63, v145, v124
	v_fmac_f32_e32 v145, v146, v93
	v_fma_f32 v63, -v63, v145, v124
	v_div_fmas_f32 v63, v63, v93, v145
	v_div_fixup_f32 v62, v63, v62, 1.0
	scratch_load_dword v63, off, off offset:4 ; 4-byte Folded Reload
	s_waitcnt vmcnt(0)
	ds_write_b32 v63, v62
.LBB63_89:
	s_or_b64 exec, exec, s[2:3]
	s_waitcnt lgkmcnt(0)
	s_barrier
	scratch_load_dword v62, off, off offset:4 ; 4-byte Folded Reload
	s_waitcnt vmcnt(0)
	ds_read_b32 v145, v62
	scratch_load_dword v62, off, off        ; 4-byte Folded Reload
	s_waitcnt vmcnt(0)
	v_cmp_lt_u32_e32 vcc, 17, v62
	s_mov_b64 s[2:3], exec
	s_and_b64 s[4:5], s[2:3], vcc
	v_mov_b64_e32 v[62:63], v[152:153]
	v_mov_b64_e32 v[224:225], v[154:155]
	s_mov_b64 exec, s[4:5]
	s_cbranch_execz .LBB63_91
; %bb.90:
	scratch_load_dwordx2 v[4:5], off, off offset:136 ; 8-byte Folded Reload
	ds_read2_b64 v[0:3], v128 offset0:9 offset1:10
	s_waitcnt vmcnt(0) lgkmcnt(1)
	v_mul_f32_e32 v12, v4, v145
	ds_read2_b64 v[4:7], v128 offset0:11 offset1:12
	ds_read2_b64 v[8:11], v128 offset0:13 offset1:14
	s_waitcnt lgkmcnt(2)
	v_pk_fma_f32 v[146:147], v[12:13], v[0:1], v[18:19] op_sel_hi:[0,1,1] neg_lo:[1,0,0] neg_hi:[1,0,0]
	ds_read_b64 v[0:1], v128 offset:120
	scratch_load_dwordx4 v[192:195], off, off offset:1192 ; 16-byte Folded Reload
	scratch_load_dwordx4 v[196:199], off, off offset:1208 ; 16-byte Folded Reload
	;; [unrolled: 1-line block ×8, first 2 shown]
	s_waitcnt vmcnt(3)
	v_mov_b32_e32 v209, v12
	v_pk_fma_f32 v[148:149], v[12:13], v[2:3], v[20:21] op_sel_hi:[0,1,1] neg_lo:[1,0,0] neg_hi:[1,0,0]
	s_waitcnt lgkmcnt(2)
	v_pk_fma_f32 v[150:151], v[12:13], v[4:5], v[22:23] op_sel_hi:[0,1,1] neg_lo:[1,0,0] neg_hi:[1,0,0]
	v_pk_fma_f32 v[152:153], v[12:13], v[6:7], v[24:25] op_sel_hi:[0,1,1] neg_lo:[1,0,0] neg_hi:[1,0,0]
	s_waitcnt lgkmcnt(1)
	v_pk_fma_f32 v[154:155], v[12:13], v[8:9], v[26:27] op_sel_hi:[0,1,1] neg_lo:[1,0,0] neg_hi:[1,0,0]
	;; [unrolled: 3-line block ×3, first 2 shown]
	v_mov_b32_e32 v224, v147
	v_mov_b32_e32 v225, v148
	;; [unrolled: 1-line block ×6, first 2 shown]
	s_waitcnt vmcnt(0)
	v_mov_b64_e32 v[160:161], v[192:193]
	v_mov_b64_e32 v[176:177], v[208:209]
	;; [unrolled: 1-line block ×16, first 2 shown]
	v_mov_b32_e32 v178, v146
	v_mov_b64_e32 v[0:1], v[160:161]
	v_mov_b64_e32 v[20:21], v[180:181]
	v_mov_b32_e32 v16, v176
	v_mov_b64_e32 v[2:3], v[162:163]
	v_mov_b64_e32 v[4:5], v[164:165]
	;; [unrolled: 1-line block ×12, first 2 shown]
	v_mov_b32_e32 v17, v177
	v_mov_b32_e32 v18, v178
	scratch_store_dwordx4 off, v[0:3], off offset:1064 ; 16-byte Folded Spill
	s_nop 0
	scratch_store_dwordx4 off, v[4:7], off offset:1080 ; 16-byte Folded Spill
	scratch_store_dwordx4 off, v[8:11], off offset:1096 ; 16-byte Folded Spill
	scratch_store_dwordx4 off, v[12:15], off offset:1112 ; 16-byte Folded Spill
	scratch_store_dwordx4 off, v[16:19], off offset:1128 ; 16-byte Folded Spill
	scratch_store_dwordx4 off, v[20:23], off offset:1144 ; 16-byte Folded Spill
	scratch_store_dwordx4 off, v[24:27], off offset:1160 ; 16-byte Folded Spill
	scratch_store_dwordx4 off, v[28:31], off offset:1176 ; 16-byte Folded Spill
	v_mov_b32_e32 v179, v147
	v_mov_b64_e32 v[16:17], v[176:177]
	v_mov_b64_e32 v[18:19], v[178:179]
	v_mov_b32_e32 v180, v148
	v_mov_b32_e32 v181, v149
	v_mov_b32_e32 v148, v153
	scratch_store_dwordx4 off, v[0:3], off offset:920 ; 16-byte Folded Spill
	s_nop 0
	scratch_store_dwordx4 off, v[4:7], off offset:936 ; 16-byte Folded Spill
	scratch_store_dwordx4 off, v[8:11], off offset:952 ; 16-byte Folded Spill
	;; [unrolled: 1-line block ×7, first 2 shown]
	v_mov_b64_e32 v[22:23], v[182:183]
	v_mov_b32_e32 v16, v176
	v_mov_b64_e32 v[24:25], v[184:185]
	v_mov_b64_e32 v[26:27], v[186:187]
	;; [unrolled: 1-line block ×4, first 2 shown]
	v_mov_b32_e32 v17, v177
	v_mov_b32_e32 v18, v178
	;; [unrolled: 1-line block ×5, first 2 shown]
	scratch_store_dwordx4 off, v[0:3], off offset:792 ; 16-byte Folded Spill
	s_nop 0
	scratch_store_dwordx4 off, v[4:7], off offset:808 ; 16-byte Folded Spill
	scratch_store_dwordx4 off, v[8:11], off offset:824 ; 16-byte Folded Spill
	;; [unrolled: 1-line block ×7, first 2 shown]
	v_mov_b32_e32 v23, v183
	v_mov_b64_e32 v[16:17], v[176:177]
	v_mov_b32_e32 v24, v184
	v_mov_b32_e32 v25, v185
	;; [unrolled: 1-line block ×8, first 2 shown]
	v_mov_b64_e32 v[18:19], v[178:179]
	v_mov_b64_e32 v[20:21], v[180:181]
	v_mov_b32_e32 v183, v151
	scratch_store_dwordx4 off, v[0:3], off offset:656 ; 16-byte Folded Spill
	s_nop 0
	scratch_store_dwordx4 off, v[4:7], off offset:672 ; 16-byte Folded Spill
	scratch_store_dwordx4 off, v[8:11], off offset:688 ; 16-byte Folded Spill
	;; [unrolled: 1-line block ×7, first 2 shown]
	s_nop 0
	v_mov_b64_e32 v[24:25], v[184:185]
	v_mov_b32_e32 v16, v176
	v_mov_b64_e32 v[26:27], v[186:187]
	v_mov_b64_e32 v[28:29], v[188:189]
	;; [unrolled: 1-line block ×3, first 2 shown]
	v_mov_b32_e32 v17, v177
	v_mov_b32_e32 v18, v178
	;; [unrolled: 1-line block ×7, first 2 shown]
	scratch_store_dwordx4 off, v[0:3], off offset:528 ; 16-byte Folded Spill
	s_nop 0
	scratch_store_dwordx4 off, v[4:7], off offset:544 ; 16-byte Folded Spill
	scratch_store_dwordx4 off, v[8:11], off offset:560 ; 16-byte Folded Spill
	;; [unrolled: 1-line block ×7, first 2 shown]
	v_mov_b64_e32 v[16:17], v[176:177]
	v_mov_b32_e32 v25, v185
	v_mov_b64_e32 v[18:19], v[178:179]
	v_mov_b64_e32 v[20:21], v[180:181]
	v_mov_b64_e32 v[22:23], v[182:183]
	v_mov_b32_e32 v26, v186
	v_mov_b32_e32 v27, v187
	;; [unrolled: 1-line block ×7, first 2 shown]
	v_mov_b64_e32 v[96:97], v[160:161]
	v_mov_b64_e32 v[112:113], v[176:177]
	;; [unrolled: 1-line block ×16, first 2 shown]
	v_mov_b32_e32 v122, v154
	v_mov_b32_e32 v123, v155
	v_mov_b64_e32 v[32:33], v[96:97]
	v_mov_b64_e32 v[60:61], v[124:125]
	;; [unrolled: 1-line block ×9, first 2 shown]
	scratch_store_dwordx4 off, v[0:3], off offset:400 ; 16-byte Folded Spill
	s_nop 0
	scratch_store_dwordx4 off, v[4:7], off offset:416 ; 16-byte Folded Spill
	scratch_store_dwordx4 off, v[8:11], off offset:432 ; 16-byte Folded Spill
	;; [unrolled: 1-line block ×7, first 2 shown]
	v_mov_b32_e32 v16, v176
	v_mov_b64_e32 v[26:27], v[186:187]
	v_mov_b32_e32 v17, v177
	v_mov_b32_e32 v18, v178
	;; [unrolled: 1-line block ×8, first 2 shown]
	v_mov_b64_e32 v[28:29], v[188:189]
	v_mov_b64_e32 v[30:31], v[190:191]
	;; [unrolled: 1-line block ×9, first 2 shown]
	v_mov_b32_e32 v60, v156
	v_mov_b32_e32 v61, v157
	v_mov_b64_e32 v[174:175], v[46:47]
	v_mov_b64_e32 v[172:173], v[44:45]
	;; [unrolled: 1-line block ×8, first 2 shown]
	scratch_store_dwordx4 off, v[0:3], off offset:272 ; 16-byte Folded Spill
	s_nop 0
	scratch_store_dwordx4 off, v[4:7], off offset:288 ; 16-byte Folded Spill
	scratch_store_dwordx4 off, v[8:11], off offset:304 ; 16-byte Folded Spill
	;; [unrolled: 1-line block ×7, first 2 shown]
	v_mov_b64_e32 v[16:17], v[176:177]
	v_mov_b32_e32 v27, v187
	v_mov_b64_e32 v[18:19], v[178:179]
	v_mov_b64_e32 v[20:21], v[180:181]
	;; [unrolled: 1-line block ×4, first 2 shown]
	v_mov_b32_e32 v28, v188
	v_mov_b32_e32 v29, v189
	;; [unrolled: 1-line block ×4, first 2 shown]
	v_mov_b64_e32 v[186:187], v[58:59]
	v_mov_b64_e32 v[190:191], v[62:63]
	v_mov_b64_e32 v[184:185], v[56:57]
	v_mov_b64_e32 v[182:183], v[54:55]
	v_mov_b64_e32 v[180:181], v[52:53]
	v_mov_b64_e32 v[178:179], v[50:51]
	v_mov_b64_e32 v[176:177], v[48:49]
	v_mov_b32_e32 v188, v156
	scratch_store_dwordx4 off, v[0:3], off offset:144 ; 16-byte Folded Spill
	s_nop 0
	scratch_store_dwordx4 off, v[4:7], off offset:160 ; 16-byte Folded Spill
	scratch_store_dwordx4 off, v[8:11], off offset:176 ; 16-byte Folded Spill
	;; [unrolled: 1-line block ×7, first 2 shown]
	v_mov_b64_e32 v[0:1], v[96:97]
	v_mov_b32_e32 v16, v112
	v_mov_b64_e32 v[28:29], v[124:125]
	v_mov_b64_e32 v[2:3], v[98:99]
	;; [unrolled: 1-line block ×8, first 2 shown]
	v_mov_b32_e32 v17, v113
	v_mov_b32_e32 v18, v114
	;; [unrolled: 1-line block ×10, first 2 shown]
	v_mov_b64_e32 v[30:31], v[126:127]
	scratch_store_dwordx4 off, v[0:3], off offset:8 ; 16-byte Folded Spill
	s_nop 0
	scratch_store_dwordx4 off, v[4:7], off offset:24 ; 16-byte Folded Spill
	scratch_store_dwordx4 off, v[8:11], off offset:40 ; 16-byte Folded Spill
	;; [unrolled: 1-line block ×7, first 2 shown]
	v_mov_b64_e32 v[0:1], v[32:33]
	v_mov_b64_e32 v[2:3], v[34:35]
	;; [unrolled: 1-line block ×16, first 2 shown]
	v_mov_b32_e32 v63, v146
	v_mov_b32_e32 v30, v158
	;; [unrolled: 1-line block ×3, first 2 shown]
	scratch_store_dwordx2 off, v[62:63], off offset:136 ; 8-byte Folded Spill
	v_mov_b32_e32 v62, v149
	v_mov_b32_e32 v63, v150
	;; [unrolled: 1-line block ×5, first 2 shown]
.LBB63_91:
	s_or_b64 exec, exec, s[2:3]
	v_mov_b64_e32 v[154:155], v[62:63]
	s_waitcnt lgkmcnt(0)
	s_barrier
	scratch_load_dword v62, off, off        ; 4-byte Folded Reload
	v_mov_b64_e32 v[152:153], v[150:151]
	v_mov_b64_e32 v[150:151], v[148:149]
	s_waitcnt vmcnt(0)
	v_cmp_eq_u32_e32 vcc, 18, v62
	s_and_saveexec_b64 s[2:3], vcc
	s_cbranch_execz .LBB63_94
; %bb.92:
	scratch_load_dwordx2 v[62:63], off, off offset:136 ; 8-byte Folded Reload
	scratch_load_dword v62, off, off offset:4 ; 4-byte Folded Reload
	s_waitcnt vmcnt(0)
	ds_write_b32 v62, v63
	ds_write2_b32 v128, v19, v20 offset0:19 offset1:20
	ds_write2_b32 v128, v21, v22 offset0:21 offset1:22
	;; [unrolled: 1-line block ×6, first 2 shown]
	ds_write_b32 v128, v159 offset:124
	ds_read_b32 v62, v62
	s_waitcnt lgkmcnt(0)
	v_cmp_neq_f32_e32 vcc, 0, v62
	s_and_b64 exec, exec, vcc
	s_cbranch_execz .LBB63_94
; %bb.93:
	v_div_scale_f32 v63, s[4:5], v62, v62, 1.0
	v_rcp_f32_e32 v93, v63
	v_div_scale_f32 v124, vcc, 1.0, v62, 1.0
	v_fma_f32 v146, -v63, v93, 1.0
	v_fmac_f32_e32 v93, v146, v93
	v_mul_f32_e32 v146, v124, v93
	v_fma_f32 v147, -v63, v146, v124
	v_fmac_f32_e32 v146, v147, v93
	v_fma_f32 v63, -v63, v146, v124
	v_div_fmas_f32 v63, v63, v93, v146
	v_div_fixup_f32 v62, v63, v62, 1.0
	scratch_load_dword v63, off, off offset:4 ; 4-byte Folded Reload
	s_waitcnt vmcnt(0)
	ds_write_b32 v63, v62
.LBB63_94:
	s_or_b64 exec, exec, s[2:3]
	s_waitcnt lgkmcnt(0)
	s_barrier
	scratch_load_dword v62, off, off offset:4 ; 4-byte Folded Reload
	s_waitcnt vmcnt(0)
	ds_read_b32 v146, v62
	scratch_load_dword v62, off, off        ; 4-byte Folded Reload
	s_waitcnt vmcnt(0)
	v_cmp_lt_u32_e32 vcc, 18, v62
	s_and_saveexec_b64 s[2:3], vcc
	s_cbranch_execz .LBB63_96
; %bb.95:
	scratch_load_dwordx2 v[0:1], off, off offset:136 ; 8-byte Folded Reload
	v_mov_b32_e32 v2, v19
	v_mov_b32_e32 v3, v20
	s_waitcnt vmcnt(0) lgkmcnt(0)
	v_mul_f32_e32 v210, v1, v146
	ds_read2_b32 v[0:1], v128 offset0:19 offset1:20
	ds_read2_b32 v[4:5], v128 offset0:21 offset1:22
	;; [unrolled: 1-line block ×4, first 2 shown]
	v_mov_b64_e32 v[160:161], v[192:193]
	v_mov_b64_e32 v[176:177], v[208:209]
	;; [unrolled: 1-line block ×3, first 2 shown]
	s_waitcnt lgkmcnt(3)
	v_pk_fma_f32 v[148:149], v[210:211], v[0:1], v[2:3] op_sel_hi:[0,1,1] neg_lo:[1,0,0] neg_hi:[1,0,0]
	v_mov_b32_e32 v0, v21
	v_mov_b32_e32 v1, v22
	s_waitcnt lgkmcnt(2)
	v_pk_fma_f32 v[36:37], v[210:211], v[4:5], v[0:1] op_sel_hi:[0,1,1] neg_lo:[1,0,0] neg_hi:[1,0,0]
	v_mov_b32_e32 v0, v23
	v_mov_b32_e32 v1, v24
	;; [unrolled: 4-line block ×3, first 2 shown]
	s_waitcnt lgkmcnt(0)
	v_pk_fma_f32 v[32:33], v[210:211], v[8:9], v[0:1] op_sel_hi:[0,1,1] neg_lo:[1,0,0] neg_hi:[1,0,0]
	ds_read2_b32 v[0:1], v128 offset0:27 offset1:28
	ds_read2_b32 v[4:5], v128 offset0:29 offset1:30
	ds_read_b32 v6, v128 offset:124
	v_mov_b32_e32 v2, v27
	v_mov_b32_e32 v3, v28
	v_mov_b64_e32 v[180:181], v[212:213]
	s_waitcnt lgkmcnt(2)
	v_pk_fma_f32 v[132:133], v[210:211], v[0:1], v[2:3] op_sel_hi:[0,1,1] neg_lo:[1,0,0] neg_hi:[1,0,0]
	v_mov_b32_e32 v0, v29
	v_mov_b32_e32 v1, v30
	s_waitcnt lgkmcnt(1)
	v_pk_fma_f32 v[130:131], v[210:211], v[4:5], v[0:1] op_sel_hi:[0,1,1] neg_lo:[1,0,0] neg_hi:[1,0,0]
	s_waitcnt lgkmcnt(0)
	v_fma_f32 v159, -v210, v6, v159
	v_mov_b64_e32 v[162:163], v[194:195]
	v_mov_b64_e32 v[164:165], v[196:197]
	;; [unrolled: 1-line block ×12, first 2 shown]
	v_mov_b32_e32 v179, v148
	v_mov_b64_e32 v[0:1], v[160:161]
	v_mov_b32_e32 v21, v181
	v_mov_b64_e32 v[16:17], v[176:177]
	v_mov_b64_e32 v[2:3], v[162:163]
	;; [unrolled: 1-line block ×8, first 2 shown]
	v_mov_b32_e32 v22, v182
	v_mov_b32_e32 v23, v183
	;; [unrolled: 1-line block ×10, first 2 shown]
	v_mov_b64_e32 v[18:19], v[178:179]
	scratch_store_dwordx4 off, v[0:3], off offset:920 ; 16-byte Folded Spill
	s_nop 0
	scratch_store_dwordx4 off, v[4:7], off offset:936 ; 16-byte Folded Spill
	scratch_store_dwordx4 off, v[8:11], off offset:952 ; 16-byte Folded Spill
	;; [unrolled: 1-line block ×7, first 2 shown]
	v_mov_b32_e32 v180, v149
	v_mov_b32_e32 v16, v176
	;; [unrolled: 1-line block ×8, first 2 shown]
	v_mov_b64_e32 v[154:155], v[36:37]
	v_mov_b64_e32 v[152:153], v[34:35]
	v_mov_b64_e32 v[150:151], v[32:33]
	v_mov_b64_e32 v[224:225], v[148:149]
	scratch_store_dwordx4 off, v[0:3], off offset:792 ; 16-byte Folded Spill
	s_nop 0
	scratch_store_dwordx4 off, v[4:7], off offset:808 ; 16-byte Folded Spill
	scratch_store_dwordx4 off, v[8:11], off offset:824 ; 16-byte Folded Spill
	;; [unrolled: 1-line block ×7, first 2 shown]
	v_mov_b32_e32 v23, v183
	v_mov_b64_e32 v[16:17], v[176:177]
	v_mov_b32_e32 v24, v184
	v_mov_b32_e32 v25, v185
	;; [unrolled: 1-line block ×8, first 2 shown]
	v_mov_b64_e32 v[18:19], v[178:179]
	v_mov_b64_e32 v[20:21], v[180:181]
	v_mov_b32_e32 v183, v34
	scratch_store_dwordx4 off, v[0:3], off offset:656 ; 16-byte Folded Spill
	s_nop 0
	scratch_store_dwordx4 off, v[4:7], off offset:672 ; 16-byte Folded Spill
	scratch_store_dwordx4 off, v[8:11], off offset:688 ; 16-byte Folded Spill
	;; [unrolled: 1-line block ×7, first 2 shown]
	s_nop 0
	v_mov_b64_e32 v[24:25], v[184:185]
	v_mov_b32_e32 v16, v176
	v_mov_b64_e32 v[26:27], v[186:187]
	v_mov_b64_e32 v[28:29], v[188:189]
	;; [unrolled: 1-line block ×3, first 2 shown]
	v_mov_b32_e32 v17, v177
	v_mov_b32_e32 v18, v178
	;; [unrolled: 1-line block ×7, first 2 shown]
	scratch_store_dwordx4 off, v[0:3], off offset:528 ; 16-byte Folded Spill
	s_nop 0
	scratch_store_dwordx4 off, v[4:7], off offset:544 ; 16-byte Folded Spill
	scratch_store_dwordx4 off, v[8:11], off offset:560 ; 16-byte Folded Spill
	;; [unrolled: 1-line block ×7, first 2 shown]
	v_mov_b64_e32 v[16:17], v[176:177]
	v_mov_b32_e32 v25, v185
	v_mov_b64_e32 v[18:19], v[178:179]
	v_mov_b64_e32 v[20:21], v[180:181]
	;; [unrolled: 1-line block ×3, first 2 shown]
	v_mov_b32_e32 v26, v186
	v_mov_b32_e32 v27, v187
	;; [unrolled: 1-line block ×7, first 2 shown]
	v_mov_b64_e32 v[96:97], v[160:161]
	v_mov_b64_e32 v[112:113], v[176:177]
	;; [unrolled: 1-line block ×16, first 2 shown]
	scratch_store_dwordx4 off, v[0:3], off offset:400 ; 16-byte Folded Spill
	s_nop 0
	scratch_store_dwordx4 off, v[4:7], off offset:416 ; 16-byte Folded Spill
	scratch_store_dwordx4 off, v[8:11], off offset:432 ; 16-byte Folded Spill
	;; [unrolled: 1-line block ×7, first 2 shown]
	v_mov_b32_e32 v16, v176
	v_mov_b64_e32 v[26:27], v[186:187]
	v_mov_b32_e32 v17, v177
	v_mov_b32_e32 v18, v178
	;; [unrolled: 1-line block ×8, first 2 shown]
	v_mov_b64_e32 v[28:29], v[188:189]
	v_mov_b64_e32 v[30:31], v[190:191]
	v_mov_b32_e32 v122, v33
	v_mov_b32_e32 v123, v132
	v_mov_b64_e32 v[32:33], v[96:97]
	v_mov_b64_e32 v[60:61], v[124:125]
	;; [unrolled: 1-line block ×14, first 2 shown]
	scratch_store_dwordx4 off, v[0:3], off offset:272 ; 16-byte Folded Spill
	s_nop 0
	scratch_store_dwordx4 off, v[4:7], off offset:288 ; 16-byte Folded Spill
	scratch_store_dwordx4 off, v[8:11], off offset:304 ; 16-byte Folded Spill
	scratch_store_dwordx4 off, v[12:15], off offset:320 ; 16-byte Folded Spill
	scratch_store_dwordx4 off, v[16:19], off offset:336 ; 16-byte Folded Spill
	scratch_store_dwordx4 off, v[20:23], off offset:352 ; 16-byte Folded Spill
	scratch_store_dwordx4 off, v[24:27], off offset:368 ; 16-byte Folded Spill
	scratch_store_dwordx4 off, v[28:31], off offset:384 ; 16-byte Folded Spill
	v_mov_b64_e32 v[16:17], v[176:177]
	v_mov_b32_e32 v27, v187
	v_mov_b64_e32 v[18:19], v[178:179]
	v_mov_b64_e32 v[20:21], v[180:181]
	;; [unrolled: 1-line block ×4, first 2 shown]
	v_mov_b32_e32 v28, v188
	v_mov_b32_e32 v29, v189
	;; [unrolled: 1-line block ×4, first 2 shown]
	v_mov_b64_e32 v[58:59], v[122:123]
	v_mov_b64_e32 v[62:63], v[126:127]
	v_mov_b32_e32 v60, v133
	v_mov_b32_e32 v61, v130
	v_mov_b64_e32 v[174:175], v[46:47]
	v_mov_b64_e32 v[186:187], v[58:59]
	v_mov_b64_e32 v[172:173], v[44:45]
	v_mov_b64_e32 v[170:171], v[42:43]
	v_mov_b64_e32 v[168:169], v[40:41]
	v_mov_b64_e32 v[166:167], v[38:39]
	v_mov_b64_e32 v[164:165], v[36:37]
	v_mov_b64_e32 v[162:163], v[34:35]
	v_mov_b64_e32 v[160:161], v[32:33]
	v_mov_b64_e32 v[184:185], v[56:57]
	v_mov_b64_e32 v[182:183], v[54:55]
	v_mov_b64_e32 v[180:181], v[52:53]
	v_mov_b64_e32 v[178:179], v[50:51]
	v_mov_b64_e32 v[176:177], v[48:49]
	scratch_store_dwordx4 off, v[0:3], off offset:144 ; 16-byte Folded Spill
	s_nop 0
	scratch_store_dwordx4 off, v[4:7], off offset:160 ; 16-byte Folded Spill
	scratch_store_dwordx4 off, v[8:11], off offset:176 ; 16-byte Folded Spill
	;; [unrolled: 1-line block ×7, first 2 shown]
	v_mov_b64_e32 v[0:1], v[96:97]
	v_mov_b32_e32 v16, v112
	v_mov_b64_e32 v[28:29], v[124:125]
	v_mov_b64_e32 v[2:3], v[98:99]
	;; [unrolled: 1-line block ×8, first 2 shown]
	v_mov_b32_e32 v17, v113
	v_mov_b32_e32 v18, v114
	v_mov_b32_e32 v19, v115
	v_mov_b32_e32 v20, v116
	v_mov_b32_e32 v21, v117
	v_mov_b32_e32 v22, v118
	v_mov_b32_e32 v23, v119
	v_mov_b32_e32 v24, v120
	v_mov_b32_e32 v25, v121
	v_mov_b32_e32 v26, v122
	v_mov_b64_e32 v[30:31], v[126:127]
	v_mov_b64_e32 v[190:191], v[62:63]
	v_mov_b32_e32 v188, v133
	scratch_store_dwordx4 off, v[0:3], off offset:8 ; 16-byte Folded Spill
	s_nop 0
	scratch_store_dwordx4 off, v[4:7], off offset:24 ; 16-byte Folded Spill
	scratch_store_dwordx4 off, v[8:11], off offset:40 ; 16-byte Folded Spill
	;; [unrolled: 1-line block ×7, first 2 shown]
	v_mov_b64_e32 v[0:1], v[32:33]
	s_nop 0
	v_mov_b64_e32 v[30:31], v[62:63]
	v_mov_b64_e32 v[2:3], v[34:35]
	;; [unrolled: 1-line block ×15, first 2 shown]
	v_mov_b32_e32 v30, v131
	v_mov_b32_e32 v31, v159
	scratch_store_dwordx4 off, v[192:195], off offset:1064 ; 16-byte Folded Spill
	s_nop 0
	scratch_store_dwordx4 off, v[196:199], off offset:1080 ; 16-byte Folded Spill
	scratch_store_dwordx4 off, v[200:203], off offset:1096 ; 16-byte Folded Spill
	;; [unrolled: 1-line block ×7, first 2 shown]
.LBB63_96:
	s_or_b64 exec, exec, s[2:3]
	s_waitcnt lgkmcnt(0)
	s_barrier
	scratch_load_dword v62, off, off        ; 4-byte Folded Reload
	s_waitcnt vmcnt(0)
	v_cmp_eq_u32_e32 vcc, 19, v62
	s_and_saveexec_b64 s[2:3], vcc
	s_cbranch_execz .LBB63_99
; %bb.97:
	scratch_load_dword v62, off, off offset:4 ; 4-byte Folded Reload
	s_waitcnt vmcnt(0)
	ds_write_b32 v62, v224
	ds_write2_b64 v128, v[20:21], v[22:23] offset0:10 offset1:11
	ds_write2_b64 v128, v[24:25], v[26:27] offset0:12 offset1:13
	;; [unrolled: 1-line block ×3, first 2 shown]
	ds_read_b32 v62, v62
	s_waitcnt lgkmcnt(0)
	v_cmp_neq_f32_e32 vcc, 0, v62
	s_and_b64 exec, exec, vcc
	s_cbranch_execz .LBB63_99
; %bb.98:
	v_div_scale_f32 v63, s[4:5], v62, v62, 1.0
	v_rcp_f32_e32 v93, v63
	v_div_scale_f32 v124, vcc, 1.0, v62, 1.0
	v_fma_f32 v147, -v63, v93, 1.0
	v_fmac_f32_e32 v93, v147, v93
	v_mul_f32_e32 v147, v124, v93
	v_fma_f32 v148, -v63, v147, v124
	v_fmac_f32_e32 v147, v148, v93
	v_fma_f32 v63, -v63, v147, v124
	v_div_fmas_f32 v63, v63, v93, v147
	v_div_fixup_f32 v62, v63, v62, 1.0
	scratch_load_dword v63, off, off offset:4 ; 4-byte Folded Reload
	s_waitcnt vmcnt(0)
	ds_write_b32 v63, v62
.LBB63_99:
	s_or_b64 exec, exec, s[2:3]
	s_waitcnt lgkmcnt(0)
	s_barrier
	scratch_load_dword v62, off, off offset:4 ; 4-byte Folded Reload
	s_waitcnt vmcnt(0)
	ds_read_b32 v147, v62
	scratch_load_dword v62, off, off        ; 4-byte Folded Reload
	s_waitcnt vmcnt(0)
	v_cmp_lt_u32_e32 vcc, 19, v62
	s_mov_b64 s[2:3], exec
	s_and_b64 s[4:5], s[2:3], vcc
	v_mov_b64_e32 v[194:195], v[152:153]
	v_mov_b64_e32 v[196:197], v[154:155]
	s_mov_b64 exec, s[4:5]
	s_cbranch_execz .LBB63_101
; %bb.100:
	ds_read2_b64 v[0:3], v128 offset0:10 offset1:11
	ds_read2_b64 v[4:7], v128 offset0:12 offset1:13
	s_waitcnt lgkmcnt(2)
	v_mul_f32_e32 v12, v224, v147
	ds_read2_b64 v[8:11], v128 offset0:14 offset1:15
	scratch_load_dwordx4 v[224:227], off, off offset:1064 ; 16-byte Folded Reload
	scratch_load_dwordx4 v[228:231], off, off offset:1080 ; 16-byte Folded Reload
	;; [unrolled: 1-line block ×8, first 2 shown]
	s_waitcnt vmcnt(3)
	v_mov_b32_e32 v243, v12
	s_waitcnt lgkmcnt(2)
	v_pk_fma_f32 v[148:149], v[12:13], v[0:1], v[20:21] op_sel_hi:[0,1,1] neg_lo:[1,0,0] neg_hi:[1,0,0]
	v_pk_fma_f32 v[150:151], v[12:13], v[2:3], v[22:23] op_sel_hi:[0,1,1] neg_lo:[1,0,0] neg_hi:[1,0,0]
	s_waitcnt lgkmcnt(1)
	v_pk_fma_f32 v[152:153], v[12:13], v[4:5], v[24:25] op_sel_hi:[0,1,1] neg_lo:[1,0,0] neg_hi:[1,0,0]
	v_pk_fma_f32 v[154:155], v[12:13], v[6:7], v[26:27] op_sel_hi:[0,1,1] neg_lo:[1,0,0] neg_hi:[1,0,0]
	;; [unrolled: 3-line block ×3, first 2 shown]
	v_mov_b32_e32 v196, v149
	v_mov_b32_e32 v197, v150
	;; [unrolled: 1-line block ×8, first 2 shown]
	s_waitcnt vmcnt(0)
	v_mov_b64_e32 v[160:161], v[224:225]
	v_mov_b64_e32 v[176:177], v[240:241]
	;; [unrolled: 1-line block ×16, first 2 shown]
	v_mov_b32_e32 v180, v148
	v_mov_b64_e32 v[0:1], v[160:161]
	v_mov_b64_e32 v[22:23], v[182:183]
	v_mov_b32_e32 v16, v176
	v_mov_b64_e32 v[2:3], v[162:163]
	v_mov_b64_e32 v[4:5], v[164:165]
	v_mov_b64_e32 v[6:7], v[166:167]
	v_mov_b64_e32 v[8:9], v[168:169]
	v_mov_b64_e32 v[10:11], v[170:171]
	v_mov_b64_e32 v[12:13], v[172:173]
	v_mov_b64_e32 v[14:15], v[174:175]
	v_mov_b64_e32 v[24:25], v[184:185]
	v_mov_b64_e32 v[26:27], v[186:187]
	v_mov_b64_e32 v[28:29], v[188:189]
	v_mov_b64_e32 v[30:31], v[190:191]
	v_mov_b32_e32 v17, v177
	v_mov_b32_e32 v18, v178
	;; [unrolled: 1-line block ×4, first 2 shown]
	scratch_store_dwordx4 off, v[0:3], off offset:792 ; 16-byte Folded Spill
	s_nop 0
	scratch_store_dwordx4 off, v[4:7], off offset:808 ; 16-byte Folded Spill
	scratch_store_dwordx4 off, v[8:11], off offset:824 ; 16-byte Folded Spill
	;; [unrolled: 1-line block ×7, first 2 shown]
	v_mov_b32_e32 v181, v149
	v_mov_b64_e32 v[16:17], v[176:177]
	v_mov_b64_e32 v[18:19], v[178:179]
	;; [unrolled: 1-line block ×3, first 2 shown]
	v_mov_b32_e32 v182, v150
	v_mov_b32_e32 v183, v151
	;; [unrolled: 1-line block ×4, first 2 shown]
	scratch_store_dwordx4 off, v[0:3], off offset:656 ; 16-byte Folded Spill
	s_nop 0
	scratch_store_dwordx4 off, v[4:7], off offset:672 ; 16-byte Folded Spill
	scratch_store_dwordx4 off, v[8:11], off offset:688 ; 16-byte Folded Spill
	;; [unrolled: 1-line block ×7, first 2 shown]
	s_nop 0
	v_mov_b64_e32 v[24:25], v[184:185]
	v_mov_b32_e32 v16, v176
	v_mov_b64_e32 v[26:27], v[186:187]
	v_mov_b64_e32 v[28:29], v[188:189]
	;; [unrolled: 1-line block ×3, first 2 shown]
	v_mov_b32_e32 v17, v177
	v_mov_b32_e32 v18, v178
	;; [unrolled: 1-line block ×7, first 2 shown]
	scratch_store_dwordx4 off, v[0:3], off offset:528 ; 16-byte Folded Spill
	s_nop 0
	scratch_store_dwordx4 off, v[4:7], off offset:544 ; 16-byte Folded Spill
	scratch_store_dwordx4 off, v[8:11], off offset:560 ; 16-byte Folded Spill
	;; [unrolled: 1-line block ×7, first 2 shown]
	v_mov_b64_e32 v[16:17], v[176:177]
	v_mov_b32_e32 v25, v185
	v_mov_b64_e32 v[18:19], v[178:179]
	v_mov_b64_e32 v[20:21], v[180:181]
	;; [unrolled: 1-line block ×3, first 2 shown]
	v_mov_b32_e32 v26, v186
	v_mov_b32_e32 v27, v187
	;; [unrolled: 1-line block ×7, first 2 shown]
	v_mov_b64_e32 v[96:97], v[160:161]
	v_mov_b64_e32 v[112:113], v[176:177]
	;; [unrolled: 1-line block ×16, first 2 shown]
	v_mov_b32_e32 v122, v154
	v_mov_b32_e32 v123, v155
	v_mov_b64_e32 v[32:33], v[96:97]
	v_mov_b64_e32 v[60:61], v[124:125]
	;; [unrolled: 1-line block ×8, first 2 shown]
	scratch_store_dwordx4 off, v[0:3], off offset:400 ; 16-byte Folded Spill
	s_nop 0
	scratch_store_dwordx4 off, v[4:7], off offset:416 ; 16-byte Folded Spill
	scratch_store_dwordx4 off, v[8:11], off offset:432 ; 16-byte Folded Spill
	;; [unrolled: 1-line block ×7, first 2 shown]
	v_mov_b32_e32 v16, v176
	v_mov_b64_e32 v[26:27], v[186:187]
	v_mov_b32_e32 v17, v177
	v_mov_b32_e32 v18, v178
	;; [unrolled: 1-line block ×8, first 2 shown]
	v_mov_b64_e32 v[28:29], v[188:189]
	v_mov_b64_e32 v[30:31], v[190:191]
	;; [unrolled: 1-line block ×10, first 2 shown]
	v_mov_b32_e32 v60, v156
	v_mov_b32_e32 v61, v157
	v_mov_b64_e32 v[174:175], v[46:47]
	v_mov_b64_e32 v[172:173], v[44:45]
	;; [unrolled: 1-line block ×8, first 2 shown]
	scratch_store_dwordx4 off, v[0:3], off offset:272 ; 16-byte Folded Spill
	s_nop 0
	scratch_store_dwordx4 off, v[4:7], off offset:288 ; 16-byte Folded Spill
	scratch_store_dwordx4 off, v[8:11], off offset:304 ; 16-byte Folded Spill
	scratch_store_dwordx4 off, v[12:15], off offset:320 ; 16-byte Folded Spill
	scratch_store_dwordx4 off, v[16:19], off offset:336 ; 16-byte Folded Spill
	scratch_store_dwordx4 off, v[20:23], off offset:352 ; 16-byte Folded Spill
	scratch_store_dwordx4 off, v[24:27], off offset:368 ; 16-byte Folded Spill
	scratch_store_dwordx4 off, v[28:31], off offset:384 ; 16-byte Folded Spill
	v_mov_b64_e32 v[16:17], v[176:177]
	v_mov_b32_e32 v27, v187
	v_mov_b64_e32 v[18:19], v[178:179]
	v_mov_b64_e32 v[20:21], v[180:181]
	;; [unrolled: 1-line block ×4, first 2 shown]
	v_mov_b32_e32 v28, v188
	v_mov_b32_e32 v29, v189
	;; [unrolled: 1-line block ×4, first 2 shown]
	v_mov_b64_e32 v[186:187], v[58:59]
	v_mov_b64_e32 v[184:185], v[56:57]
	;; [unrolled: 1-line block ×7, first 2 shown]
	v_mov_b32_e32 v188, v156
	scratch_store_dwordx4 off, v[0:3], off offset:144 ; 16-byte Folded Spill
	s_nop 0
	scratch_store_dwordx4 off, v[4:7], off offset:160 ; 16-byte Folded Spill
	scratch_store_dwordx4 off, v[8:11], off offset:176 ; 16-byte Folded Spill
	;; [unrolled: 1-line block ×7, first 2 shown]
	v_mov_b64_e32 v[0:1], v[96:97]
	v_mov_b32_e32 v16, v112
	v_mov_b64_e32 v[28:29], v[124:125]
	v_mov_b64_e32 v[2:3], v[98:99]
	v_mov_b64_e32 v[4:5], v[100:101]
	v_mov_b64_e32 v[6:7], v[102:103]
	v_mov_b64_e32 v[8:9], v[104:105]
	v_mov_b64_e32 v[10:11], v[106:107]
	v_mov_b64_e32 v[12:13], v[108:109]
	v_mov_b64_e32 v[14:15], v[110:111]
	v_mov_b32_e32 v17, v113
	v_mov_b32_e32 v18, v114
	;; [unrolled: 1-line block ×10, first 2 shown]
	v_mov_b64_e32 v[30:31], v[126:127]
	scratch_store_dwordx4 off, v[0:3], off offset:8 ; 16-byte Folded Spill
	s_nop 0
	scratch_store_dwordx4 off, v[4:7], off offset:24 ; 16-byte Folded Spill
	scratch_store_dwordx4 off, v[8:11], off offset:40 ; 16-byte Folded Spill
	scratch_store_dwordx4 off, v[12:15], off offset:56 ; 16-byte Folded Spill
	scratch_store_dwordx4 off, v[16:19], off offset:72 ; 16-byte Folded Spill
	scratch_store_dwordx4 off, v[20:23], off offset:88 ; 16-byte Folded Spill
	scratch_store_dwordx4 off, v[24:27], off offset:104 ; 16-byte Folded Spill
	scratch_store_dwordx4 off, v[28:31], off offset:120 ; 16-byte Folded Spill
	v_mov_b64_e32 v[0:1], v[32:33]
	s_nop 0
	v_mov_b64_e32 v[30:31], v[62:63]
	scratch_store_dwordx4 off, v[224:227], off offset:920 ; 16-byte Folded Spill
	s_nop 0
	scratch_store_dwordx4 off, v[228:231], off offset:936 ; 16-byte Folded Spill
	scratch_store_dwordx4 off, v[232:235], off offset:952 ; 16-byte Folded Spill
	scratch_store_dwordx4 off, v[236:239], off offset:968 ; 16-byte Folded Spill
	scratch_store_dwordx4 off, v[240:243], off offset:984 ; 16-byte Folded Spill
	scratch_store_dwordx4 off, v[244:247], off offset:1000 ; 16-byte Folded Spill
	scratch_store_dwordx4 off, v[248:251], off offset:1016 ; 16-byte Folded Spill
	scratch_store_dwordx4 off, v[252:255], off offset:1032 ; 16-byte Folded Spill
	v_mov_b64_e32 v[2:3], v[34:35]
	v_mov_b64_e32 v[4:5], v[36:37]
	;; [unrolled: 1-line block ×14, first 2 shown]
	v_mov_b32_e32 v30, v158
	v_mov_b32_e32 v31, v159
	;; [unrolled: 1-line block ×3, first 2 shown]
.LBB63_101:
	s_or_b64 exec, exec, s[2:3]
	s_waitcnt lgkmcnt(0)
	s_barrier
	scratch_load_dword v62, off, off        ; 4-byte Folded Reload
	v_mov_b64_e32 v[152:153], v[150:151]
	s_waitcnt vmcnt(0)
	v_cmp_eq_u32_e32 vcc, 20, v62
	s_and_saveexec_b64 s[2:3], vcc
	s_cbranch_execz .LBB63_104
; %bb.102:
	scratch_load_dword v62, off, off offset:4 ; 4-byte Folded Reload
	s_waitcnt vmcnt(0)
	ds_write_b32 v62, v225
	ds_write2_b32 v128, v21, v22 offset0:21 offset1:22
	ds_write2_b32 v128, v23, v24 offset0:23 offset1:24
	;; [unrolled: 1-line block ×5, first 2 shown]
	ds_write_b32 v128, v159 offset:124
	ds_read_b32 v62, v62
	s_waitcnt lgkmcnt(0)
	v_cmp_neq_f32_e32 vcc, 0, v62
	s_and_b64 exec, exec, vcc
	s_cbranch_execz .LBB63_104
; %bb.103:
	v_div_scale_f32 v63, s[4:5], v62, v62, 1.0
	v_rcp_f32_e32 v93, v63
	v_div_scale_f32 v124, vcc, 1.0, v62, 1.0
	v_fma_f32 v148, -v63, v93, 1.0
	v_fmac_f32_e32 v93, v148, v93
	v_mul_f32_e32 v148, v124, v93
	v_fma_f32 v149, -v63, v148, v124
	v_fmac_f32_e32 v148, v149, v93
	v_fma_f32 v63, -v63, v148, v124
	v_div_fmas_f32 v63, v63, v93, v148
	v_div_fixup_f32 v62, v63, v62, 1.0
	scratch_load_dword v63, off, off offset:4 ; 4-byte Folded Reload
	s_waitcnt vmcnt(0)
	ds_write_b32 v63, v62
.LBB63_104:
	s_or_b64 exec, exec, s[2:3]
	s_waitcnt lgkmcnt(0)
	s_barrier
	scratch_load_dword v62, off, off offset:4 ; 4-byte Folded Reload
	s_waitcnt vmcnt(0)
	ds_read_b32 v148, v62
	scratch_load_dword v62, off, off        ; 4-byte Folded Reload
	s_waitcnt vmcnt(0)
	v_cmp_lt_u32_e32 vcc, 20, v62
	s_and_saveexec_b64 s[2:3], vcc
	s_cbranch_execz .LBB63_106
; %bb.105:
	v_mov_b32_e32 v1, v225
	scratch_load_dwordx4 v[224:227], off, off offset:920 ; 16-byte Folded Reload
	scratch_load_dwordx4 v[228:231], off, off offset:936 ; 16-byte Folded Reload
	;; [unrolled: 1-line block ×8, first 2 shown]
	s_waitcnt vmcnt(2) lgkmcnt(0)
	v_mul_f32_e32 v244, v1, v148
	ds_read2_b32 v[0:1], v128 offset0:21 offset1:22
	ds_read2_b32 v[4:5], v128 offset0:23 offset1:24
	;; [unrolled: 1-line block ×4, first 2 shown]
	v_mov_b32_e32 v2, v21
	v_mov_b32_e32 v3, v22
	s_waitcnt lgkmcnt(3)
	v_pk_fma_f32 v[196:197], v[244:245], v[0:1], v[2:3] op_sel_hi:[0,1,1] neg_lo:[1,0,0] neg_hi:[1,0,0]
	v_mov_b32_e32 v0, v23
	v_mov_b32_e32 v1, v24
	s_waitcnt lgkmcnt(2)
	v_pk_fma_f32 v[34:35], v[244:245], v[4:5], v[0:1] op_sel_hi:[0,1,1] neg_lo:[1,0,0] neg_hi:[1,0,0]
	ds_read2_b32 v[2:3], v128 offset0:29 offset1:30
	ds_read_b32 v4, v128 offset:124
	v_mov_b32_e32 v0, v25
	v_mov_b32_e32 v1, v26
	s_waitcnt lgkmcnt(3)
	v_pk_fma_f32 v[32:33], v[244:245], v[6:7], v[0:1] op_sel_hi:[0,1,1] neg_lo:[1,0,0] neg_hi:[1,0,0]
	v_mov_b32_e32 v0, v27
	v_mov_b32_e32 v1, v28
	s_waitcnt vmcnt(0)
	v_mov_b64_e32 v[160:161], v[224:225]
	s_waitcnt lgkmcnt(2)
	v_pk_fma_f32 v[132:133], v[244:245], v[8:9], v[0:1] op_sel_hi:[0,1,1] neg_lo:[1,0,0] neg_hi:[1,0,0]
	v_mov_b32_e32 v0, v29
	v_mov_b32_e32 v1, v30
	v_mov_b64_e32 v[176:177], v[240:241]
	v_mov_b64_e32 v[180:181], v[244:245]
	;; [unrolled: 1-line block ×3, first 2 shown]
	s_waitcnt lgkmcnt(1)
	v_pk_fma_f32 v[130:131], v[244:245], v[2:3], v[0:1] op_sel_hi:[0,1,1] neg_lo:[1,0,0] neg_hi:[1,0,0]
	s_waitcnt lgkmcnt(0)
	v_fma_f32 v159, -v244, v4, v159
	v_mov_b64_e32 v[162:163], v[226:227]
	v_mov_b64_e32 v[164:165], v[228:229]
	;; [unrolled: 1-line block ×12, first 2 shown]
	v_mov_b32_e32 v181, v196
	v_mov_b64_e32 v[0:1], v[160:161]
	v_mov_b32_e32 v23, v183
	v_mov_b64_e32 v[16:17], v[176:177]
	v_mov_b64_e32 v[2:3], v[162:163]
	;; [unrolled: 1-line block ×8, first 2 shown]
	v_mov_b32_e32 v24, v184
	v_mov_b32_e32 v25, v185
	;; [unrolled: 1-line block ×8, first 2 shown]
	v_mov_b64_e32 v[18:19], v[178:179]
	v_mov_b64_e32 v[20:21], v[180:181]
	scratch_store_dwordx4 off, v[0:3], off offset:656 ; 16-byte Folded Spill
	s_nop 0
	scratch_store_dwordx4 off, v[4:7], off offset:672 ; 16-byte Folded Spill
	scratch_store_dwordx4 off, v[8:11], off offset:688 ; 16-byte Folded Spill
	;; [unrolled: 1-line block ×7, first 2 shown]
	v_mov_b32_e32 v182, v197
	v_mov_b32_e32 v16, v176
	;; [unrolled: 1-line block ×10, first 2 shown]
	v_mov_b64_e32 v[194:195], v[34:35]
	v_mov_b64_e32 v[152:153], v[32:33]
	scratch_store_dwordx4 off, v[0:3], off offset:528 ; 16-byte Folded Spill
	s_nop 0
	scratch_store_dwordx4 off, v[4:7], off offset:544 ; 16-byte Folded Spill
	scratch_store_dwordx4 off, v[8:11], off offset:560 ; 16-byte Folded Spill
	;; [unrolled: 1-line block ×7, first 2 shown]
	v_mov_b64_e32 v[16:17], v[176:177]
	v_mov_b32_e32 v25, v185
	v_mov_b64_e32 v[18:19], v[178:179]
	v_mov_b64_e32 v[20:21], v[180:181]
	;; [unrolled: 1-line block ×3, first 2 shown]
	v_mov_b32_e32 v26, v186
	v_mov_b32_e32 v27, v187
	;; [unrolled: 1-line block ×7, first 2 shown]
	v_mov_b64_e32 v[96:97], v[160:161]
	v_mov_b64_e32 v[112:113], v[176:177]
	;; [unrolled: 1-line block ×15, first 2 shown]
	scratch_store_dwordx4 off, v[0:3], off offset:400 ; 16-byte Folded Spill
	s_nop 0
	scratch_store_dwordx4 off, v[4:7], off offset:416 ; 16-byte Folded Spill
	scratch_store_dwordx4 off, v[8:11], off offset:432 ; 16-byte Folded Spill
	;; [unrolled: 1-line block ×7, first 2 shown]
	v_mov_b32_e32 v16, v176
	v_mov_b64_e32 v[26:27], v[186:187]
	v_mov_b32_e32 v17, v177
	v_mov_b32_e32 v18, v178
	;; [unrolled: 1-line block ×8, first 2 shown]
	v_mov_b64_e32 v[28:29], v[188:189]
	v_mov_b64_e32 v[30:31], v[190:191]
	;; [unrolled: 1-line block ×3, first 2 shown]
	v_mov_b32_e32 v122, v33
	v_mov_b32_e32 v123, v132
	v_mov_b64_e32 v[32:33], v[96:97]
	v_mov_b64_e32 v[60:61], v[124:125]
	;; [unrolled: 1-line block ×12, first 2 shown]
	scratch_store_dwordx4 off, v[0:3], off offset:272 ; 16-byte Folded Spill
	s_nop 0
	scratch_store_dwordx4 off, v[4:7], off offset:288 ; 16-byte Folded Spill
	scratch_store_dwordx4 off, v[8:11], off offset:304 ; 16-byte Folded Spill
	;; [unrolled: 1-line block ×7, first 2 shown]
	v_mov_b64_e32 v[16:17], v[176:177]
	v_mov_b32_e32 v27, v187
	v_mov_b64_e32 v[18:19], v[178:179]
	v_mov_b64_e32 v[20:21], v[180:181]
	;; [unrolled: 1-line block ×4, first 2 shown]
	v_mov_b32_e32 v28, v188
	v_mov_b32_e32 v29, v189
	;; [unrolled: 1-line block ×4, first 2 shown]
	v_mov_b64_e32 v[54:55], v[118:119]
	v_mov_b64_e32 v[56:57], v[120:121]
	;; [unrolled: 1-line block ×4, first 2 shown]
	v_mov_b32_e32 v60, v133
	v_mov_b32_e32 v61, v130
	v_mov_b64_e32 v[174:175], v[46:47]
	v_mov_b64_e32 v[186:187], v[58:59]
	;; [unrolled: 1-line block ×11, first 2 shown]
	scratch_store_dwordx4 off, v[0:3], off offset:144 ; 16-byte Folded Spill
	s_nop 0
	scratch_store_dwordx4 off, v[4:7], off offset:160 ; 16-byte Folded Spill
	scratch_store_dwordx4 off, v[8:11], off offset:176 ; 16-byte Folded Spill
	;; [unrolled: 1-line block ×7, first 2 shown]
	v_mov_b64_e32 v[0:1], v[96:97]
	v_mov_b32_e32 v16, v112
	v_mov_b64_e32 v[28:29], v[124:125]
	v_mov_b64_e32 v[2:3], v[98:99]
	;; [unrolled: 1-line block ×8, first 2 shown]
	v_mov_b32_e32 v17, v113
	v_mov_b32_e32 v18, v114
	;; [unrolled: 1-line block ×10, first 2 shown]
	v_mov_b64_e32 v[30:31], v[126:127]
	v_mov_b64_e32 v[180:181], v[52:53]
	;; [unrolled: 1-line block ×5, first 2 shown]
	v_mov_b32_e32 v188, v133
	scratch_store_dwordx4 off, v[0:3], off offset:8 ; 16-byte Folded Spill
	s_nop 0
	scratch_store_dwordx4 off, v[4:7], off offset:24 ; 16-byte Folded Spill
	scratch_store_dwordx4 off, v[8:11], off offset:40 ; 16-byte Folded Spill
	;; [unrolled: 1-line block ×7, first 2 shown]
	v_mov_b64_e32 v[0:1], v[32:33]
	s_nop 0
	v_mov_b64_e32 v[30:31], v[62:63]
	v_mov_b64_e32 v[2:3], v[34:35]
	;; [unrolled: 1-line block ×15, first 2 shown]
	v_mov_b32_e32 v30, v131
	v_mov_b32_e32 v31, v159
	scratch_store_dwordx4 off, v[224:227], off offset:792 ; 16-byte Folded Spill
	s_nop 0
	scratch_store_dwordx4 off, v[228:231], off offset:808 ; 16-byte Folded Spill
	scratch_store_dwordx4 off, v[232:235], off offset:824 ; 16-byte Folded Spill
	;; [unrolled: 1-line block ×7, first 2 shown]
.LBB63_106:
	s_or_b64 exec, exec, s[2:3]
	s_waitcnt lgkmcnt(0)
	s_barrier
	scratch_load_dword v62, off, off        ; 4-byte Folded Reload
	s_waitcnt vmcnt(0)
	v_cmp_eq_u32_e32 vcc, 21, v62
	s_and_saveexec_b64 s[2:3], vcc
	s_cbranch_execz .LBB63_109
; %bb.107:
	scratch_load_dword v62, off, off offset:4 ; 4-byte Folded Reload
	s_waitcnt vmcnt(0)
	ds_write_b32 v62, v196
	ds_write2_b64 v128, v[22:23], v[24:25] offset0:11 offset1:12
	ds_write2_b64 v128, v[26:27], v[28:29] offset0:13 offset1:14
	ds_write_b64 v128, v[30:31] offset:120
	ds_read_b32 v62, v62
	s_waitcnt lgkmcnt(0)
	v_cmp_neq_f32_e32 vcc, 0, v62
	s_and_b64 exec, exec, vcc
	s_cbranch_execz .LBB63_109
; %bb.108:
	v_div_scale_f32 v63, s[4:5], v62, v62, 1.0
	v_rcp_f32_e32 v93, v63
	v_div_scale_f32 v124, vcc, 1.0, v62, 1.0
	v_fma_f32 v149, -v63, v93, 1.0
	v_fmac_f32_e32 v93, v149, v93
	v_mul_f32_e32 v149, v124, v93
	v_fma_f32 v150, -v63, v149, v124
	v_fmac_f32_e32 v149, v150, v93
	v_fma_f32 v63, -v63, v149, v124
	v_div_fmas_f32 v63, v63, v93, v149
	v_div_fixup_f32 v62, v63, v62, 1.0
	scratch_load_dword v63, off, off offset:4 ; 4-byte Folded Reload
	s_waitcnt vmcnt(0)
	ds_write_b32 v63, v62
.LBB63_109:
	s_or_b64 exec, exec, s[2:3]
	s_waitcnt lgkmcnt(0)
	s_barrier
	scratch_load_dword v62, off, off offset:4 ; 4-byte Folded Reload
	s_waitcnt vmcnt(0)
	ds_read_b32 v149, v62
	scratch_load_dword v62, off, off        ; 4-byte Folded Reload
	s_waitcnt vmcnt(0)
	v_cmp_lt_u32_e32 vcc, 21, v62
	s_and_saveexec_b64 s[2:3], vcc
	s_cbranch_execz .LBB63_111
; %bb.110:
	ds_read2_b64 v[0:3], v128 offset0:11 offset1:12
	ds_read2_b64 v[4:7], v128 offset0:13 offset1:14
	ds_read_b64 v[10:11], v128 offset:120
	scratch_load_dwordx4 v[224:227], off, off offset:792 ; 16-byte Folded Reload
	scratch_load_dwordx4 v[228:231], off, off offset:808 ; 16-byte Folded Reload
	;; [unrolled: 1-line block ×8, first 2 shown]
	s_waitcnt lgkmcnt(3)
	v_mul_f32_e32 v8, v196, v149
	s_waitcnt vmcnt(2)
	v_mov_b32_e32 v245, v8
	s_waitcnt lgkmcnt(2)
	v_pk_fma_f32 v[150:151], v[8:9], v[0:1], v[22:23] op_sel_hi:[0,1,1] neg_lo:[1,0,0] neg_hi:[1,0,0]
	v_pk_fma_f32 v[152:153], v[8:9], v[2:3], v[24:25] op_sel_hi:[0,1,1] neg_lo:[1,0,0] neg_hi:[1,0,0]
	s_waitcnt lgkmcnt(1)
	v_pk_fma_f32 v[154:155], v[8:9], v[4:5], v[26:27] op_sel_hi:[0,1,1] neg_lo:[1,0,0] neg_hi:[1,0,0]
	v_pk_fma_f32 v[156:157], v[8:9], v[6:7], v[28:29] op_sel_hi:[0,1,1] neg_lo:[1,0,0] neg_hi:[1,0,0]
	s_waitcnt lgkmcnt(0)
	v_pk_fma_f32 v[158:159], v[8:9], v[10:11], v[30:31] op_sel_hi:[0,1,1] neg_lo:[1,0,0] neg_hi:[1,0,0]
	v_mov_b32_e32 v197, v150
	v_mov_b32_e32 v194, v151
	;; [unrolled: 1-line block ×7, first 2 shown]
	s_waitcnt vmcnt(0)
	v_mov_b64_e32 v[160:161], v[224:225]
	v_mov_b64_e32 v[176:177], v[240:241]
	;; [unrolled: 1-line block ×16, first 2 shown]
	v_mov_b32_e32 v182, v150
	v_mov_b64_e32 v[0:1], v[160:161]
	v_mov_b64_e32 v[24:25], v[184:185]
	v_mov_b32_e32 v16, v176
	v_mov_b64_e32 v[2:3], v[162:163]
	v_mov_b64_e32 v[4:5], v[164:165]
	;; [unrolled: 1-line block ×10, first 2 shown]
	v_mov_b32_e32 v17, v177
	v_mov_b32_e32 v18, v178
	;; [unrolled: 1-line block ×6, first 2 shown]
	scratch_store_dwordx4 off, v[0:3], off offset:528 ; 16-byte Folded Spill
	s_nop 0
	scratch_store_dwordx4 off, v[4:7], off offset:544 ; 16-byte Folded Spill
	scratch_store_dwordx4 off, v[8:11], off offset:560 ; 16-byte Folded Spill
	;; [unrolled: 1-line block ×7, first 2 shown]
	v_mov_b32_e32 v183, v151
	v_mov_b64_e32 v[16:17], v[176:177]
	v_mov_b64_e32 v[18:19], v[178:179]
	;; [unrolled: 1-line block ×4, first 2 shown]
	v_mov_b32_e32 v184, v152
	v_mov_b32_e32 v185, v153
	v_mov_b64_e32 v[96:97], v[160:161]
	v_mov_b64_e32 v[112:113], v[176:177]
	;; [unrolled: 1-line block ×16, first 2 shown]
	v_mov_b32_e32 v122, v154
	v_mov_b32_e32 v123, v155
	v_mov_b64_e32 v[32:33], v[96:97]
	v_mov_b64_e32 v[60:61], v[124:125]
	;; [unrolled: 1-line block ×13, first 2 shown]
	scratch_store_dwordx4 off, v[0:3], off offset:400 ; 16-byte Folded Spill
	s_nop 0
	scratch_store_dwordx4 off, v[4:7], off offset:416 ; 16-byte Folded Spill
	scratch_store_dwordx4 off, v[8:11], off offset:432 ; 16-byte Folded Spill
	scratch_store_dwordx4 off, v[12:15], off offset:448 ; 16-byte Folded Spill
	scratch_store_dwordx4 off, v[16:19], off offset:464 ; 16-byte Folded Spill
	scratch_store_dwordx4 off, v[20:23], off offset:480 ; 16-byte Folded Spill
	scratch_store_dwordx4 off, v[24:27], off offset:496 ; 16-byte Folded Spill
	scratch_store_dwordx4 off, v[28:31], off offset:512 ; 16-byte Folded Spill
	v_mov_b32_e32 v16, v176
	v_mov_b64_e32 v[26:27], v[186:187]
	v_mov_b32_e32 v17, v177
	v_mov_b32_e32 v18, v178
	v_mov_b32_e32 v19, v179
	v_mov_b32_e32 v20, v180
	v_mov_b32_e32 v21, v181
	v_mov_b32_e32 v22, v182
	v_mov_b32_e32 v23, v183
	v_mov_b32_e32 v24, v184
	v_mov_b64_e32 v[28:29], v[188:189]
	v_mov_b64_e32 v[30:31], v[190:191]
	;; [unrolled: 1-line block ×5, first 2 shown]
	v_mov_b32_e32 v60, v156
	v_mov_b32_e32 v61, v157
	v_mov_b64_e32 v[174:175], v[46:47]
	v_mov_b64_e32 v[172:173], v[44:45]
	;; [unrolled: 1-line block ×8, first 2 shown]
	v_mov_b32_e32 v152, v153
	v_mov_b32_e32 v153, v154
	scratch_store_dwordx4 off, v[0:3], off offset:272 ; 16-byte Folded Spill
	s_nop 0
	scratch_store_dwordx4 off, v[4:7], off offset:288 ; 16-byte Folded Spill
	scratch_store_dwordx4 off, v[8:11], off offset:304 ; 16-byte Folded Spill
	;; [unrolled: 1-line block ×7, first 2 shown]
	v_mov_b64_e32 v[16:17], v[176:177]
	v_mov_b32_e32 v27, v187
	v_mov_b64_e32 v[18:19], v[178:179]
	v_mov_b64_e32 v[20:21], v[180:181]
	;; [unrolled: 1-line block ×4, first 2 shown]
	v_mov_b32_e32 v28, v188
	v_mov_b32_e32 v29, v189
	;; [unrolled: 1-line block ×4, first 2 shown]
	v_mov_b64_e32 v[186:187], v[58:59]
	v_mov_b64_e32 v[184:185], v[56:57]
	;; [unrolled: 1-line block ×7, first 2 shown]
	v_mov_b32_e32 v188, v156
	scratch_store_dwordx4 off, v[0:3], off offset:144 ; 16-byte Folded Spill
	s_nop 0
	scratch_store_dwordx4 off, v[4:7], off offset:160 ; 16-byte Folded Spill
	scratch_store_dwordx4 off, v[8:11], off offset:176 ; 16-byte Folded Spill
	;; [unrolled: 1-line block ×7, first 2 shown]
	v_mov_b64_e32 v[0:1], v[96:97]
	v_mov_b32_e32 v16, v112
	v_mov_b64_e32 v[28:29], v[124:125]
	v_mov_b64_e32 v[2:3], v[98:99]
	;; [unrolled: 1-line block ×8, first 2 shown]
	v_mov_b32_e32 v17, v113
	v_mov_b32_e32 v18, v114
	;; [unrolled: 1-line block ×10, first 2 shown]
	v_mov_b64_e32 v[30:31], v[126:127]
	scratch_store_dwordx4 off, v[0:3], off offset:8 ; 16-byte Folded Spill
	s_nop 0
	scratch_store_dwordx4 off, v[4:7], off offset:24 ; 16-byte Folded Spill
	scratch_store_dwordx4 off, v[8:11], off offset:40 ; 16-byte Folded Spill
	;; [unrolled: 1-line block ×7, first 2 shown]
	v_mov_b64_e32 v[0:1], v[32:33]
	s_nop 0
	v_mov_b64_e32 v[30:31], v[62:63]
	v_mov_b64_e32 v[2:3], v[34:35]
	;; [unrolled: 1-line block ×15, first 2 shown]
	v_mov_b32_e32 v30, v158
	v_mov_b32_e32 v31, v159
	scratch_store_dwordx4 off, v[224:227], off offset:656 ; 16-byte Folded Spill
	s_nop 0
	scratch_store_dwordx4 off, v[228:231], off offset:672 ; 16-byte Folded Spill
	scratch_store_dwordx4 off, v[232:235], off offset:688 ; 16-byte Folded Spill
	;; [unrolled: 1-line block ×7, first 2 shown]
.LBB63_111:
	s_or_b64 exec, exec, s[2:3]
	s_waitcnt lgkmcnt(0)
	s_barrier
	scratch_load_dword v62, off, off        ; 4-byte Folded Reload
	v_mov_b64_e32 v[192:193], v[152:153]
	s_waitcnt vmcnt(0)
	v_cmp_eq_u32_e32 vcc, 22, v62
	s_and_saveexec_b64 s[2:3], vcc
	s_cbranch_execz .LBB63_114
; %bb.112:
	scratch_load_dword v62, off, off offset:4 ; 4-byte Folded Reload
	s_waitcnt vmcnt(0)
	ds_write_b32 v62, v197
	ds_write2_b32 v128, v23, v24 offset0:23 offset1:24
	ds_write2_b32 v128, v25, v26 offset0:25 offset1:26
	;; [unrolled: 1-line block ×4, first 2 shown]
	ds_write_b32 v128, v159 offset:124
	ds_read_b32 v62, v62
	s_waitcnt lgkmcnt(0)
	v_cmp_neq_f32_e32 vcc, 0, v62
	s_and_b64 exec, exec, vcc
	s_cbranch_execz .LBB63_114
; %bb.113:
	v_div_scale_f32 v63, s[4:5], v62, v62, 1.0
	v_rcp_f32_e32 v93, v63
	v_div_scale_f32 v124, vcc, 1.0, v62, 1.0
	v_fma_f32 v150, -v63, v93, 1.0
	v_fmac_f32_e32 v93, v150, v93
	v_mul_f32_e32 v150, v124, v93
	v_fma_f32 v151, -v63, v150, v124
	v_fmac_f32_e32 v150, v151, v93
	v_fma_f32 v63, -v63, v150, v124
	v_div_fmas_f32 v63, v63, v93, v150
	v_div_fixup_f32 v62, v63, v62, 1.0
	scratch_load_dword v63, off, off offset:4 ; 4-byte Folded Reload
	s_waitcnt vmcnt(0)
	ds_write_b32 v63, v62
.LBB63_114:
	s_or_b64 exec, exec, s[2:3]
	s_waitcnt lgkmcnt(0)
	s_barrier
	scratch_load_dword v62, off, off offset:4 ; 4-byte Folded Reload
	s_waitcnt vmcnt(0)
	ds_read_b32 v150, v62
	scratch_load_dword v62, off, off        ; 4-byte Folded Reload
	s_waitcnt vmcnt(0)
	v_cmp_lt_u32_e32 vcc, 22, v62
	s_and_saveexec_b64 s[2:3], vcc
	s_cbranch_execz .LBB63_116
; %bb.115:
	scratch_load_dwordx4 v[224:227], off, off offset:656 ; 16-byte Folded Reload
	scratch_load_dwordx4 v[228:231], off, off offset:672 ; 16-byte Folded Reload
	;; [unrolled: 1-line block ×8, first 2 shown]
	ds_read2_b32 v[0:1], v128 offset0:23 offset1:24
	s_waitcnt vmcnt(2) lgkmcnt(1)
	v_mul_f32_e32 v246, v197, v150
	v_mov_b32_e32 v2, v23
	v_mov_b32_e32 v3, v24
	ds_read2_b32 v[4:5], v128 offset0:25 offset1:26
	ds_read2_b32 v[6:7], v128 offset0:27 offset1:28
	;; [unrolled: 1-line block ×3, first 2 shown]
	s_waitcnt lgkmcnt(3)
	v_pk_fma_f32 v[194:195], v[246:247], v[0:1], v[2:3] op_sel_hi:[0,1,1] neg_lo:[1,0,0] neg_hi:[1,0,0]
	ds_read_b32 v2, v128 offset:124
	v_mov_b32_e32 v0, v25
	v_mov_b32_e32 v1, v26
	s_waitcnt lgkmcnt(3)
	v_pk_fma_f32 v[32:33], v[246:247], v[4:5], v[0:1] op_sel_hi:[0,1,1] neg_lo:[1,0,0] neg_hi:[1,0,0]
	v_mov_b32_e32 v0, v27
	v_mov_b32_e32 v1, v28
	s_waitcnt vmcnt(0)
	v_mov_b64_e32 v[160:161], v[224:225]
	s_waitcnt lgkmcnt(2)
	v_pk_fma_f32 v[132:133], v[246:247], v[6:7], v[0:1] op_sel_hi:[0,1,1] neg_lo:[1,0,0] neg_hi:[1,0,0]
	v_mov_b32_e32 v0, v29
	v_mov_b32_e32 v1, v30
	v_mov_b64_e32 v[176:177], v[240:241]
	v_mov_b64_e32 v[182:183], v[246:247]
	;; [unrolled: 1-line block ×3, first 2 shown]
	s_waitcnt lgkmcnt(1)
	v_pk_fma_f32 v[130:131], v[246:247], v[8:9], v[0:1] op_sel_hi:[0,1,1] neg_lo:[1,0,0] neg_hi:[1,0,0]
	s_waitcnt lgkmcnt(0)
	v_fma_f32 v159, -v246, v2, v159
	v_mov_b64_e32 v[162:163], v[226:227]
	v_mov_b64_e32 v[164:165], v[228:229]
	;; [unrolled: 1-line block ×12, first 2 shown]
	v_mov_b32_e32 v183, v194
	v_mov_b64_e32 v[0:1], v[160:161]
	v_mov_b64_e32 v[16:17], v[176:177]
	v_mov_b32_e32 v25, v185
	v_mov_b64_e32 v[2:3], v[162:163]
	v_mov_b64_e32 v[4:5], v[164:165]
	;; [unrolled: 1-line block ×10, first 2 shown]
	v_mov_b32_e32 v26, v186
	v_mov_b32_e32 v27, v187
	;; [unrolled: 1-line block ×6, first 2 shown]
	scratch_store_dwordx4 off, v[0:3], off offset:400 ; 16-byte Folded Spill
	s_nop 0
	scratch_store_dwordx4 off, v[4:7], off offset:416 ; 16-byte Folded Spill
	scratch_store_dwordx4 off, v[8:11], off offset:432 ; 16-byte Folded Spill
	;; [unrolled: 1-line block ×7, first 2 shown]
	v_mov_b32_e32 v184, v195
	v_mov_b32_e32 v16, v176
	;; [unrolled: 1-line block ×11, first 2 shown]
	v_mov_b64_e32 v[96:97], v[160:161]
	v_mov_b64_e32 v[112:113], v[176:177]
	;; [unrolled: 1-line block ×16, first 2 shown]
	v_mov_b32_e32 v122, v33
	v_mov_b64_e32 v[192:193], v[32:33]
	v_mov_b32_e32 v123, v132
	v_mov_b64_e32 v[32:33], v[96:97]
	scratch_store_dwordx4 off, v[0:3], off offset:272 ; 16-byte Folded Spill
	s_nop 0
	scratch_store_dwordx4 off, v[4:7], off offset:288 ; 16-byte Folded Spill
	scratch_store_dwordx4 off, v[8:11], off offset:304 ; 16-byte Folded Spill
	;; [unrolled: 1-line block ×7, first 2 shown]
	v_mov_b64_e32 v[16:17], v[176:177]
	v_mov_b32_e32 v27, v187
	v_mov_b64_e32 v[18:19], v[178:179]
	v_mov_b64_e32 v[20:21], v[180:181]
	;; [unrolled: 1-line block ×4, first 2 shown]
	v_mov_b32_e32 v28, v188
	v_mov_b32_e32 v29, v189
	;; [unrolled: 1-line block ×4, first 2 shown]
	v_mov_b64_e32 v[60:61], v[124:125]
	v_mov_b64_e32 v[34:35], v[98:99]
	;; [unrolled: 1-line block ×15, first 2 shown]
	v_mov_b32_e32 v60, v133
	v_mov_b32_e32 v61, v130
	v_mov_b64_e32 v[174:175], v[46:47]
	v_mov_b64_e32 v[186:187], v[58:59]
	;; [unrolled: 1-line block ×4, first 2 shown]
	scratch_store_dwordx4 off, v[0:3], off offset:144 ; 16-byte Folded Spill
	s_nop 0
	scratch_store_dwordx4 off, v[4:7], off offset:160 ; 16-byte Folded Spill
	scratch_store_dwordx4 off, v[8:11], off offset:176 ; 16-byte Folded Spill
	;; [unrolled: 1-line block ×7, first 2 shown]
	v_mov_b64_e32 v[0:1], v[96:97]
	v_mov_b32_e32 v16, v112
	v_mov_b64_e32 v[28:29], v[124:125]
	v_mov_b64_e32 v[2:3], v[98:99]
	;; [unrolled: 1-line block ×8, first 2 shown]
	v_mov_b32_e32 v17, v113
	v_mov_b32_e32 v18, v114
	;; [unrolled: 1-line block ×10, first 2 shown]
	v_mov_b64_e32 v[30:31], v[126:127]
	v_mov_b64_e32 v[168:169], v[40:41]
	;; [unrolled: 1-line block ×11, first 2 shown]
	scratch_store_dwordx4 off, v[0:3], off offset:8 ; 16-byte Folded Spill
	s_nop 0
	scratch_store_dwordx4 off, v[4:7], off offset:24 ; 16-byte Folded Spill
	scratch_store_dwordx4 off, v[8:11], off offset:40 ; 16-byte Folded Spill
	;; [unrolled: 1-line block ×7, first 2 shown]
	v_mov_b64_e32 v[0:1], v[32:33]
	s_nop 0
	v_mov_b64_e32 v[30:31], v[62:63]
	v_mov_b64_e32 v[190:191], v[62:63]
	v_mov_b32_e32 v188, v133
	v_mov_b64_e32 v[2:3], v[34:35]
	v_mov_b64_e32 v[4:5], v[36:37]
	;; [unrolled: 1-line block ×14, first 2 shown]
	v_mov_b32_e32 v30, v131
	v_mov_b32_e32 v31, v159
	scratch_store_dwordx4 off, v[224:227], off offset:528 ; 16-byte Folded Spill
	s_nop 0
	scratch_store_dwordx4 off, v[228:231], off offset:544 ; 16-byte Folded Spill
	scratch_store_dwordx4 off, v[232:235], off offset:560 ; 16-byte Folded Spill
	;; [unrolled: 1-line block ×7, first 2 shown]
.LBB63_116:
	s_or_b64 exec, exec, s[2:3]
	s_waitcnt lgkmcnt(0)
	s_barrier
	scratch_load_dword v62, off, off        ; 4-byte Folded Reload
	s_waitcnt vmcnt(0)
	v_cmp_eq_u32_e32 vcc, 23, v62
	s_and_saveexec_b64 s[2:3], vcc
	s_cbranch_execz .LBB63_119
; %bb.117:
	scratch_load_dword v62, off, off offset:4 ; 4-byte Folded Reload
	s_waitcnt vmcnt(0)
	ds_write_b32 v62, v194
	ds_write2_b64 v128, v[24:25], v[26:27] offset0:12 offset1:13
	ds_write2_b64 v128, v[28:29], v[30:31] offset0:14 offset1:15
	ds_read_b32 v62, v62
	s_waitcnt lgkmcnt(0)
	v_cmp_neq_f32_e32 vcc, 0, v62
	s_and_b64 exec, exec, vcc
	s_cbranch_execz .LBB63_119
; %bb.118:
	v_div_scale_f32 v63, s[4:5], v62, v62, 1.0
	v_rcp_f32_e32 v93, v63
	v_div_scale_f32 v124, vcc, 1.0, v62, 1.0
	v_fma_f32 v151, -v63, v93, 1.0
	v_fmac_f32_e32 v93, v151, v93
	v_mul_f32_e32 v151, v124, v93
	v_fma_f32 v152, -v63, v151, v124
	v_fmac_f32_e32 v151, v152, v93
	v_fma_f32 v63, -v63, v151, v124
	v_div_fmas_f32 v63, v63, v93, v151
	v_div_fixup_f32 v62, v63, v62, 1.0
	scratch_load_dword v63, off, off offset:4 ; 4-byte Folded Reload
	s_waitcnt vmcnt(0)
	ds_write_b32 v63, v62
.LBB63_119:
	s_or_b64 exec, exec, s[2:3]
	s_waitcnt lgkmcnt(0)
	s_barrier
	scratch_load_dword v62, off, off offset:4 ; 4-byte Folded Reload
	s_waitcnt vmcnt(0)
	ds_read_b32 v151, v62
	scratch_load_dword v62, off, off        ; 4-byte Folded Reload
	s_waitcnt vmcnt(0)
	v_cmp_lt_u32_e32 vcc, 23, v62
	s_and_saveexec_b64 s[2:3], vcc
	s_cbranch_execz .LBB63_121
; %bb.120:
	ds_read2_b64 v[0:3], v128 offset0:12 offset1:13
	ds_read2_b64 v[4:7], v128 offset0:14 offset1:15
	scratch_load_dwordx4 v[224:227], off, off offset:528 ; 16-byte Folded Reload
	scratch_load_dwordx4 v[228:231], off, off offset:544 ; 16-byte Folded Reload
	;; [unrolled: 1-line block ×8, first 2 shown]
	s_waitcnt lgkmcnt(2)
	v_mul_f32_e32 v8, v194, v151
	s_waitcnt vmcnt(2)
	v_mov_b32_e32 v247, v8
	s_waitcnt lgkmcnt(1)
	v_pk_fma_f32 v[152:153], v[8:9], v[0:1], v[24:25] op_sel_hi:[0,1,1] neg_lo:[1,0,0] neg_hi:[1,0,0]
	v_pk_fma_f32 v[154:155], v[8:9], v[2:3], v[26:27] op_sel_hi:[0,1,1] neg_lo:[1,0,0] neg_hi:[1,0,0]
	s_waitcnt lgkmcnt(0)
	v_pk_fma_f32 v[156:157], v[8:9], v[4:5], v[28:29] op_sel_hi:[0,1,1] neg_lo:[1,0,0] neg_hi:[1,0,0]
	v_pk_fma_f32 v[158:159], v[8:9], v[6:7], v[30:31] op_sel_hi:[0,1,1] neg_lo:[1,0,0] neg_hi:[1,0,0]
	v_mov_b32_e32 v195, v152
	v_mov_b32_e32 v192, v153
	;; [unrolled: 1-line block ×7, first 2 shown]
	s_waitcnt vmcnt(0)
	v_mov_b64_e32 v[160:161], v[224:225]
	v_mov_b64_e32 v[176:177], v[240:241]
	;; [unrolled: 1-line block ×16, first 2 shown]
	v_mov_b32_e32 v184, v152
	v_mov_b64_e32 v[0:1], v[160:161]
	v_mov_b32_e32 v16, v176
	v_mov_b64_e32 v[26:27], v[186:187]
	v_mov_b64_e32 v[2:3], v[162:163]
	;; [unrolled: 1-line block ×8, first 2 shown]
	v_mov_b32_e32 v17, v177
	v_mov_b32_e32 v18, v178
	;; [unrolled: 1-line block ×8, first 2 shown]
	v_mov_b64_e32 v[28:29], v[188:189]
	v_mov_b64_e32 v[30:31], v[190:191]
	scratch_store_dwordx4 off, v[0:3], off offset:272 ; 16-byte Folded Spill
	s_nop 0
	scratch_store_dwordx4 off, v[4:7], off offset:288 ; 16-byte Folded Spill
	scratch_store_dwordx4 off, v[8:11], off offset:304 ; 16-byte Folded Spill
	;; [unrolled: 1-line block ×7, first 2 shown]
	v_mov_b32_e32 v185, v153
	v_mov_b64_e32 v[16:17], v[176:177]
	v_mov_b64_e32 v[18:19], v[178:179]
	;; [unrolled: 1-line block ×21, first 2 shown]
	v_mov_b32_e32 v122, v154
	v_mov_b32_e32 v123, v155
	v_mov_b64_e32 v[32:33], v[96:97]
	v_mov_b64_e32 v[60:61], v[124:125]
	;; [unrolled: 1-line block ×14, first 2 shown]
	scratch_store_dwordx4 off, v[0:3], off offset:144 ; 16-byte Folded Spill
	s_nop 0
	scratch_store_dwordx4 off, v[4:7], off offset:160 ; 16-byte Folded Spill
	scratch_store_dwordx4 off, v[8:11], off offset:176 ; 16-byte Folded Spill
	;; [unrolled: 1-line block ×7, first 2 shown]
	v_mov_b64_e32 v[0:1], v[96:97]
	v_mov_b32_e32 v16, v112
	v_mov_b64_e32 v[28:29], v[124:125]
	v_mov_b64_e32 v[2:3], v[98:99]
	;; [unrolled: 1-line block ×8, first 2 shown]
	v_mov_b32_e32 v17, v113
	v_mov_b32_e32 v18, v114
	;; [unrolled: 1-line block ×10, first 2 shown]
	v_mov_b64_e32 v[30:31], v[126:127]
	v_mov_b64_e32 v[58:59], v[122:123]
	;; [unrolled: 1-line block ×3, first 2 shown]
	v_mov_b32_e32 v60, v156
	v_mov_b32_e32 v61, v157
	v_mov_b64_e32 v[174:175], v[46:47]
	v_mov_b64_e32 v[186:187], v[58:59]
	;; [unrolled: 1-line block ×13, first 2 shown]
	scratch_store_dwordx4 off, v[0:3], off offset:8 ; 16-byte Folded Spill
	s_nop 0
	scratch_store_dwordx4 off, v[4:7], off offset:24 ; 16-byte Folded Spill
	scratch_store_dwordx4 off, v[8:11], off offset:40 ; 16-byte Folded Spill
	;; [unrolled: 1-line block ×7, first 2 shown]
	v_mov_b64_e32 v[0:1], v[32:33]
	s_nop 0
	v_mov_b64_e32 v[30:31], v[62:63]
	v_mov_b64_e32 v[176:177], v[48:49]
	v_mov_b64_e32 v[190:191], v[62:63]
	v_mov_b32_e32 v188, v156
	v_mov_b64_e32 v[2:3], v[34:35]
	v_mov_b64_e32 v[4:5], v[36:37]
	;; [unrolled: 1-line block ×14, first 2 shown]
	v_mov_b32_e32 v30, v158
	v_mov_b32_e32 v31, v159
	scratch_store_dwordx4 off, v[224:227], off offset:400 ; 16-byte Folded Spill
	s_nop 0
	scratch_store_dwordx4 off, v[228:231], off offset:416 ; 16-byte Folded Spill
	scratch_store_dwordx4 off, v[232:235], off offset:432 ; 16-byte Folded Spill
	;; [unrolled: 1-line block ×7, first 2 shown]
.LBB63_121:
	s_or_b64 exec, exec, s[2:3]
	s_waitcnt lgkmcnt(0)
	s_barrier
	scratch_load_dword v62, off, off        ; 4-byte Folded Reload
	s_waitcnt vmcnt(0)
	v_cmp_eq_u32_e32 vcc, 24, v62
	s_and_saveexec_b64 s[2:3], vcc
	s_cbranch_execz .LBB63_124
; %bb.122:
	scratch_load_dword v62, off, off offset:4 ; 4-byte Folded Reload
	s_waitcnt vmcnt(0)
	ds_write_b32 v62, v195
	ds_write2_b32 v128, v25, v26 offset0:25 offset1:26
	ds_write2_b32 v128, v27, v28 offset0:27 offset1:28
	;; [unrolled: 1-line block ×3, first 2 shown]
	ds_write_b32 v128, v159 offset:124
	ds_read_b32 v62, v62
	s_waitcnt lgkmcnt(0)
	v_cmp_neq_f32_e32 vcc, 0, v62
	s_and_b64 exec, exec, vcc
	s_cbranch_execz .LBB63_124
; %bb.123:
	v_div_scale_f32 v63, s[4:5], v62, v62, 1.0
	v_rcp_f32_e32 v93, v63
	v_div_scale_f32 v124, vcc, 1.0, v62, 1.0
	v_fma_f32 v152, -v63, v93, 1.0
	v_fmac_f32_e32 v93, v152, v93
	v_mul_f32_e32 v152, v124, v93
	v_fma_f32 v153, -v63, v152, v124
	v_fmac_f32_e32 v152, v153, v93
	v_fma_f32 v63, -v63, v152, v124
	v_div_fmas_f32 v63, v63, v93, v152
	v_div_fixup_f32 v62, v63, v62, 1.0
	scratch_load_dword v63, off, off offset:4 ; 4-byte Folded Reload
	s_waitcnt vmcnt(0)
	ds_write_b32 v63, v62
.LBB63_124:
	s_or_b64 exec, exec, s[2:3]
	s_waitcnt lgkmcnt(0)
	s_barrier
	scratch_load_dword v62, off, off offset:4 ; 4-byte Folded Reload
	s_waitcnt vmcnt(0)
	ds_read_b32 v152, v62
	scratch_load_dword v62, off, off        ; 4-byte Folded Reload
	s_waitcnt vmcnt(0)
	v_cmp_lt_u32_e32 vcc, 24, v62
	s_and_saveexec_b64 s[2:3], vcc
	s_cbranch_execz .LBB63_126
; %bb.125:
	scratch_load_dwordx4 v[224:227], off, off offset:400 ; 16-byte Folded Reload
	scratch_load_dwordx4 v[228:231], off, off offset:416 ; 16-byte Folded Reload
	scratch_load_dwordx4 v[232:235], off, off offset:432 ; 16-byte Folded Reload
	scratch_load_dwordx4 v[236:239], off, off offset:448 ; 16-byte Folded Reload
	scratch_load_dwordx4 v[240:243], off, off offset:464 ; 16-byte Folded Reload
	scratch_load_dwordx4 v[244:247], off, off offset:480 ; 16-byte Folded Reload
	scratch_load_dwordx4 v[248:251], off, off offset:496 ; 16-byte Folded Reload
	scratch_load_dwordx4 v[252:255], off, off offset:512 ; 16-byte Folded Reload
	ds_read2_b32 v[0:1], v128 offset0:25 offset1:26
	ds_read2_b32 v[4:5], v128 offset0:27 offset1:28
	;; [unrolled: 1-line block ×3, first 2 shown]
	ds_read_b32 v8, v128 offset:124
	s_waitcnt vmcnt(1) lgkmcnt(4)
	v_mul_f32_e32 v248, v195, v152
	v_mov_b32_e32 v2, v25
	v_mov_b32_e32 v3, v26
	s_waitcnt lgkmcnt(0)
	v_fma_f32 v159, -v248, v8, v159
	v_pk_fma_f32 v[192:193], v[248:249], v[0:1], v[2:3] op_sel_hi:[0,1,1] neg_lo:[1,0,0] neg_hi:[1,0,0]
	v_mov_b32_e32 v0, v27
	v_mov_b32_e32 v1, v28
	s_waitcnt vmcnt(0)
	v_mov_b64_e32 v[160:161], v[224:225]
	v_pk_fma_f32 v[132:133], v[248:249], v[4:5], v[0:1] op_sel_hi:[0,1,1] neg_lo:[1,0,0] neg_hi:[1,0,0]
	v_mov_b32_e32 v0, v29
	v_mov_b32_e32 v1, v30
	v_mov_b64_e32 v[176:177], v[240:241]
	v_mov_b64_e32 v[184:185], v[248:249]
	;; [unrolled: 1-line block ×3, first 2 shown]
	v_pk_fma_f32 v[130:131], v[248:249], v[6:7], v[0:1] op_sel_hi:[0,1,1] neg_lo:[1,0,0] neg_hi:[1,0,0]
	v_mov_b64_e32 v[162:163], v[226:227]
	v_mov_b64_e32 v[164:165], v[228:229]
	;; [unrolled: 1-line block ×12, first 2 shown]
	v_mov_b32_e32 v185, v192
	v_mov_b64_e32 v[0:1], v[160:161]
	v_mov_b64_e32 v[16:17], v[176:177]
	v_mov_b32_e32 v27, v187
	v_mov_b64_e32 v[2:3], v[162:163]
	v_mov_b64_e32 v[4:5], v[164:165]
	;; [unrolled: 1-line block ×11, first 2 shown]
	v_mov_b32_e32 v28, v188
	v_mov_b32_e32 v29, v189
	;; [unrolled: 1-line block ×4, first 2 shown]
	scratch_store_dwordx4 off, v[0:3], off offset:144 ; 16-byte Folded Spill
	s_nop 0
	scratch_store_dwordx4 off, v[4:7], off offset:160 ; 16-byte Folded Spill
	scratch_store_dwordx4 off, v[8:11], off offset:176 ; 16-byte Folded Spill
	;; [unrolled: 1-line block ×7, first 2 shown]
	v_mov_b64_e32 v[96:97], v[160:161]
	v_mov_b64_e32 v[112:113], v[176:177]
	;; [unrolled: 1-line block ×16, first 2 shown]
	v_mov_b32_e32 v122, v193
	v_mov_b64_e32 v[0:1], v[96:97]
	v_mov_b32_e32 v16, v112
	v_mov_b64_e32 v[28:29], v[124:125]
	v_mov_b64_e32 v[2:3], v[98:99]
	;; [unrolled: 1-line block ×8, first 2 shown]
	v_mov_b32_e32 v17, v113
	v_mov_b32_e32 v18, v114
	;; [unrolled: 1-line block ×10, first 2 shown]
	v_mov_b64_e32 v[30:31], v[126:127]
	v_mov_b32_e32 v123, v132
	v_mov_b64_e32 v[32:33], v[96:97]
	scratch_store_dwordx4 off, v[0:3], off offset:8 ; 16-byte Folded Spill
	s_nop 0
	scratch_store_dwordx4 off, v[4:7], off offset:24 ; 16-byte Folded Spill
	scratch_store_dwordx4 off, v[8:11], off offset:40 ; 16-byte Folded Spill
	;; [unrolled: 1-line block ×7, first 2 shown]
	v_mov_b64_e32 v[60:61], v[124:125]
	v_mov_b64_e32 v[34:35], v[98:99]
	;; [unrolled: 1-line block ×15, first 2 shown]
	v_mov_b32_e32 v60, v133
	v_mov_b32_e32 v61, v130
	v_mov_b64_e32 v[0:1], v[32:33]
	v_mov_b64_e32 v[174:175], v[46:47]
	;; [unrolled: 1-line block ×17, first 2 shown]
	v_mov_b32_e32 v188, v133
	v_mov_b64_e32 v[2:3], v[34:35]
	v_mov_b64_e32 v[4:5], v[36:37]
	v_mov_b64_e32 v[6:7], v[38:39]
	v_mov_b64_e32 v[8:9], v[40:41]
	v_mov_b64_e32 v[10:11], v[42:43]
	v_mov_b64_e32 v[12:13], v[44:45]
	v_mov_b64_e32 v[14:15], v[46:47]
	v_mov_b64_e32 v[16:17], v[48:49]
	v_mov_b64_e32 v[18:19], v[50:51]
	v_mov_b64_e32 v[20:21], v[52:53]
	v_mov_b64_e32 v[22:23], v[54:55]
	v_mov_b64_e32 v[24:25], v[56:57]
	v_mov_b64_e32 v[26:27], v[58:59]
	v_mov_b64_e32 v[28:29], v[60:61]
	v_mov_b32_e32 v30, v131
	v_mov_b32_e32 v31, v159
	scratch_store_dwordx4 off, v[224:227], off offset:272 ; 16-byte Folded Spill
	s_nop 0
	scratch_store_dwordx4 off, v[228:231], off offset:288 ; 16-byte Folded Spill
	scratch_store_dwordx4 off, v[232:235], off offset:304 ; 16-byte Folded Spill
	scratch_store_dwordx4 off, v[236:239], off offset:320 ; 16-byte Folded Spill
	scratch_store_dwordx4 off, v[240:243], off offset:336 ; 16-byte Folded Spill
	scratch_store_dwordx4 off, v[244:247], off offset:352 ; 16-byte Folded Spill
	scratch_store_dwordx4 off, v[248:251], off offset:368 ; 16-byte Folded Spill
	scratch_store_dwordx4 off, v[252:255], off offset:384 ; 16-byte Folded Spill
.LBB63_126:
	s_or_b64 exec, exec, s[2:3]
	s_waitcnt lgkmcnt(0)
	s_barrier
	scratch_load_dword v62, off, off        ; 4-byte Folded Reload
	s_waitcnt vmcnt(0)
	v_cmp_eq_u32_e32 vcc, 25, v62
	s_and_saveexec_b64 s[2:3], vcc
	s_cbranch_execz .LBB63_129
; %bb.127:
	scratch_load_dword v62, off, off offset:4 ; 4-byte Folded Reload
	s_waitcnt vmcnt(0)
	ds_write_b32 v62, v192
	ds_write2_b64 v128, v[26:27], v[28:29] offset0:13 offset1:14
	ds_write_b64 v128, v[30:31] offset:120
	ds_read_b32 v62, v62
	s_waitcnt lgkmcnt(0)
	v_cmp_neq_f32_e32 vcc, 0, v62
	s_and_b64 exec, exec, vcc
	s_cbranch_execz .LBB63_129
; %bb.128:
	v_div_scale_f32 v63, s[4:5], v62, v62, 1.0
	v_rcp_f32_e32 v93, v63
	v_div_scale_f32 v124, vcc, 1.0, v62, 1.0
	v_fma_f32 v153, -v63, v93, 1.0
	v_fmac_f32_e32 v93, v153, v93
	v_mul_f32_e32 v153, v124, v93
	v_fma_f32 v154, -v63, v153, v124
	v_fmac_f32_e32 v153, v154, v93
	v_fma_f32 v63, -v63, v153, v124
	v_div_fmas_f32 v63, v63, v93, v153
	v_div_fixup_f32 v62, v63, v62, 1.0
	scratch_load_dword v63, off, off offset:4 ; 4-byte Folded Reload
	s_waitcnt vmcnt(0)
	ds_write_b32 v63, v62
.LBB63_129:
	s_or_b64 exec, exec, s[2:3]
	s_waitcnt lgkmcnt(0)
	s_barrier
	scratch_load_dword v62, off, off offset:4 ; 4-byte Folded Reload
	s_waitcnt vmcnt(0)
	ds_read_b32 v153, v62
	scratch_load_dword v62, off, off        ; 4-byte Folded Reload
	s_waitcnt vmcnt(0)
	v_cmp_lt_u32_e32 vcc, 25, v62
	s_mov_b64 s[2:3], exec
	scratch_load_dwordx4 v[224:227], off, off offset:8 ; 16-byte Folded Reload
	scratch_load_dwordx4 v[228:231], off, off offset:24 ; 16-byte Folded Reload
	;; [unrolled: 1-line block ×8, first 2 shown]
	s_and_b64 s[4:5], s[2:3], vcc
	s_mov_b64 exec, s[4:5]
	s_cbranch_execz .LBB63_131
; %bb.130:
	ds_read2_b64 v[0:3], v128 offset0:13 offset1:14
	ds_read_b64 v[4:5], v128 offset:120
	s_waitcnt lgkmcnt(2)
	v_mul_f32_e32 v6, v192, v153
	scratch_load_dwordx4 v[192:195], off, off offset:272 ; 16-byte Folded Reload
	scratch_load_dwordx4 v[196:199], off, off offset:288 ; 16-byte Folded Reload
	;; [unrolled: 1-line block ×8, first 2 shown]
	s_waitcnt vmcnt(1)
	v_mov_b32_e32 v217, v6
	s_waitcnt lgkmcnt(1)
	v_pk_fma_f32 v[154:155], v[6:7], v[0:1], v[26:27] op_sel_hi:[0,1,1] neg_lo:[1,0,0] neg_hi:[1,0,0]
	v_pk_fma_f32 v[156:157], v[6:7], v[2:3], v[28:29] op_sel_hi:[0,1,1] neg_lo:[1,0,0] neg_hi:[1,0,0]
	s_waitcnt lgkmcnt(0)
	v_pk_fma_f32 v[158:159], v[6:7], v[4:5], v[30:31] op_sel_hi:[0,1,1] neg_lo:[1,0,0] neg_hi:[1,0,0]
	v_mov_b32_e32 v188, v156
	v_mov_b32_e32 v132, v155
	;; [unrolled: 1-line block ×5, first 2 shown]
	s_waitcnt vmcnt(0)
	v_mov_b64_e32 v[254:255], v[222:223]
	v_mov_b64_e32 v[250:251], v[218:219]
	v_mov_b64_e32 v[224:225], v[192:193]
	v_mov_b64_e32 v[252:253], v[220:221]
	v_mov_b64_e32 v[248:249], v[216:217]
	v_mov_b64_e32 v[246:247], v[214:215]
	v_mov_b64_e32 v[244:245], v[212:213]
	v_mov_b64_e32 v[242:243], v[210:211]
	v_mov_b64_e32 v[240:241], v[208:209]
	v_mov_b64_e32 v[238:239], v[206:207]
	v_mov_b64_e32 v[236:237], v[204:205]
	v_mov_b64_e32 v[234:235], v[202:203]
	v_mov_b64_e32 v[232:233], v[200:201]
	v_mov_b64_e32 v[230:231], v[198:199]
	v_mov_b64_e32 v[228:229], v[196:197]
	v_mov_b64_e32 v[226:227], v[194:195]
	v_mov_b32_e32 v250, v154
	v_mov_b64_e32 v[96:97], v[224:225]
	v_mov_b64_e32 v[122:123], v[250:251]
	v_mov_b64_e32 v[98:99], v[226:227]
	v_mov_b64_e32 v[100:101], v[228:229]
	v_mov_b64_e32 v[102:103], v[230:231]
	v_mov_b64_e32 v[104:105], v[232:233]
	v_mov_b64_e32 v[106:107], v[234:235]
	v_mov_b64_e32 v[108:109], v[236:237]
	v_mov_b64_e32 v[110:111], v[238:239]
	v_mov_b64_e32 v[112:113], v[240:241]
	v_mov_b64_e32 v[114:115], v[242:243]
	v_mov_b64_e32 v[116:117], v[244:245]
	v_mov_b64_e32 v[118:119], v[246:247]
	v_mov_b64_e32 v[120:121], v[248:249]
	v_mov_b64_e32 v[124:125], v[252:253]
	v_mov_b64_e32 v[126:127], v[254:255]
	v_mov_b32_e32 v123, v155
	;; [unrolled: 17-line block ×3, first 2 shown]
	v_mov_b32_e32 v61, v157
	v_mov_b64_e32 v[0:1], v[32:33]
	v_mov_b64_e32 v[174:175], v[46:47]
	;; [unrolled: 1-line block ×4, first 2 shown]
	scratch_store_dwordx4 off, v[192:195], off offset:144 ; 16-byte Folded Spill
	s_nop 0
	scratch_store_dwordx4 off, v[196:199], off offset:160 ; 16-byte Folded Spill
	scratch_store_dwordx4 off, v[200:203], off offset:176 ; 16-byte Folded Spill
	;; [unrolled: 1-line block ×7, first 2 shown]
	v_mov_b64_e32 v[172:173], v[44:45]
	v_mov_b64_e32 v[170:171], v[42:43]
	v_mov_b64_e32 v[168:169], v[40:41]
	v_mov_b64_e32 v[166:167], v[38:39]
	v_mov_b64_e32 v[164:165], v[36:37]
	v_mov_b64_e32 v[162:163], v[34:35]
	v_mov_b64_e32 v[160:161], v[32:33]
	v_mov_b64_e32 v[184:185], v[56:57]
	v_mov_b64_e32 v[182:183], v[54:55]
	v_mov_b64_e32 v[180:181], v[52:53]
	v_mov_b64_e32 v[178:179], v[50:51]
	v_mov_b64_e32 v[176:177], v[48:49]
	v_mov_b64_e32 v[190:191], v[62:63]
	v_mov_b64_e32 v[2:3], v[34:35]
	v_mov_b64_e32 v[4:5], v[36:37]
	v_mov_b64_e32 v[6:7], v[38:39]
	v_mov_b64_e32 v[8:9], v[40:41]
	v_mov_b64_e32 v[10:11], v[42:43]
	v_mov_b64_e32 v[12:13], v[44:45]
	v_mov_b64_e32 v[14:15], v[46:47]
	v_mov_b64_e32 v[16:17], v[48:49]
	v_mov_b64_e32 v[18:19], v[50:51]
	v_mov_b64_e32 v[20:21], v[52:53]
	v_mov_b64_e32 v[22:23], v[54:55]
	v_mov_b64_e32 v[24:25], v[56:57]
	v_mov_b64_e32 v[26:27], v[58:59]
	v_mov_b64_e32 v[28:29], v[60:61]
	v_mov_b32_e32 v30, v158
	v_mov_b32_e32 v31, v159
	;; [unrolled: 1-line block ×3, first 2 shown]
.LBB63_131:
	s_or_b64 exec, exec, s[2:3]
	s_waitcnt lgkmcnt(0)
	s_barrier
	scratch_load_dword v62, off, off        ; 4-byte Folded Reload
	s_waitcnt vmcnt(0)
	v_cmp_eq_u32_e32 vcc, 26, v62
	s_and_saveexec_b64 s[2:3], vcc
	s_cbranch_execz .LBB63_134
; %bb.132:
	scratch_load_dword v62, off, off offset:4 ; 4-byte Folded Reload
	s_waitcnt vmcnt(0)
	ds_write_b32 v62, v193
	ds_write2_b32 v128, v27, v28 offset0:27 offset1:28
	ds_write2_b32 v128, v29, v30 offset0:29 offset1:30
	ds_write_b32 v128, v159 offset:124
	ds_read_b32 v62, v62
	s_waitcnt lgkmcnt(0)
	v_cmp_neq_f32_e32 vcc, 0, v62
	s_and_b64 exec, exec, vcc
	s_cbranch_execz .LBB63_134
; %bb.133:
	v_div_scale_f32 v63, s[4:5], v62, v62, 1.0
	v_rcp_f32_e32 v93, v63
	v_div_scale_f32 v124, vcc, 1.0, v62, 1.0
	v_fma_f32 v154, -v63, v93, 1.0
	v_fmac_f32_e32 v93, v154, v93
	v_mul_f32_e32 v154, v124, v93
	v_fma_f32 v155, -v63, v154, v124
	v_fmac_f32_e32 v154, v155, v93
	v_fma_f32 v63, -v63, v154, v124
	v_div_fmas_f32 v63, v63, v93, v154
	v_div_fixup_f32 v62, v63, v62, 1.0
	scratch_load_dword v63, off, off offset:4 ; 4-byte Folded Reload
	s_waitcnt vmcnt(0)
	ds_write_b32 v63, v62
.LBB63_134:
	s_or_b64 exec, exec, s[2:3]
	s_waitcnt lgkmcnt(0)
	s_barrier
	scratch_load_dword v62, off, off offset:4 ; 4-byte Folded Reload
	s_waitcnt vmcnt(0)
	ds_read_b32 v154, v62
	scratch_load_dword v62, off, off        ; 4-byte Folded Reload
	s_waitcnt vmcnt(0)
	v_cmp_lt_u32_e32 vcc, 26, v62
	s_mov_b64 s[2:3], exec
	v_mov_b64_e32 v[64:65], v[160:161]
	v_mov_b64_e32 v[80:81], v[176:177]
	s_and_b64 s[4:5], s[2:3], vcc
	v_mov_b64_e32 v[66:67], v[162:163]
	v_mov_b64_e32 v[68:69], v[164:165]
	;; [unrolled: 1-line block ×13, first 2 shown]
	v_mov_b32_e32 v92, v188
	s_mov_b64 exec, s[4:5]
	s_cbranch_execz .LBB63_136
; %bb.135:
	scratch_load_dwordx4 v[160:163], off, off offset:144 ; 16-byte Folded Reload
	scratch_load_dwordx4 v[164:167], off, off offset:160 ; 16-byte Folded Reload
	;; [unrolled: 1-line block ×8, first 2 shown]
	ds_read2_b32 v[0:1], v128 offset0:27 offset1:28
	s_waitcnt vmcnt(1) lgkmcnt(1)
	v_mul_f32_e32 v186, v193, v154
	v_mov_b32_e32 v2, v27
	v_mov_b32_e32 v3, v28
	ds_read2_b32 v[4:5], v128 offset0:29 offset1:30
	ds_read_b32 v6, v128 offset:124
	s_waitcnt lgkmcnt(0)
	v_fma_f32 v159, -v186, v6, v159
	v_pk_fma_f32 v[132:133], v[186:187], v[0:1], v[2:3] op_sel_hi:[0,1,1] neg_lo:[1,0,0] neg_hi:[1,0,0]
	s_waitcnt vmcnt(0)
	v_mov_b64_e32 v[96:97], v[160:161]
	v_mov_b64_e32 v[122:123], v[186:187]
	;; [unrolled: 1-line block ×16, first 2 shown]
	v_mov_b32_e32 v123, v132
	v_mov_b64_e32 v[64:65], v[96:97]
	v_mov_b64_e32 v[92:93], v[124:125]
	v_mov_b32_e32 v0, v29
	v_mov_b32_e32 v1, v30
	v_mov_b64_e32 v[66:67], v[98:99]
	v_mov_b64_e32 v[68:69], v[100:101]
	;; [unrolled: 1-line block ×14, first 2 shown]
	v_mov_b32_e32 v92, v133
	v_mov_b64_e32 v[32:33], v[64:65]
	v_pk_fma_f32 v[130:131], v[186:187], v[4:5], v[0:1] op_sel_hi:[0,1,1] neg_lo:[1,0,0] neg_hi:[1,0,0]
	v_mov_b64_e32 v[60:61], v[92:93]
	v_mov_b64_e32 v[34:35], v[66:67]
	;; [unrolled: 1-line block ×15, first 2 shown]
	v_mov_b32_e32 v61, v130
	v_mov_b64_e32 v[0:1], v[32:33]
	v_mov_b64_e32 v[30:31], v[62:63]
	;; [unrolled: 1-line block ×17, first 2 shown]
	v_mov_b32_e32 v30, v131
	v_mov_b32_e32 v31, v159
	v_mov_b64_e32 v[252:253], v[188:189]
	v_mov_b64_e32 v[250:251], v[186:187]
	;; [unrolled: 1-line block ×15, first 2 shown]
.LBB63_136:
	s_or_b64 exec, exec, s[2:3]
	s_waitcnt lgkmcnt(0)
	s_barrier
	scratch_load_dword v62, off, off        ; 4-byte Folded Reload
	s_waitcnt vmcnt(0)
	v_cmp_eq_u32_e32 vcc, 27, v62
	s_and_saveexec_b64 s[2:3], vcc
	s_cbranch_execz .LBB63_139
; %bb.137:
	scratch_load_dword v62, off, off offset:4 ; 4-byte Folded Reload
	s_waitcnt vmcnt(0)
	ds_write_b32 v62, v132
	ds_write2_b64 v128, v[28:29], v[30:31] offset0:14 offset1:15
	ds_read_b32 v62, v62
	s_waitcnt lgkmcnt(0)
	v_cmp_neq_f32_e32 vcc, 0, v62
	s_and_b64 exec, exec, vcc
	s_cbranch_execz .LBB63_139
; %bb.138:
	v_div_scale_f32 v63, s[4:5], v62, v62, 1.0
	v_rcp_f32_e32 v93, v63
	v_div_scale_f32 v124, vcc, 1.0, v62, 1.0
	v_fma_f32 v155, -v63, v93, 1.0
	v_fmac_f32_e32 v93, v155, v93
	v_mul_f32_e32 v155, v124, v93
	v_fma_f32 v156, -v63, v155, v124
	v_fmac_f32_e32 v155, v156, v93
	v_fma_f32 v63, -v63, v155, v124
	v_div_fmas_f32 v63, v63, v93, v155
	v_div_fixup_f32 v62, v63, v62, 1.0
	scratch_load_dword v63, off, off offset:4 ; 4-byte Folded Reload
	s_waitcnt vmcnt(0)
	ds_write_b32 v63, v62
.LBB63_139:
	s_or_b64 exec, exec, s[2:3]
	s_waitcnt lgkmcnt(0)
	s_barrier
	scratch_load_dword v62, off, off offset:4 ; 4-byte Folded Reload
	s_waitcnt vmcnt(0)
	ds_read_b32 v155, v62
	scratch_load_dword v62, off, off        ; 4-byte Folded Reload
	s_waitcnt vmcnt(0)
	v_cmp_lt_u32_e32 vcc, 27, v62
	s_and_saveexec_b64 s[2:3], vcc
	s_cbranch_execz .LBB63_141
; %bb.140:
	ds_read2_b64 v[0:3], v128 offset0:14 offset1:15
	s_waitcnt lgkmcnt(1)
	v_mul_f32_e32 v4, v132, v155
	v_mov_b32_e32 v251, v4
	v_mov_b64_e32 v[64:65], v[224:225]
	v_mov_b64_e32 v[92:93], v[252:253]
	s_waitcnt lgkmcnt(0)
	v_pk_fma_f32 v[156:157], v[4:5], v[0:1], v[28:29] op_sel_hi:[0,1,1] neg_lo:[1,0,0] neg_hi:[1,0,0]
	v_mov_b64_e32 v[66:67], v[226:227]
	v_mov_b64_e32 v[68:69], v[228:229]
	v_mov_b64_e32 v[70:71], v[230:231]
	v_mov_b64_e32 v[72:73], v[232:233]
	v_mov_b64_e32 v[74:75], v[234:235]
	v_mov_b64_e32 v[76:77], v[236:237]
	v_mov_b64_e32 v[78:79], v[238:239]
	v_mov_b64_e32 v[80:81], v[240:241]
	v_mov_b64_e32 v[82:83], v[242:243]
	v_mov_b64_e32 v[84:85], v[244:245]
	v_mov_b64_e32 v[86:87], v[246:247]
	v_mov_b64_e32 v[88:89], v[248:249]
	v_mov_b64_e32 v[90:91], v[250:251]
	v_mov_b64_e32 v[94:95], v[254:255]
	v_mov_b32_e32 v92, v156
	v_mov_b64_e32 v[32:33], v[64:65]
	v_mov_b64_e32 v[60:61], v[92:93]
	v_pk_fma_f32 v[158:159], v[4:5], v[2:3], v[30:31] op_sel_hi:[0,1,1] neg_lo:[1,0,0] neg_hi:[1,0,0]
	v_mov_b64_e32 v[34:35], v[66:67]
	v_mov_b64_e32 v[36:37], v[68:69]
	;; [unrolled: 1-line block ×14, first 2 shown]
	v_mov_b32_e32 v61, v157
	v_mov_b64_e32 v[0:1], v[32:33]
	v_mov_b64_e32 v[30:31], v[62:63]
	;; [unrolled: 1-line block ×17, first 2 shown]
	v_mov_b32_e32 v30, v158
	v_mov_b32_e32 v31, v159
	v_mov_b64_e32 v[98:99], v[226:227]
	v_mov_b64_e32 v[100:101], v[228:229]
	;; [unrolled: 1-line block ×15, first 2 shown]
	v_mov_b32_e32 v133, v156
	v_mov_b32_e32 v130, v157
	;; [unrolled: 1-line block ×3, first 2 shown]
.LBB63_141:
	s_or_b64 exec, exec, s[2:3]
	s_waitcnt lgkmcnt(0)
	s_barrier
	scratch_load_dword v62, off, off        ; 4-byte Folded Reload
	s_waitcnt vmcnt(0)
	v_cmp_eq_u32_e32 vcc, 28, v62
	s_and_saveexec_b64 s[2:3], vcc
	s_cbranch_execz .LBB63_144
; %bb.142:
	scratch_load_dword v62, off, off offset:4 ; 4-byte Folded Reload
	s_waitcnt vmcnt(0)
	ds_write_b32 v62, v133
	ds_write2_b32 v128, v29, v30 offset0:29 offset1:30
	ds_write_b32 v128, v159 offset:124
	ds_read_b32 v62, v62
	s_waitcnt lgkmcnt(0)
	v_cmp_neq_f32_e32 vcc, 0, v62
	s_and_b64 exec, exec, vcc
	s_cbranch_execz .LBB63_144
; %bb.143:
	v_div_scale_f32 v63, s[4:5], v62, v62, 1.0
	v_rcp_f32_e32 v93, v63
	v_div_scale_f32 v124, vcc, 1.0, v62, 1.0
	v_fma_f32 v156, -v63, v93, 1.0
	v_fmac_f32_e32 v93, v156, v93
	v_mul_f32_e32 v156, v124, v93
	v_fma_f32 v157, -v63, v156, v124
	v_fmac_f32_e32 v156, v157, v93
	v_fma_f32 v63, -v63, v156, v124
	v_div_fmas_f32 v63, v63, v93, v156
	v_div_fixup_f32 v62, v63, v62, 1.0
	scratch_load_dword v63, off, off offset:4 ; 4-byte Folded Reload
	s_waitcnt vmcnt(0)
	ds_write_b32 v63, v62
.LBB63_144:
	s_or_b64 exec, exec, s[2:3]
	s_waitcnt lgkmcnt(0)
	s_barrier
	scratch_load_dword v62, off, off offset:4 ; 4-byte Folded Reload
	s_waitcnt vmcnt(0)
	ds_read_b32 v156, v62
	scratch_load_dword v62, off, off        ; 4-byte Folded Reload
	s_waitcnt vmcnt(0)
	v_cmp_lt_u32_e32 vcc, 28, v62
	s_and_saveexec_b64 s[2:3], vcc
	s_cbranch_execz .LBB63_146
; %bb.145:
	ds_read2_b32 v[0:1], v128 offset0:29 offset1:30
	ds_read_b32 v4, v128 offset:124
	s_waitcnt lgkmcnt(2)
	v_mul_f32_e32 v124, v133, v156
	v_mov_b32_e32 v2, v29
	v_mov_b32_e32 v3, v30
	v_mov_b64_e32 v[32:33], v[96:97]
	s_waitcnt lgkmcnt(1)
	v_pk_fma_f32 v[130:131], v[124:125], v[0:1], v[2:3] op_sel_hi:[0,1,1] neg_lo:[1,0,0] neg_hi:[1,0,0]
	v_mov_b64_e32 v[60:61], v[124:125]
	s_waitcnt lgkmcnt(0)
	v_fma_f32 v159, -v124, v4, v159
	v_mov_b64_e32 v[34:35], v[98:99]
	v_mov_b64_e32 v[36:37], v[100:101]
	;; [unrolled: 1-line block ×14, first 2 shown]
	v_mov_b32_e32 v61, v130
	v_mov_b64_e32 v[0:1], v[32:33]
	v_mov_b64_e32 v[30:31], v[62:63]
	;; [unrolled: 1-line block ×17, first 2 shown]
	v_mov_b32_e32 v30, v131
	v_mov_b32_e32 v31, v159
	v_mov_b64_e32 v[66:67], v[98:99]
	v_mov_b64_e32 v[68:69], v[100:101]
	;; [unrolled: 1-line block ×15, first 2 shown]
.LBB63_146:
	s_or_b64 exec, exec, s[2:3]
	s_waitcnt lgkmcnt(0)
	s_barrier
	scratch_load_dword v62, off, off        ; 4-byte Folded Reload
	s_waitcnt vmcnt(0)
	v_cmp_eq_u32_e32 vcc, 29, v62
	s_and_saveexec_b64 s[2:3], vcc
	s_cbranch_execz .LBB63_149
; %bb.147:
	scratch_load_dword v62, off, off offset:4 ; 4-byte Folded Reload
	s_waitcnt vmcnt(0)
	ds_write_b32 v62, v130
	ds_write_b64 v128, v[30:31] offset:120
	ds_read_b32 v62, v62
	s_waitcnt lgkmcnt(0)
	v_cmp_neq_f32_e32 vcc, 0, v62
	s_and_b64 exec, exec, vcc
	s_cbranch_execz .LBB63_149
; %bb.148:
	v_div_scale_f32 v63, s[4:5], v62, v62, 1.0
	v_rcp_f32_e32 v93, v63
	v_div_scale_f32 v96, vcc, 1.0, v62, 1.0
	v_fma_f32 v97, -v63, v93, 1.0
	v_fmac_f32_e32 v93, v97, v93
	v_mul_f32_e32 v97, v96, v93
	v_fma_f32 v98, -v63, v97, v96
	v_fmac_f32_e32 v97, v98, v93
	v_fma_f32 v63, -v63, v97, v96
	v_div_fmas_f32 v63, v63, v93, v97
	v_div_fixup_f32 v62, v63, v62, 1.0
	scratch_load_dword v63, off, off offset:4 ; 4-byte Folded Reload
	s_waitcnt vmcnt(0)
	ds_write_b32 v63, v62
.LBB63_149:
	s_or_b64 exec, exec, s[2:3]
	s_waitcnt lgkmcnt(0)
	s_barrier
	scratch_load_dword v62, off, off offset:4 ; 4-byte Folded Reload
	s_waitcnt vmcnt(0)
	ds_read_b32 v96, v62
	scratch_load_dword v62, off, off        ; 4-byte Folded Reload
	s_waitcnt vmcnt(0)
	v_cmp_lt_u32_e32 vcc, 29, v62
	s_and_saveexec_b64 s[2:3], vcc
	s_cbranch_execz .LBB63_151
; %bb.150:
	ds_read_b64 v[0:1], v128 offset:120
	s_waitcnt lgkmcnt(1)
	v_mul_f32_e32 v2, v130, v96
	v_mov_b32_e32 v93, v2
	v_mov_b64_e32 v[32:33], v[64:65]
	v_mov_b64_e32 v[34:35], v[66:67]
	s_waitcnt lgkmcnt(0)
	v_pk_fma_f32 v[158:159], v[2:3], v[0:1], v[30:31] op_sel_hi:[0,1,1] neg_lo:[1,0,0] neg_hi:[1,0,0]
	v_mov_b64_e32 v[0:1], v[64:65]
	v_mov_b64_e32 v[30:31], v[94:95]
	;; [unrolled: 1-line block ×16, first 2 shown]
	v_mov_b32_e32 v30, v158
	v_mov_b32_e32 v31, v159
	v_mov_b64_e32 v[36:37], v[68:69]
	v_mov_b64_e32 v[38:39], v[70:71]
	;; [unrolled: 1-line block ×13, first 2 shown]
	v_mov_b32_e32 v131, v158
	v_mov_b64_e32 v[62:63], v[94:95]
.LBB63_151:
	s_or_b64 exec, exec, s[2:3]
	s_waitcnt lgkmcnt(0)
	s_barrier
	scratch_load_dword v62, off, off        ; 4-byte Folded Reload
	s_waitcnt vmcnt(0)
	v_cmp_eq_u32_e32 vcc, 30, v62
	s_and_saveexec_b64 s[2:3], vcc
	s_cbranch_execz .LBB63_154
; %bb.152:
	scratch_load_dword v62, off, off offset:4 ; 4-byte Folded Reload
	s_waitcnt vmcnt(0)
	ds_write_b32 v62, v131
	ds_write_b32 v128, v159 offset:124
	ds_read_b32 v62, v62
	s_waitcnt lgkmcnt(0)
	v_cmp_neq_f32_e32 vcc, 0, v62
	s_and_b64 exec, exec, vcc
	s_cbranch_execz .LBB63_154
; %bb.153:
	v_div_scale_f32 v63, s[4:5], v62, v62, 1.0
	v_rcp_f32_e32 v64, v63
	v_div_scale_f32 v65, vcc, 1.0, v62, 1.0
	v_fma_f32 v66, -v63, v64, 1.0
	v_fmac_f32_e32 v64, v66, v64
	v_mul_f32_e32 v66, v65, v64
	v_fma_f32 v67, -v63, v66, v65
	v_fmac_f32_e32 v66, v67, v64
	v_fma_f32 v63, -v63, v66, v65
	v_div_fmas_f32 v63, v63, v64, v66
	v_div_fixup_f32 v62, v63, v62, 1.0
	scratch_load_dword v63, off, off offset:4 ; 4-byte Folded Reload
	s_waitcnt vmcnt(0)
	ds_write_b32 v63, v62
.LBB63_154:
	s_or_b64 exec, exec, s[2:3]
	s_waitcnt lgkmcnt(0)
	s_barrier
	scratch_load_dword v62, off, off offset:4 ; 4-byte Folded Reload
	s_waitcnt vmcnt(0)
	ds_read_b32 v64, v62
	scratch_load_dword v62, off, off        ; 4-byte Folded Reload
	s_waitcnt vmcnt(0)
	v_cmp_lt_u32_e32 vcc, 30, v62
	s_and_saveexec_b64 s[2:3], vcc
	s_cbranch_execz .LBB63_156
; %bb.155:
	ds_read_b32 v0, v128 offset:124
	s_waitcnt lgkmcnt(1)
	v_mul_f32_e32 v62, v131, v64
	s_waitcnt lgkmcnt(0)
	v_fma_f32 v63, -v62, v0, v159
	v_mov_b64_e32 v[0:1], v[32:33]
	v_mov_b64_e32 v[2:3], v[34:35]
	v_mov_b64_e32 v[4:5], v[36:37]
	v_mov_b64_e32 v[6:7], v[38:39]
	v_mov_b64_e32 v[8:9], v[40:41]
	v_mov_b64_e32 v[10:11], v[42:43]
	v_mov_b64_e32 v[12:13], v[44:45]
	v_mov_b64_e32 v[14:15], v[46:47]
	v_mov_b64_e32 v[16:17], v[48:49]
	v_mov_b64_e32 v[18:19], v[50:51]
	v_mov_b64_e32 v[20:21], v[52:53]
	v_mov_b64_e32 v[22:23], v[54:55]
	v_mov_b64_e32 v[24:25], v[56:57]
	v_mov_b64_e32 v[26:27], v[58:59]
	v_mov_b64_e32 v[28:29], v[60:61]
	v_mov_b64_e32 v[30:31], v[62:63]
	v_mov_b32_e32 v159, v63
.LBB63_156:
	s_or_b64 exec, exec, s[2:3]
	s_waitcnt lgkmcnt(0)
	s_barrier
	scratch_load_dword v32, off, off        ; 4-byte Folded Reload
	s_waitcnt vmcnt(0)
	v_cmp_eq_u32_e32 vcc, 31, v32
	s_and_saveexec_b64 s[2:3], vcc
	s_cbranch_execz .LBB63_159
; %bb.157:
	scratch_load_dword v32, off, off offset:4 ; 4-byte Folded Reload
	v_cmp_neq_f32_e32 vcc, 0, v159
	s_waitcnt vmcnt(0)
	ds_write_b32 v32, v159
	s_and_b64 exec, exec, vcc
	s_cbranch_execz .LBB63_159
; %bb.158:
	v_div_scale_f32 v32, s[4:5], v159, v159, 1.0
	v_rcp_f32_e32 v33, v32
	v_div_scale_f32 v34, vcc, 1.0, v159, 1.0
	v_fma_f32 v35, -v32, v33, 1.0
	v_fmac_f32_e32 v33, v35, v33
	v_mul_f32_e32 v35, v34, v33
	v_fma_f32 v36, -v32, v35, v34
	v_fmac_f32_e32 v35, v36, v33
	v_fma_f32 v32, -v32, v35, v34
	v_div_fmas_f32 v32, v32, v33, v35
	scratch_load_dword v33, off, off offset:4 ; 4-byte Folded Reload
	v_div_fixup_f32 v32, v32, v159, 1.0
	s_waitcnt vmcnt(0)
	ds_write_b32 v33, v32
.LBB63_159:
	s_or_b64 exec, exec, s[2:3]
	s_waitcnt lgkmcnt(0)
	s_barrier
	scratch_load_dword v32, off, off offset:4 ; 4-byte Folded Reload
	s_waitcnt vmcnt(0)
	ds_read_b32 v34, v32
	s_waitcnt lgkmcnt(0)
	s_barrier
	s_and_saveexec_b64 s[2:3], s[0:1]
	s_cbranch_execz .LBB63_162
; %bb.160:
	scratch_load_dword v32, off, off offset:3376 ; 4-byte Folded Reload
	scratch_load_dword v33, off, off offset:3380 ; 4-byte Folded Reload
	scratch_load_dwordx2 v[36:37], off, off offset:3388 ; 8-byte Folded Reload
	s_waitcnt vmcnt(2)
	v_cmp_eq_f32_e32 vcc, 0, v32
	s_waitcnt vmcnt(1)
	v_cmp_neq_f32_e64 s[0:1], 0, v33
	scratch_load_dword v33, off, off offset:3384 ; 4-byte Folded Reload
	v_cndmask_b32_e64 v32, 0, 1, vcc
	s_or_b64 vcc, s[0:1], vcc
	v_cndmask_b32_e32 v32, 2, v32, vcc
	v_cmp_eq_u32_e64 s[0:1], 0, v32
	s_waitcnt vmcnt(0)
	v_cmp_eq_f32_e32 vcc, 0, v33
	scratch_load_dword v33, off, off offset:1576 ; 4-byte Folded Reload
	s_and_b64 s[0:1], vcc, s[0:1]
	v_cndmask_b32_e64 v32, v32, 3, s[0:1]
	v_cmp_eq_f32_e32 vcc, 0, v129
	v_cmp_eq_u32_e64 s[0:1], 0, v32
	s_and_b64 s[0:1], vcc, s[0:1]
	s_waitcnt vmcnt(0)
	v_cmp_eq_f32_e32 vcc, 0, v33
	scratch_load_dword v33, off, off offset:2864 ; 4-byte Folded Reload
	v_cndmask_b32_e64 v32, v32, 4, s[0:1]
	v_cmp_eq_u32_e64 s[0:1], 0, v32
	s_and_b64 s[0:1], vcc, s[0:1]
	s_waitcnt vmcnt(0)
	v_cmp_eq_f32_e32 vcc, 0, v33
	v_cndmask_b32_e64 v32, v32, 5, s[0:1]
	v_cmp_eq_u32_e64 s[0:1], 0, v32
	s_and_b64 s[0:1], vcc, s[0:1]
	v_cmp_eq_f32_e32 vcc, 0, v134
	v_cndmask_b32_e64 v32, v32, 6, s[0:1]
	v_cmp_eq_u32_e64 s[0:1], 0, v32
	s_and_b64 s[0:1], vcc, s[0:1]
	;; [unrolled: 4-line block ×7, first 2 shown]
	v_mov_b32_e32 v33, s7
	v_cndmask_b32_e64 v35, v32, 12, s[0:1]
	v_mov_b32_e32 v32, s6
	v_lshl_add_u64 v[32:33], v[36:37], 2, v[32:33]
	global_load_dword v36, v[32:33], off
	v_cmp_eq_f32_e32 vcc, 0, v140
	v_cmp_eq_u32_e64 s[0:1], 0, v35
	s_and_b64 s[0:1], vcc, s[0:1]
	v_cmp_eq_f32_e32 vcc, 0, v141
	v_cndmask_b32_e64 v35, v35, 13, s[0:1]
	v_cmp_eq_u32_e64 s[0:1], 0, v35
	s_and_b64 s[0:1], vcc, s[0:1]
	v_cmp_eq_f32_e32 vcc, 0, v142
	v_cndmask_b32_e64 v35, v35, 14, s[0:1]
	;; [unrolled: 4-line block ×19, first 2 shown]
	v_cmp_eq_u32_e64 s[0:1], 0, v35
	s_and_b64 s[0:1], vcc, s[0:1]
	s_waitcnt vmcnt(0)
	v_cmp_eq_u32_e32 vcc, 0, v36
	v_cndmask_b32_e64 v35, v35, 32, s[0:1]
	v_cmp_ne_u32_e64 s[0:1], 0, v35
	s_and_b64 s[0:1], vcc, s[0:1]
	s_and_b64 exec, exec, s[0:1]
	s_cbranch_execz .LBB63_162
; %bb.161:
	v_add_u32_e32 v35, s9, v35
	global_store_dword v[32:33], v35, off
.LBB63_162:
	s_or_b64 exec, exec, s[2:3]
	scratch_load_dword v33, off, off        ; 4-byte Folded Reload
	v_mul_f32_e32 v32, v159, v34
	s_waitcnt vmcnt(0)
	v_cmp_lt_u32_e32 vcc, 31, v33
	s_nop 1
	v_cndmask_b32_e32 v31, v31, v32, vcc
	scratch_load_dwordx2 v[32:33], off, off offset:3120 ; 8-byte Folded Reload
	s_waitcnt vmcnt(0)
	global_store_dword v[32:33], v0, off
	scratch_load_dwordx2 v[32:33], off, off offset:3368 ; 8-byte Folded Reload
	s_waitcnt vmcnt(0)
	global_store_dword v[32:33], v1, off
	;; [unrolled: 3-line block ×32, first 2 shown]
.LBB63_163:
	s_endpgm
	.section	.rodata,"a",@progbits
	.p2align	6, 0x0
	.amdhsa_kernel _ZN9rocsolver6v33100L23getf2_npvt_small_kernelILi32EfiiPfEEvT1_T3_lS3_lPT2_S3_S3_
		.amdhsa_group_segment_fixed_size 0
		.amdhsa_private_segment_fixed_size 3400
		.amdhsa_kernarg_size 312
		.amdhsa_user_sgpr_count 2
		.amdhsa_user_sgpr_dispatch_ptr 0
		.amdhsa_user_sgpr_queue_ptr 0
		.amdhsa_user_sgpr_kernarg_segment_ptr 1
		.amdhsa_user_sgpr_dispatch_id 0
		.amdhsa_user_sgpr_kernarg_preload_length 0
		.amdhsa_user_sgpr_kernarg_preload_offset 0
		.amdhsa_user_sgpr_private_segment_size 0
		.amdhsa_uses_dynamic_stack 0
		.amdhsa_enable_private_segment 1
		.amdhsa_system_sgpr_workgroup_id_x 1
		.amdhsa_system_sgpr_workgroup_id_y 1
		.amdhsa_system_sgpr_workgroup_id_z 0
		.amdhsa_system_sgpr_workgroup_info 0
		.amdhsa_system_vgpr_workitem_id 1
		.amdhsa_next_free_vgpr 256
		.amdhsa_next_free_sgpr 16
		.amdhsa_accum_offset 256
		.amdhsa_reserve_vcc 1
		.amdhsa_float_round_mode_32 0
		.amdhsa_float_round_mode_16_64 0
		.amdhsa_float_denorm_mode_32 3
		.amdhsa_float_denorm_mode_16_64 3
		.amdhsa_dx10_clamp 1
		.amdhsa_ieee_mode 1
		.amdhsa_fp16_overflow 0
		.amdhsa_tg_split 0
		.amdhsa_exception_fp_ieee_invalid_op 0
		.amdhsa_exception_fp_denorm_src 0
		.amdhsa_exception_fp_ieee_div_zero 0
		.amdhsa_exception_fp_ieee_overflow 0
		.amdhsa_exception_fp_ieee_underflow 0
		.amdhsa_exception_fp_ieee_inexact 0
		.amdhsa_exception_int_div_zero 0
	.end_amdhsa_kernel
	.section	.text._ZN9rocsolver6v33100L23getf2_npvt_small_kernelILi32EfiiPfEEvT1_T3_lS3_lPT2_S3_S3_,"axG",@progbits,_ZN9rocsolver6v33100L23getf2_npvt_small_kernelILi32EfiiPfEEvT1_T3_lS3_lPT2_S3_S3_,comdat
.Lfunc_end63:
	.size	_ZN9rocsolver6v33100L23getf2_npvt_small_kernelILi32EfiiPfEEvT1_T3_lS3_lPT2_S3_S3_, .Lfunc_end63-_ZN9rocsolver6v33100L23getf2_npvt_small_kernelILi32EfiiPfEEvT1_T3_lS3_lPT2_S3_S3_
                                        ; -- End function
	.set _ZN9rocsolver6v33100L23getf2_npvt_small_kernelILi32EfiiPfEEvT1_T3_lS3_lPT2_S3_S3_.num_vgpr, 256
	.set _ZN9rocsolver6v33100L23getf2_npvt_small_kernelILi32EfiiPfEEvT1_T3_lS3_lPT2_S3_S3_.num_agpr, 0
	.set _ZN9rocsolver6v33100L23getf2_npvt_small_kernelILi32EfiiPfEEvT1_T3_lS3_lPT2_S3_S3_.numbered_sgpr, 16
	.set _ZN9rocsolver6v33100L23getf2_npvt_small_kernelILi32EfiiPfEEvT1_T3_lS3_lPT2_S3_S3_.num_named_barrier, 0
	.set _ZN9rocsolver6v33100L23getf2_npvt_small_kernelILi32EfiiPfEEvT1_T3_lS3_lPT2_S3_S3_.private_seg_size, 3400
	.set _ZN9rocsolver6v33100L23getf2_npvt_small_kernelILi32EfiiPfEEvT1_T3_lS3_lPT2_S3_S3_.uses_vcc, 1
	.set _ZN9rocsolver6v33100L23getf2_npvt_small_kernelILi32EfiiPfEEvT1_T3_lS3_lPT2_S3_S3_.uses_flat_scratch, 0
	.set _ZN9rocsolver6v33100L23getf2_npvt_small_kernelILi32EfiiPfEEvT1_T3_lS3_lPT2_S3_S3_.has_dyn_sized_stack, 0
	.set _ZN9rocsolver6v33100L23getf2_npvt_small_kernelILi32EfiiPfEEvT1_T3_lS3_lPT2_S3_S3_.has_recursion, 0
	.set _ZN9rocsolver6v33100L23getf2_npvt_small_kernelILi32EfiiPfEEvT1_T3_lS3_lPT2_S3_S3_.has_indirect_call, 0
	.section	.AMDGPU.csdata,"",@progbits
; Kernel info:
; codeLenInByte = 78120
; TotalNumSgprs: 22
; NumVgprs: 256
; NumAgprs: 0
; TotalNumVgprs: 256
; ScratchSize: 3400
; MemoryBound: 0
; FloatMode: 240
; IeeeMode: 1
; LDSByteSize: 0 bytes/workgroup (compile time only)
; SGPRBlocks: 2
; VGPRBlocks: 31
; NumSGPRsForWavesPerEU: 22
; NumVGPRsForWavesPerEU: 256
; AccumOffset: 256
; Occupancy: 2
; WaveLimiterHint : 0
; COMPUTE_PGM_RSRC2:SCRATCH_EN: 1
; COMPUTE_PGM_RSRC2:USER_SGPR: 2
; COMPUTE_PGM_RSRC2:TRAP_HANDLER: 0
; COMPUTE_PGM_RSRC2:TGID_X_EN: 1
; COMPUTE_PGM_RSRC2:TGID_Y_EN: 1
; COMPUTE_PGM_RSRC2:TGID_Z_EN: 0
; COMPUTE_PGM_RSRC2:TIDIG_COMP_CNT: 1
; COMPUTE_PGM_RSRC3_GFX90A:ACCUM_OFFSET: 63
; COMPUTE_PGM_RSRC3_GFX90A:TG_SPLIT: 0
	.section	.text._ZN9rocsolver6v33100L18getf2_small_kernelILi33EfiiPfEEvT1_T3_lS3_lPS3_llPT2_S3_S3_S5_l,"axG",@progbits,_ZN9rocsolver6v33100L18getf2_small_kernelILi33EfiiPfEEvT1_T3_lS3_lPS3_llPT2_S3_S3_S5_l,comdat
	.globl	_ZN9rocsolver6v33100L18getf2_small_kernelILi33EfiiPfEEvT1_T3_lS3_lPS3_llPT2_S3_S3_S5_l ; -- Begin function _ZN9rocsolver6v33100L18getf2_small_kernelILi33EfiiPfEEvT1_T3_lS3_lPS3_llPT2_S3_S3_S5_l
	.p2align	8
	.type	_ZN9rocsolver6v33100L18getf2_small_kernelILi33EfiiPfEEvT1_T3_lS3_lPS3_llPT2_S3_S3_S5_l,@function
_ZN9rocsolver6v33100L18getf2_small_kernelILi33EfiiPfEEvT1_T3_lS3_lPS3_llPT2_S3_S3_S5_l: ; @_ZN9rocsolver6v33100L18getf2_small_kernelILi33EfiiPfEEvT1_T3_lS3_lPS3_llPT2_S3_S3_S5_l
; %bb.0:
	s_load_dword s2, s[0:1], 0x6c
	s_load_dwordx2 s[14:15], s[0:1], 0x48
	v_bfe_u32 v21, v0, 10, 10
	s_waitcnt lgkmcnt(0)
	s_lshr_b32 s2, s2, 16
	s_mul_i32 s3, s3, s2
	v_add_u32_e32 v4, s3, v21
	v_cmp_gt_i32_e32 vcc, s14, v4
	s_and_saveexec_b64 s[2:3], vcc
	s_cbranch_execz .LBB64_558
; %bb.1:
	s_load_dwordx4 s[4:7], s[0:1], 0x50
	v_ashrrev_i32_e32 v5, 31, v4
	v_mov_b64_e32 v[22:23], 0
	s_waitcnt lgkmcnt(0)
	s_cmp_eq_u64 s[4:5], 0
	s_cselect_b64 s[16:17], -1, 0
	s_and_b64 vcc, exec, s[16:17]
	s_cbranch_vccnz .LBB64_3
; %bb.2:
	v_mul_lo_u32 v1, s7, v4
	v_mul_lo_u32 v6, s6, v5
	v_mad_u64_u32 v[2:3], s[2:3], s6, v4, 0
	v_add3_u32 v3, v3, v6, v1
	v_lshl_add_u64 v[22:23], v[2:3], 2, s[4:5]
.LBB64_3:
	s_load_dwordx4 s[20:23], s[0:1], 0x8
	s_load_dwordx8 s[4:11], s[0:1], 0x20
	s_load_dword s12, s[0:1], 0x18
	v_and_b32_e32 v44, 0x3ff, v0
	v_lshlrev_b32_e32 v40, 2, v44
	s_waitcnt lgkmcnt(0)
	v_mov_b32_e32 v2, s20
	v_mul_lo_u32 v1, s5, v4
	v_mul_lo_u32 v8, s4, v5
	v_mad_u64_u32 v[6:7], s[2:3], s4, v4, 0
	v_mov_b32_e32 v3, s21
	v_add3_u32 v7, v7, v8, v1
	s_add_i32 s14, s12, s12
	v_lshl_add_u64 v[2:3], v[6:7], 2, v[2:3]
	v_add_u32_e32 v0, s14, v44
	v_lshl_add_u64 v[2:3], s[22:23], 2, v[2:3]
	v_ashrrev_i32_e32 v1, 31, v0
	v_lshl_add_u64 v[16:17], v[0:1], 2, v[2:3]
	v_add_u32_e32 v0, s12, v0
	v_ashrrev_i32_e32 v1, 31, v0
	v_lshl_add_u64 v[18:19], v[0:1], 2, v[2:3]
	v_add_u32_e32 v0, s12, v0
	;; [unrolled: 3-line block ×4, first 2 shown]
	v_mov_b32_e32 v41, 0
	v_add_u32_e32 v30, s12, v0
	v_lshl_add_u64 v[8:9], v[2:3], 0, v[40:41]
	s_ashr_i32 s13, s12, 31
	v_ashrrev_i32_e32 v1, 31, v0
	v_ashrrev_i32_e32 v31, 31, v30
	v_lshl_add_u64 v[12:13], s[12:13], 2, v[8:9]
	v_lshl_add_u64 v[28:29], v[0:1], 2, v[2:3]
	;; [unrolled: 1-line block ×3, first 2 shown]
	global_load_dword v20, v[8:9], off
	global_load_dword v14, v[12:13], off
	global_load_dword v15, v[16:17], off
	global_load_dword v10, v[18:19], off
	global_load_dword v11, v[24:25], off
	global_load_dword v6, v[26:27], off
	global_load_dword v7, v[28:29], off
	global_load_dword v0, v[32:33], off
	v_add_u32_e32 v8, s12, v30
	v_ashrrev_i32_e32 v9, 31, v8
	v_lshl_add_u64 v[16:17], v[8:9], 2, v[2:3]
	v_add_u32_e32 v8, s12, v8
	v_ashrrev_i32_e32 v9, 31, v8
	v_lshl_add_u64 v[24:25], v[8:9], 2, v[2:3]
	v_add_u32_e32 v8, s12, v8
	v_ashrrev_i32_e32 v9, 31, v8
	v_lshl_add_u64 v[28:29], v[8:9], 2, v[2:3]
	v_add_u32_e32 v8, s12, v8
	v_ashrrev_i32_e32 v9, 31, v8
	v_lshl_add_u64 v[30:31], v[8:9], 2, v[2:3]
	v_add_u32_e32 v8, s12, v8
	v_ashrrev_i32_e32 v9, 31, v8
	v_lshl_add_u64 v[32:33], v[8:9], 2, v[2:3]
	v_add_u32_e32 v8, s12, v8
	v_ashrrev_i32_e32 v9, 31, v8
	v_lshl_add_u64 v[34:35], v[8:9], 2, v[2:3]
	v_add_u32_e32 v8, s12, v8
	v_add_u32_e32 v38, s12, v8
	v_ashrrev_i32_e32 v9, 31, v8
	v_ashrrev_i32_e32 v39, 31, v38
	v_lshl_add_u64 v[36:37], v[8:9], 2, v[2:3]
	v_lshl_add_u64 v[42:43], v[38:39], 2, v[2:3]
	global_load_dword v1, v[16:17], off
	global_load_dword v26, v[24:25], off
	global_load_dword v27, v[28:29], off
	global_load_dword v18, v[30:31], off
	global_load_dword v19, v[32:33], off
	global_load_dword v12, v[34:35], off
	global_load_dword v13, v[36:37], off
	global_load_dword v8, v[42:43], off
	v_add_u32_e32 v16, s12, v38
	v_ashrrev_i32_e32 v17, 31, v16
	v_lshl_add_u64 v[30:31], v[16:17], 2, v[2:3]
	v_add_u32_e32 v16, s12, v16
	v_ashrrev_i32_e32 v17, 31, v16
	v_lshl_add_u64 v[32:33], v[16:17], 2, v[2:3]
	v_add_u32_e32 v16, s12, v16
	v_ashrrev_i32_e32 v17, 31, v16
	v_lshl_add_u64 v[36:37], v[16:17], 2, v[2:3]
	v_add_u32_e32 v16, s12, v16
	v_ashrrev_i32_e32 v17, 31, v16
	v_lshl_add_u64 v[38:39], v[16:17], 2, v[2:3]
	v_add_u32_e32 v16, s12, v16
	v_ashrrev_i32_e32 v17, 31, v16
	v_lshl_add_u64 v[42:43], v[16:17], 2, v[2:3]
	v_add_u32_e32 v16, s12, v16
	v_ashrrev_i32_e32 v17, 31, v16
	v_lshl_add_u64 v[46:47], v[16:17], 2, v[2:3]
	v_add_u32_e32 v16, s12, v16
	v_add_u32_e32 v50, s12, v16
	v_ashrrev_i32_e32 v17, 31, v16
	v_ashrrev_i32_e32 v51, 31, v50
	v_lshl_add_u64 v[48:49], v[16:17], 2, v[2:3]
	v_lshl_add_u64 v[52:53], v[50:51], 2, v[2:3]
	;; [unrolled: 32-line block ×3, first 2 shown]
	global_load_dword v17, v[42:43], off
	global_load_dword v38, v[46:47], off
	;; [unrolled: 1-line block ×8, first 2 shown]
	v_add_u32_e32 v42, s12, v58
	v_ashrrev_i32_e32 v43, 31, v42
	v_lshl_add_u64 v[42:43], v[42:43], 2, v[2:3]
	global_load_dword v31, v[42:43], off
	s_load_dword s22, s[0:1], 0x0
	s_load_dwordx2 s[4:5], s[0:1], 0x40
	s_waitcnt lgkmcnt(0)
	s_max_i32 s0, s22, 33
	v_mul_lo_u32 v42, s0, v21
	v_lshl_add_u32 v21, v42, 2, 0
	v_add_u32_e32 v40, v21, v40
	s_waitcnt vmcnt(32)
	ds_write_b32 v40, v20
	s_waitcnt lgkmcnt(0)
	s_barrier
	ds_read_b32 v40, v21
	s_cmp_lt_i32 s22, 2
	v_lshlrev_b32_e32 v42, 2, v42
	s_cbranch_scc1 .LBB64_6
; %bb.4:
	v_add3_u32 v43, v42, 0, 4
	v_mov_b32_e32 v41, 0
	s_mov_b32 s0, 1
.LBB64_5:                               ; =>This Inner Loop Header: Depth=1
	ds_read_b32 v45, v43
	v_mov_b32_e32 v46, s0
	s_add_i32 s0, s0, 1
	v_add_u32_e32 v43, 4, v43
	s_cmp_eq_u32 s22, s0
	s_waitcnt lgkmcnt(0)
	v_cmp_lt_f32_e64 vcc, |v40|, |v45|
	s_nop 1
	v_cndmask_b32_e32 v40, v40, v45, vcc
	v_cndmask_b32_e32 v41, v41, v46, vcc
	s_cbranch_scc0 .LBB64_5
.LBB64_6:
	v_cmp_ne_u32_e32 vcc, v44, v41
                                        ; implicit-def: $vgpr43
	s_and_saveexec_b64 s[0:1], vcc
	s_xor_b64 s[0:1], exec, s[0:1]
	s_cbranch_execz .LBB64_12
; %bb.7:
	v_cmp_eq_u32_e32 vcc, 0, v44
	s_and_saveexec_b64 s[2:3], vcc
	s_cbranch_execz .LBB64_11
; %bb.8:
	v_cmp_ne_u32_e32 vcc, 0, v41
	s_xor_b64 s[18:19], s[16:17], -1
	s_and_b64 s[20:21], s[18:19], vcc
	s_and_saveexec_b64 s[18:19], s[20:21]
	s_cbranch_execz .LBB64_10
; %bb.9:
	v_ashrrev_i32_e32 v45, 31, v41
	v_mov_b32_e32 v44, v41
	v_lshl_add_u64 v[44:45], v[44:45], 2, v[22:23]
	global_load_dword v43, v[44:45], off
	global_load_dword v46, v[22:23], off
	s_waitcnt vmcnt(1)
	global_store_dword v[22:23], v43, off
	s_waitcnt vmcnt(1)
	global_store_dword v[44:45], v46, off
.LBB64_10:
	s_or_b64 exec, exec, s[18:19]
	v_mov_b32_e32 v44, v41
.LBB64_11:
	s_or_b64 exec, exec, s[2:3]
	v_mov_b32_e32 v43, v44
                                        ; implicit-def: $vgpr44
.LBB64_12:
	s_or_saveexec_b64 s[0:1], s[0:1]
	v_mov_b32_e32 v41, v43
	s_xor_b64 exec, exec, s[0:1]
	s_cbranch_execz .LBB64_14
; %bb.13:
	v_mov_b32_e32 v43, 0
	v_mov_b32_e32 v41, v44
	s_waitcnt vmcnt(30)
	ds_write2_b32 v21, v14, v15 offset0:1 offset1:2
	s_waitcnt vmcnt(28)
	ds_write2_b32 v21, v10, v11 offset0:3 offset1:4
	;; [unrolled: 2-line block ×16, first 2 shown]
.LBB64_14:
	s_or_b64 exec, exec, s[0:1]
	s_waitcnt lgkmcnt(0)
	v_cmp_eq_f32_e64 s[0:1], 0, v40
	v_cmp_lt_i32_e32 vcc, 0, v43
	s_barrier
	s_and_saveexec_b64 s[2:3], vcc
	s_cbranch_execz .LBB64_16
; %bb.15:
	v_div_scale_f32 v44, s[18:19], v40, v40, 1.0
	v_rcp_f32_e32 v45, v44
	v_div_scale_f32 v46, vcc, 1.0, v40, 1.0
	v_fma_f32 v47, -v44, v45, 1.0
	v_fmac_f32_e32 v45, v47, v45
	v_mul_f32_e32 v47, v46, v45
	v_fma_f32 v48, -v44, v47, v46
	v_fmac_f32_e32 v47, v48, v45
	v_fma_f32 v44, -v44, v47, v46
	v_div_fmas_f32 v44, v44, v45, v47
	v_div_fixup_f32 v44, v44, v40, 1.0
	v_cndmask_b32_e64 v40, v44, v40, s[0:1]
	ds_read2_b32 v[44:45], v21 offset0:1 offset1:2
	ds_read2_b32 v[46:47], v21 offset0:3 offset1:4
	;; [unrolled: 1-line block ×3, first 2 shown]
	v_mul_f32_e32 v20, v40, v20
	ds_read2_b32 v[50:51], v21 offset0:7 offset1:8
	s_waitcnt vmcnt(30) lgkmcnt(3)
	v_pk_fma_f32 v[14:15], v[20:21], v[44:45], v[14:15] op_sel_hi:[0,1,1] neg_lo:[1,0,0] neg_hi:[1,0,0]
	s_waitcnt vmcnt(28) lgkmcnt(2)
	v_pk_fma_f32 v[10:11], v[20:21], v[46:47], v[10:11] op_sel_hi:[0,1,1] neg_lo:[1,0,0] neg_hi:[1,0,0]
	;; [unrolled: 2-line block ×3, first 2 shown]
	ds_read2_b32 v[44:45], v21 offset0:9 offset1:10
	ds_read2_b32 v[46:47], v21 offset0:11 offset1:12
	;; [unrolled: 1-line block ×3, first 2 shown]
	s_waitcnt vmcnt(24) lgkmcnt(3)
	v_pk_fma_f32 v[0:1], v[20:21], v[50:51], v[0:1] op_sel_hi:[0,1,1] neg_lo:[1,0,0] neg_hi:[1,0,0]
	ds_read2_b32 v[50:51], v21 offset0:15 offset1:16
	s_waitcnt vmcnt(22) lgkmcnt(3)
	v_pk_fma_f32 v[26:27], v[20:21], v[44:45], v[26:27] op_sel_hi:[0,1,1] neg_lo:[1,0,0] neg_hi:[1,0,0]
	s_waitcnt vmcnt(20) lgkmcnt(2)
	v_pk_fma_f32 v[18:19], v[20:21], v[46:47], v[18:19] op_sel_hi:[0,1,1] neg_lo:[1,0,0] neg_hi:[1,0,0]
	;; [unrolled: 2-line block ×3, first 2 shown]
	ds_read2_b32 v[44:45], v21 offset0:17 offset1:18
	ds_read2_b32 v[46:47], v21 offset0:19 offset1:20
	;; [unrolled: 1-line block ×3, first 2 shown]
	s_waitcnt vmcnt(16) lgkmcnt(3)
	v_pk_fma_f32 v[8:9], v[20:21], v[50:51], v[8:9] op_sel_hi:[0,1,1] neg_lo:[1,0,0] neg_hi:[1,0,0]
	ds_read2_b32 v[50:51], v21 offset0:23 offset1:24
	s_waitcnt vmcnt(14) lgkmcnt(3)
	v_pk_fma_f32 v[34:35], v[20:21], v[44:45], v[34:35] op_sel_hi:[0,1,1] neg_lo:[1,0,0] neg_hi:[1,0,0]
	s_waitcnt vmcnt(12) lgkmcnt(2)
	v_pk_fma_f32 v[28:29], v[20:21], v[46:47], v[28:29] op_sel_hi:[0,1,1] neg_lo:[1,0,0] neg_hi:[1,0,0]
	;; [unrolled: 2-line block ×3, first 2 shown]
	ds_read2_b32 v[44:45], v21 offset0:25 offset1:26
	ds_read2_b32 v[46:47], v21 offset0:27 offset1:28
	;; [unrolled: 1-line block ×4, first 2 shown]
	s_waitcnt vmcnt(8) lgkmcnt(4)
	v_pk_fma_f32 v[16:17], v[20:21], v[50:51], v[16:17] op_sel_hi:[0,1,1] neg_lo:[1,0,0] neg_hi:[1,0,0]
	s_waitcnt vmcnt(6) lgkmcnt(3)
	v_pk_fma_f32 v[38:39], v[20:21], v[44:45], v[38:39] op_sel_hi:[0,1,1] neg_lo:[1,0,0] neg_hi:[1,0,0]
	;; [unrolled: 2-line block ×5, first 2 shown]
.LBB64_16:
	s_or_b64 exec, exec, s[2:3]
	v_lshl_add_u32 v40, v43, 2, v21
	s_barrier
	s_waitcnt vmcnt(31)
	ds_write_b32 v40, v14
	s_waitcnt lgkmcnt(0)
	s_barrier
	ds_read_b32 v44, v21 offset:4
	s_mov_b32 s2, 2
	s_cmp_lt_i32 s22, 3
	v_mov_b32_e32 v40, 1
	s_cbranch_scc1 .LBB64_19
; %bb.17:
	v_add3_u32 v45, v42, 0, 8
	v_mov_b32_e32 v40, 1
.LBB64_18:                              ; =>This Inner Loop Header: Depth=1
	ds_read_b32 v46, v45
	v_mov_b32_e32 v47, s2
	s_add_i32 s2, s2, 1
	v_add_u32_e32 v45, 4, v45
	s_cmp_lg_u32 s22, s2
	s_waitcnt lgkmcnt(0)
	v_cmp_lt_f32_e64 vcc, |v44|, |v46|
	s_nop 1
	v_cndmask_b32_e32 v44, v44, v46, vcc
	v_cndmask_b32_e32 v40, v40, v47, vcc
	s_cbranch_scc1 .LBB64_18
.LBB64_19:
	v_cmp_ne_u32_e32 vcc, v43, v40
	s_and_saveexec_b64 s[2:3], vcc
	s_xor_b64 s[2:3], exec, s[2:3]
	s_cbranch_execz .LBB64_25
; %bb.20:
	v_cmp_eq_u32_e32 vcc, 1, v43
	s_and_saveexec_b64 s[18:19], vcc
	s_cbranch_execz .LBB64_24
; %bb.21:
	v_cmp_ne_u32_e32 vcc, 1, v40
	s_xor_b64 s[20:21], s[16:17], -1
	s_and_b64 s[24:25], s[20:21], vcc
	s_and_saveexec_b64 s[20:21], s[24:25]
	s_cbranch_execz .LBB64_23
; %bb.22:
	v_ashrrev_i32_e32 v41, 31, v40
	v_lshl_add_u64 v[46:47], v[40:41], 2, v[22:23]
	global_load_dword v41, v[46:47], off
	global_load_dword v43, v[22:23], off offset:4
	s_waitcnt vmcnt(1)
	global_store_dword v[22:23], v41, off offset:4
	s_waitcnt vmcnt(1)
	global_store_dword v[46:47], v43, off
.LBB64_23:
	s_or_b64 exec, exec, s[20:21]
	v_mov_b32_e32 v41, v40
	v_mov_b32_e32 v43, v40
.LBB64_24:
	s_or_b64 exec, exec, s[18:19]
.LBB64_25:
	s_andn2_saveexec_b64 s[2:3], s[2:3]
	s_cbranch_execz .LBB64_27
; %bb.26:
	s_waitcnt vmcnt(28)
	v_pk_mov_b32 v[46:47], v[14:15], v[10:11] op_sel:[1,0]
	ds_write2_b32 v21, v46, v47 offset0:2 offset1:3
	s_waitcnt vmcnt(26)
	v_pk_mov_b32 v[46:47], v[10:11], v[6:7] op_sel:[1,0]
	ds_write2_b32 v21, v46, v47 offset0:4 offset1:5
	;; [unrolled: 3-line block ×14, first 2 shown]
	s_waitcnt vmcnt(0)
	v_pk_mov_b32 v[46:47], v[32:33], v[30:31] op_sel:[1,0]
	v_mov_b32_e32 v43, 1
	ds_write2_b32 v21, v46, v47 offset0:30 offset1:31
	ds_write_b32 v21, v31 offset:128
.LBB64_27:
	s_or_b64 exec, exec, s[2:3]
	s_waitcnt lgkmcnt(0)
	v_cmp_neq_f32_e64 s[2:3], 0, v44
	v_cmp_lt_i32_e32 vcc, 1, v43
	s_barrier
	s_and_saveexec_b64 s[18:19], vcc
	s_cbranch_execz .LBB64_29
; %bb.28:
	v_div_scale_f32 v40, s[20:21], v44, v44, 1.0
	v_rcp_f32_e32 v45, v40
	v_div_scale_f32 v46, vcc, 1.0, v44, 1.0
	v_fma_f32 v47, -v40, v45, 1.0
	v_fmac_f32_e32 v45, v47, v45
	v_mul_f32_e32 v47, v46, v45
	v_fma_f32 v48, -v40, v47, v46
	v_fmac_f32_e32 v47, v48, v45
	v_fma_f32 v40, -v40, v47, v46
	v_div_fmas_f32 v40, v40, v45, v47
	v_div_fixup_f32 v40, v40, v44, 1.0
	v_cndmask_b32_e64 v40, v44, v40, s[2:3]
	ds_read_b32 v50, v21 offset:8
	ds_read2_b32 v[44:45], v21 offset0:3 offset1:4
	ds_read2_b32 v[46:47], v21 offset0:5 offset1:6
	v_mul_f32_e32 v14, v40, v14
	ds_read2_b32 v[48:49], v21 offset0:7 offset1:8
	s_waitcnt vmcnt(30) lgkmcnt(3)
	v_fma_f32 v15, -v14, v50, v15
	s_waitcnt vmcnt(28) lgkmcnt(2)
	v_pk_fma_f32 v[10:11], v[14:15], v[44:45], v[10:11] op_sel_hi:[0,1,1] neg_lo:[1,0,0] neg_hi:[1,0,0]
	s_waitcnt vmcnt(26) lgkmcnt(1)
	v_pk_fma_f32 v[6:7], v[14:15], v[46:47], v[6:7] op_sel_hi:[0,1,1] neg_lo:[1,0,0] neg_hi:[1,0,0]
	ds_read2_b32 v[44:45], v21 offset0:9 offset1:10
	ds_read2_b32 v[46:47], v21 offset0:11 offset1:12
	;; [unrolled: 1-line block ×3, first 2 shown]
	s_waitcnt vmcnt(24) lgkmcnt(3)
	v_pk_fma_f32 v[0:1], v[14:15], v[48:49], v[0:1] op_sel_hi:[0,1,1] neg_lo:[1,0,0] neg_hi:[1,0,0]
	ds_read2_b32 v[48:49], v21 offset0:15 offset1:16
	s_waitcnt vmcnt(22) lgkmcnt(3)
	v_pk_fma_f32 v[26:27], v[14:15], v[44:45], v[26:27] op_sel_hi:[0,1,1] neg_lo:[1,0,0] neg_hi:[1,0,0]
	s_waitcnt vmcnt(20) lgkmcnt(2)
	v_pk_fma_f32 v[18:19], v[14:15], v[46:47], v[18:19] op_sel_hi:[0,1,1] neg_lo:[1,0,0] neg_hi:[1,0,0]
	;; [unrolled: 2-line block ×3, first 2 shown]
	ds_read2_b32 v[44:45], v21 offset0:17 offset1:18
	ds_read2_b32 v[46:47], v21 offset0:19 offset1:20
	;; [unrolled: 1-line block ×3, first 2 shown]
	s_waitcnt vmcnt(16) lgkmcnt(3)
	v_pk_fma_f32 v[8:9], v[14:15], v[48:49], v[8:9] op_sel_hi:[0,1,1] neg_lo:[1,0,0] neg_hi:[1,0,0]
	ds_read2_b32 v[48:49], v21 offset0:23 offset1:24
	s_waitcnt vmcnt(14) lgkmcnt(3)
	v_pk_fma_f32 v[34:35], v[14:15], v[44:45], v[34:35] op_sel_hi:[0,1,1] neg_lo:[1,0,0] neg_hi:[1,0,0]
	s_waitcnt vmcnt(12) lgkmcnt(2)
	v_pk_fma_f32 v[28:29], v[14:15], v[46:47], v[28:29] op_sel_hi:[0,1,1] neg_lo:[1,0,0] neg_hi:[1,0,0]
	;; [unrolled: 2-line block ×3, first 2 shown]
	ds_read2_b32 v[44:45], v21 offset0:25 offset1:26
	ds_read2_b32 v[46:47], v21 offset0:27 offset1:28
	;; [unrolled: 1-line block ×4, first 2 shown]
	s_waitcnt vmcnt(8) lgkmcnt(4)
	v_pk_fma_f32 v[16:17], v[14:15], v[48:49], v[16:17] op_sel_hi:[0,1,1] neg_lo:[1,0,0] neg_hi:[1,0,0]
	s_waitcnt vmcnt(6) lgkmcnt(3)
	v_pk_fma_f32 v[38:39], v[14:15], v[44:45], v[38:39] op_sel_hi:[0,1,1] neg_lo:[1,0,0] neg_hi:[1,0,0]
	;; [unrolled: 2-line block ×5, first 2 shown]
.LBB64_29:
	s_or_b64 exec, exec, s[18:19]
	v_lshl_add_u32 v40, v43, 2, v21
	s_barrier
	s_waitcnt vmcnt(30)
	ds_write_b32 v40, v15
	s_waitcnt lgkmcnt(0)
	s_barrier
	ds_read_b32 v45, v21 offset:8
	s_cmp_lt_i32 s22, 4
	v_mov_b32_e32 v40, 2
	s_cbranch_scc1 .LBB64_32
; %bb.30:
	v_mov_b32_e32 v40, 2
	v_add3_u32 v44, v42, 0, 12
	s_mov_b32 s18, 3
.LBB64_31:                              ; =>This Inner Loop Header: Depth=1
	ds_read_b32 v46, v44
	v_mov_b32_e32 v47, s18
	s_add_i32 s18, s18, 1
	v_add_u32_e32 v44, 4, v44
	s_cmp_lg_u32 s22, s18
	s_waitcnt lgkmcnt(0)
	v_cmp_lt_f32_e64 vcc, |v45|, |v46|
	s_nop 1
	v_cndmask_b32_e32 v45, v45, v46, vcc
	v_cndmask_b32_e32 v40, v40, v47, vcc
	s_cbranch_scc1 .LBB64_31
.LBB64_32:
	v_cndmask_b32_e64 v44, 2, 1, s[0:1]
	v_cndmask_b32_e64 v46, 0, 1, s[0:1]
	;; [unrolled: 1-line block ×3, first 2 shown]
	s_waitcnt lgkmcnt(0)
	v_cmp_eq_f32_e32 vcc, 0, v45
	s_and_saveexec_b64 s[0:1], vcc
	s_xor_b64 s[0:1], exec, s[0:1]
; %bb.33:
	v_cmp_ne_u32_e32 vcc, 0, v44
	s_nop 1
	v_cndmask_b32_e32 v44, 3, v44, vcc
; %bb.34:
	s_andn2_saveexec_b64 s[0:1], s[0:1]
	s_cbranch_execz .LBB64_36
; %bb.35:
	v_div_scale_f32 v46, s[2:3], v45, v45, 1.0
	v_rcp_f32_e32 v47, v46
	v_div_scale_f32 v48, vcc, 1.0, v45, 1.0
	v_fma_f32 v49, -v46, v47, 1.0
	v_fmac_f32_e32 v47, v49, v47
	v_mul_f32_e32 v49, v48, v47
	v_fma_f32 v50, -v46, v49, v48
	v_fmac_f32_e32 v49, v50, v47
	v_fma_f32 v46, -v46, v49, v48
	v_div_fmas_f32 v46, v46, v47, v49
	v_div_fixup_f32 v45, v46, v45, 1.0
.LBB64_36:
	s_or_b64 exec, exec, s[0:1]
	v_cmp_ne_u32_e32 vcc, v43, v40
	s_and_saveexec_b64 s[0:1], vcc
	s_xor_b64 s[0:1], exec, s[0:1]
	s_cbranch_execz .LBB64_42
; %bb.37:
	v_cmp_eq_u32_e32 vcc, 2, v43
	s_and_saveexec_b64 s[2:3], vcc
	s_cbranch_execz .LBB64_41
; %bb.38:
	v_cmp_ne_u32_e32 vcc, 2, v40
	s_xor_b64 s[18:19], s[16:17], -1
	s_and_b64 s[20:21], s[18:19], vcc
	s_and_saveexec_b64 s[18:19], s[20:21]
	s_cbranch_execz .LBB64_40
; %bb.39:
	v_ashrrev_i32_e32 v41, 31, v40
	v_lshl_add_u64 v[46:47], v[40:41], 2, v[22:23]
	global_load_dword v41, v[46:47], off
	global_load_dword v43, v[22:23], off offset:8
	s_waitcnt vmcnt(1)
	global_store_dword v[22:23], v41, off offset:8
	s_waitcnt vmcnt(1)
	global_store_dword v[46:47], v43, off
.LBB64_40:
	s_or_b64 exec, exec, s[18:19]
	v_mov_b32_e32 v41, v40
	v_mov_b32_e32 v43, v40
.LBB64_41:
	s_or_b64 exec, exec, s[2:3]
.LBB64_42:
	s_andn2_saveexec_b64 s[0:1], s[0:1]
	s_cbranch_execz .LBB64_44
; %bb.43:
	v_mov_b32_e32 v43, 2
	s_waitcnt vmcnt(28)
	ds_write2_b32 v21, v10, v11 offset0:3 offset1:4
	s_waitcnt vmcnt(26)
	ds_write2_b32 v21, v6, v7 offset0:5 offset1:6
	;; [unrolled: 2-line block ×15, first 2 shown]
.LBB64_44:
	s_or_b64 exec, exec, s[0:1]
	v_cmp_lt_i32_e32 vcc, 2, v43
	s_waitcnt lgkmcnt(0)
	s_barrier
	s_and_saveexec_b64 s[0:1], vcc
	s_cbranch_execz .LBB64_46
; %bb.45:
	ds_read2_b32 v[46:47], v21 offset0:3 offset1:4
	ds_read2_b32 v[48:49], v21 offset0:5 offset1:6
	;; [unrolled: 1-line block ×3, first 2 shown]
	v_mul_f32_e32 v40, v45, v15
	ds_read2_b32 v[52:53], v21 offset0:9 offset1:10
	s_waitcnt vmcnt(28) lgkmcnt(3)
	v_pk_fma_f32 v[10:11], v[40:41], v[46:47], v[10:11] op_sel_hi:[0,1,1] neg_lo:[1,0,0] neg_hi:[1,0,0]
	s_waitcnt vmcnt(26) lgkmcnt(2)
	v_pk_fma_f32 v[6:7], v[40:41], v[48:49], v[6:7] op_sel_hi:[0,1,1] neg_lo:[1,0,0] neg_hi:[1,0,0]
	;; [unrolled: 2-line block ×3, first 2 shown]
	ds_read2_b32 v[46:47], v21 offset0:11 offset1:12
	ds_read2_b32 v[48:49], v21 offset0:13 offset1:14
	;; [unrolled: 1-line block ×3, first 2 shown]
	s_waitcnt vmcnt(22) lgkmcnt(3)
	v_pk_fma_f32 v[26:27], v[40:41], v[52:53], v[26:27] op_sel_hi:[0,1,1] neg_lo:[1,0,0] neg_hi:[1,0,0]
	ds_read2_b32 v[52:53], v21 offset0:17 offset1:18
	s_waitcnt vmcnt(20) lgkmcnt(3)
	v_pk_fma_f32 v[18:19], v[40:41], v[46:47], v[18:19] op_sel_hi:[0,1,1] neg_lo:[1,0,0] neg_hi:[1,0,0]
	s_waitcnt vmcnt(18) lgkmcnt(2)
	v_pk_fma_f32 v[12:13], v[40:41], v[48:49], v[12:13] op_sel_hi:[0,1,1] neg_lo:[1,0,0] neg_hi:[1,0,0]
	ds_read2_b32 v[46:47], v21 offset0:19 offset1:20
	ds_read2_b32 v[48:49], v21 offset0:21 offset1:22
	s_waitcnt vmcnt(16) lgkmcnt(3)
	v_pk_fma_f32 v[8:9], v[40:41], v[50:51], v[8:9] op_sel_hi:[0,1,1] neg_lo:[1,0,0] neg_hi:[1,0,0]
	s_waitcnt vmcnt(14) lgkmcnt(2)
	v_pk_fma_f32 v[34:35], v[40:41], v[52:53], v[34:35] op_sel_hi:[0,1,1] neg_lo:[1,0,0] neg_hi:[1,0,0]
	ds_read2_b32 v[50:51], v21 offset0:23 offset1:24
	;; [unrolled: 6-line block ×3, first 2 shown]
	ds_read2_b32 v[48:49], v21 offset0:29 offset1:30
	ds_read2_b32 v[54:55], v21 offset0:31 offset1:32
	s_waitcnt vmcnt(8) lgkmcnt(4)
	v_pk_fma_f32 v[16:17], v[40:41], v[50:51], v[16:17] op_sel_hi:[0,1,1] neg_lo:[1,0,0] neg_hi:[1,0,0]
	s_waitcnt vmcnt(6) lgkmcnt(3)
	v_pk_fma_f32 v[38:39], v[40:41], v[52:53], v[38:39] op_sel_hi:[0,1,1] neg_lo:[1,0,0] neg_hi:[1,0,0]
	;; [unrolled: 2-line block ×5, first 2 shown]
	v_mov_b32_e32 v15, v40
.LBB64_46:
	s_or_b64 exec, exec, s[0:1]
	v_lshl_add_u32 v40, v43, 2, v21
	s_barrier
	s_waitcnt vmcnt(29)
	ds_write_b32 v40, v10
	s_waitcnt lgkmcnt(0)
	s_barrier
	ds_read_b32 v45, v21 offset:12
	s_cmp_lt_i32 s22, 5
	v_mov_b32_e32 v40, 3
	s_cbranch_scc1 .LBB64_49
; %bb.47:
	v_add3_u32 v46, v42, 0, 16
	v_mov_b32_e32 v40, 3
	s_mov_b32 s0, 4
.LBB64_48:                              ; =>This Inner Loop Header: Depth=1
	ds_read_b32 v47, v46
	v_mov_b32_e32 v48, s0
	s_add_i32 s0, s0, 1
	v_add_u32_e32 v46, 4, v46
	s_cmp_lg_u32 s22, s0
	s_waitcnt lgkmcnt(0)
	v_cmp_lt_f32_e64 vcc, |v45|, |v47|
	s_nop 1
	v_cndmask_b32_e32 v45, v45, v47, vcc
	v_cndmask_b32_e32 v40, v40, v48, vcc
	s_cbranch_scc1 .LBB64_48
.LBB64_49:
	s_waitcnt lgkmcnt(0)
	v_cmp_eq_f32_e32 vcc, 0, v45
	s_and_saveexec_b64 s[0:1], vcc
	s_xor_b64 s[0:1], exec, s[0:1]
; %bb.50:
	v_cmp_ne_u32_e32 vcc, 0, v44
	s_nop 1
	v_cndmask_b32_e32 v44, 4, v44, vcc
; %bb.51:
	s_andn2_saveexec_b64 s[0:1], s[0:1]
	s_cbranch_execz .LBB64_53
; %bb.52:
	v_div_scale_f32 v46, s[2:3], v45, v45, 1.0
	v_rcp_f32_e32 v47, v46
	v_div_scale_f32 v48, vcc, 1.0, v45, 1.0
	v_fma_f32 v49, -v46, v47, 1.0
	v_fmac_f32_e32 v47, v49, v47
	v_mul_f32_e32 v49, v48, v47
	v_fma_f32 v50, -v46, v49, v48
	v_fmac_f32_e32 v49, v50, v47
	v_fma_f32 v46, -v46, v49, v48
	v_div_fmas_f32 v46, v46, v47, v49
	v_div_fixup_f32 v45, v46, v45, 1.0
.LBB64_53:
	s_or_b64 exec, exec, s[0:1]
	v_cmp_ne_u32_e32 vcc, v43, v40
	s_and_saveexec_b64 s[0:1], vcc
	s_xor_b64 s[0:1], exec, s[0:1]
	s_cbranch_execz .LBB64_59
; %bb.54:
	v_cmp_eq_u32_e32 vcc, 3, v43
	s_and_saveexec_b64 s[2:3], vcc
	s_cbranch_execz .LBB64_58
; %bb.55:
	v_cmp_ne_u32_e32 vcc, 3, v40
	s_xor_b64 s[18:19], s[16:17], -1
	s_and_b64 s[20:21], s[18:19], vcc
	s_and_saveexec_b64 s[18:19], s[20:21]
	s_cbranch_execz .LBB64_57
; %bb.56:
	v_ashrrev_i32_e32 v41, 31, v40
	v_lshl_add_u64 v[46:47], v[40:41], 2, v[22:23]
	global_load_dword v41, v[46:47], off
	global_load_dword v43, v[22:23], off offset:12
	s_waitcnt vmcnt(1)
	global_store_dword v[22:23], v41, off offset:12
	s_waitcnt vmcnt(1)
	global_store_dword v[46:47], v43, off
.LBB64_57:
	s_or_b64 exec, exec, s[18:19]
	v_mov_b32_e32 v41, v40
	v_mov_b32_e32 v43, v40
.LBB64_58:
	s_or_b64 exec, exec, s[2:3]
.LBB64_59:
	s_andn2_saveexec_b64 s[0:1], s[0:1]
	s_cbranch_execz .LBB64_61
; %bb.60:
	s_waitcnt vmcnt(26)
	v_pk_mov_b32 v[46:47], v[10:11], v[6:7] op_sel:[1,0]
	ds_write2_b32 v21, v46, v47 offset0:4 offset1:5
	s_waitcnt vmcnt(24)
	v_pk_mov_b32 v[46:47], v[6:7], v[0:1] op_sel:[1,0]
	ds_write2_b32 v21, v46, v47 offset0:6 offset1:7
	;; [unrolled: 3-line block ×13, first 2 shown]
	s_waitcnt vmcnt(0)
	v_pk_mov_b32 v[46:47], v[32:33], v[30:31] op_sel:[1,0]
	v_mov_b32_e32 v43, 3
	ds_write2_b32 v21, v46, v47 offset0:30 offset1:31
	ds_write_b32 v21, v31 offset:128
.LBB64_61:
	s_or_b64 exec, exec, s[0:1]
	v_cmp_lt_i32_e32 vcc, 3, v43
	s_waitcnt lgkmcnt(0)
	s_barrier
	s_and_saveexec_b64 s[0:1], vcc
	s_cbranch_execz .LBB64_63
; %bb.62:
	ds_read_b32 v40, v21 offset:16
	ds_read2_b32 v[46:47], v21 offset0:5 offset1:6
	ds_read2_b32 v[48:49], v21 offset0:7 offset1:8
	v_mul_f32_e32 v10, v45, v10
	ds_read2_b32 v[50:51], v21 offset0:9 offset1:10
	s_waitcnt vmcnt(28) lgkmcnt(3)
	v_fma_f32 v11, -v10, v40, v11
	s_waitcnt vmcnt(26) lgkmcnt(2)
	v_pk_fma_f32 v[6:7], v[10:11], v[46:47], v[6:7] op_sel_hi:[0,1,1] neg_lo:[1,0,0] neg_hi:[1,0,0]
	s_waitcnt vmcnt(24) lgkmcnt(1)
	v_pk_fma_f32 v[0:1], v[10:11], v[48:49], v[0:1] op_sel_hi:[0,1,1] neg_lo:[1,0,0] neg_hi:[1,0,0]
	ds_read2_b32 v[46:47], v21 offset0:11 offset1:12
	ds_read2_b32 v[48:49], v21 offset0:13 offset1:14
	;; [unrolled: 1-line block ×3, first 2 shown]
	s_waitcnt vmcnt(22) lgkmcnt(3)
	v_pk_fma_f32 v[26:27], v[10:11], v[50:51], v[26:27] op_sel_hi:[0,1,1] neg_lo:[1,0,0] neg_hi:[1,0,0]
	ds_read2_b32 v[50:51], v21 offset0:17 offset1:18
	s_waitcnt vmcnt(20) lgkmcnt(3)
	v_pk_fma_f32 v[18:19], v[10:11], v[46:47], v[18:19] op_sel_hi:[0,1,1] neg_lo:[1,0,0] neg_hi:[1,0,0]
	s_waitcnt vmcnt(18) lgkmcnt(2)
	v_pk_fma_f32 v[12:13], v[10:11], v[48:49], v[12:13] op_sel_hi:[0,1,1] neg_lo:[1,0,0] neg_hi:[1,0,0]
	ds_read2_b32 v[46:47], v21 offset0:19 offset1:20
	ds_read2_b32 v[48:49], v21 offset0:21 offset1:22
	s_waitcnt vmcnt(16) lgkmcnt(3)
	v_pk_fma_f32 v[8:9], v[10:11], v[52:53], v[8:9] op_sel_hi:[0,1,1] neg_lo:[1,0,0] neg_hi:[1,0,0]
	s_waitcnt vmcnt(14) lgkmcnt(2)
	v_pk_fma_f32 v[34:35], v[10:11], v[50:51], v[34:35] op_sel_hi:[0,1,1] neg_lo:[1,0,0] neg_hi:[1,0,0]
	ds_read2_b32 v[50:51], v21 offset0:23 offset1:24
	;; [unrolled: 6-line block ×3, first 2 shown]
	ds_read2_b32 v[48:49], v21 offset0:29 offset1:30
	ds_read2_b32 v[54:55], v21 offset0:31 offset1:32
	s_waitcnt vmcnt(8) lgkmcnt(4)
	v_pk_fma_f32 v[16:17], v[10:11], v[50:51], v[16:17] op_sel_hi:[0,1,1] neg_lo:[1,0,0] neg_hi:[1,0,0]
	s_waitcnt vmcnt(6) lgkmcnt(3)
	v_pk_fma_f32 v[38:39], v[10:11], v[52:53], v[38:39] op_sel_hi:[0,1,1] neg_lo:[1,0,0] neg_hi:[1,0,0]
	;; [unrolled: 2-line block ×5, first 2 shown]
.LBB64_63:
	s_or_b64 exec, exec, s[0:1]
	v_lshl_add_u32 v40, v43, 2, v21
	s_barrier
	s_waitcnt vmcnt(28)
	ds_write_b32 v40, v11
	s_waitcnt lgkmcnt(0)
	s_barrier
	ds_read_b32 v45, v21 offset:16
	s_cmp_lt_i32 s22, 6
	v_mov_b32_e32 v40, 4
	s_cbranch_scc1 .LBB64_66
; %bb.64:
	v_add3_u32 v46, v42, 0, 20
	v_mov_b32_e32 v40, 4
	s_mov_b32 s0, 5
.LBB64_65:                              ; =>This Inner Loop Header: Depth=1
	ds_read_b32 v47, v46
	v_mov_b32_e32 v48, s0
	s_add_i32 s0, s0, 1
	v_add_u32_e32 v46, 4, v46
	s_cmp_lg_u32 s22, s0
	s_waitcnt lgkmcnt(0)
	v_cmp_lt_f32_e64 vcc, |v45|, |v47|
	s_nop 1
	v_cndmask_b32_e32 v45, v45, v47, vcc
	v_cndmask_b32_e32 v40, v40, v48, vcc
	s_cbranch_scc1 .LBB64_65
.LBB64_66:
	s_waitcnt lgkmcnt(0)
	v_cmp_eq_f32_e32 vcc, 0, v45
	s_and_saveexec_b64 s[0:1], vcc
	s_xor_b64 s[0:1], exec, s[0:1]
; %bb.67:
	v_cmp_ne_u32_e32 vcc, 0, v44
	s_nop 1
	v_cndmask_b32_e32 v44, 5, v44, vcc
; %bb.68:
	s_andn2_saveexec_b64 s[0:1], s[0:1]
	s_cbranch_execz .LBB64_70
; %bb.69:
	v_div_scale_f32 v46, s[2:3], v45, v45, 1.0
	v_rcp_f32_e32 v47, v46
	v_div_scale_f32 v48, vcc, 1.0, v45, 1.0
	v_fma_f32 v49, -v46, v47, 1.0
	v_fmac_f32_e32 v47, v49, v47
	v_mul_f32_e32 v49, v48, v47
	v_fma_f32 v50, -v46, v49, v48
	v_fmac_f32_e32 v49, v50, v47
	v_fma_f32 v46, -v46, v49, v48
	v_div_fmas_f32 v46, v46, v47, v49
	v_div_fixup_f32 v45, v46, v45, 1.0
.LBB64_70:
	s_or_b64 exec, exec, s[0:1]
	v_cmp_ne_u32_e32 vcc, v43, v40
	s_and_saveexec_b64 s[0:1], vcc
	s_xor_b64 s[0:1], exec, s[0:1]
	s_cbranch_execz .LBB64_76
; %bb.71:
	v_cmp_eq_u32_e32 vcc, 4, v43
	s_and_saveexec_b64 s[2:3], vcc
	s_cbranch_execz .LBB64_75
; %bb.72:
	v_cmp_ne_u32_e32 vcc, 4, v40
	s_xor_b64 s[18:19], s[16:17], -1
	s_and_b64 s[20:21], s[18:19], vcc
	s_and_saveexec_b64 s[18:19], s[20:21]
	s_cbranch_execz .LBB64_74
; %bb.73:
	v_ashrrev_i32_e32 v41, 31, v40
	v_lshl_add_u64 v[46:47], v[40:41], 2, v[22:23]
	global_load_dword v41, v[46:47], off
	global_load_dword v43, v[22:23], off offset:16
	s_waitcnt vmcnt(1)
	global_store_dword v[22:23], v41, off offset:16
	s_waitcnt vmcnt(1)
	global_store_dword v[46:47], v43, off
.LBB64_74:
	s_or_b64 exec, exec, s[18:19]
	v_mov_b32_e32 v41, v40
	v_mov_b32_e32 v43, v40
.LBB64_75:
	s_or_b64 exec, exec, s[2:3]
.LBB64_76:
	s_andn2_saveexec_b64 s[0:1], s[0:1]
	s_cbranch_execz .LBB64_78
; %bb.77:
	v_mov_b32_e32 v43, 4
	s_waitcnt vmcnt(26)
	ds_write2_b32 v21, v6, v7 offset0:5 offset1:6
	s_waitcnt vmcnt(24)
	ds_write2_b32 v21, v0, v1 offset0:7 offset1:8
	;; [unrolled: 2-line block ×14, first 2 shown]
.LBB64_78:
	s_or_b64 exec, exec, s[0:1]
	v_cmp_lt_i32_e32 vcc, 4, v43
	s_waitcnt lgkmcnt(0)
	s_barrier
	s_and_saveexec_b64 s[0:1], vcc
	s_cbranch_execz .LBB64_80
; %bb.79:
	ds_read2_b32 v[46:47], v21 offset0:5 offset1:6
	ds_read2_b32 v[48:49], v21 offset0:7 offset1:8
	;; [unrolled: 1-line block ×4, first 2 shown]
	v_mul_f32_e32 v40, v45, v11
	s_waitcnt vmcnt(26) lgkmcnt(3)
	v_pk_fma_f32 v[6:7], v[40:41], v[46:47], v[6:7] op_sel_hi:[0,1,1] neg_lo:[1,0,0] neg_hi:[1,0,0]
	s_waitcnt vmcnt(24) lgkmcnt(2)
	v_pk_fma_f32 v[0:1], v[40:41], v[48:49], v[0:1] op_sel_hi:[0,1,1] neg_lo:[1,0,0] neg_hi:[1,0,0]
	;; [unrolled: 2-line block ×3, first 2 shown]
	ds_read2_b32 v[46:47], v21 offset0:13 offset1:14
	ds_read2_b32 v[48:49], v21 offset0:15 offset1:16
	ds_read2_b32 v[50:51], v21 offset0:17 offset1:18
	s_waitcnt vmcnt(20) lgkmcnt(3)
	v_pk_fma_f32 v[18:19], v[40:41], v[52:53], v[18:19] op_sel_hi:[0,1,1] neg_lo:[1,0,0] neg_hi:[1,0,0]
	ds_read2_b32 v[52:53], v21 offset0:19 offset1:20
	s_waitcnt vmcnt(18) lgkmcnt(3)
	v_pk_fma_f32 v[12:13], v[40:41], v[46:47], v[12:13] op_sel_hi:[0,1,1] neg_lo:[1,0,0] neg_hi:[1,0,0]
	ds_read2_b32 v[46:47], v21 offset0:21 offset1:22
	s_waitcnt vmcnt(16) lgkmcnt(3)
	v_pk_fma_f32 v[8:9], v[40:41], v[48:49], v[8:9] op_sel_hi:[0,1,1] neg_lo:[1,0,0] neg_hi:[1,0,0]
	s_waitcnt vmcnt(14) lgkmcnt(2)
	v_pk_fma_f32 v[34:35], v[40:41], v[50:51], v[34:35] op_sel_hi:[0,1,1] neg_lo:[1,0,0] neg_hi:[1,0,0]
	;; [unrolled: 2-line block ×3, first 2 shown]
	ds_read2_b32 v[48:49], v21 offset0:23 offset1:24
	ds_read2_b32 v[50:51], v21 offset0:25 offset1:26
	;; [unrolled: 1-line block ×3, first 2 shown]
	s_waitcnt vmcnt(10) lgkmcnt(3)
	v_pk_fma_f32 v[24:25], v[40:41], v[46:47], v[24:25] op_sel_hi:[0,1,1] neg_lo:[1,0,0] neg_hi:[1,0,0]
	ds_read2_b32 v[46:47], v21 offset0:29 offset1:30
	ds_read2_b32 v[54:55], v21 offset0:31 offset1:32
	s_waitcnt vmcnt(8) lgkmcnt(4)
	v_pk_fma_f32 v[16:17], v[40:41], v[48:49], v[16:17] op_sel_hi:[0,1,1] neg_lo:[1,0,0] neg_hi:[1,0,0]
	s_waitcnt vmcnt(6) lgkmcnt(3)
	v_pk_fma_f32 v[38:39], v[40:41], v[50:51], v[38:39] op_sel_hi:[0,1,1] neg_lo:[1,0,0] neg_hi:[1,0,0]
	;; [unrolled: 2-line block ×5, first 2 shown]
	v_mov_b32_e32 v11, v40
.LBB64_80:
	s_or_b64 exec, exec, s[0:1]
	v_lshl_add_u32 v40, v43, 2, v21
	s_barrier
	s_waitcnt vmcnt(27)
	ds_write_b32 v40, v6
	s_waitcnt lgkmcnt(0)
	s_barrier
	ds_read_b32 v45, v21 offset:20
	s_cmp_lt_i32 s22, 7
	v_mov_b32_e32 v40, 5
	s_cbranch_scc1 .LBB64_83
; %bb.81:
	v_add3_u32 v46, v42, 0, 24
	v_mov_b32_e32 v40, 5
	s_mov_b32 s0, 6
.LBB64_82:                              ; =>This Inner Loop Header: Depth=1
	ds_read_b32 v47, v46
	v_mov_b32_e32 v48, s0
	s_add_i32 s0, s0, 1
	v_add_u32_e32 v46, 4, v46
	s_cmp_lg_u32 s22, s0
	s_waitcnt lgkmcnt(0)
	v_cmp_lt_f32_e64 vcc, |v45|, |v47|
	s_nop 1
	v_cndmask_b32_e32 v45, v45, v47, vcc
	v_cndmask_b32_e32 v40, v40, v48, vcc
	s_cbranch_scc1 .LBB64_82
.LBB64_83:
	s_waitcnt lgkmcnt(0)
	v_cmp_eq_f32_e32 vcc, 0, v45
	s_and_saveexec_b64 s[0:1], vcc
	s_xor_b64 s[0:1], exec, s[0:1]
; %bb.84:
	v_cmp_ne_u32_e32 vcc, 0, v44
	s_nop 1
	v_cndmask_b32_e32 v44, 6, v44, vcc
; %bb.85:
	s_andn2_saveexec_b64 s[0:1], s[0:1]
	s_cbranch_execz .LBB64_87
; %bb.86:
	v_div_scale_f32 v46, s[2:3], v45, v45, 1.0
	v_rcp_f32_e32 v47, v46
	v_div_scale_f32 v48, vcc, 1.0, v45, 1.0
	v_fma_f32 v49, -v46, v47, 1.0
	v_fmac_f32_e32 v47, v49, v47
	v_mul_f32_e32 v49, v48, v47
	v_fma_f32 v50, -v46, v49, v48
	v_fmac_f32_e32 v49, v50, v47
	v_fma_f32 v46, -v46, v49, v48
	v_div_fmas_f32 v46, v46, v47, v49
	v_div_fixup_f32 v45, v46, v45, 1.0
.LBB64_87:
	s_or_b64 exec, exec, s[0:1]
	v_cmp_ne_u32_e32 vcc, v43, v40
	s_and_saveexec_b64 s[0:1], vcc
	s_xor_b64 s[0:1], exec, s[0:1]
	s_cbranch_execz .LBB64_93
; %bb.88:
	v_cmp_eq_u32_e32 vcc, 5, v43
	s_and_saveexec_b64 s[2:3], vcc
	s_cbranch_execz .LBB64_92
; %bb.89:
	v_cmp_ne_u32_e32 vcc, 5, v40
	s_xor_b64 s[18:19], s[16:17], -1
	s_and_b64 s[20:21], s[18:19], vcc
	s_and_saveexec_b64 s[18:19], s[20:21]
	s_cbranch_execz .LBB64_91
; %bb.90:
	v_ashrrev_i32_e32 v41, 31, v40
	v_lshl_add_u64 v[46:47], v[40:41], 2, v[22:23]
	global_load_dword v41, v[46:47], off
	global_load_dword v43, v[22:23], off offset:20
	s_waitcnt vmcnt(1)
	global_store_dword v[22:23], v41, off offset:20
	s_waitcnt vmcnt(1)
	global_store_dword v[46:47], v43, off
.LBB64_91:
	s_or_b64 exec, exec, s[18:19]
	v_mov_b32_e32 v41, v40
	v_mov_b32_e32 v43, v40
.LBB64_92:
	s_or_b64 exec, exec, s[2:3]
.LBB64_93:
	s_andn2_saveexec_b64 s[0:1], s[0:1]
	s_cbranch_execz .LBB64_95
; %bb.94:
	s_waitcnt vmcnt(24)
	v_pk_mov_b32 v[46:47], v[6:7], v[0:1] op_sel:[1,0]
	ds_write2_b32 v21, v46, v47 offset0:6 offset1:7
	s_waitcnt vmcnt(22)
	v_pk_mov_b32 v[46:47], v[0:1], v[26:27] op_sel:[1,0]
	ds_write2_b32 v21, v46, v47 offset0:8 offset1:9
	;; [unrolled: 3-line block ×12, first 2 shown]
	s_waitcnt vmcnt(0)
	v_pk_mov_b32 v[46:47], v[32:33], v[30:31] op_sel:[1,0]
	v_mov_b32_e32 v43, 5
	ds_write2_b32 v21, v46, v47 offset0:30 offset1:31
	ds_write_b32 v21, v31 offset:128
.LBB64_95:
	s_or_b64 exec, exec, s[0:1]
	v_cmp_lt_i32_e32 vcc, 5, v43
	s_waitcnt lgkmcnt(0)
	s_barrier
	s_and_saveexec_b64 s[0:1], vcc
	s_cbranch_execz .LBB64_97
; %bb.96:
	ds_read_b32 v40, v21 offset:24
	ds_read2_b32 v[46:47], v21 offset0:7 offset1:8
	ds_read2_b32 v[48:49], v21 offset0:9 offset1:10
	v_mul_f32_e32 v6, v45, v6
	ds_read2_b32 v[50:51], v21 offset0:11 offset1:12
	s_waitcnt vmcnt(26) lgkmcnt(3)
	v_fma_f32 v7, -v6, v40, v7
	s_waitcnt vmcnt(24) lgkmcnt(2)
	v_pk_fma_f32 v[0:1], v[6:7], v[46:47], v[0:1] op_sel_hi:[0,1,1] neg_lo:[1,0,0] neg_hi:[1,0,0]
	s_waitcnt vmcnt(22) lgkmcnt(1)
	v_pk_fma_f32 v[26:27], v[6:7], v[48:49], v[26:27] op_sel_hi:[0,1,1] neg_lo:[1,0,0] neg_hi:[1,0,0]
	ds_read2_b32 v[46:47], v21 offset0:13 offset1:14
	ds_read2_b32 v[48:49], v21 offset0:15 offset1:16
	;; [unrolled: 1-line block ×3, first 2 shown]
	s_waitcnt vmcnt(20) lgkmcnt(3)
	v_pk_fma_f32 v[18:19], v[6:7], v[50:51], v[18:19] op_sel_hi:[0,1,1] neg_lo:[1,0,0] neg_hi:[1,0,0]
	ds_read2_b32 v[50:51], v21 offset0:19 offset1:20
	s_waitcnt vmcnt(18) lgkmcnt(3)
	v_pk_fma_f32 v[12:13], v[6:7], v[46:47], v[12:13] op_sel_hi:[0,1,1] neg_lo:[1,0,0] neg_hi:[1,0,0]
	ds_read2_b32 v[46:47], v21 offset0:21 offset1:22
	s_waitcnt vmcnt(16) lgkmcnt(3)
	v_pk_fma_f32 v[8:9], v[6:7], v[48:49], v[8:9] op_sel_hi:[0,1,1] neg_lo:[1,0,0] neg_hi:[1,0,0]
	s_waitcnt vmcnt(14) lgkmcnt(2)
	v_pk_fma_f32 v[34:35], v[6:7], v[52:53], v[34:35] op_sel_hi:[0,1,1] neg_lo:[1,0,0] neg_hi:[1,0,0]
	;; [unrolled: 2-line block ×3, first 2 shown]
	ds_read2_b32 v[48:49], v21 offset0:23 offset1:24
	ds_read2_b32 v[50:51], v21 offset0:25 offset1:26
	;; [unrolled: 1-line block ×3, first 2 shown]
	s_waitcnt vmcnt(10) lgkmcnt(3)
	v_pk_fma_f32 v[24:25], v[6:7], v[46:47], v[24:25] op_sel_hi:[0,1,1] neg_lo:[1,0,0] neg_hi:[1,0,0]
	ds_read2_b32 v[46:47], v21 offset0:29 offset1:30
	ds_read2_b32 v[54:55], v21 offset0:31 offset1:32
	s_waitcnt vmcnt(8) lgkmcnt(4)
	v_pk_fma_f32 v[16:17], v[6:7], v[48:49], v[16:17] op_sel_hi:[0,1,1] neg_lo:[1,0,0] neg_hi:[1,0,0]
	s_waitcnt vmcnt(6) lgkmcnt(3)
	v_pk_fma_f32 v[38:39], v[6:7], v[50:51], v[38:39] op_sel_hi:[0,1,1] neg_lo:[1,0,0] neg_hi:[1,0,0]
	;; [unrolled: 2-line block ×5, first 2 shown]
.LBB64_97:
	s_or_b64 exec, exec, s[0:1]
	v_lshl_add_u32 v40, v43, 2, v21
	s_barrier
	s_waitcnt vmcnt(26)
	ds_write_b32 v40, v7
	s_waitcnt lgkmcnt(0)
	s_barrier
	ds_read_b32 v45, v21 offset:24
	s_cmp_lt_i32 s22, 8
	v_mov_b32_e32 v40, 6
	s_cbranch_scc1 .LBB64_100
; %bb.98:
	v_add3_u32 v46, v42, 0, 28
	v_mov_b32_e32 v40, 6
	s_mov_b32 s0, 7
.LBB64_99:                              ; =>This Inner Loop Header: Depth=1
	ds_read_b32 v47, v46
	v_mov_b32_e32 v48, s0
	s_add_i32 s0, s0, 1
	v_add_u32_e32 v46, 4, v46
	s_cmp_lg_u32 s22, s0
	s_waitcnt lgkmcnt(0)
	v_cmp_lt_f32_e64 vcc, |v45|, |v47|
	s_nop 1
	v_cndmask_b32_e32 v45, v45, v47, vcc
	v_cndmask_b32_e32 v40, v40, v48, vcc
	s_cbranch_scc1 .LBB64_99
.LBB64_100:
	s_waitcnt lgkmcnt(0)
	v_cmp_eq_f32_e32 vcc, 0, v45
	s_and_saveexec_b64 s[0:1], vcc
	s_xor_b64 s[0:1], exec, s[0:1]
; %bb.101:
	v_cmp_ne_u32_e32 vcc, 0, v44
	s_nop 1
	v_cndmask_b32_e32 v44, 7, v44, vcc
; %bb.102:
	s_andn2_saveexec_b64 s[0:1], s[0:1]
	s_cbranch_execz .LBB64_104
; %bb.103:
	v_div_scale_f32 v46, s[2:3], v45, v45, 1.0
	v_rcp_f32_e32 v47, v46
	v_div_scale_f32 v48, vcc, 1.0, v45, 1.0
	v_fma_f32 v49, -v46, v47, 1.0
	v_fmac_f32_e32 v47, v49, v47
	v_mul_f32_e32 v49, v48, v47
	v_fma_f32 v50, -v46, v49, v48
	v_fmac_f32_e32 v49, v50, v47
	v_fma_f32 v46, -v46, v49, v48
	v_div_fmas_f32 v46, v46, v47, v49
	v_div_fixup_f32 v45, v46, v45, 1.0
.LBB64_104:
	s_or_b64 exec, exec, s[0:1]
	v_cmp_ne_u32_e32 vcc, v43, v40
	s_and_saveexec_b64 s[0:1], vcc
	s_xor_b64 s[0:1], exec, s[0:1]
	s_cbranch_execz .LBB64_110
; %bb.105:
	v_cmp_eq_u32_e32 vcc, 6, v43
	s_and_saveexec_b64 s[2:3], vcc
	s_cbranch_execz .LBB64_109
; %bb.106:
	v_cmp_ne_u32_e32 vcc, 6, v40
	s_xor_b64 s[18:19], s[16:17], -1
	s_and_b64 s[20:21], s[18:19], vcc
	s_and_saveexec_b64 s[18:19], s[20:21]
	s_cbranch_execz .LBB64_108
; %bb.107:
	v_ashrrev_i32_e32 v41, 31, v40
	v_lshl_add_u64 v[46:47], v[40:41], 2, v[22:23]
	global_load_dword v41, v[46:47], off
	global_load_dword v43, v[22:23], off offset:24
	s_waitcnt vmcnt(1)
	global_store_dword v[22:23], v41, off offset:24
	s_waitcnt vmcnt(1)
	global_store_dword v[46:47], v43, off
.LBB64_108:
	s_or_b64 exec, exec, s[18:19]
	v_mov_b32_e32 v41, v40
	v_mov_b32_e32 v43, v40
.LBB64_109:
	s_or_b64 exec, exec, s[2:3]
.LBB64_110:
	s_andn2_saveexec_b64 s[0:1], s[0:1]
	s_cbranch_execz .LBB64_112
; %bb.111:
	v_mov_b32_e32 v43, 6
	s_waitcnt vmcnt(24)
	ds_write2_b32 v21, v0, v1 offset0:7 offset1:8
	s_waitcnt vmcnt(22)
	ds_write2_b32 v21, v26, v27 offset0:9 offset1:10
	;; [unrolled: 2-line block ×13, first 2 shown]
.LBB64_112:
	s_or_b64 exec, exec, s[0:1]
	v_cmp_lt_i32_e32 vcc, 6, v43
	s_waitcnt lgkmcnt(0)
	s_barrier
	s_and_saveexec_b64 s[0:1], vcc
	s_cbranch_execz .LBB64_114
; %bb.113:
	ds_read2_b32 v[46:47], v21 offset0:7 offset1:8
	ds_read2_b32 v[48:49], v21 offset0:9 offset1:10
	ds_read2_b32 v[50:51], v21 offset0:11 offset1:12
	v_mul_f32_e32 v40, v45, v7
	ds_read2_b32 v[52:53], v21 offset0:13 offset1:14
	s_waitcnt vmcnt(24) lgkmcnt(3)
	v_pk_fma_f32 v[0:1], v[40:41], v[46:47], v[0:1] op_sel_hi:[0,1,1] neg_lo:[1,0,0] neg_hi:[1,0,0]
	s_waitcnt vmcnt(22) lgkmcnt(2)
	v_pk_fma_f32 v[26:27], v[40:41], v[48:49], v[26:27] op_sel_hi:[0,1,1] neg_lo:[1,0,0] neg_hi:[1,0,0]
	;; [unrolled: 2-line block ×3, first 2 shown]
	ds_read2_b32 v[46:47], v21 offset0:15 offset1:16
	ds_read2_b32 v[48:49], v21 offset0:17 offset1:18
	;; [unrolled: 1-line block ×4, first 2 shown]
	s_waitcnt vmcnt(18) lgkmcnt(4)
	v_pk_fma_f32 v[12:13], v[40:41], v[52:53], v[12:13] op_sel_hi:[0,1,1] neg_lo:[1,0,0] neg_hi:[1,0,0]
	s_waitcnt vmcnt(16) lgkmcnt(3)
	v_pk_fma_f32 v[8:9], v[40:41], v[46:47], v[8:9] op_sel_hi:[0,1,1] neg_lo:[1,0,0] neg_hi:[1,0,0]
	;; [unrolled: 2-line block ×5, first 2 shown]
	ds_read2_b32 v[46:47], v21 offset0:23 offset1:24
	ds_read2_b32 v[48:49], v21 offset0:25 offset1:26
	;; [unrolled: 1-line block ×5, first 2 shown]
	s_waitcnt vmcnt(8) lgkmcnt(4)
	v_pk_fma_f32 v[16:17], v[40:41], v[46:47], v[16:17] op_sel_hi:[0,1,1] neg_lo:[1,0,0] neg_hi:[1,0,0]
	s_waitcnt vmcnt(6) lgkmcnt(3)
	v_pk_fma_f32 v[38:39], v[40:41], v[48:49], v[38:39] op_sel_hi:[0,1,1] neg_lo:[1,0,0] neg_hi:[1,0,0]
	;; [unrolled: 2-line block ×5, first 2 shown]
	v_mov_b32_e32 v7, v40
.LBB64_114:
	s_or_b64 exec, exec, s[0:1]
	v_lshl_add_u32 v40, v43, 2, v21
	s_barrier
	s_waitcnt vmcnt(25)
	ds_write_b32 v40, v0
	s_waitcnt lgkmcnt(0)
	s_barrier
	ds_read_b32 v45, v21 offset:28
	s_cmp_lt_i32 s22, 9
	v_mov_b32_e32 v40, 7
	s_cbranch_scc1 .LBB64_117
; %bb.115:
	v_add3_u32 v46, v42, 0, 32
	v_mov_b32_e32 v40, 7
	s_mov_b32 s0, 8
.LBB64_116:                             ; =>This Inner Loop Header: Depth=1
	ds_read_b32 v47, v46
	v_mov_b32_e32 v48, s0
	s_add_i32 s0, s0, 1
	v_add_u32_e32 v46, 4, v46
	s_cmp_lg_u32 s22, s0
	s_waitcnt lgkmcnt(0)
	v_cmp_lt_f32_e64 vcc, |v45|, |v47|
	s_nop 1
	v_cndmask_b32_e32 v45, v45, v47, vcc
	v_cndmask_b32_e32 v40, v40, v48, vcc
	s_cbranch_scc1 .LBB64_116
.LBB64_117:
	s_waitcnt lgkmcnt(0)
	v_cmp_eq_f32_e32 vcc, 0, v45
	s_and_saveexec_b64 s[0:1], vcc
	s_xor_b64 s[0:1], exec, s[0:1]
; %bb.118:
	v_cmp_ne_u32_e32 vcc, 0, v44
	s_nop 1
	v_cndmask_b32_e32 v44, 8, v44, vcc
; %bb.119:
	s_andn2_saveexec_b64 s[0:1], s[0:1]
	s_cbranch_execz .LBB64_121
; %bb.120:
	v_div_scale_f32 v46, s[2:3], v45, v45, 1.0
	v_rcp_f32_e32 v47, v46
	v_div_scale_f32 v48, vcc, 1.0, v45, 1.0
	v_fma_f32 v49, -v46, v47, 1.0
	v_fmac_f32_e32 v47, v49, v47
	v_mul_f32_e32 v49, v48, v47
	v_fma_f32 v50, -v46, v49, v48
	v_fmac_f32_e32 v49, v50, v47
	v_fma_f32 v46, -v46, v49, v48
	v_div_fmas_f32 v46, v46, v47, v49
	v_div_fixup_f32 v45, v46, v45, 1.0
.LBB64_121:
	s_or_b64 exec, exec, s[0:1]
	v_cmp_ne_u32_e32 vcc, v43, v40
	s_and_saveexec_b64 s[0:1], vcc
	s_xor_b64 s[0:1], exec, s[0:1]
	s_cbranch_execz .LBB64_127
; %bb.122:
	v_cmp_eq_u32_e32 vcc, 7, v43
	s_and_saveexec_b64 s[2:3], vcc
	s_cbranch_execz .LBB64_126
; %bb.123:
	v_cmp_ne_u32_e32 vcc, 7, v40
	s_xor_b64 s[18:19], s[16:17], -1
	s_and_b64 s[20:21], s[18:19], vcc
	s_and_saveexec_b64 s[18:19], s[20:21]
	s_cbranch_execz .LBB64_125
; %bb.124:
	v_ashrrev_i32_e32 v41, 31, v40
	v_lshl_add_u64 v[46:47], v[40:41], 2, v[22:23]
	global_load_dword v41, v[46:47], off
	global_load_dword v43, v[22:23], off offset:28
	s_waitcnt vmcnt(1)
	global_store_dword v[22:23], v41, off offset:28
	s_waitcnt vmcnt(1)
	global_store_dword v[46:47], v43, off
.LBB64_125:
	s_or_b64 exec, exec, s[18:19]
	v_mov_b32_e32 v41, v40
	v_mov_b32_e32 v43, v40
.LBB64_126:
	s_or_b64 exec, exec, s[2:3]
.LBB64_127:
	s_andn2_saveexec_b64 s[0:1], s[0:1]
	s_cbranch_execz .LBB64_129
; %bb.128:
	s_waitcnt vmcnt(22)
	v_pk_mov_b32 v[46:47], v[0:1], v[26:27] op_sel:[1,0]
	ds_write2_b32 v21, v46, v47 offset0:8 offset1:9
	s_waitcnt vmcnt(20)
	v_pk_mov_b32 v[46:47], v[26:27], v[18:19] op_sel:[1,0]
	ds_write2_b32 v21, v46, v47 offset0:10 offset1:11
	;; [unrolled: 3-line block ×11, first 2 shown]
	s_waitcnt vmcnt(0)
	v_pk_mov_b32 v[46:47], v[32:33], v[30:31] op_sel:[1,0]
	v_mov_b32_e32 v43, 7
	ds_write2_b32 v21, v46, v47 offset0:30 offset1:31
	ds_write_b32 v21, v31 offset:128
.LBB64_129:
	s_or_b64 exec, exec, s[0:1]
	v_cmp_lt_i32_e32 vcc, 7, v43
	s_waitcnt lgkmcnt(0)
	s_barrier
	s_and_saveexec_b64 s[0:1], vcc
	s_cbranch_execz .LBB64_131
; %bb.130:
	ds_read_b32 v40, v21 offset:32
	ds_read2_b32 v[46:47], v21 offset0:9 offset1:10
	ds_read2_b32 v[48:49], v21 offset0:11 offset1:12
	v_mul_f32_e32 v0, v45, v0
	ds_read2_b32 v[50:51], v21 offset0:13 offset1:14
	s_waitcnt vmcnt(24) lgkmcnt(3)
	v_fma_f32 v1, -v0, v40, v1
	s_waitcnt vmcnt(22) lgkmcnt(2)
	v_pk_fma_f32 v[26:27], v[0:1], v[46:47], v[26:27] op_sel_hi:[0,1,1] neg_lo:[1,0,0] neg_hi:[1,0,0]
	s_waitcnt vmcnt(20) lgkmcnt(1)
	v_pk_fma_f32 v[18:19], v[0:1], v[48:49], v[18:19] op_sel_hi:[0,1,1] neg_lo:[1,0,0] neg_hi:[1,0,0]
	ds_read2_b32 v[46:47], v21 offset0:15 offset1:16
	ds_read2_b32 v[48:49], v21 offset0:17 offset1:18
	;; [unrolled: 1-line block ×4, first 2 shown]
	s_waitcnt vmcnt(18) lgkmcnt(4)
	v_pk_fma_f32 v[12:13], v[0:1], v[50:51], v[12:13] op_sel_hi:[0,1,1] neg_lo:[1,0,0] neg_hi:[1,0,0]
	s_waitcnt vmcnt(16) lgkmcnt(3)
	v_pk_fma_f32 v[8:9], v[0:1], v[46:47], v[8:9] op_sel_hi:[0,1,1] neg_lo:[1,0,0] neg_hi:[1,0,0]
	;; [unrolled: 2-line block ×5, first 2 shown]
	ds_read2_b32 v[46:47], v21 offset0:23 offset1:24
	ds_read2_b32 v[48:49], v21 offset0:25 offset1:26
	;; [unrolled: 1-line block ×5, first 2 shown]
	s_waitcnt vmcnt(8) lgkmcnt(4)
	v_pk_fma_f32 v[16:17], v[0:1], v[46:47], v[16:17] op_sel_hi:[0,1,1] neg_lo:[1,0,0] neg_hi:[1,0,0]
	s_waitcnt vmcnt(6) lgkmcnt(3)
	v_pk_fma_f32 v[38:39], v[0:1], v[48:49], v[38:39] op_sel_hi:[0,1,1] neg_lo:[1,0,0] neg_hi:[1,0,0]
	;; [unrolled: 2-line block ×5, first 2 shown]
.LBB64_131:
	s_or_b64 exec, exec, s[0:1]
	v_lshl_add_u32 v40, v43, 2, v21
	s_barrier
	s_waitcnt vmcnt(24)
	ds_write_b32 v40, v1
	s_waitcnt lgkmcnt(0)
	s_barrier
	ds_read_b32 v45, v21 offset:32
	s_cmp_lt_i32 s22, 10
	v_mov_b32_e32 v40, 8
	s_cbranch_scc1 .LBB64_134
; %bb.132:
	v_add3_u32 v46, v42, 0, 36
	v_mov_b32_e32 v40, 8
	s_mov_b32 s0, 9
.LBB64_133:                             ; =>This Inner Loop Header: Depth=1
	ds_read_b32 v47, v46
	v_mov_b32_e32 v48, s0
	s_add_i32 s0, s0, 1
	v_add_u32_e32 v46, 4, v46
	s_cmp_lg_u32 s22, s0
	s_waitcnt lgkmcnt(0)
	v_cmp_lt_f32_e64 vcc, |v45|, |v47|
	s_nop 1
	v_cndmask_b32_e32 v45, v45, v47, vcc
	v_cndmask_b32_e32 v40, v40, v48, vcc
	s_cbranch_scc1 .LBB64_133
.LBB64_134:
	s_waitcnt lgkmcnt(0)
	v_cmp_eq_f32_e32 vcc, 0, v45
	s_and_saveexec_b64 s[0:1], vcc
	s_xor_b64 s[0:1], exec, s[0:1]
; %bb.135:
	v_cmp_ne_u32_e32 vcc, 0, v44
	s_nop 1
	v_cndmask_b32_e32 v44, 9, v44, vcc
; %bb.136:
	s_andn2_saveexec_b64 s[0:1], s[0:1]
	s_cbranch_execz .LBB64_138
; %bb.137:
	v_div_scale_f32 v46, s[2:3], v45, v45, 1.0
	v_rcp_f32_e32 v47, v46
	v_div_scale_f32 v48, vcc, 1.0, v45, 1.0
	v_fma_f32 v49, -v46, v47, 1.0
	v_fmac_f32_e32 v47, v49, v47
	v_mul_f32_e32 v49, v48, v47
	v_fma_f32 v50, -v46, v49, v48
	v_fmac_f32_e32 v49, v50, v47
	v_fma_f32 v46, -v46, v49, v48
	v_div_fmas_f32 v46, v46, v47, v49
	v_div_fixup_f32 v45, v46, v45, 1.0
.LBB64_138:
	s_or_b64 exec, exec, s[0:1]
	v_cmp_ne_u32_e32 vcc, v43, v40
	s_and_saveexec_b64 s[0:1], vcc
	s_xor_b64 s[0:1], exec, s[0:1]
	s_cbranch_execz .LBB64_144
; %bb.139:
	v_cmp_eq_u32_e32 vcc, 8, v43
	s_and_saveexec_b64 s[2:3], vcc
	s_cbranch_execz .LBB64_143
; %bb.140:
	v_cmp_ne_u32_e32 vcc, 8, v40
	s_xor_b64 s[18:19], s[16:17], -1
	s_and_b64 s[20:21], s[18:19], vcc
	s_and_saveexec_b64 s[18:19], s[20:21]
	s_cbranch_execz .LBB64_142
; %bb.141:
	v_ashrrev_i32_e32 v41, 31, v40
	v_lshl_add_u64 v[46:47], v[40:41], 2, v[22:23]
	global_load_dword v41, v[46:47], off
	global_load_dword v43, v[22:23], off offset:32
	s_waitcnt vmcnt(1)
	global_store_dword v[22:23], v41, off offset:32
	s_waitcnt vmcnt(1)
	global_store_dword v[46:47], v43, off
.LBB64_142:
	s_or_b64 exec, exec, s[18:19]
	v_mov_b32_e32 v41, v40
	v_mov_b32_e32 v43, v40
.LBB64_143:
	s_or_b64 exec, exec, s[2:3]
.LBB64_144:
	s_andn2_saveexec_b64 s[0:1], s[0:1]
	s_cbranch_execz .LBB64_146
; %bb.145:
	v_mov_b32_e32 v43, 8
	s_waitcnt vmcnt(22)
	ds_write2_b32 v21, v26, v27 offset0:9 offset1:10
	s_waitcnt vmcnt(20)
	ds_write2_b32 v21, v18, v19 offset0:11 offset1:12
	;; [unrolled: 2-line block ×12, first 2 shown]
.LBB64_146:
	s_or_b64 exec, exec, s[0:1]
	v_cmp_lt_i32_e32 vcc, 8, v43
	s_waitcnt lgkmcnt(0)
	s_barrier
	s_and_saveexec_b64 s[0:1], vcc
	s_cbranch_execz .LBB64_148
; %bb.147:
	ds_read2_b32 v[46:47], v21 offset0:9 offset1:10
	ds_read2_b32 v[48:49], v21 offset0:11 offset1:12
	ds_read2_b32 v[50:51], v21 offset0:13 offset1:14
	v_mul_f32_e32 v40, v45, v1
	ds_read2_b32 v[52:53], v21 offset0:15 offset1:16
	s_waitcnt vmcnt(22) lgkmcnt(3)
	v_pk_fma_f32 v[26:27], v[40:41], v[46:47], v[26:27] op_sel_hi:[0,1,1] neg_lo:[1,0,0] neg_hi:[1,0,0]
	s_waitcnt vmcnt(20) lgkmcnt(2)
	v_pk_fma_f32 v[18:19], v[40:41], v[48:49], v[18:19] op_sel_hi:[0,1,1] neg_lo:[1,0,0] neg_hi:[1,0,0]
	;; [unrolled: 2-line block ×3, first 2 shown]
	ds_read2_b32 v[46:47], v21 offset0:17 offset1:18
	ds_read2_b32 v[48:49], v21 offset0:19 offset1:20
	;; [unrolled: 1-line block ×3, first 2 shown]
	s_waitcnt vmcnt(16) lgkmcnt(3)
	v_pk_fma_f32 v[8:9], v[40:41], v[52:53], v[8:9] op_sel_hi:[0,1,1] neg_lo:[1,0,0] neg_hi:[1,0,0]
	ds_read2_b32 v[52:53], v21 offset0:23 offset1:24
	s_waitcnt vmcnt(14) lgkmcnt(3)
	v_pk_fma_f32 v[34:35], v[40:41], v[46:47], v[34:35] op_sel_hi:[0,1,1] neg_lo:[1,0,0] neg_hi:[1,0,0]
	s_waitcnt vmcnt(12) lgkmcnt(2)
	v_pk_fma_f32 v[28:29], v[40:41], v[48:49], v[28:29] op_sel_hi:[0,1,1] neg_lo:[1,0,0] neg_hi:[1,0,0]
	s_waitcnt vmcnt(10) lgkmcnt(1)
	v_pk_fma_f32 v[24:25], v[40:41], v[50:51], v[24:25] op_sel_hi:[0,1,1] neg_lo:[1,0,0] neg_hi:[1,0,0]
	ds_read2_b32 v[46:47], v21 offset0:25 offset1:26
	ds_read2_b32 v[48:49], v21 offset0:27 offset1:28
	;; [unrolled: 1-line block ×4, first 2 shown]
	s_waitcnt vmcnt(8) lgkmcnt(4)
	v_pk_fma_f32 v[16:17], v[40:41], v[52:53], v[16:17] op_sel_hi:[0,1,1] neg_lo:[1,0,0] neg_hi:[1,0,0]
	s_waitcnt vmcnt(6) lgkmcnt(3)
	v_pk_fma_f32 v[38:39], v[40:41], v[46:47], v[38:39] op_sel_hi:[0,1,1] neg_lo:[1,0,0] neg_hi:[1,0,0]
	s_waitcnt vmcnt(4) lgkmcnt(2)
	v_pk_fma_f32 v[36:37], v[40:41], v[48:49], v[36:37] op_sel_hi:[0,1,1] neg_lo:[1,0,0] neg_hi:[1,0,0]
	s_waitcnt vmcnt(2) lgkmcnt(1)
	v_pk_fma_f32 v[32:33], v[40:41], v[50:51], v[32:33] op_sel_hi:[0,1,1] neg_lo:[1,0,0] neg_hi:[1,0,0]
	s_waitcnt vmcnt(0) lgkmcnt(0)
	v_pk_fma_f32 v[30:31], v[40:41], v[54:55], v[30:31] op_sel_hi:[0,1,1] neg_lo:[1,0,0] neg_hi:[1,0,0]
	v_mov_b32_e32 v1, v40
.LBB64_148:
	s_or_b64 exec, exec, s[0:1]
	v_lshl_add_u32 v40, v43, 2, v21
	s_barrier
	s_waitcnt vmcnt(23)
	ds_write_b32 v40, v26
	s_waitcnt lgkmcnt(0)
	s_barrier
	ds_read_b32 v45, v21 offset:36
	s_cmp_lt_i32 s22, 11
	v_mov_b32_e32 v40, 9
	s_cbranch_scc1 .LBB64_151
; %bb.149:
	v_add3_u32 v46, v42, 0, 40
	v_mov_b32_e32 v40, 9
	s_mov_b32 s0, 10
.LBB64_150:                             ; =>This Inner Loop Header: Depth=1
	ds_read_b32 v47, v46
	v_mov_b32_e32 v48, s0
	s_add_i32 s0, s0, 1
	v_add_u32_e32 v46, 4, v46
	s_cmp_lg_u32 s22, s0
	s_waitcnt lgkmcnt(0)
	v_cmp_lt_f32_e64 vcc, |v45|, |v47|
	s_nop 1
	v_cndmask_b32_e32 v45, v45, v47, vcc
	v_cndmask_b32_e32 v40, v40, v48, vcc
	s_cbranch_scc1 .LBB64_150
.LBB64_151:
	s_waitcnt lgkmcnt(0)
	v_cmp_eq_f32_e32 vcc, 0, v45
	s_and_saveexec_b64 s[0:1], vcc
	s_xor_b64 s[0:1], exec, s[0:1]
; %bb.152:
	v_cmp_ne_u32_e32 vcc, 0, v44
	s_nop 1
	v_cndmask_b32_e32 v44, 10, v44, vcc
; %bb.153:
	s_andn2_saveexec_b64 s[0:1], s[0:1]
	s_cbranch_execz .LBB64_155
; %bb.154:
	v_div_scale_f32 v46, s[2:3], v45, v45, 1.0
	v_rcp_f32_e32 v47, v46
	v_div_scale_f32 v48, vcc, 1.0, v45, 1.0
	v_fma_f32 v49, -v46, v47, 1.0
	v_fmac_f32_e32 v47, v49, v47
	v_mul_f32_e32 v49, v48, v47
	v_fma_f32 v50, -v46, v49, v48
	v_fmac_f32_e32 v49, v50, v47
	v_fma_f32 v46, -v46, v49, v48
	v_div_fmas_f32 v46, v46, v47, v49
	v_div_fixup_f32 v45, v46, v45, 1.0
.LBB64_155:
	s_or_b64 exec, exec, s[0:1]
	v_cmp_ne_u32_e32 vcc, v43, v40
	s_and_saveexec_b64 s[0:1], vcc
	s_xor_b64 s[0:1], exec, s[0:1]
	s_cbranch_execz .LBB64_161
; %bb.156:
	v_cmp_eq_u32_e32 vcc, 9, v43
	s_and_saveexec_b64 s[2:3], vcc
	s_cbranch_execz .LBB64_160
; %bb.157:
	v_cmp_ne_u32_e32 vcc, 9, v40
	s_xor_b64 s[18:19], s[16:17], -1
	s_and_b64 s[20:21], s[18:19], vcc
	s_and_saveexec_b64 s[18:19], s[20:21]
	s_cbranch_execz .LBB64_159
; %bb.158:
	v_ashrrev_i32_e32 v41, 31, v40
	v_lshl_add_u64 v[46:47], v[40:41], 2, v[22:23]
	global_load_dword v41, v[46:47], off
	global_load_dword v43, v[22:23], off offset:36
	s_waitcnt vmcnt(1)
	global_store_dword v[22:23], v41, off offset:36
	s_waitcnt vmcnt(1)
	global_store_dword v[46:47], v43, off
.LBB64_159:
	s_or_b64 exec, exec, s[18:19]
	v_mov_b32_e32 v41, v40
	v_mov_b32_e32 v43, v40
.LBB64_160:
	s_or_b64 exec, exec, s[2:3]
.LBB64_161:
	s_andn2_saveexec_b64 s[0:1], s[0:1]
	s_cbranch_execz .LBB64_163
; %bb.162:
	s_waitcnt vmcnt(20)
	v_pk_mov_b32 v[46:47], v[26:27], v[18:19] op_sel:[1,0]
	ds_write2_b32 v21, v46, v47 offset0:10 offset1:11
	s_waitcnt vmcnt(18)
	v_pk_mov_b32 v[46:47], v[18:19], v[12:13] op_sel:[1,0]
	ds_write2_b32 v21, v46, v47 offset0:12 offset1:13
	;; [unrolled: 3-line block ×10, first 2 shown]
	s_waitcnt vmcnt(0)
	v_pk_mov_b32 v[46:47], v[32:33], v[30:31] op_sel:[1,0]
	v_mov_b32_e32 v43, 9
	ds_write2_b32 v21, v46, v47 offset0:30 offset1:31
	ds_write_b32 v21, v31 offset:128
.LBB64_163:
	s_or_b64 exec, exec, s[0:1]
	v_cmp_lt_i32_e32 vcc, 9, v43
	s_waitcnt lgkmcnt(0)
	s_barrier
	s_and_saveexec_b64 s[0:1], vcc
	s_cbranch_execz .LBB64_165
; %bb.164:
	ds_read_b32 v40, v21 offset:40
	ds_read2_b32 v[46:47], v21 offset0:11 offset1:12
	ds_read2_b32 v[48:49], v21 offset0:13 offset1:14
	v_mul_f32_e32 v26, v45, v26
	ds_read2_b32 v[50:51], v21 offset0:15 offset1:16
	s_waitcnt vmcnt(22) lgkmcnt(3)
	v_fma_f32 v27, -v26, v40, v27
	s_waitcnt vmcnt(20) lgkmcnt(2)
	v_pk_fma_f32 v[18:19], v[26:27], v[46:47], v[18:19] op_sel_hi:[0,1,1] neg_lo:[1,0,0] neg_hi:[1,0,0]
	s_waitcnt vmcnt(18) lgkmcnt(1)
	v_pk_fma_f32 v[12:13], v[26:27], v[48:49], v[12:13] op_sel_hi:[0,1,1] neg_lo:[1,0,0] neg_hi:[1,0,0]
	ds_read2_b32 v[46:47], v21 offset0:17 offset1:18
	ds_read2_b32 v[48:49], v21 offset0:19 offset1:20
	;; [unrolled: 1-line block ×3, first 2 shown]
	s_waitcnt vmcnt(16) lgkmcnt(3)
	v_pk_fma_f32 v[8:9], v[26:27], v[50:51], v[8:9] op_sel_hi:[0,1,1] neg_lo:[1,0,0] neg_hi:[1,0,0]
	ds_read2_b32 v[50:51], v21 offset0:23 offset1:24
	s_waitcnt vmcnt(14) lgkmcnt(3)
	v_pk_fma_f32 v[34:35], v[26:27], v[46:47], v[34:35] op_sel_hi:[0,1,1] neg_lo:[1,0,0] neg_hi:[1,0,0]
	s_waitcnt vmcnt(12) lgkmcnt(2)
	v_pk_fma_f32 v[28:29], v[26:27], v[48:49], v[28:29] op_sel_hi:[0,1,1] neg_lo:[1,0,0] neg_hi:[1,0,0]
	;; [unrolled: 2-line block ×3, first 2 shown]
	ds_read2_b32 v[46:47], v21 offset0:25 offset1:26
	ds_read2_b32 v[48:49], v21 offset0:27 offset1:28
	;; [unrolled: 1-line block ×4, first 2 shown]
	s_waitcnt vmcnt(8) lgkmcnt(4)
	v_pk_fma_f32 v[16:17], v[26:27], v[50:51], v[16:17] op_sel_hi:[0,1,1] neg_lo:[1,0,0] neg_hi:[1,0,0]
	s_waitcnt vmcnt(6) lgkmcnt(3)
	v_pk_fma_f32 v[38:39], v[26:27], v[46:47], v[38:39] op_sel_hi:[0,1,1] neg_lo:[1,0,0] neg_hi:[1,0,0]
	;; [unrolled: 2-line block ×5, first 2 shown]
.LBB64_165:
	s_or_b64 exec, exec, s[0:1]
	v_lshl_add_u32 v40, v43, 2, v21
	s_barrier
	s_waitcnt vmcnt(22)
	ds_write_b32 v40, v27
	s_waitcnt lgkmcnt(0)
	s_barrier
	ds_read_b32 v45, v21 offset:40
	s_cmp_lt_i32 s22, 12
	v_mov_b32_e32 v40, 10
	s_cbranch_scc1 .LBB64_168
; %bb.166:
	v_add3_u32 v46, v42, 0, 44
	v_mov_b32_e32 v40, 10
	s_mov_b32 s0, 11
.LBB64_167:                             ; =>This Inner Loop Header: Depth=1
	ds_read_b32 v47, v46
	v_mov_b32_e32 v48, s0
	s_add_i32 s0, s0, 1
	v_add_u32_e32 v46, 4, v46
	s_cmp_lg_u32 s22, s0
	s_waitcnt lgkmcnt(0)
	v_cmp_lt_f32_e64 vcc, |v45|, |v47|
	s_nop 1
	v_cndmask_b32_e32 v45, v45, v47, vcc
	v_cndmask_b32_e32 v40, v40, v48, vcc
	s_cbranch_scc1 .LBB64_167
.LBB64_168:
	s_waitcnt lgkmcnt(0)
	v_cmp_eq_f32_e32 vcc, 0, v45
	s_and_saveexec_b64 s[0:1], vcc
	s_xor_b64 s[0:1], exec, s[0:1]
; %bb.169:
	v_cmp_ne_u32_e32 vcc, 0, v44
	s_nop 1
	v_cndmask_b32_e32 v44, 11, v44, vcc
; %bb.170:
	s_andn2_saveexec_b64 s[0:1], s[0:1]
	s_cbranch_execz .LBB64_172
; %bb.171:
	v_div_scale_f32 v46, s[2:3], v45, v45, 1.0
	v_rcp_f32_e32 v47, v46
	v_div_scale_f32 v48, vcc, 1.0, v45, 1.0
	v_fma_f32 v49, -v46, v47, 1.0
	v_fmac_f32_e32 v47, v49, v47
	v_mul_f32_e32 v49, v48, v47
	v_fma_f32 v50, -v46, v49, v48
	v_fmac_f32_e32 v49, v50, v47
	v_fma_f32 v46, -v46, v49, v48
	v_div_fmas_f32 v46, v46, v47, v49
	v_div_fixup_f32 v45, v46, v45, 1.0
.LBB64_172:
	s_or_b64 exec, exec, s[0:1]
	v_cmp_ne_u32_e32 vcc, v43, v40
	s_and_saveexec_b64 s[0:1], vcc
	s_xor_b64 s[0:1], exec, s[0:1]
	s_cbranch_execz .LBB64_178
; %bb.173:
	v_cmp_eq_u32_e32 vcc, 10, v43
	s_and_saveexec_b64 s[2:3], vcc
	s_cbranch_execz .LBB64_177
; %bb.174:
	v_cmp_ne_u32_e32 vcc, 10, v40
	s_xor_b64 s[18:19], s[16:17], -1
	s_and_b64 s[20:21], s[18:19], vcc
	s_and_saveexec_b64 s[18:19], s[20:21]
	s_cbranch_execz .LBB64_176
; %bb.175:
	v_ashrrev_i32_e32 v41, 31, v40
	v_lshl_add_u64 v[46:47], v[40:41], 2, v[22:23]
	global_load_dword v41, v[46:47], off
	global_load_dword v43, v[22:23], off offset:40
	s_waitcnt vmcnt(1)
	global_store_dword v[22:23], v41, off offset:40
	s_waitcnt vmcnt(1)
	global_store_dword v[46:47], v43, off
.LBB64_176:
	s_or_b64 exec, exec, s[18:19]
	v_mov_b32_e32 v41, v40
	v_mov_b32_e32 v43, v40
.LBB64_177:
	s_or_b64 exec, exec, s[2:3]
.LBB64_178:
	s_andn2_saveexec_b64 s[0:1], s[0:1]
	s_cbranch_execz .LBB64_180
; %bb.179:
	v_mov_b32_e32 v43, 10
	s_waitcnt vmcnt(20)
	ds_write2_b32 v21, v18, v19 offset0:11 offset1:12
	s_waitcnt vmcnt(18)
	ds_write2_b32 v21, v12, v13 offset0:13 offset1:14
	;; [unrolled: 2-line block ×11, first 2 shown]
.LBB64_180:
	s_or_b64 exec, exec, s[0:1]
	v_cmp_lt_i32_e32 vcc, 10, v43
	s_waitcnt lgkmcnt(0)
	s_barrier
	s_and_saveexec_b64 s[0:1], vcc
	s_cbranch_execz .LBB64_182
; %bb.181:
	ds_read2_b32 v[46:47], v21 offset0:11 offset1:12
	ds_read2_b32 v[48:49], v21 offset0:13 offset1:14
	;; [unrolled: 1-line block ×3, first 2 shown]
	v_mul_f32_e32 v40, v45, v27
	ds_read2_b32 v[52:53], v21 offset0:17 offset1:18
	s_waitcnt vmcnt(20) lgkmcnt(3)
	v_pk_fma_f32 v[18:19], v[40:41], v[46:47], v[18:19] op_sel_hi:[0,1,1] neg_lo:[1,0,0] neg_hi:[1,0,0]
	s_waitcnt vmcnt(18) lgkmcnt(2)
	v_pk_fma_f32 v[12:13], v[40:41], v[48:49], v[12:13] op_sel_hi:[0,1,1] neg_lo:[1,0,0] neg_hi:[1,0,0]
	ds_read2_b32 v[46:47], v21 offset0:19 offset1:20
	ds_read2_b32 v[48:49], v21 offset0:21 offset1:22
	s_waitcnt vmcnt(16) lgkmcnt(3)
	v_pk_fma_f32 v[8:9], v[40:41], v[50:51], v[8:9] op_sel_hi:[0,1,1] neg_lo:[1,0,0] neg_hi:[1,0,0]
	s_waitcnt vmcnt(14) lgkmcnt(2)
	v_pk_fma_f32 v[34:35], v[40:41], v[52:53], v[34:35] op_sel_hi:[0,1,1] neg_lo:[1,0,0] neg_hi:[1,0,0]
	ds_read2_b32 v[50:51], v21 offset0:23 offset1:24
	;; [unrolled: 6-line block ×3, first 2 shown]
	ds_read2_b32 v[48:49], v21 offset0:29 offset1:30
	ds_read2_b32 v[54:55], v21 offset0:31 offset1:32
	s_waitcnt vmcnt(8) lgkmcnt(4)
	v_pk_fma_f32 v[16:17], v[40:41], v[50:51], v[16:17] op_sel_hi:[0,1,1] neg_lo:[1,0,0] neg_hi:[1,0,0]
	s_waitcnt vmcnt(6) lgkmcnt(3)
	v_pk_fma_f32 v[38:39], v[40:41], v[52:53], v[38:39] op_sel_hi:[0,1,1] neg_lo:[1,0,0] neg_hi:[1,0,0]
	;; [unrolled: 2-line block ×5, first 2 shown]
	v_mov_b32_e32 v27, v40
.LBB64_182:
	s_or_b64 exec, exec, s[0:1]
	v_lshl_add_u32 v40, v43, 2, v21
	s_barrier
	s_waitcnt vmcnt(21)
	ds_write_b32 v40, v18
	s_waitcnt lgkmcnt(0)
	s_barrier
	ds_read_b32 v45, v21 offset:44
	s_cmp_lt_i32 s22, 13
	v_mov_b32_e32 v40, 11
	s_cbranch_scc1 .LBB64_185
; %bb.183:
	v_add3_u32 v46, v42, 0, 48
	v_mov_b32_e32 v40, 11
	s_mov_b32 s0, 12
.LBB64_184:                             ; =>This Inner Loop Header: Depth=1
	ds_read_b32 v47, v46
	v_mov_b32_e32 v48, s0
	s_add_i32 s0, s0, 1
	v_add_u32_e32 v46, 4, v46
	s_cmp_lg_u32 s22, s0
	s_waitcnt lgkmcnt(0)
	v_cmp_lt_f32_e64 vcc, |v45|, |v47|
	s_nop 1
	v_cndmask_b32_e32 v45, v45, v47, vcc
	v_cndmask_b32_e32 v40, v40, v48, vcc
	s_cbranch_scc1 .LBB64_184
.LBB64_185:
	s_waitcnt lgkmcnt(0)
	v_cmp_eq_f32_e32 vcc, 0, v45
	s_and_saveexec_b64 s[0:1], vcc
	s_xor_b64 s[0:1], exec, s[0:1]
; %bb.186:
	v_cmp_ne_u32_e32 vcc, 0, v44
	s_nop 1
	v_cndmask_b32_e32 v44, 12, v44, vcc
; %bb.187:
	s_andn2_saveexec_b64 s[0:1], s[0:1]
	s_cbranch_execz .LBB64_189
; %bb.188:
	v_div_scale_f32 v46, s[2:3], v45, v45, 1.0
	v_rcp_f32_e32 v47, v46
	v_div_scale_f32 v48, vcc, 1.0, v45, 1.0
	v_fma_f32 v49, -v46, v47, 1.0
	v_fmac_f32_e32 v47, v49, v47
	v_mul_f32_e32 v49, v48, v47
	v_fma_f32 v50, -v46, v49, v48
	v_fmac_f32_e32 v49, v50, v47
	v_fma_f32 v46, -v46, v49, v48
	v_div_fmas_f32 v46, v46, v47, v49
	v_div_fixup_f32 v45, v46, v45, 1.0
.LBB64_189:
	s_or_b64 exec, exec, s[0:1]
	v_cmp_ne_u32_e32 vcc, v43, v40
	s_and_saveexec_b64 s[0:1], vcc
	s_xor_b64 s[0:1], exec, s[0:1]
	s_cbranch_execz .LBB64_195
; %bb.190:
	v_cmp_eq_u32_e32 vcc, 11, v43
	s_and_saveexec_b64 s[2:3], vcc
	s_cbranch_execz .LBB64_194
; %bb.191:
	v_cmp_ne_u32_e32 vcc, 11, v40
	s_xor_b64 s[18:19], s[16:17], -1
	s_and_b64 s[20:21], s[18:19], vcc
	s_and_saveexec_b64 s[18:19], s[20:21]
	s_cbranch_execz .LBB64_193
; %bb.192:
	v_ashrrev_i32_e32 v41, 31, v40
	v_lshl_add_u64 v[46:47], v[40:41], 2, v[22:23]
	global_load_dword v41, v[46:47], off
	global_load_dword v43, v[22:23], off offset:44
	s_waitcnt vmcnt(1)
	global_store_dword v[22:23], v41, off offset:44
	s_waitcnt vmcnt(1)
	global_store_dword v[46:47], v43, off
.LBB64_193:
	s_or_b64 exec, exec, s[18:19]
	v_mov_b32_e32 v41, v40
	v_mov_b32_e32 v43, v40
.LBB64_194:
	s_or_b64 exec, exec, s[2:3]
.LBB64_195:
	s_andn2_saveexec_b64 s[0:1], s[0:1]
	s_cbranch_execz .LBB64_197
; %bb.196:
	s_waitcnt vmcnt(18)
	v_pk_mov_b32 v[46:47], v[18:19], v[12:13] op_sel:[1,0]
	ds_write2_b32 v21, v46, v47 offset0:12 offset1:13
	s_waitcnt vmcnt(16)
	v_pk_mov_b32 v[46:47], v[12:13], v[8:9] op_sel:[1,0]
	ds_write2_b32 v21, v46, v47 offset0:14 offset1:15
	;; [unrolled: 3-line block ×9, first 2 shown]
	s_waitcnt vmcnt(0)
	v_pk_mov_b32 v[46:47], v[32:33], v[30:31] op_sel:[1,0]
	v_mov_b32_e32 v43, 11
	ds_write2_b32 v21, v46, v47 offset0:30 offset1:31
	ds_write_b32 v21, v31 offset:128
.LBB64_197:
	s_or_b64 exec, exec, s[0:1]
	v_cmp_lt_i32_e32 vcc, 11, v43
	s_waitcnt lgkmcnt(0)
	s_barrier
	s_and_saveexec_b64 s[0:1], vcc
	s_cbranch_execz .LBB64_199
; %bb.198:
	ds_read_b32 v40, v21 offset:48
	ds_read2_b32 v[46:47], v21 offset0:13 offset1:14
	ds_read2_b32 v[48:49], v21 offset0:15 offset1:16
	v_mul_f32_e32 v18, v45, v18
	ds_read2_b32 v[50:51], v21 offset0:17 offset1:18
	s_waitcnt vmcnt(20) lgkmcnt(3)
	v_fma_f32 v19, -v18, v40, v19
	s_waitcnt vmcnt(18) lgkmcnt(2)
	v_pk_fma_f32 v[12:13], v[18:19], v[46:47], v[12:13] op_sel_hi:[0,1,1] neg_lo:[1,0,0] neg_hi:[1,0,0]
	s_waitcnt vmcnt(16) lgkmcnt(1)
	v_pk_fma_f32 v[8:9], v[18:19], v[48:49], v[8:9] op_sel_hi:[0,1,1] neg_lo:[1,0,0] neg_hi:[1,0,0]
	ds_read2_b32 v[46:47], v21 offset0:19 offset1:20
	ds_read2_b32 v[48:49], v21 offset0:21 offset1:22
	s_waitcnt vmcnt(14) lgkmcnt(2)
	v_pk_fma_f32 v[34:35], v[18:19], v[50:51], v[34:35] op_sel_hi:[0,1,1] neg_lo:[1,0,0] neg_hi:[1,0,0]
	ds_read2_b32 v[50:51], v21 offset0:23 offset1:24
	ds_read2_b32 v[52:53], v21 offset0:25 offset1:26
	s_waitcnt vmcnt(12) lgkmcnt(3)
	v_pk_fma_f32 v[28:29], v[18:19], v[46:47], v[28:29] op_sel_hi:[0,1,1] neg_lo:[1,0,0] neg_hi:[1,0,0]
	s_waitcnt vmcnt(10) lgkmcnt(2)
	v_pk_fma_f32 v[24:25], v[18:19], v[48:49], v[24:25] op_sel_hi:[0,1,1] neg_lo:[1,0,0] neg_hi:[1,0,0]
	ds_read2_b32 v[46:47], v21 offset0:27 offset1:28
	ds_read2_b32 v[48:49], v21 offset0:29 offset1:30
	;; [unrolled: 1-line block ×3, first 2 shown]
	s_waitcnt vmcnt(8) lgkmcnt(4)
	v_pk_fma_f32 v[16:17], v[18:19], v[50:51], v[16:17] op_sel_hi:[0,1,1] neg_lo:[1,0,0] neg_hi:[1,0,0]
	s_waitcnt vmcnt(6) lgkmcnt(3)
	v_pk_fma_f32 v[38:39], v[18:19], v[52:53], v[38:39] op_sel_hi:[0,1,1] neg_lo:[1,0,0] neg_hi:[1,0,0]
	;; [unrolled: 2-line block ×5, first 2 shown]
.LBB64_199:
	s_or_b64 exec, exec, s[0:1]
	v_lshl_add_u32 v40, v43, 2, v21
	s_barrier
	s_waitcnt vmcnt(20)
	ds_write_b32 v40, v19
	s_waitcnt lgkmcnt(0)
	s_barrier
	ds_read_b32 v45, v21 offset:48
	s_cmp_lt_i32 s22, 14
	v_mov_b32_e32 v40, 12
	s_cbranch_scc1 .LBB64_202
; %bb.200:
	v_add3_u32 v46, v42, 0, 52
	v_mov_b32_e32 v40, 12
	s_mov_b32 s0, 13
.LBB64_201:                             ; =>This Inner Loop Header: Depth=1
	ds_read_b32 v47, v46
	v_mov_b32_e32 v48, s0
	s_add_i32 s0, s0, 1
	v_add_u32_e32 v46, 4, v46
	s_cmp_lg_u32 s22, s0
	s_waitcnt lgkmcnt(0)
	v_cmp_lt_f32_e64 vcc, |v45|, |v47|
	s_nop 1
	v_cndmask_b32_e32 v45, v45, v47, vcc
	v_cndmask_b32_e32 v40, v40, v48, vcc
	s_cbranch_scc1 .LBB64_201
.LBB64_202:
	s_waitcnt lgkmcnt(0)
	v_cmp_eq_f32_e32 vcc, 0, v45
	s_and_saveexec_b64 s[0:1], vcc
	s_xor_b64 s[0:1], exec, s[0:1]
; %bb.203:
	v_cmp_ne_u32_e32 vcc, 0, v44
	s_nop 1
	v_cndmask_b32_e32 v44, 13, v44, vcc
; %bb.204:
	s_andn2_saveexec_b64 s[0:1], s[0:1]
	s_cbranch_execz .LBB64_206
; %bb.205:
	v_div_scale_f32 v46, s[2:3], v45, v45, 1.0
	v_rcp_f32_e32 v47, v46
	v_div_scale_f32 v48, vcc, 1.0, v45, 1.0
	v_fma_f32 v49, -v46, v47, 1.0
	v_fmac_f32_e32 v47, v49, v47
	v_mul_f32_e32 v49, v48, v47
	v_fma_f32 v50, -v46, v49, v48
	v_fmac_f32_e32 v49, v50, v47
	v_fma_f32 v46, -v46, v49, v48
	v_div_fmas_f32 v46, v46, v47, v49
	v_div_fixup_f32 v45, v46, v45, 1.0
.LBB64_206:
	s_or_b64 exec, exec, s[0:1]
	v_cmp_ne_u32_e32 vcc, v43, v40
	s_and_saveexec_b64 s[0:1], vcc
	s_xor_b64 s[0:1], exec, s[0:1]
	s_cbranch_execz .LBB64_212
; %bb.207:
	v_cmp_eq_u32_e32 vcc, 12, v43
	s_and_saveexec_b64 s[2:3], vcc
	s_cbranch_execz .LBB64_211
; %bb.208:
	v_cmp_ne_u32_e32 vcc, 12, v40
	s_xor_b64 s[18:19], s[16:17], -1
	s_and_b64 s[20:21], s[18:19], vcc
	s_and_saveexec_b64 s[18:19], s[20:21]
	s_cbranch_execz .LBB64_210
; %bb.209:
	v_ashrrev_i32_e32 v41, 31, v40
	v_lshl_add_u64 v[46:47], v[40:41], 2, v[22:23]
	global_load_dword v41, v[46:47], off
	global_load_dword v43, v[22:23], off offset:48
	s_waitcnt vmcnt(1)
	global_store_dword v[22:23], v41, off offset:48
	s_waitcnt vmcnt(1)
	global_store_dword v[46:47], v43, off
.LBB64_210:
	s_or_b64 exec, exec, s[18:19]
	v_mov_b32_e32 v41, v40
	v_mov_b32_e32 v43, v40
.LBB64_211:
	s_or_b64 exec, exec, s[2:3]
.LBB64_212:
	s_andn2_saveexec_b64 s[0:1], s[0:1]
	s_cbranch_execz .LBB64_214
; %bb.213:
	v_mov_b32_e32 v43, 12
	s_waitcnt vmcnt(18)
	ds_write2_b32 v21, v12, v13 offset0:13 offset1:14
	s_waitcnt vmcnt(16)
	ds_write2_b32 v21, v8, v9 offset0:15 offset1:16
	;; [unrolled: 2-line block ×10, first 2 shown]
.LBB64_214:
	s_or_b64 exec, exec, s[0:1]
	v_cmp_lt_i32_e32 vcc, 12, v43
	s_waitcnt lgkmcnt(0)
	s_barrier
	s_and_saveexec_b64 s[0:1], vcc
	s_cbranch_execz .LBB64_216
; %bb.215:
	ds_read2_b32 v[46:47], v21 offset0:13 offset1:14
	ds_read2_b32 v[48:49], v21 offset0:15 offset1:16
	;; [unrolled: 1-line block ×3, first 2 shown]
	v_mul_f32_e32 v40, v45, v19
	ds_read2_b32 v[52:53], v21 offset0:19 offset1:20
	s_waitcnt vmcnt(18) lgkmcnt(3)
	v_pk_fma_f32 v[12:13], v[40:41], v[46:47], v[12:13] op_sel_hi:[0,1,1] neg_lo:[1,0,0] neg_hi:[1,0,0]
	ds_read2_b32 v[46:47], v21 offset0:21 offset1:22
	s_waitcnt vmcnt(16) lgkmcnt(3)
	v_pk_fma_f32 v[8:9], v[40:41], v[48:49], v[8:9] op_sel_hi:[0,1,1] neg_lo:[1,0,0] neg_hi:[1,0,0]
	s_waitcnt vmcnt(14) lgkmcnt(2)
	v_pk_fma_f32 v[34:35], v[40:41], v[50:51], v[34:35] op_sel_hi:[0,1,1] neg_lo:[1,0,0] neg_hi:[1,0,0]
	;; [unrolled: 2-line block ×3, first 2 shown]
	ds_read2_b32 v[48:49], v21 offset0:23 offset1:24
	ds_read2_b32 v[50:51], v21 offset0:25 offset1:26
	;; [unrolled: 1-line block ×3, first 2 shown]
	s_waitcnt vmcnt(10) lgkmcnt(3)
	v_pk_fma_f32 v[24:25], v[40:41], v[46:47], v[24:25] op_sel_hi:[0,1,1] neg_lo:[1,0,0] neg_hi:[1,0,0]
	ds_read2_b32 v[46:47], v21 offset0:29 offset1:30
	ds_read2_b32 v[54:55], v21 offset0:31 offset1:32
	s_waitcnt vmcnt(8) lgkmcnt(4)
	v_pk_fma_f32 v[16:17], v[40:41], v[48:49], v[16:17] op_sel_hi:[0,1,1] neg_lo:[1,0,0] neg_hi:[1,0,0]
	s_waitcnt vmcnt(6) lgkmcnt(3)
	v_pk_fma_f32 v[38:39], v[40:41], v[50:51], v[38:39] op_sel_hi:[0,1,1] neg_lo:[1,0,0] neg_hi:[1,0,0]
	;; [unrolled: 2-line block ×5, first 2 shown]
	v_mov_b32_e32 v19, v40
.LBB64_216:
	s_or_b64 exec, exec, s[0:1]
	v_lshl_add_u32 v40, v43, 2, v21
	s_barrier
	s_waitcnt vmcnt(19)
	ds_write_b32 v40, v12
	s_waitcnt lgkmcnt(0)
	s_barrier
	ds_read_b32 v45, v21 offset:52
	s_cmp_lt_i32 s22, 15
	v_mov_b32_e32 v40, 13
	s_cbranch_scc1 .LBB64_219
; %bb.217:
	v_add3_u32 v46, v42, 0, 56
	v_mov_b32_e32 v40, 13
	s_mov_b32 s0, 14
.LBB64_218:                             ; =>This Inner Loop Header: Depth=1
	ds_read_b32 v47, v46
	v_mov_b32_e32 v48, s0
	s_add_i32 s0, s0, 1
	v_add_u32_e32 v46, 4, v46
	s_cmp_lg_u32 s22, s0
	s_waitcnt lgkmcnt(0)
	v_cmp_lt_f32_e64 vcc, |v45|, |v47|
	s_nop 1
	v_cndmask_b32_e32 v45, v45, v47, vcc
	v_cndmask_b32_e32 v40, v40, v48, vcc
	s_cbranch_scc1 .LBB64_218
.LBB64_219:
	s_waitcnt lgkmcnt(0)
	v_cmp_eq_f32_e32 vcc, 0, v45
	s_and_saveexec_b64 s[0:1], vcc
	s_xor_b64 s[0:1], exec, s[0:1]
; %bb.220:
	v_cmp_ne_u32_e32 vcc, 0, v44
	s_nop 1
	v_cndmask_b32_e32 v44, 14, v44, vcc
; %bb.221:
	s_andn2_saveexec_b64 s[0:1], s[0:1]
	s_cbranch_execz .LBB64_223
; %bb.222:
	v_div_scale_f32 v46, s[2:3], v45, v45, 1.0
	v_rcp_f32_e32 v47, v46
	v_div_scale_f32 v48, vcc, 1.0, v45, 1.0
	v_fma_f32 v49, -v46, v47, 1.0
	v_fmac_f32_e32 v47, v49, v47
	v_mul_f32_e32 v49, v48, v47
	v_fma_f32 v50, -v46, v49, v48
	v_fmac_f32_e32 v49, v50, v47
	v_fma_f32 v46, -v46, v49, v48
	v_div_fmas_f32 v46, v46, v47, v49
	v_div_fixup_f32 v45, v46, v45, 1.0
.LBB64_223:
	s_or_b64 exec, exec, s[0:1]
	v_cmp_ne_u32_e32 vcc, v43, v40
	s_and_saveexec_b64 s[0:1], vcc
	s_xor_b64 s[0:1], exec, s[0:1]
	s_cbranch_execz .LBB64_229
; %bb.224:
	v_cmp_eq_u32_e32 vcc, 13, v43
	s_and_saveexec_b64 s[2:3], vcc
	s_cbranch_execz .LBB64_228
; %bb.225:
	v_cmp_ne_u32_e32 vcc, 13, v40
	s_xor_b64 s[18:19], s[16:17], -1
	s_and_b64 s[20:21], s[18:19], vcc
	s_and_saveexec_b64 s[18:19], s[20:21]
	s_cbranch_execz .LBB64_227
; %bb.226:
	v_ashrrev_i32_e32 v41, 31, v40
	v_lshl_add_u64 v[46:47], v[40:41], 2, v[22:23]
	global_load_dword v41, v[46:47], off
	global_load_dword v43, v[22:23], off offset:52
	s_waitcnt vmcnt(1)
	global_store_dword v[22:23], v41, off offset:52
	s_waitcnt vmcnt(1)
	global_store_dword v[46:47], v43, off
.LBB64_227:
	s_or_b64 exec, exec, s[18:19]
	v_mov_b32_e32 v41, v40
	v_mov_b32_e32 v43, v40
.LBB64_228:
	s_or_b64 exec, exec, s[2:3]
.LBB64_229:
	s_andn2_saveexec_b64 s[0:1], s[0:1]
	s_cbranch_execz .LBB64_231
; %bb.230:
	s_waitcnt vmcnt(16)
	v_pk_mov_b32 v[46:47], v[12:13], v[8:9] op_sel:[1,0]
	ds_write2_b32 v21, v46, v47 offset0:14 offset1:15
	s_waitcnt vmcnt(14)
	v_pk_mov_b32 v[46:47], v[8:9], v[34:35] op_sel:[1,0]
	ds_write2_b32 v21, v46, v47 offset0:16 offset1:17
	s_waitcnt vmcnt(12)
	v_pk_mov_b32 v[46:47], v[34:35], v[28:29] op_sel:[1,0]
	ds_write2_b32 v21, v46, v47 offset0:18 offset1:19
	s_waitcnt vmcnt(10)
	v_pk_mov_b32 v[46:47], v[28:29], v[24:25] op_sel:[1,0]
	ds_write2_b32 v21, v46, v47 offset0:20 offset1:21
	s_waitcnt vmcnt(8)
	v_pk_mov_b32 v[46:47], v[24:25], v[16:17] op_sel:[1,0]
	ds_write2_b32 v21, v46, v47 offset0:22 offset1:23
	s_waitcnt vmcnt(6)
	v_pk_mov_b32 v[46:47], v[16:17], v[38:39] op_sel:[1,0]
	ds_write2_b32 v21, v46, v47 offset0:24 offset1:25
	s_waitcnt vmcnt(4)
	v_pk_mov_b32 v[46:47], v[38:39], v[36:37] op_sel:[1,0]
	ds_write2_b32 v21, v46, v47 offset0:26 offset1:27
	s_waitcnt vmcnt(2)
	v_pk_mov_b32 v[46:47], v[36:37], v[32:33] op_sel:[1,0]
	ds_write2_b32 v21, v46, v47 offset0:28 offset1:29
	s_waitcnt vmcnt(0)
	v_pk_mov_b32 v[46:47], v[32:33], v[30:31] op_sel:[1,0]
	v_mov_b32_e32 v43, 13
	ds_write2_b32 v21, v46, v47 offset0:30 offset1:31
	ds_write_b32 v21, v31 offset:128
.LBB64_231:
	s_or_b64 exec, exec, s[0:1]
	v_cmp_lt_i32_e32 vcc, 13, v43
	s_waitcnt lgkmcnt(0)
	s_barrier
	s_and_saveexec_b64 s[0:1], vcc
	s_cbranch_execz .LBB64_233
; %bb.232:
	ds_read_b32 v40, v21 offset:56
	ds_read2_b32 v[46:47], v21 offset0:15 offset1:16
	ds_read2_b32 v[48:49], v21 offset0:17 offset1:18
	v_mul_f32_e32 v12, v45, v12
	ds_read2_b32 v[50:51], v21 offset0:19 offset1:20
	s_waitcnt vmcnt(18) lgkmcnt(3)
	v_fma_f32 v13, -v12, v40, v13
	s_waitcnt vmcnt(16) lgkmcnt(2)
	v_pk_fma_f32 v[8:9], v[12:13], v[46:47], v[8:9] op_sel_hi:[0,1,1] neg_lo:[1,0,0] neg_hi:[1,0,0]
	ds_read2_b32 v[46:47], v21 offset0:21 offset1:22
	s_waitcnt vmcnt(14) lgkmcnt(2)
	v_pk_fma_f32 v[34:35], v[12:13], v[48:49], v[34:35] op_sel_hi:[0,1,1] neg_lo:[1,0,0] neg_hi:[1,0,0]
	s_waitcnt vmcnt(12) lgkmcnt(1)
	v_pk_fma_f32 v[28:29], v[12:13], v[50:51], v[28:29] op_sel_hi:[0,1,1] neg_lo:[1,0,0] neg_hi:[1,0,0]
	ds_read2_b32 v[48:49], v21 offset0:23 offset1:24
	ds_read2_b32 v[50:51], v21 offset0:25 offset1:26
	;; [unrolled: 1-line block ×3, first 2 shown]
	s_waitcnt vmcnt(10) lgkmcnt(3)
	v_pk_fma_f32 v[24:25], v[12:13], v[46:47], v[24:25] op_sel_hi:[0,1,1] neg_lo:[1,0,0] neg_hi:[1,0,0]
	ds_read2_b32 v[46:47], v21 offset0:29 offset1:30
	ds_read2_b32 v[54:55], v21 offset0:31 offset1:32
	s_waitcnt vmcnt(8) lgkmcnt(4)
	v_pk_fma_f32 v[16:17], v[12:13], v[48:49], v[16:17] op_sel_hi:[0,1,1] neg_lo:[1,0,0] neg_hi:[1,0,0]
	s_waitcnt vmcnt(6) lgkmcnt(3)
	v_pk_fma_f32 v[38:39], v[12:13], v[50:51], v[38:39] op_sel_hi:[0,1,1] neg_lo:[1,0,0] neg_hi:[1,0,0]
	;; [unrolled: 2-line block ×5, first 2 shown]
.LBB64_233:
	s_or_b64 exec, exec, s[0:1]
	v_lshl_add_u32 v40, v43, 2, v21
	s_barrier
	s_waitcnt vmcnt(18)
	ds_write_b32 v40, v13
	s_waitcnt lgkmcnt(0)
	s_barrier
	ds_read_b32 v45, v21 offset:56
	s_cmp_lt_i32 s22, 16
	v_mov_b32_e32 v40, 14
	s_cbranch_scc1 .LBB64_236
; %bb.234:
	v_add3_u32 v46, v42, 0, 60
	v_mov_b32_e32 v40, 14
	s_mov_b32 s0, 15
.LBB64_235:                             ; =>This Inner Loop Header: Depth=1
	ds_read_b32 v47, v46
	v_mov_b32_e32 v48, s0
	s_add_i32 s0, s0, 1
	v_add_u32_e32 v46, 4, v46
	s_cmp_lg_u32 s22, s0
	s_waitcnt lgkmcnt(0)
	v_cmp_lt_f32_e64 vcc, |v45|, |v47|
	s_nop 1
	v_cndmask_b32_e32 v45, v45, v47, vcc
	v_cndmask_b32_e32 v40, v40, v48, vcc
	s_cbranch_scc1 .LBB64_235
.LBB64_236:
	s_waitcnt lgkmcnt(0)
	v_cmp_eq_f32_e32 vcc, 0, v45
	s_and_saveexec_b64 s[0:1], vcc
	s_xor_b64 s[0:1], exec, s[0:1]
; %bb.237:
	v_cmp_ne_u32_e32 vcc, 0, v44
	s_nop 1
	v_cndmask_b32_e32 v44, 15, v44, vcc
; %bb.238:
	s_andn2_saveexec_b64 s[0:1], s[0:1]
	s_cbranch_execz .LBB64_240
; %bb.239:
	v_div_scale_f32 v46, s[2:3], v45, v45, 1.0
	v_rcp_f32_e32 v47, v46
	v_div_scale_f32 v48, vcc, 1.0, v45, 1.0
	v_fma_f32 v49, -v46, v47, 1.0
	v_fmac_f32_e32 v47, v49, v47
	v_mul_f32_e32 v49, v48, v47
	v_fma_f32 v50, -v46, v49, v48
	v_fmac_f32_e32 v49, v50, v47
	v_fma_f32 v46, -v46, v49, v48
	v_div_fmas_f32 v46, v46, v47, v49
	v_div_fixup_f32 v45, v46, v45, 1.0
.LBB64_240:
	s_or_b64 exec, exec, s[0:1]
	v_cmp_ne_u32_e32 vcc, v43, v40
	s_and_saveexec_b64 s[0:1], vcc
	s_xor_b64 s[0:1], exec, s[0:1]
	s_cbranch_execz .LBB64_246
; %bb.241:
	v_cmp_eq_u32_e32 vcc, 14, v43
	s_and_saveexec_b64 s[2:3], vcc
	s_cbranch_execz .LBB64_245
; %bb.242:
	v_cmp_ne_u32_e32 vcc, 14, v40
	s_xor_b64 s[18:19], s[16:17], -1
	s_and_b64 s[20:21], s[18:19], vcc
	s_and_saveexec_b64 s[18:19], s[20:21]
	s_cbranch_execz .LBB64_244
; %bb.243:
	v_ashrrev_i32_e32 v41, 31, v40
	v_lshl_add_u64 v[46:47], v[40:41], 2, v[22:23]
	global_load_dword v41, v[46:47], off
	global_load_dword v43, v[22:23], off offset:56
	s_waitcnt vmcnt(1)
	global_store_dword v[22:23], v41, off offset:56
	s_waitcnt vmcnt(1)
	global_store_dword v[46:47], v43, off
.LBB64_244:
	s_or_b64 exec, exec, s[18:19]
	v_mov_b32_e32 v41, v40
	v_mov_b32_e32 v43, v40
.LBB64_245:
	s_or_b64 exec, exec, s[2:3]
.LBB64_246:
	s_andn2_saveexec_b64 s[0:1], s[0:1]
	s_cbranch_execz .LBB64_248
; %bb.247:
	v_mov_b32_e32 v43, 14
	s_waitcnt vmcnt(16)
	ds_write2_b32 v21, v8, v9 offset0:15 offset1:16
	s_waitcnt vmcnt(14)
	ds_write2_b32 v21, v34, v35 offset0:17 offset1:18
	;; [unrolled: 2-line block ×9, first 2 shown]
.LBB64_248:
	s_or_b64 exec, exec, s[0:1]
	v_cmp_lt_i32_e32 vcc, 14, v43
	s_waitcnt lgkmcnt(0)
	s_barrier
	s_and_saveexec_b64 s[0:1], vcc
	s_cbranch_execz .LBB64_250
; %bb.249:
	ds_read2_b32 v[46:47], v21 offset0:15 offset1:16
	ds_read2_b32 v[48:49], v21 offset0:17 offset1:18
	ds_read2_b32 v[50:51], v21 offset0:19 offset1:20
	ds_read2_b32 v[52:53], v21 offset0:21 offset1:22
	v_mul_f32_e32 v40, v45, v13
	s_waitcnt vmcnt(16) lgkmcnt(3)
	v_pk_fma_f32 v[8:9], v[40:41], v[46:47], v[8:9] op_sel_hi:[0,1,1] neg_lo:[1,0,0] neg_hi:[1,0,0]
	s_waitcnt vmcnt(14) lgkmcnt(2)
	v_pk_fma_f32 v[34:35], v[40:41], v[48:49], v[34:35] op_sel_hi:[0,1,1] neg_lo:[1,0,0] neg_hi:[1,0,0]
	;; [unrolled: 2-line block ×4, first 2 shown]
	ds_read2_b32 v[46:47], v21 offset0:23 offset1:24
	ds_read2_b32 v[48:49], v21 offset0:25 offset1:26
	;; [unrolled: 1-line block ×5, first 2 shown]
	s_waitcnt vmcnt(8) lgkmcnt(4)
	v_pk_fma_f32 v[16:17], v[40:41], v[46:47], v[16:17] op_sel_hi:[0,1,1] neg_lo:[1,0,0] neg_hi:[1,0,0]
	s_waitcnt vmcnt(6) lgkmcnt(3)
	v_pk_fma_f32 v[38:39], v[40:41], v[48:49], v[38:39] op_sel_hi:[0,1,1] neg_lo:[1,0,0] neg_hi:[1,0,0]
	;; [unrolled: 2-line block ×5, first 2 shown]
	v_mov_b32_e32 v13, v40
.LBB64_250:
	s_or_b64 exec, exec, s[0:1]
	v_lshl_add_u32 v40, v43, 2, v21
	s_barrier
	s_waitcnt vmcnt(17)
	ds_write_b32 v40, v8
	s_waitcnt lgkmcnt(0)
	s_barrier
	ds_read_b32 v45, v21 offset:60
	s_cmp_lt_i32 s22, 17
	v_mov_b32_e32 v40, 15
	s_cbranch_scc1 .LBB64_253
; %bb.251:
	v_add3_u32 v42, v42, 0, 64
	v_mov_b32_e32 v40, 15
	s_mov_b32 s0, 16
.LBB64_252:                             ; =>This Inner Loop Header: Depth=1
	ds_read_b32 v46, v42
	v_mov_b32_e32 v47, s0
	s_add_i32 s0, s0, 1
	v_add_u32_e32 v42, 4, v42
	s_cmp_lg_u32 s22, s0
	s_waitcnt lgkmcnt(0)
	v_cmp_lt_f32_e64 vcc, |v45|, |v46|
	s_nop 1
	v_cndmask_b32_e32 v45, v45, v46, vcc
	v_cndmask_b32_e32 v40, v40, v47, vcc
	s_cbranch_scc1 .LBB64_252
.LBB64_253:
	s_waitcnt lgkmcnt(0)
	v_cmp_eq_f32_e32 vcc, 0, v45
	s_and_saveexec_b64 s[0:1], vcc
	s_xor_b64 s[0:1], exec, s[0:1]
; %bb.254:
	v_cmp_ne_u32_e32 vcc, 0, v44
	s_nop 1
	v_cndmask_b32_e32 v44, 16, v44, vcc
; %bb.255:
	s_andn2_saveexec_b64 s[0:1], s[0:1]
	s_cbranch_execz .LBB64_257
; %bb.256:
	v_div_scale_f32 v42, s[2:3], v45, v45, 1.0
	v_rcp_f32_e32 v46, v42
	v_div_scale_f32 v47, vcc, 1.0, v45, 1.0
	v_fma_f32 v48, -v42, v46, 1.0
	v_fmac_f32_e32 v46, v48, v46
	v_mul_f32_e32 v48, v47, v46
	v_fma_f32 v49, -v42, v48, v47
	v_fmac_f32_e32 v48, v49, v46
	v_fma_f32 v42, -v42, v48, v47
	v_div_fmas_f32 v42, v42, v46, v48
	v_div_fixup_f32 v45, v42, v45, 1.0
.LBB64_257:
	s_or_b64 exec, exec, s[0:1]
	v_cmp_ne_u32_e32 vcc, v43, v40
	s_and_saveexec_b64 s[0:1], vcc
	s_xor_b64 s[0:1], exec, s[0:1]
	s_cbranch_execz .LBB64_263
; %bb.258:
	v_cmp_eq_u32_e32 vcc, 15, v43
	s_and_saveexec_b64 s[2:3], vcc
	s_cbranch_execz .LBB64_262
; %bb.259:
	v_cmp_ne_u32_e32 vcc, 15, v40
	s_xor_b64 s[18:19], s[16:17], -1
	s_and_b64 s[20:21], s[18:19], vcc
	s_and_saveexec_b64 s[18:19], s[20:21]
	s_cbranch_execz .LBB64_261
; %bb.260:
	v_ashrrev_i32_e32 v41, 31, v40
	v_lshl_add_u64 v[42:43], v[40:41], 2, v[22:23]
	global_load_dword v41, v[42:43], off
	global_load_dword v46, v[22:23], off offset:60
	s_waitcnt vmcnt(1)
	global_store_dword v[22:23], v41, off offset:60
	s_waitcnt vmcnt(1)
	global_store_dword v[42:43], v46, off
.LBB64_261:
	s_or_b64 exec, exec, s[18:19]
	v_mov_b32_e32 v41, v40
	v_mov_b32_e32 v43, v40
.LBB64_262:
	s_or_b64 exec, exec, s[2:3]
.LBB64_263:
	s_andn2_saveexec_b64 s[0:1], s[0:1]
	s_cbranch_execz .LBB64_265
; %bb.264:
	s_waitcnt vmcnt(14)
	v_pk_mov_b32 v[42:43], v[8:9], v[34:35] op_sel:[1,0]
	ds_write2_b32 v21, v42, v43 offset0:16 offset1:17
	s_waitcnt vmcnt(12)
	v_pk_mov_b32 v[42:43], v[34:35], v[28:29] op_sel:[1,0]
	ds_write2_b32 v21, v42, v43 offset0:18 offset1:19
	s_waitcnt vmcnt(10)
	v_pk_mov_b32 v[42:43], v[28:29], v[24:25] op_sel:[1,0]
	ds_write2_b32 v21, v42, v43 offset0:20 offset1:21
	s_waitcnt vmcnt(8)
	v_pk_mov_b32 v[42:43], v[24:25], v[16:17] op_sel:[1,0]
	ds_write2_b32 v21, v42, v43 offset0:22 offset1:23
	s_waitcnt vmcnt(6)
	v_pk_mov_b32 v[42:43], v[16:17], v[38:39] op_sel:[1,0]
	ds_write2_b32 v21, v42, v43 offset0:24 offset1:25
	s_waitcnt vmcnt(4)
	v_pk_mov_b32 v[42:43], v[38:39], v[36:37] op_sel:[1,0]
	ds_write2_b32 v21, v42, v43 offset0:26 offset1:27
	s_waitcnt vmcnt(2)
	v_pk_mov_b32 v[42:43], v[36:37], v[32:33] op_sel:[1,0]
	ds_write2_b32 v21, v42, v43 offset0:28 offset1:29
	s_waitcnt vmcnt(0)
	v_pk_mov_b32 v[42:43], v[32:33], v[30:31] op_sel:[1,0]
	ds_write2_b32 v21, v42, v43 offset0:30 offset1:31
	ds_write_b32 v21, v31 offset:128
	v_mov_b32_e32 v43, 15
.LBB64_265:
	s_or_b64 exec, exec, s[0:1]
	v_cmp_lt_i32_e32 vcc, 15, v43
	s_waitcnt lgkmcnt(0)
	s_barrier
	s_and_saveexec_b64 s[0:1], vcc
	s_cbranch_execz .LBB64_267
; %bb.266:
	ds_read_b32 v40, v21 offset:64
	ds_read2_b32 v[46:47], v21 offset0:17 offset1:18
	ds_read2_b32 v[48:49], v21 offset0:19 offset1:20
	;; [unrolled: 1-line block ×3, first 2 shown]
	v_mul_f32_e32 v8, v45, v8
	s_waitcnt vmcnt(16) lgkmcnt(3)
	v_fma_f32 v9, -v8, v40, v9
	s_waitcnt vmcnt(14) lgkmcnt(2)
	v_pk_fma_f32 v[34:35], v[8:9], v[46:47], v[34:35] op_sel_hi:[0,1,1] neg_lo:[1,0,0] neg_hi:[1,0,0]
	s_waitcnt vmcnt(12) lgkmcnt(1)
	v_pk_fma_f32 v[28:29], v[8:9], v[48:49], v[28:29] op_sel_hi:[0,1,1] neg_lo:[1,0,0] neg_hi:[1,0,0]
	;; [unrolled: 2-line block ×3, first 2 shown]
	ds_read2_b32 v[46:47], v21 offset0:23 offset1:24
	ds_read2_b32 v[48:49], v21 offset0:25 offset1:26
	ds_read2_b32 v[50:51], v21 offset0:27 offset1:28
	ds_read2_b32 v[52:53], v21 offset0:29 offset1:30
	ds_read2_b32 v[54:55], v21 offset0:31 offset1:32
	s_waitcnt vmcnt(8) lgkmcnt(4)
	v_pk_fma_f32 v[16:17], v[8:9], v[46:47], v[16:17] op_sel_hi:[0,1,1] neg_lo:[1,0,0] neg_hi:[1,0,0]
	s_waitcnt vmcnt(6) lgkmcnt(3)
	v_pk_fma_f32 v[38:39], v[8:9], v[48:49], v[38:39] op_sel_hi:[0,1,1] neg_lo:[1,0,0] neg_hi:[1,0,0]
	;; [unrolled: 2-line block ×5, first 2 shown]
.LBB64_267:
	s_or_b64 exec, exec, s[0:1]
	v_lshl_add_u32 v40, v43, 2, v21
	s_barrier
	s_waitcnt vmcnt(16)
	ds_write_b32 v40, v9
	s_waitcnt lgkmcnt(0)
	s_barrier
	ds_read_b32 v42, v21 offset:64
	s_cmp_lt_i32 s22, 18
	v_mov_b32_e32 v40, 16
	s_cbranch_scc1 .LBB64_270
; %bb.268:
	v_add_u32_e32 v45, 0x44, v21
	v_mov_b32_e32 v40, 16
	s_mov_b32 s0, 17
.LBB64_269:                             ; =>This Inner Loop Header: Depth=1
	ds_read_b32 v46, v45
	v_mov_b32_e32 v47, s0
	s_add_i32 s0, s0, 1
	v_add_u32_e32 v45, 4, v45
	s_cmp_lg_u32 s22, s0
	s_waitcnt lgkmcnt(0)
	v_cmp_lt_f32_e64 vcc, |v42|, |v46|
	s_nop 1
	v_cndmask_b32_e32 v42, v42, v46, vcc
	v_cndmask_b32_e32 v40, v40, v47, vcc
	s_cbranch_scc1 .LBB64_269
.LBB64_270:
	s_waitcnt lgkmcnt(0)
	v_cmp_eq_f32_e32 vcc, 0, v42
	s_and_saveexec_b64 s[0:1], vcc
	s_xor_b64 s[0:1], exec, s[0:1]
; %bb.271:
	v_cmp_ne_u32_e32 vcc, 0, v44
	s_nop 1
	v_cndmask_b32_e32 v44, 17, v44, vcc
; %bb.272:
	s_andn2_saveexec_b64 s[0:1], s[0:1]
	s_cbranch_execz .LBB64_274
; %bb.273:
	v_div_scale_f32 v45, s[2:3], v42, v42, 1.0
	v_rcp_f32_e32 v46, v45
	v_div_scale_f32 v47, vcc, 1.0, v42, 1.0
	v_fma_f32 v48, -v45, v46, 1.0
	v_fmac_f32_e32 v46, v48, v46
	v_mul_f32_e32 v48, v47, v46
	v_fma_f32 v49, -v45, v48, v47
	v_fmac_f32_e32 v48, v49, v46
	v_fma_f32 v45, -v45, v48, v47
	v_div_fmas_f32 v45, v45, v46, v48
	v_div_fixup_f32 v42, v45, v42, 1.0
.LBB64_274:
	s_or_b64 exec, exec, s[0:1]
	v_cmp_ne_u32_e32 vcc, v43, v40
	s_and_saveexec_b64 s[0:1], vcc
	s_xor_b64 s[0:1], exec, s[0:1]
	s_cbranch_execz .LBB64_280
; %bb.275:
	v_cmp_eq_u32_e32 vcc, 16, v43
	s_and_saveexec_b64 s[2:3], vcc
	s_cbranch_execz .LBB64_279
; %bb.276:
	v_cmp_ne_u32_e32 vcc, 16, v40
	s_xor_b64 s[18:19], s[16:17], -1
	s_and_b64 s[20:21], s[18:19], vcc
	s_and_saveexec_b64 s[18:19], s[20:21]
	s_cbranch_execz .LBB64_278
; %bb.277:
	v_ashrrev_i32_e32 v41, 31, v40
	v_lshl_add_u64 v[46:47], v[40:41], 2, v[22:23]
	global_load_dword v41, v[46:47], off
	global_load_dword v43, v[22:23], off offset:64
	s_waitcnt vmcnt(1)
	global_store_dword v[22:23], v41, off offset:64
	s_waitcnt vmcnt(1)
	global_store_dword v[46:47], v43, off
.LBB64_278:
	s_or_b64 exec, exec, s[18:19]
	v_mov_b32_e32 v41, v40
	v_mov_b32_e32 v43, v40
.LBB64_279:
	s_or_b64 exec, exec, s[2:3]
.LBB64_280:
	s_andn2_saveexec_b64 s[0:1], s[0:1]
	s_cbranch_execz .LBB64_282
; %bb.281:
	v_mov_b32_e32 v43, 16
	s_waitcnt vmcnt(14)
	ds_write2_b32 v21, v34, v35 offset0:17 offset1:18
	s_waitcnt vmcnt(12)
	ds_write2_b32 v21, v28, v29 offset0:19 offset1:20
	;; [unrolled: 2-line block ×8, first 2 shown]
.LBB64_282:
	s_or_b64 exec, exec, s[0:1]
	v_cmp_lt_i32_e32 vcc, 16, v43
	s_waitcnt lgkmcnt(0)
	s_barrier
	s_and_saveexec_b64 s[0:1], vcc
	s_cbranch_execz .LBB64_284
; %bb.283:
	ds_read2_b32 v[46:47], v21 offset0:17 offset1:18
	ds_read2_b32 v[48:49], v21 offset0:19 offset1:20
	;; [unrolled: 1-line block ×3, first 2 shown]
	v_mul_f32_e32 v40, v42, v9
	ds_read2_b32 v[52:53], v21 offset0:23 offset1:24
	s_waitcnt vmcnt(14) lgkmcnt(3)
	v_pk_fma_f32 v[34:35], v[40:41], v[46:47], v[34:35] op_sel_hi:[0,1,1] neg_lo:[1,0,0] neg_hi:[1,0,0]
	s_waitcnt vmcnt(12) lgkmcnt(2)
	v_pk_fma_f32 v[28:29], v[40:41], v[48:49], v[28:29] op_sel_hi:[0,1,1] neg_lo:[1,0,0] neg_hi:[1,0,0]
	;; [unrolled: 2-line block ×3, first 2 shown]
	ds_read2_b32 v[46:47], v21 offset0:25 offset1:26
	ds_read2_b32 v[48:49], v21 offset0:27 offset1:28
	;; [unrolled: 1-line block ×4, first 2 shown]
	s_waitcnt vmcnt(8) lgkmcnt(4)
	v_pk_fma_f32 v[16:17], v[40:41], v[52:53], v[16:17] op_sel_hi:[0,1,1] neg_lo:[1,0,0] neg_hi:[1,0,0]
	s_waitcnt vmcnt(6) lgkmcnt(3)
	v_pk_fma_f32 v[38:39], v[40:41], v[46:47], v[38:39] op_sel_hi:[0,1,1] neg_lo:[1,0,0] neg_hi:[1,0,0]
	;; [unrolled: 2-line block ×5, first 2 shown]
	v_mov_b32_e32 v9, v40
.LBB64_284:
	s_or_b64 exec, exec, s[0:1]
	v_lshl_add_u32 v40, v43, 2, v21
	s_barrier
	s_waitcnt vmcnt(15)
	ds_write_b32 v40, v34
	s_waitcnt lgkmcnt(0)
	s_barrier
	ds_read_b32 v42, v21 offset:68
	s_cmp_lt_i32 s22, 19
	v_mov_b32_e32 v40, 17
	s_cbranch_scc1 .LBB64_287
; %bb.285:
	v_add_u32_e32 v45, 0x48, v21
	v_mov_b32_e32 v40, 17
	s_mov_b32 s0, 18
.LBB64_286:                             ; =>This Inner Loop Header: Depth=1
	ds_read_b32 v46, v45
	v_mov_b32_e32 v47, s0
	s_add_i32 s0, s0, 1
	v_add_u32_e32 v45, 4, v45
	s_cmp_lg_u32 s22, s0
	s_waitcnt lgkmcnt(0)
	v_cmp_lt_f32_e64 vcc, |v42|, |v46|
	s_nop 1
	v_cndmask_b32_e32 v42, v42, v46, vcc
	v_cndmask_b32_e32 v40, v40, v47, vcc
	s_cbranch_scc1 .LBB64_286
.LBB64_287:
	s_waitcnt lgkmcnt(0)
	v_cmp_eq_f32_e32 vcc, 0, v42
	s_and_saveexec_b64 s[0:1], vcc
	s_xor_b64 s[0:1], exec, s[0:1]
; %bb.288:
	v_cmp_ne_u32_e32 vcc, 0, v44
	s_nop 1
	v_cndmask_b32_e32 v44, 18, v44, vcc
; %bb.289:
	s_andn2_saveexec_b64 s[0:1], s[0:1]
	s_cbranch_execz .LBB64_291
; %bb.290:
	v_div_scale_f32 v45, s[2:3], v42, v42, 1.0
	v_rcp_f32_e32 v46, v45
	v_div_scale_f32 v47, vcc, 1.0, v42, 1.0
	v_fma_f32 v48, -v45, v46, 1.0
	v_fmac_f32_e32 v46, v48, v46
	v_mul_f32_e32 v48, v47, v46
	v_fma_f32 v49, -v45, v48, v47
	v_fmac_f32_e32 v48, v49, v46
	v_fma_f32 v45, -v45, v48, v47
	v_div_fmas_f32 v45, v45, v46, v48
	v_div_fixup_f32 v42, v45, v42, 1.0
.LBB64_291:
	s_or_b64 exec, exec, s[0:1]
	v_cmp_ne_u32_e32 vcc, v43, v40
	s_and_saveexec_b64 s[0:1], vcc
	s_xor_b64 s[0:1], exec, s[0:1]
	s_cbranch_execz .LBB64_297
; %bb.292:
	v_cmp_eq_u32_e32 vcc, 17, v43
	s_and_saveexec_b64 s[2:3], vcc
	s_cbranch_execz .LBB64_296
; %bb.293:
	v_cmp_ne_u32_e32 vcc, 17, v40
	s_xor_b64 s[18:19], s[16:17], -1
	s_and_b64 s[20:21], s[18:19], vcc
	s_and_saveexec_b64 s[18:19], s[20:21]
	s_cbranch_execz .LBB64_295
; %bb.294:
	v_ashrrev_i32_e32 v41, 31, v40
	v_lshl_add_u64 v[46:47], v[40:41], 2, v[22:23]
	global_load_dword v41, v[46:47], off
	global_load_dword v43, v[22:23], off offset:68
	s_waitcnt vmcnt(1)
	global_store_dword v[22:23], v41, off offset:68
	s_waitcnt vmcnt(1)
	global_store_dword v[46:47], v43, off
.LBB64_295:
	s_or_b64 exec, exec, s[18:19]
	v_mov_b32_e32 v41, v40
	v_mov_b32_e32 v43, v40
.LBB64_296:
	s_or_b64 exec, exec, s[2:3]
.LBB64_297:
	s_andn2_saveexec_b64 s[0:1], s[0:1]
	s_cbranch_execz .LBB64_299
; %bb.298:
	s_waitcnt vmcnt(12)
	v_pk_mov_b32 v[46:47], v[34:35], v[28:29] op_sel:[1,0]
	ds_write2_b32 v21, v46, v47 offset0:18 offset1:19
	s_waitcnt vmcnt(10)
	v_pk_mov_b32 v[46:47], v[28:29], v[24:25] op_sel:[1,0]
	ds_write2_b32 v21, v46, v47 offset0:20 offset1:21
	;; [unrolled: 3-line block ×6, first 2 shown]
	s_waitcnt vmcnt(0)
	v_pk_mov_b32 v[46:47], v[32:33], v[30:31] op_sel:[1,0]
	v_mov_b32_e32 v43, 17
	ds_write2_b32 v21, v46, v47 offset0:30 offset1:31
	ds_write_b32 v21, v31 offset:128
.LBB64_299:
	s_or_b64 exec, exec, s[0:1]
	v_cmp_lt_i32_e32 vcc, 17, v43
	s_waitcnt lgkmcnt(0)
	s_barrier
	s_and_saveexec_b64 s[0:1], vcc
	s_cbranch_execz .LBB64_301
; %bb.300:
	ds_read_b32 v40, v21 offset:72
	ds_read2_b32 v[46:47], v21 offset0:19 offset1:20
	ds_read2_b32 v[48:49], v21 offset0:21 offset1:22
	v_mul_f32_e32 v34, v42, v34
	ds_read2_b32 v[50:51], v21 offset0:23 offset1:24
	s_waitcnt vmcnt(14) lgkmcnt(3)
	v_fma_f32 v35, -v34, v40, v35
	s_waitcnt vmcnt(12) lgkmcnt(2)
	v_pk_fma_f32 v[28:29], v[34:35], v[46:47], v[28:29] op_sel_hi:[0,1,1] neg_lo:[1,0,0] neg_hi:[1,0,0]
	s_waitcnt vmcnt(10) lgkmcnt(1)
	v_pk_fma_f32 v[24:25], v[34:35], v[48:49], v[24:25] op_sel_hi:[0,1,1] neg_lo:[1,0,0] neg_hi:[1,0,0]
	ds_read2_b32 v[46:47], v21 offset0:25 offset1:26
	ds_read2_b32 v[48:49], v21 offset0:27 offset1:28
	;; [unrolled: 1-line block ×4, first 2 shown]
	s_waitcnt vmcnt(8) lgkmcnt(4)
	v_pk_fma_f32 v[16:17], v[34:35], v[50:51], v[16:17] op_sel_hi:[0,1,1] neg_lo:[1,0,0] neg_hi:[1,0,0]
	s_waitcnt vmcnt(6) lgkmcnt(3)
	v_pk_fma_f32 v[38:39], v[34:35], v[46:47], v[38:39] op_sel_hi:[0,1,1] neg_lo:[1,0,0] neg_hi:[1,0,0]
	;; [unrolled: 2-line block ×5, first 2 shown]
.LBB64_301:
	s_or_b64 exec, exec, s[0:1]
	v_lshl_add_u32 v40, v43, 2, v21
	s_barrier
	s_waitcnt vmcnt(14)
	ds_write_b32 v40, v35
	s_waitcnt lgkmcnt(0)
	s_barrier
	ds_read_b32 v42, v21 offset:72
	s_cmp_lt_i32 s22, 20
	v_mov_b32_e32 v40, 18
	s_cbranch_scc1 .LBB64_304
; %bb.302:
	v_add_u32_e32 v45, 0x4c, v21
	v_mov_b32_e32 v40, 18
	s_mov_b32 s0, 19
.LBB64_303:                             ; =>This Inner Loop Header: Depth=1
	ds_read_b32 v46, v45
	v_mov_b32_e32 v47, s0
	s_add_i32 s0, s0, 1
	v_add_u32_e32 v45, 4, v45
	s_cmp_lg_u32 s22, s0
	s_waitcnt lgkmcnt(0)
	v_cmp_lt_f32_e64 vcc, |v42|, |v46|
	s_nop 1
	v_cndmask_b32_e32 v42, v42, v46, vcc
	v_cndmask_b32_e32 v40, v40, v47, vcc
	s_cbranch_scc1 .LBB64_303
.LBB64_304:
	s_waitcnt lgkmcnt(0)
	v_cmp_eq_f32_e32 vcc, 0, v42
	s_and_saveexec_b64 s[0:1], vcc
	s_xor_b64 s[0:1], exec, s[0:1]
; %bb.305:
	v_cmp_ne_u32_e32 vcc, 0, v44
	s_nop 1
	v_cndmask_b32_e32 v44, 19, v44, vcc
; %bb.306:
	s_andn2_saveexec_b64 s[0:1], s[0:1]
	s_cbranch_execz .LBB64_308
; %bb.307:
	v_div_scale_f32 v45, s[2:3], v42, v42, 1.0
	v_rcp_f32_e32 v46, v45
	v_div_scale_f32 v47, vcc, 1.0, v42, 1.0
	v_fma_f32 v48, -v45, v46, 1.0
	v_fmac_f32_e32 v46, v48, v46
	v_mul_f32_e32 v48, v47, v46
	v_fma_f32 v49, -v45, v48, v47
	v_fmac_f32_e32 v48, v49, v46
	v_fma_f32 v45, -v45, v48, v47
	v_div_fmas_f32 v45, v45, v46, v48
	v_div_fixup_f32 v42, v45, v42, 1.0
.LBB64_308:
	s_or_b64 exec, exec, s[0:1]
	v_cmp_ne_u32_e32 vcc, v43, v40
	s_and_saveexec_b64 s[0:1], vcc
	s_xor_b64 s[0:1], exec, s[0:1]
	s_cbranch_execz .LBB64_314
; %bb.309:
	v_cmp_eq_u32_e32 vcc, 18, v43
	s_and_saveexec_b64 s[2:3], vcc
	s_cbranch_execz .LBB64_313
; %bb.310:
	v_cmp_ne_u32_e32 vcc, 18, v40
	s_xor_b64 s[18:19], s[16:17], -1
	s_and_b64 s[20:21], s[18:19], vcc
	s_and_saveexec_b64 s[18:19], s[20:21]
	s_cbranch_execz .LBB64_312
; %bb.311:
	v_ashrrev_i32_e32 v41, 31, v40
	v_lshl_add_u64 v[46:47], v[40:41], 2, v[22:23]
	global_load_dword v41, v[46:47], off
	global_load_dword v43, v[22:23], off offset:72
	s_waitcnt vmcnt(1)
	global_store_dword v[22:23], v41, off offset:72
	s_waitcnt vmcnt(1)
	global_store_dword v[46:47], v43, off
.LBB64_312:
	s_or_b64 exec, exec, s[18:19]
	v_mov_b32_e32 v41, v40
	v_mov_b32_e32 v43, v40
.LBB64_313:
	s_or_b64 exec, exec, s[2:3]
.LBB64_314:
	s_andn2_saveexec_b64 s[0:1], s[0:1]
	s_cbranch_execz .LBB64_316
; %bb.315:
	v_mov_b32_e32 v43, 18
	s_waitcnt vmcnt(12)
	ds_write2_b32 v21, v28, v29 offset0:19 offset1:20
	s_waitcnt vmcnt(10)
	ds_write2_b32 v21, v24, v25 offset0:21 offset1:22
	;; [unrolled: 2-line block ×7, first 2 shown]
.LBB64_316:
	s_or_b64 exec, exec, s[0:1]
	v_cmp_lt_i32_e32 vcc, 18, v43
	s_waitcnt lgkmcnt(0)
	s_barrier
	s_and_saveexec_b64 s[0:1], vcc
	s_cbranch_execz .LBB64_318
; %bb.317:
	ds_read2_b32 v[46:47], v21 offset0:19 offset1:20
	ds_read2_b32 v[48:49], v21 offset0:21 offset1:22
	v_mul_f32_e32 v40, v42, v35
	ds_read2_b32 v[50:51], v21 offset0:23 offset1:24
	ds_read2_b32 v[52:53], v21 offset0:25 offset1:26
	v_mov_b32_e32 v35, v40
	s_waitcnt vmcnt(12) lgkmcnt(3)
	v_pk_fma_f32 v[28:29], v[40:41], v[46:47], v[28:29] op_sel_hi:[0,1,1] neg_lo:[1,0,0] neg_hi:[1,0,0]
	s_waitcnt vmcnt(10) lgkmcnt(2)
	v_pk_fma_f32 v[24:25], v[40:41], v[48:49], v[24:25] op_sel_hi:[0,1,1] neg_lo:[1,0,0] neg_hi:[1,0,0]
	ds_read2_b32 v[46:47], v21 offset0:27 offset1:28
	ds_read2_b32 v[48:49], v21 offset0:29 offset1:30
	;; [unrolled: 1-line block ×3, first 2 shown]
	s_waitcnt vmcnt(8) lgkmcnt(4)
	v_pk_fma_f32 v[16:17], v[40:41], v[50:51], v[16:17] op_sel_hi:[0,1,1] neg_lo:[1,0,0] neg_hi:[1,0,0]
	s_waitcnt vmcnt(6) lgkmcnt(3)
	v_pk_fma_f32 v[38:39], v[40:41], v[52:53], v[38:39] op_sel_hi:[0,1,1] neg_lo:[1,0,0] neg_hi:[1,0,0]
	;; [unrolled: 2-line block ×5, first 2 shown]
.LBB64_318:
	s_or_b64 exec, exec, s[0:1]
	v_lshl_add_u32 v40, v43, 2, v21
	s_barrier
	s_waitcnt vmcnt(13)
	ds_write_b32 v40, v28
	s_waitcnt lgkmcnt(0)
	s_barrier
	ds_read_b32 v42, v21 offset:76
	s_cmp_lt_i32 s22, 21
	v_mov_b32_e32 v40, 19
	s_cbranch_scc1 .LBB64_321
; %bb.319:
	v_add_u32_e32 v45, 0x50, v21
	v_mov_b32_e32 v40, 19
	s_mov_b32 s0, 20
.LBB64_320:                             ; =>This Inner Loop Header: Depth=1
	ds_read_b32 v46, v45
	v_mov_b32_e32 v47, s0
	s_add_i32 s0, s0, 1
	v_add_u32_e32 v45, 4, v45
	s_cmp_lg_u32 s22, s0
	s_waitcnt lgkmcnt(0)
	v_cmp_lt_f32_e64 vcc, |v42|, |v46|
	s_nop 1
	v_cndmask_b32_e32 v42, v42, v46, vcc
	v_cndmask_b32_e32 v40, v40, v47, vcc
	s_cbranch_scc1 .LBB64_320
.LBB64_321:
	s_waitcnt lgkmcnt(0)
	v_cmp_eq_f32_e32 vcc, 0, v42
	s_and_saveexec_b64 s[0:1], vcc
	s_xor_b64 s[0:1], exec, s[0:1]
; %bb.322:
	v_cmp_ne_u32_e32 vcc, 0, v44
	s_nop 1
	v_cndmask_b32_e32 v44, 20, v44, vcc
; %bb.323:
	s_andn2_saveexec_b64 s[0:1], s[0:1]
	s_cbranch_execz .LBB64_325
; %bb.324:
	v_div_scale_f32 v45, s[2:3], v42, v42, 1.0
	v_rcp_f32_e32 v46, v45
	v_div_scale_f32 v47, vcc, 1.0, v42, 1.0
	v_fma_f32 v48, -v45, v46, 1.0
	v_fmac_f32_e32 v46, v48, v46
	v_mul_f32_e32 v48, v47, v46
	v_fma_f32 v49, -v45, v48, v47
	v_fmac_f32_e32 v48, v49, v46
	v_fma_f32 v45, -v45, v48, v47
	v_div_fmas_f32 v45, v45, v46, v48
	v_div_fixup_f32 v42, v45, v42, 1.0
.LBB64_325:
	s_or_b64 exec, exec, s[0:1]
	v_cmp_ne_u32_e32 vcc, v43, v40
	s_and_saveexec_b64 s[0:1], vcc
	s_xor_b64 s[0:1], exec, s[0:1]
	s_cbranch_execz .LBB64_331
; %bb.326:
	v_cmp_eq_u32_e32 vcc, 19, v43
	s_and_saveexec_b64 s[2:3], vcc
	s_cbranch_execz .LBB64_330
; %bb.327:
	v_cmp_ne_u32_e32 vcc, 19, v40
	s_xor_b64 s[18:19], s[16:17], -1
	s_and_b64 s[20:21], s[18:19], vcc
	s_and_saveexec_b64 s[18:19], s[20:21]
	s_cbranch_execz .LBB64_329
; %bb.328:
	v_ashrrev_i32_e32 v41, 31, v40
	v_lshl_add_u64 v[46:47], v[40:41], 2, v[22:23]
	global_load_dword v41, v[46:47], off
	global_load_dword v43, v[22:23], off offset:76
	s_waitcnt vmcnt(1)
	global_store_dword v[22:23], v41, off offset:76
	s_waitcnt vmcnt(1)
	global_store_dword v[46:47], v43, off
.LBB64_329:
	s_or_b64 exec, exec, s[18:19]
	v_mov_b32_e32 v41, v40
	v_mov_b32_e32 v43, v40
.LBB64_330:
	s_or_b64 exec, exec, s[2:3]
.LBB64_331:
	s_andn2_saveexec_b64 s[0:1], s[0:1]
	s_cbranch_execz .LBB64_333
; %bb.332:
	s_waitcnt vmcnt(10)
	v_pk_mov_b32 v[46:47], v[28:29], v[24:25] op_sel:[1,0]
	ds_write2_b32 v21, v46, v47 offset0:20 offset1:21
	s_waitcnt vmcnt(8)
	v_pk_mov_b32 v[46:47], v[24:25], v[16:17] op_sel:[1,0]
	ds_write2_b32 v21, v46, v47 offset0:22 offset1:23
	;; [unrolled: 3-line block ×5, first 2 shown]
	s_waitcnt vmcnt(0)
	v_pk_mov_b32 v[46:47], v[32:33], v[30:31] op_sel:[1,0]
	v_mov_b32_e32 v43, 19
	ds_write2_b32 v21, v46, v47 offset0:30 offset1:31
	ds_write_b32 v21, v31 offset:128
.LBB64_333:
	s_or_b64 exec, exec, s[0:1]
	v_cmp_lt_i32_e32 vcc, 19, v43
	s_waitcnt lgkmcnt(0)
	s_barrier
	s_and_saveexec_b64 s[0:1], vcc
	s_cbranch_execz .LBB64_335
; %bb.334:
	ds_read_b32 v40, v21 offset:80
	ds_read2_b32 v[46:47], v21 offset0:21 offset1:22
	v_mul_f32_e32 v28, v42, v28
	ds_read2_b32 v[48:49], v21 offset0:23 offset1:24
	ds_read2_b32 v[50:51], v21 offset0:25 offset1:26
	s_waitcnt vmcnt(12) lgkmcnt(3)
	v_fma_f32 v29, -v28, v40, v29
	s_waitcnt vmcnt(10) lgkmcnt(2)
	v_pk_fma_f32 v[24:25], v[28:29], v[46:47], v[24:25] op_sel_hi:[0,1,1] neg_lo:[1,0,0] neg_hi:[1,0,0]
	ds_read2_b32 v[46:47], v21 offset0:27 offset1:28
	ds_read2_b32 v[52:53], v21 offset0:29 offset1:30
	;; [unrolled: 1-line block ×3, first 2 shown]
	s_waitcnt vmcnt(8) lgkmcnt(4)
	v_pk_fma_f32 v[16:17], v[28:29], v[48:49], v[16:17] op_sel_hi:[0,1,1] neg_lo:[1,0,0] neg_hi:[1,0,0]
	s_waitcnt vmcnt(6) lgkmcnt(3)
	v_pk_fma_f32 v[38:39], v[28:29], v[50:51], v[38:39] op_sel_hi:[0,1,1] neg_lo:[1,0,0] neg_hi:[1,0,0]
	s_waitcnt vmcnt(4) lgkmcnt(2)
	v_pk_fma_f32 v[36:37], v[28:29], v[46:47], v[36:37] op_sel_hi:[0,1,1] neg_lo:[1,0,0] neg_hi:[1,0,0]
	s_waitcnt vmcnt(2) lgkmcnt(1)
	v_pk_fma_f32 v[32:33], v[28:29], v[52:53], v[32:33] op_sel_hi:[0,1,1] neg_lo:[1,0,0] neg_hi:[1,0,0]
	s_waitcnt vmcnt(0) lgkmcnt(0)
	v_pk_fma_f32 v[30:31], v[28:29], v[54:55], v[30:31] op_sel_hi:[0,1,1] neg_lo:[1,0,0] neg_hi:[1,0,0]
.LBB64_335:
	s_or_b64 exec, exec, s[0:1]
	v_lshl_add_u32 v40, v43, 2, v21
	s_barrier
	s_waitcnt vmcnt(12)
	ds_write_b32 v40, v29
	s_waitcnt lgkmcnt(0)
	s_barrier
	ds_read_b32 v42, v21 offset:80
	s_cmp_lt_i32 s22, 22
	v_mov_b32_e32 v40, 20
	s_cbranch_scc1 .LBB64_338
; %bb.336:
	v_add_u32_e32 v45, 0x54, v21
	v_mov_b32_e32 v40, 20
	s_mov_b32 s0, 21
.LBB64_337:                             ; =>This Inner Loop Header: Depth=1
	ds_read_b32 v46, v45
	v_mov_b32_e32 v47, s0
	s_add_i32 s0, s0, 1
	v_add_u32_e32 v45, 4, v45
	s_cmp_lg_u32 s22, s0
	s_waitcnt lgkmcnt(0)
	v_cmp_lt_f32_e64 vcc, |v42|, |v46|
	s_nop 1
	v_cndmask_b32_e32 v42, v42, v46, vcc
	v_cndmask_b32_e32 v40, v40, v47, vcc
	s_cbranch_scc1 .LBB64_337
.LBB64_338:
	s_waitcnt lgkmcnt(0)
	v_cmp_eq_f32_e32 vcc, 0, v42
	s_and_saveexec_b64 s[0:1], vcc
	s_xor_b64 s[0:1], exec, s[0:1]
; %bb.339:
	v_cmp_ne_u32_e32 vcc, 0, v44
	s_nop 1
	v_cndmask_b32_e32 v44, 21, v44, vcc
; %bb.340:
	s_andn2_saveexec_b64 s[0:1], s[0:1]
	s_cbranch_execz .LBB64_342
; %bb.341:
	v_div_scale_f32 v45, s[2:3], v42, v42, 1.0
	v_rcp_f32_e32 v46, v45
	v_div_scale_f32 v47, vcc, 1.0, v42, 1.0
	v_fma_f32 v48, -v45, v46, 1.0
	v_fmac_f32_e32 v46, v48, v46
	v_mul_f32_e32 v48, v47, v46
	v_fma_f32 v49, -v45, v48, v47
	v_fmac_f32_e32 v48, v49, v46
	v_fma_f32 v45, -v45, v48, v47
	v_div_fmas_f32 v45, v45, v46, v48
	v_div_fixup_f32 v42, v45, v42, 1.0
.LBB64_342:
	s_or_b64 exec, exec, s[0:1]
	v_cmp_ne_u32_e32 vcc, v43, v40
	s_and_saveexec_b64 s[0:1], vcc
	s_xor_b64 s[0:1], exec, s[0:1]
	s_cbranch_execz .LBB64_348
; %bb.343:
	v_cmp_eq_u32_e32 vcc, 20, v43
	s_and_saveexec_b64 s[2:3], vcc
	s_cbranch_execz .LBB64_347
; %bb.344:
	v_cmp_ne_u32_e32 vcc, 20, v40
	s_xor_b64 s[18:19], s[16:17], -1
	s_and_b64 s[20:21], s[18:19], vcc
	s_and_saveexec_b64 s[18:19], s[20:21]
	s_cbranch_execz .LBB64_346
; %bb.345:
	v_ashrrev_i32_e32 v41, 31, v40
	v_lshl_add_u64 v[46:47], v[40:41], 2, v[22:23]
	global_load_dword v41, v[46:47], off
	global_load_dword v43, v[22:23], off offset:80
	s_waitcnt vmcnt(1)
	global_store_dword v[22:23], v41, off offset:80
	s_waitcnt vmcnt(1)
	global_store_dword v[46:47], v43, off
.LBB64_346:
	s_or_b64 exec, exec, s[18:19]
	v_mov_b32_e32 v41, v40
	v_mov_b32_e32 v43, v40
.LBB64_347:
	s_or_b64 exec, exec, s[2:3]
.LBB64_348:
	s_andn2_saveexec_b64 s[0:1], s[0:1]
	s_cbranch_execz .LBB64_350
; %bb.349:
	v_mov_b32_e32 v43, 20
	s_waitcnt vmcnt(10)
	ds_write2_b32 v21, v24, v25 offset0:21 offset1:22
	s_waitcnt vmcnt(8)
	ds_write2_b32 v21, v16, v17 offset0:23 offset1:24
	;; [unrolled: 2-line block ×6, first 2 shown]
.LBB64_350:
	s_or_b64 exec, exec, s[0:1]
	v_cmp_lt_i32_e32 vcc, 20, v43
	s_waitcnt lgkmcnt(0)
	s_barrier
	s_and_saveexec_b64 s[0:1], vcc
	s_cbranch_execz .LBB64_352
; %bb.351:
	ds_read2_b32 v[46:47], v21 offset0:21 offset1:22
	v_mul_f32_e32 v40, v42, v29
	ds_read2_b32 v[48:49], v21 offset0:23 offset1:24
	ds_read2_b32 v[50:51], v21 offset0:25 offset1:26
	;; [unrolled: 1-line block ×3, first 2 shown]
	v_mov_b32_e32 v29, v40
	s_waitcnt vmcnt(8) lgkmcnt(2)
	v_pk_fma_f32 v[16:17], v[40:41], v[48:49], v[16:17] op_sel_hi:[0,1,1] neg_lo:[1,0,0] neg_hi:[1,0,0]
	v_pk_fma_f32 v[24:25], v[40:41], v[46:47], v[24:25] op_sel_hi:[0,1,1] neg_lo:[1,0,0] neg_hi:[1,0,0]
	ds_read2_b32 v[46:47], v21 offset0:29 offset1:30
	ds_read2_b32 v[54:55], v21 offset0:31 offset1:32
	s_waitcnt vmcnt(6) lgkmcnt(3)
	v_pk_fma_f32 v[38:39], v[40:41], v[50:51], v[38:39] op_sel_hi:[0,1,1] neg_lo:[1,0,0] neg_hi:[1,0,0]
	s_waitcnt vmcnt(4) lgkmcnt(2)
	v_pk_fma_f32 v[36:37], v[40:41], v[52:53], v[36:37] op_sel_hi:[0,1,1] neg_lo:[1,0,0] neg_hi:[1,0,0]
	;; [unrolled: 2-line block ×4, first 2 shown]
.LBB64_352:
	s_or_b64 exec, exec, s[0:1]
	v_lshl_add_u32 v40, v43, 2, v21
	s_barrier
	s_waitcnt vmcnt(11)
	ds_write_b32 v40, v24
	s_waitcnt lgkmcnt(0)
	s_barrier
	ds_read_b32 v42, v21 offset:84
	s_cmp_lt_i32 s22, 23
	v_mov_b32_e32 v40, 21
	s_cbranch_scc1 .LBB64_355
; %bb.353:
	v_add_u32_e32 v45, 0x58, v21
	v_mov_b32_e32 v40, 21
	s_mov_b32 s0, 22
.LBB64_354:                             ; =>This Inner Loop Header: Depth=1
	ds_read_b32 v46, v45
	v_mov_b32_e32 v47, s0
	s_add_i32 s0, s0, 1
	v_add_u32_e32 v45, 4, v45
	s_cmp_lg_u32 s22, s0
	s_waitcnt lgkmcnt(0)
	v_cmp_lt_f32_e64 vcc, |v42|, |v46|
	s_nop 1
	v_cndmask_b32_e32 v42, v42, v46, vcc
	v_cndmask_b32_e32 v40, v40, v47, vcc
	s_cbranch_scc1 .LBB64_354
.LBB64_355:
	s_waitcnt lgkmcnt(0)
	v_cmp_eq_f32_e32 vcc, 0, v42
	s_and_saveexec_b64 s[0:1], vcc
	s_xor_b64 s[0:1], exec, s[0:1]
; %bb.356:
	v_cmp_ne_u32_e32 vcc, 0, v44
	s_nop 1
	v_cndmask_b32_e32 v44, 22, v44, vcc
; %bb.357:
	s_andn2_saveexec_b64 s[0:1], s[0:1]
	s_cbranch_execz .LBB64_359
; %bb.358:
	v_div_scale_f32 v45, s[2:3], v42, v42, 1.0
	v_rcp_f32_e32 v46, v45
	v_div_scale_f32 v47, vcc, 1.0, v42, 1.0
	v_fma_f32 v48, -v45, v46, 1.0
	v_fmac_f32_e32 v46, v48, v46
	v_mul_f32_e32 v48, v47, v46
	v_fma_f32 v49, -v45, v48, v47
	v_fmac_f32_e32 v48, v49, v46
	v_fma_f32 v45, -v45, v48, v47
	v_div_fmas_f32 v45, v45, v46, v48
	v_div_fixup_f32 v42, v45, v42, 1.0
.LBB64_359:
	s_or_b64 exec, exec, s[0:1]
	v_cmp_ne_u32_e32 vcc, v43, v40
	s_and_saveexec_b64 s[0:1], vcc
	s_xor_b64 s[0:1], exec, s[0:1]
	s_cbranch_execz .LBB64_365
; %bb.360:
	v_cmp_eq_u32_e32 vcc, 21, v43
	s_and_saveexec_b64 s[2:3], vcc
	s_cbranch_execz .LBB64_364
; %bb.361:
	v_cmp_ne_u32_e32 vcc, 21, v40
	s_xor_b64 s[18:19], s[16:17], -1
	s_and_b64 s[20:21], s[18:19], vcc
	s_and_saveexec_b64 s[18:19], s[20:21]
	s_cbranch_execz .LBB64_363
; %bb.362:
	v_ashrrev_i32_e32 v41, 31, v40
	v_lshl_add_u64 v[46:47], v[40:41], 2, v[22:23]
	global_load_dword v41, v[46:47], off
	global_load_dword v43, v[22:23], off offset:84
	s_waitcnt vmcnt(1)
	global_store_dword v[22:23], v41, off offset:84
	s_waitcnt vmcnt(1)
	global_store_dword v[46:47], v43, off
.LBB64_363:
	s_or_b64 exec, exec, s[18:19]
	v_mov_b32_e32 v41, v40
	v_mov_b32_e32 v43, v40
.LBB64_364:
	s_or_b64 exec, exec, s[2:3]
.LBB64_365:
	s_andn2_saveexec_b64 s[0:1], s[0:1]
	s_cbranch_execz .LBB64_367
; %bb.366:
	s_waitcnt vmcnt(8)
	v_pk_mov_b32 v[46:47], v[24:25], v[16:17] op_sel:[1,0]
	ds_write2_b32 v21, v46, v47 offset0:22 offset1:23
	s_waitcnt vmcnt(6)
	v_pk_mov_b32 v[46:47], v[16:17], v[38:39] op_sel:[1,0]
	ds_write2_b32 v21, v46, v47 offset0:24 offset1:25
	;; [unrolled: 3-line block ×4, first 2 shown]
	s_waitcnt vmcnt(0)
	v_pk_mov_b32 v[46:47], v[32:33], v[30:31] op_sel:[1,0]
	v_mov_b32_e32 v43, 21
	ds_write2_b32 v21, v46, v47 offset0:30 offset1:31
	ds_write_b32 v21, v31 offset:128
.LBB64_367:
	s_or_b64 exec, exec, s[0:1]
	v_cmp_lt_i32_e32 vcc, 21, v43
	s_waitcnt lgkmcnt(0)
	s_barrier
	s_and_saveexec_b64 s[0:1], vcc
	s_cbranch_execz .LBB64_369
; %bb.368:
	ds_read_b32 v40, v21 offset:88
	ds_read2_b32 v[46:47], v21 offset0:23 offset1:24
	ds_read2_b32 v[48:49], v21 offset0:25 offset1:26
	;; [unrolled: 1-line block ×5, first 2 shown]
	v_mul_f32_e32 v24, v42, v24
	s_waitcnt vmcnt(10) lgkmcnt(5)
	v_fma_f32 v25, -v24, v40, v25
	s_waitcnt vmcnt(8) lgkmcnt(4)
	v_pk_fma_f32 v[16:17], v[24:25], v[46:47], v[16:17] op_sel_hi:[0,1,1] neg_lo:[1,0,0] neg_hi:[1,0,0]
	s_waitcnt vmcnt(6) lgkmcnt(3)
	v_pk_fma_f32 v[38:39], v[24:25], v[48:49], v[38:39] op_sel_hi:[0,1,1] neg_lo:[1,0,0] neg_hi:[1,0,0]
	;; [unrolled: 2-line block ×5, first 2 shown]
.LBB64_369:
	s_or_b64 exec, exec, s[0:1]
	v_lshl_add_u32 v40, v43, 2, v21
	s_barrier
	s_waitcnt vmcnt(10)
	ds_write_b32 v40, v25
	s_waitcnt lgkmcnt(0)
	s_barrier
	ds_read_b32 v42, v21 offset:88
	s_cmp_lt_i32 s22, 24
	v_mov_b32_e32 v40, 22
	s_cbranch_scc1 .LBB64_372
; %bb.370:
	v_add_u32_e32 v45, 0x5c, v21
	v_mov_b32_e32 v40, 22
	s_mov_b32 s0, 23
.LBB64_371:                             ; =>This Inner Loop Header: Depth=1
	ds_read_b32 v46, v45
	v_mov_b32_e32 v47, s0
	s_add_i32 s0, s0, 1
	v_add_u32_e32 v45, 4, v45
	s_cmp_lg_u32 s22, s0
	s_waitcnt lgkmcnt(0)
	v_cmp_lt_f32_e64 vcc, |v42|, |v46|
	s_nop 1
	v_cndmask_b32_e32 v42, v42, v46, vcc
	v_cndmask_b32_e32 v40, v40, v47, vcc
	s_cbranch_scc1 .LBB64_371
.LBB64_372:
	s_waitcnt lgkmcnt(0)
	v_cmp_eq_f32_e32 vcc, 0, v42
	s_and_saveexec_b64 s[0:1], vcc
	s_xor_b64 s[0:1], exec, s[0:1]
; %bb.373:
	v_cmp_ne_u32_e32 vcc, 0, v44
	s_nop 1
	v_cndmask_b32_e32 v44, 23, v44, vcc
; %bb.374:
	s_andn2_saveexec_b64 s[0:1], s[0:1]
	s_cbranch_execz .LBB64_376
; %bb.375:
	v_div_scale_f32 v45, s[2:3], v42, v42, 1.0
	v_rcp_f32_e32 v46, v45
	v_div_scale_f32 v47, vcc, 1.0, v42, 1.0
	v_fma_f32 v48, -v45, v46, 1.0
	v_fmac_f32_e32 v46, v48, v46
	v_mul_f32_e32 v48, v47, v46
	v_fma_f32 v49, -v45, v48, v47
	v_fmac_f32_e32 v48, v49, v46
	v_fma_f32 v45, -v45, v48, v47
	v_div_fmas_f32 v45, v45, v46, v48
	v_div_fixup_f32 v42, v45, v42, 1.0
.LBB64_376:
	s_or_b64 exec, exec, s[0:1]
	v_cmp_ne_u32_e32 vcc, v43, v40
	s_and_saveexec_b64 s[0:1], vcc
	s_xor_b64 s[0:1], exec, s[0:1]
	s_cbranch_execz .LBB64_382
; %bb.377:
	v_cmp_eq_u32_e32 vcc, 22, v43
	s_and_saveexec_b64 s[2:3], vcc
	s_cbranch_execz .LBB64_381
; %bb.378:
	v_cmp_ne_u32_e32 vcc, 22, v40
	s_xor_b64 s[18:19], s[16:17], -1
	s_and_b64 s[20:21], s[18:19], vcc
	s_and_saveexec_b64 s[18:19], s[20:21]
	s_cbranch_execz .LBB64_380
; %bb.379:
	v_ashrrev_i32_e32 v41, 31, v40
	v_lshl_add_u64 v[46:47], v[40:41], 2, v[22:23]
	global_load_dword v41, v[46:47], off
	global_load_dword v43, v[22:23], off offset:88
	s_waitcnt vmcnt(1)
	global_store_dword v[22:23], v41, off offset:88
	s_waitcnt vmcnt(1)
	global_store_dword v[46:47], v43, off
.LBB64_380:
	s_or_b64 exec, exec, s[18:19]
	v_mov_b32_e32 v41, v40
	v_mov_b32_e32 v43, v40
.LBB64_381:
	s_or_b64 exec, exec, s[2:3]
.LBB64_382:
	s_andn2_saveexec_b64 s[0:1], s[0:1]
	s_cbranch_execz .LBB64_384
; %bb.383:
	v_mov_b32_e32 v43, 22
	s_waitcnt vmcnt(8)
	ds_write2_b32 v21, v16, v17 offset0:23 offset1:24
	s_waitcnt vmcnt(6)
	ds_write2_b32 v21, v38, v39 offset0:25 offset1:26
	;; [unrolled: 2-line block ×5, first 2 shown]
.LBB64_384:
	s_or_b64 exec, exec, s[0:1]
	v_cmp_lt_i32_e32 vcc, 22, v43
	s_waitcnt lgkmcnt(0)
	s_barrier
	s_and_saveexec_b64 s[0:1], vcc
	s_cbranch_execz .LBB64_386
; %bb.385:
	ds_read2_b32 v[46:47], v21 offset0:23 offset1:24
	ds_read2_b32 v[48:49], v21 offset0:25 offset1:26
	;; [unrolled: 1-line block ×5, first 2 shown]
	v_mul_f32_e32 v40, v42, v25
	s_waitcnt vmcnt(8) lgkmcnt(4)
	v_pk_fma_f32 v[16:17], v[40:41], v[46:47], v[16:17] op_sel_hi:[0,1,1] neg_lo:[1,0,0] neg_hi:[1,0,0]
	s_waitcnt vmcnt(6) lgkmcnt(3)
	v_pk_fma_f32 v[38:39], v[40:41], v[48:49], v[38:39] op_sel_hi:[0,1,1] neg_lo:[1,0,0] neg_hi:[1,0,0]
	;; [unrolled: 2-line block ×5, first 2 shown]
	v_mov_b32_e32 v25, v40
.LBB64_386:
	s_or_b64 exec, exec, s[0:1]
	v_lshl_add_u32 v40, v43, 2, v21
	s_barrier
	s_waitcnt vmcnt(9)
	ds_write_b32 v40, v16
	s_waitcnt lgkmcnt(0)
	s_barrier
	ds_read_b32 v42, v21 offset:92
	s_cmp_lt_i32 s22, 25
	v_mov_b32_e32 v40, 23
	s_cbranch_scc1 .LBB64_389
; %bb.387:
	v_add_u32_e32 v45, 0x60, v21
	v_mov_b32_e32 v40, 23
	s_mov_b32 s0, 24
.LBB64_388:                             ; =>This Inner Loop Header: Depth=1
	ds_read_b32 v46, v45
	v_mov_b32_e32 v47, s0
	s_add_i32 s0, s0, 1
	v_add_u32_e32 v45, 4, v45
	s_cmp_lg_u32 s22, s0
	s_waitcnt lgkmcnt(0)
	v_cmp_lt_f32_e64 vcc, |v42|, |v46|
	s_nop 1
	v_cndmask_b32_e32 v42, v42, v46, vcc
	v_cndmask_b32_e32 v40, v40, v47, vcc
	s_cbranch_scc1 .LBB64_388
.LBB64_389:
	s_waitcnt lgkmcnt(0)
	v_cmp_eq_f32_e32 vcc, 0, v42
	s_and_saveexec_b64 s[0:1], vcc
	s_xor_b64 s[0:1], exec, s[0:1]
; %bb.390:
	v_cmp_ne_u32_e32 vcc, 0, v44
	s_nop 1
	v_cndmask_b32_e32 v44, 24, v44, vcc
; %bb.391:
	s_andn2_saveexec_b64 s[0:1], s[0:1]
	s_cbranch_execz .LBB64_393
; %bb.392:
	v_div_scale_f32 v45, s[2:3], v42, v42, 1.0
	v_rcp_f32_e32 v46, v45
	v_div_scale_f32 v47, vcc, 1.0, v42, 1.0
	v_fma_f32 v48, -v45, v46, 1.0
	v_fmac_f32_e32 v46, v48, v46
	v_mul_f32_e32 v48, v47, v46
	v_fma_f32 v49, -v45, v48, v47
	v_fmac_f32_e32 v48, v49, v46
	v_fma_f32 v45, -v45, v48, v47
	v_div_fmas_f32 v45, v45, v46, v48
	v_div_fixup_f32 v42, v45, v42, 1.0
.LBB64_393:
	s_or_b64 exec, exec, s[0:1]
	v_cmp_ne_u32_e32 vcc, v43, v40
	s_and_saveexec_b64 s[0:1], vcc
	s_xor_b64 s[0:1], exec, s[0:1]
	s_cbranch_execz .LBB64_399
; %bb.394:
	v_cmp_eq_u32_e32 vcc, 23, v43
	s_and_saveexec_b64 s[2:3], vcc
	s_cbranch_execz .LBB64_398
; %bb.395:
	v_cmp_ne_u32_e32 vcc, 23, v40
	s_xor_b64 s[18:19], s[16:17], -1
	s_and_b64 s[20:21], s[18:19], vcc
	s_and_saveexec_b64 s[18:19], s[20:21]
	s_cbranch_execz .LBB64_397
; %bb.396:
	v_ashrrev_i32_e32 v41, 31, v40
	v_lshl_add_u64 v[46:47], v[40:41], 2, v[22:23]
	global_load_dword v41, v[46:47], off
	global_load_dword v43, v[22:23], off offset:92
	s_waitcnt vmcnt(1)
	global_store_dword v[22:23], v41, off offset:92
	s_waitcnt vmcnt(1)
	global_store_dword v[46:47], v43, off
.LBB64_397:
	s_or_b64 exec, exec, s[18:19]
	v_mov_b32_e32 v41, v40
	v_mov_b32_e32 v43, v40
.LBB64_398:
	s_or_b64 exec, exec, s[2:3]
.LBB64_399:
	s_andn2_saveexec_b64 s[0:1], s[0:1]
	s_cbranch_execz .LBB64_401
; %bb.400:
	s_waitcnt vmcnt(6)
	v_pk_mov_b32 v[46:47], v[16:17], v[38:39] op_sel:[1,0]
	ds_write2_b32 v21, v46, v47 offset0:24 offset1:25
	s_waitcnt vmcnt(4)
	v_pk_mov_b32 v[46:47], v[38:39], v[36:37] op_sel:[1,0]
	ds_write2_b32 v21, v46, v47 offset0:26 offset1:27
	;; [unrolled: 3-line block ×3, first 2 shown]
	s_waitcnt vmcnt(0)
	v_pk_mov_b32 v[46:47], v[32:33], v[30:31] op_sel:[1,0]
	v_mov_b32_e32 v43, 23
	ds_write2_b32 v21, v46, v47 offset0:30 offset1:31
	ds_write_b32 v21, v31 offset:128
.LBB64_401:
	s_or_b64 exec, exec, s[0:1]
	v_cmp_lt_i32_e32 vcc, 23, v43
	s_waitcnt lgkmcnt(0)
	s_barrier
	s_and_saveexec_b64 s[0:1], vcc
	s_cbranch_execz .LBB64_403
; %bb.402:
	ds_read_b32 v40, v21 offset:96
	ds_read2_b32 v[46:47], v21 offset0:25 offset1:26
	ds_read2_b32 v[48:49], v21 offset0:27 offset1:28
	;; [unrolled: 1-line block ×4, first 2 shown]
	v_mul_f32_e32 v16, v42, v16
	s_waitcnt vmcnt(8) lgkmcnt(4)
	v_fma_f32 v17, -v16, v40, v17
	s_waitcnt vmcnt(6) lgkmcnt(3)
	v_pk_fma_f32 v[38:39], v[16:17], v[46:47], v[38:39] op_sel_hi:[0,1,1] neg_lo:[1,0,0] neg_hi:[1,0,0]
	s_waitcnt vmcnt(4) lgkmcnt(2)
	v_pk_fma_f32 v[36:37], v[16:17], v[48:49], v[36:37] op_sel_hi:[0,1,1] neg_lo:[1,0,0] neg_hi:[1,0,0]
	s_waitcnt vmcnt(2) lgkmcnt(1)
	v_pk_fma_f32 v[32:33], v[16:17], v[50:51], v[32:33] op_sel_hi:[0,1,1] neg_lo:[1,0,0] neg_hi:[1,0,0]
	s_waitcnt vmcnt(0) lgkmcnt(0)
	v_pk_fma_f32 v[30:31], v[16:17], v[52:53], v[30:31] op_sel_hi:[0,1,1] neg_lo:[1,0,0] neg_hi:[1,0,0]
.LBB64_403:
	s_or_b64 exec, exec, s[0:1]
	v_lshl_add_u32 v40, v43, 2, v21
	s_barrier
	s_waitcnt vmcnt(8)
	ds_write_b32 v40, v17
	s_waitcnt lgkmcnt(0)
	s_barrier
	ds_read_b32 v42, v21 offset:96
	s_cmp_lt_i32 s22, 26
	v_mov_b32_e32 v40, 24
	s_cbranch_scc1 .LBB64_406
; %bb.404:
	v_add_u32_e32 v45, 0x64, v21
	v_mov_b32_e32 v40, 24
	s_mov_b32 s0, 25
.LBB64_405:                             ; =>This Inner Loop Header: Depth=1
	ds_read_b32 v46, v45
	v_mov_b32_e32 v47, s0
	s_add_i32 s0, s0, 1
	v_add_u32_e32 v45, 4, v45
	s_cmp_lg_u32 s22, s0
	s_waitcnt lgkmcnt(0)
	v_cmp_lt_f32_e64 vcc, |v42|, |v46|
	s_nop 1
	v_cndmask_b32_e32 v42, v42, v46, vcc
	v_cndmask_b32_e32 v40, v40, v47, vcc
	s_cbranch_scc1 .LBB64_405
.LBB64_406:
	s_waitcnt lgkmcnt(0)
	v_cmp_eq_f32_e32 vcc, 0, v42
	s_and_saveexec_b64 s[0:1], vcc
	s_xor_b64 s[0:1], exec, s[0:1]
; %bb.407:
	v_cmp_ne_u32_e32 vcc, 0, v44
	s_nop 1
	v_cndmask_b32_e32 v44, 25, v44, vcc
; %bb.408:
	s_andn2_saveexec_b64 s[0:1], s[0:1]
	s_cbranch_execz .LBB64_410
; %bb.409:
	v_div_scale_f32 v45, s[2:3], v42, v42, 1.0
	v_rcp_f32_e32 v46, v45
	v_div_scale_f32 v47, vcc, 1.0, v42, 1.0
	v_fma_f32 v48, -v45, v46, 1.0
	v_fmac_f32_e32 v46, v48, v46
	v_mul_f32_e32 v48, v47, v46
	v_fma_f32 v49, -v45, v48, v47
	v_fmac_f32_e32 v48, v49, v46
	v_fma_f32 v45, -v45, v48, v47
	v_div_fmas_f32 v45, v45, v46, v48
	v_div_fixup_f32 v42, v45, v42, 1.0
.LBB64_410:
	s_or_b64 exec, exec, s[0:1]
	v_cmp_ne_u32_e32 vcc, v43, v40
	s_and_saveexec_b64 s[0:1], vcc
	s_xor_b64 s[0:1], exec, s[0:1]
	s_cbranch_execz .LBB64_416
; %bb.411:
	v_cmp_eq_u32_e32 vcc, 24, v43
	s_and_saveexec_b64 s[2:3], vcc
	s_cbranch_execz .LBB64_415
; %bb.412:
	v_cmp_ne_u32_e32 vcc, 24, v40
	s_xor_b64 s[18:19], s[16:17], -1
	s_and_b64 s[20:21], s[18:19], vcc
	s_and_saveexec_b64 s[18:19], s[20:21]
	s_cbranch_execz .LBB64_414
; %bb.413:
	v_ashrrev_i32_e32 v41, 31, v40
	v_lshl_add_u64 v[46:47], v[40:41], 2, v[22:23]
	global_load_dword v41, v[46:47], off
	global_load_dword v43, v[22:23], off offset:96
	s_waitcnt vmcnt(1)
	global_store_dword v[22:23], v41, off offset:96
	s_waitcnt vmcnt(1)
	global_store_dword v[46:47], v43, off
.LBB64_414:
	s_or_b64 exec, exec, s[18:19]
	v_mov_b32_e32 v41, v40
	v_mov_b32_e32 v43, v40
.LBB64_415:
	s_or_b64 exec, exec, s[2:3]
.LBB64_416:
	s_andn2_saveexec_b64 s[0:1], s[0:1]
	s_cbranch_execz .LBB64_418
; %bb.417:
	v_mov_b32_e32 v43, 24
	s_waitcnt vmcnt(6)
	ds_write2_b32 v21, v38, v39 offset0:25 offset1:26
	s_waitcnt vmcnt(4)
	ds_write2_b32 v21, v36, v37 offset0:27 offset1:28
	;; [unrolled: 2-line block ×4, first 2 shown]
.LBB64_418:
	s_or_b64 exec, exec, s[0:1]
	v_cmp_lt_i32_e32 vcc, 24, v43
	s_waitcnt lgkmcnt(0)
	s_barrier
	s_and_saveexec_b64 s[0:1], vcc
	s_cbranch_execz .LBB64_420
; %bb.419:
	ds_read2_b32 v[46:47], v21 offset0:25 offset1:26
	ds_read2_b32 v[48:49], v21 offset0:27 offset1:28
	;; [unrolled: 1-line block ×4, first 2 shown]
	v_mul_f32_e32 v40, v42, v17
	s_waitcnt vmcnt(6) lgkmcnt(3)
	v_pk_fma_f32 v[38:39], v[40:41], v[46:47], v[38:39] op_sel_hi:[0,1,1] neg_lo:[1,0,0] neg_hi:[1,0,0]
	s_waitcnt vmcnt(4) lgkmcnt(2)
	v_pk_fma_f32 v[36:37], v[40:41], v[48:49], v[36:37] op_sel_hi:[0,1,1] neg_lo:[1,0,0] neg_hi:[1,0,0]
	;; [unrolled: 2-line block ×4, first 2 shown]
	v_mov_b32_e32 v17, v40
.LBB64_420:
	s_or_b64 exec, exec, s[0:1]
	v_lshl_add_u32 v40, v43, 2, v21
	s_barrier
	s_waitcnt vmcnt(7)
	ds_write_b32 v40, v38
	s_waitcnt lgkmcnt(0)
	s_barrier
	ds_read_b32 v42, v21 offset:100
	s_cmp_lt_i32 s22, 27
	v_mov_b32_e32 v40, 25
	s_cbranch_scc1 .LBB64_423
; %bb.421:
	v_add_u32_e32 v45, 0x68, v21
	v_mov_b32_e32 v40, 25
	s_mov_b32 s0, 26
.LBB64_422:                             ; =>This Inner Loop Header: Depth=1
	ds_read_b32 v46, v45
	v_mov_b32_e32 v47, s0
	s_add_i32 s0, s0, 1
	v_add_u32_e32 v45, 4, v45
	s_cmp_lg_u32 s22, s0
	s_waitcnt lgkmcnt(0)
	v_cmp_lt_f32_e64 vcc, |v42|, |v46|
	s_nop 1
	v_cndmask_b32_e32 v42, v42, v46, vcc
	v_cndmask_b32_e32 v40, v40, v47, vcc
	s_cbranch_scc1 .LBB64_422
.LBB64_423:
	s_waitcnt lgkmcnt(0)
	v_cmp_eq_f32_e32 vcc, 0, v42
	s_and_saveexec_b64 s[0:1], vcc
	s_xor_b64 s[0:1], exec, s[0:1]
; %bb.424:
	v_cmp_ne_u32_e32 vcc, 0, v44
	s_nop 1
	v_cndmask_b32_e32 v44, 26, v44, vcc
; %bb.425:
	s_andn2_saveexec_b64 s[0:1], s[0:1]
	s_cbranch_execz .LBB64_427
; %bb.426:
	v_div_scale_f32 v45, s[2:3], v42, v42, 1.0
	v_rcp_f32_e32 v46, v45
	v_div_scale_f32 v47, vcc, 1.0, v42, 1.0
	v_fma_f32 v48, -v45, v46, 1.0
	v_fmac_f32_e32 v46, v48, v46
	v_mul_f32_e32 v48, v47, v46
	v_fma_f32 v49, -v45, v48, v47
	v_fmac_f32_e32 v48, v49, v46
	v_fma_f32 v45, -v45, v48, v47
	v_div_fmas_f32 v45, v45, v46, v48
	v_div_fixup_f32 v42, v45, v42, 1.0
.LBB64_427:
	s_or_b64 exec, exec, s[0:1]
	v_cmp_ne_u32_e32 vcc, v43, v40
	s_and_saveexec_b64 s[0:1], vcc
	s_xor_b64 s[0:1], exec, s[0:1]
	s_cbranch_execz .LBB64_433
; %bb.428:
	v_cmp_eq_u32_e32 vcc, 25, v43
	s_and_saveexec_b64 s[2:3], vcc
	s_cbranch_execz .LBB64_432
; %bb.429:
	v_cmp_ne_u32_e32 vcc, 25, v40
	s_xor_b64 s[18:19], s[16:17], -1
	s_and_b64 s[20:21], s[18:19], vcc
	s_and_saveexec_b64 s[18:19], s[20:21]
	s_cbranch_execz .LBB64_431
; %bb.430:
	v_ashrrev_i32_e32 v41, 31, v40
	v_lshl_add_u64 v[46:47], v[40:41], 2, v[22:23]
	global_load_dword v41, v[46:47], off
	global_load_dword v43, v[22:23], off offset:100
	s_waitcnt vmcnt(1)
	global_store_dword v[22:23], v41, off offset:100
	s_waitcnt vmcnt(1)
	global_store_dword v[46:47], v43, off
.LBB64_431:
	s_or_b64 exec, exec, s[18:19]
	v_mov_b32_e32 v41, v40
	v_mov_b32_e32 v43, v40
.LBB64_432:
	s_or_b64 exec, exec, s[2:3]
.LBB64_433:
	s_andn2_saveexec_b64 s[0:1], s[0:1]
	s_cbranch_execz .LBB64_435
; %bb.434:
	s_waitcnt vmcnt(4)
	v_pk_mov_b32 v[46:47], v[38:39], v[36:37] op_sel:[1,0]
	ds_write2_b32 v21, v46, v47 offset0:26 offset1:27
	s_waitcnt vmcnt(2)
	v_pk_mov_b32 v[46:47], v[36:37], v[32:33] op_sel:[1,0]
	ds_write2_b32 v21, v46, v47 offset0:28 offset1:29
	s_waitcnt vmcnt(0)
	v_pk_mov_b32 v[46:47], v[32:33], v[30:31] op_sel:[1,0]
	v_mov_b32_e32 v43, 25
	ds_write2_b32 v21, v46, v47 offset0:30 offset1:31
	ds_write_b32 v21, v31 offset:128
.LBB64_435:
	s_or_b64 exec, exec, s[0:1]
	v_cmp_lt_i32_e32 vcc, 25, v43
	s_waitcnt lgkmcnt(0)
	s_barrier
	s_and_saveexec_b64 s[0:1], vcc
	s_cbranch_execz .LBB64_437
; %bb.436:
	ds_read_b32 v40, v21 offset:104
	ds_read2_b32 v[46:47], v21 offset0:27 offset1:28
	ds_read2_b32 v[48:49], v21 offset0:29 offset1:30
	;; [unrolled: 1-line block ×3, first 2 shown]
	v_mul_f32_e32 v38, v42, v38
	s_waitcnt vmcnt(6) lgkmcnt(3)
	v_fma_f32 v39, -v38, v40, v39
	s_waitcnt vmcnt(4) lgkmcnt(2)
	v_pk_fma_f32 v[36:37], v[38:39], v[46:47], v[36:37] op_sel_hi:[0,1,1] neg_lo:[1,0,0] neg_hi:[1,0,0]
	s_waitcnt vmcnt(2) lgkmcnt(1)
	v_pk_fma_f32 v[32:33], v[38:39], v[48:49], v[32:33] op_sel_hi:[0,1,1] neg_lo:[1,0,0] neg_hi:[1,0,0]
	;; [unrolled: 2-line block ×3, first 2 shown]
.LBB64_437:
	s_or_b64 exec, exec, s[0:1]
	v_lshl_add_u32 v40, v43, 2, v21
	s_barrier
	s_waitcnt vmcnt(6)
	ds_write_b32 v40, v39
	s_waitcnt lgkmcnt(0)
	s_barrier
	ds_read_b32 v42, v21 offset:104
	s_cmp_lt_i32 s22, 28
	v_mov_b32_e32 v40, 26
	s_cbranch_scc1 .LBB64_440
; %bb.438:
	v_add_u32_e32 v45, 0x6c, v21
	v_mov_b32_e32 v40, 26
	s_mov_b32 s0, 27
.LBB64_439:                             ; =>This Inner Loop Header: Depth=1
	ds_read_b32 v46, v45
	v_mov_b32_e32 v47, s0
	s_add_i32 s0, s0, 1
	v_add_u32_e32 v45, 4, v45
	s_cmp_lg_u32 s22, s0
	s_waitcnt lgkmcnt(0)
	v_cmp_lt_f32_e64 vcc, |v42|, |v46|
	s_nop 1
	v_cndmask_b32_e32 v42, v42, v46, vcc
	v_cndmask_b32_e32 v40, v40, v47, vcc
	s_cbranch_scc1 .LBB64_439
.LBB64_440:
	s_waitcnt lgkmcnt(0)
	v_cmp_eq_f32_e32 vcc, 0, v42
	s_and_saveexec_b64 s[0:1], vcc
	s_xor_b64 s[0:1], exec, s[0:1]
; %bb.441:
	v_cmp_ne_u32_e32 vcc, 0, v44
	s_nop 1
	v_cndmask_b32_e32 v44, 27, v44, vcc
; %bb.442:
	s_andn2_saveexec_b64 s[0:1], s[0:1]
	s_cbranch_execz .LBB64_444
; %bb.443:
	v_div_scale_f32 v45, s[2:3], v42, v42, 1.0
	v_rcp_f32_e32 v46, v45
	v_div_scale_f32 v47, vcc, 1.0, v42, 1.0
	v_fma_f32 v48, -v45, v46, 1.0
	v_fmac_f32_e32 v46, v48, v46
	v_mul_f32_e32 v48, v47, v46
	v_fma_f32 v49, -v45, v48, v47
	v_fmac_f32_e32 v48, v49, v46
	v_fma_f32 v45, -v45, v48, v47
	v_div_fmas_f32 v45, v45, v46, v48
	v_div_fixup_f32 v42, v45, v42, 1.0
.LBB64_444:
	s_or_b64 exec, exec, s[0:1]
	v_cmp_ne_u32_e32 vcc, v43, v40
	s_and_saveexec_b64 s[0:1], vcc
	s_xor_b64 s[0:1], exec, s[0:1]
	s_cbranch_execz .LBB64_450
; %bb.445:
	v_cmp_eq_u32_e32 vcc, 26, v43
	s_and_saveexec_b64 s[2:3], vcc
	s_cbranch_execz .LBB64_449
; %bb.446:
	v_cmp_ne_u32_e32 vcc, 26, v40
	s_xor_b64 s[18:19], s[16:17], -1
	s_and_b64 s[20:21], s[18:19], vcc
	s_and_saveexec_b64 s[18:19], s[20:21]
	s_cbranch_execz .LBB64_448
; %bb.447:
	v_ashrrev_i32_e32 v41, 31, v40
	v_lshl_add_u64 v[46:47], v[40:41], 2, v[22:23]
	global_load_dword v41, v[46:47], off
	global_load_dword v43, v[22:23], off offset:104
	s_waitcnt vmcnt(1)
	global_store_dword v[22:23], v41, off offset:104
	s_waitcnt vmcnt(1)
	global_store_dword v[46:47], v43, off
.LBB64_448:
	s_or_b64 exec, exec, s[18:19]
	v_mov_b32_e32 v41, v40
	v_mov_b32_e32 v43, v40
.LBB64_449:
	s_or_b64 exec, exec, s[2:3]
.LBB64_450:
	s_andn2_saveexec_b64 s[0:1], s[0:1]
	s_cbranch_execz .LBB64_452
; %bb.451:
	v_mov_b32_e32 v43, 26
	s_waitcnt vmcnt(4)
	ds_write2_b32 v21, v36, v37 offset0:27 offset1:28
	s_waitcnt vmcnt(2)
	ds_write2_b32 v21, v32, v33 offset0:29 offset1:30
	s_waitcnt vmcnt(0)
	ds_write2_b32 v21, v30, v31 offset0:31 offset1:32
.LBB64_452:
	s_or_b64 exec, exec, s[0:1]
	v_cmp_lt_i32_e32 vcc, 26, v43
	s_waitcnt lgkmcnt(0)
	s_barrier
	s_and_saveexec_b64 s[0:1], vcc
	s_cbranch_execz .LBB64_454
; %bb.453:
	ds_read2_b32 v[46:47], v21 offset0:27 offset1:28
	ds_read2_b32 v[48:49], v21 offset0:29 offset1:30
	;; [unrolled: 1-line block ×3, first 2 shown]
	v_mul_f32_e32 v40, v42, v39
	v_mov_b32_e32 v39, v40
	s_waitcnt vmcnt(4) lgkmcnt(2)
	v_pk_fma_f32 v[36:37], v[40:41], v[46:47], v[36:37] op_sel_hi:[0,1,1] neg_lo:[1,0,0] neg_hi:[1,0,0]
	s_waitcnt vmcnt(2) lgkmcnt(1)
	v_pk_fma_f32 v[32:33], v[40:41], v[48:49], v[32:33] op_sel_hi:[0,1,1] neg_lo:[1,0,0] neg_hi:[1,0,0]
	;; [unrolled: 2-line block ×3, first 2 shown]
.LBB64_454:
	s_or_b64 exec, exec, s[0:1]
	v_lshl_add_u32 v40, v43, 2, v21
	s_barrier
	s_waitcnt vmcnt(5)
	ds_write_b32 v40, v36
	s_waitcnt lgkmcnt(0)
	s_barrier
	ds_read_b32 v42, v21 offset:108
	s_cmp_lt_i32 s22, 29
	v_mov_b32_e32 v40, 27
	s_cbranch_scc1 .LBB64_457
; %bb.455:
	v_add_u32_e32 v45, 0x70, v21
	v_mov_b32_e32 v40, 27
	s_mov_b32 s0, 28
.LBB64_456:                             ; =>This Inner Loop Header: Depth=1
	ds_read_b32 v46, v45
	v_mov_b32_e32 v47, s0
	s_add_i32 s0, s0, 1
	v_add_u32_e32 v45, 4, v45
	s_cmp_lg_u32 s22, s0
	s_waitcnt lgkmcnt(0)
	v_cmp_lt_f32_e64 vcc, |v42|, |v46|
	s_nop 1
	v_cndmask_b32_e32 v42, v42, v46, vcc
	v_cndmask_b32_e32 v40, v40, v47, vcc
	s_cbranch_scc1 .LBB64_456
.LBB64_457:
	s_waitcnt lgkmcnt(0)
	v_cmp_eq_f32_e32 vcc, 0, v42
	s_and_saveexec_b64 s[0:1], vcc
	s_xor_b64 s[0:1], exec, s[0:1]
; %bb.458:
	v_cmp_ne_u32_e32 vcc, 0, v44
	s_nop 1
	v_cndmask_b32_e32 v44, 28, v44, vcc
; %bb.459:
	s_andn2_saveexec_b64 s[0:1], s[0:1]
	s_cbranch_execz .LBB64_461
; %bb.460:
	v_div_scale_f32 v45, s[2:3], v42, v42, 1.0
	v_rcp_f32_e32 v46, v45
	v_div_scale_f32 v47, vcc, 1.0, v42, 1.0
	v_fma_f32 v48, -v45, v46, 1.0
	v_fmac_f32_e32 v46, v48, v46
	v_mul_f32_e32 v48, v47, v46
	v_fma_f32 v49, -v45, v48, v47
	v_fmac_f32_e32 v48, v49, v46
	v_fma_f32 v45, -v45, v48, v47
	v_div_fmas_f32 v45, v45, v46, v48
	v_div_fixup_f32 v42, v45, v42, 1.0
.LBB64_461:
	s_or_b64 exec, exec, s[0:1]
	v_cmp_ne_u32_e32 vcc, v43, v40
	s_and_saveexec_b64 s[0:1], vcc
	s_xor_b64 s[0:1], exec, s[0:1]
	s_cbranch_execz .LBB64_467
; %bb.462:
	v_cmp_eq_u32_e32 vcc, 27, v43
	s_and_saveexec_b64 s[2:3], vcc
	s_cbranch_execz .LBB64_466
; %bb.463:
	v_cmp_ne_u32_e32 vcc, 27, v40
	s_xor_b64 s[18:19], s[16:17], -1
	s_and_b64 s[20:21], s[18:19], vcc
	s_and_saveexec_b64 s[18:19], s[20:21]
	s_cbranch_execz .LBB64_465
; %bb.464:
	v_ashrrev_i32_e32 v41, 31, v40
	v_lshl_add_u64 v[46:47], v[40:41], 2, v[22:23]
	global_load_dword v41, v[46:47], off
	global_load_dword v43, v[22:23], off offset:108
	s_waitcnt vmcnt(1)
	global_store_dword v[22:23], v41, off offset:108
	s_waitcnt vmcnt(1)
	global_store_dword v[46:47], v43, off
.LBB64_465:
	s_or_b64 exec, exec, s[18:19]
	v_mov_b32_e32 v41, v40
	v_mov_b32_e32 v43, v40
.LBB64_466:
	s_or_b64 exec, exec, s[2:3]
.LBB64_467:
	s_andn2_saveexec_b64 s[0:1], s[0:1]
	s_cbranch_execz .LBB64_469
; %bb.468:
	s_waitcnt vmcnt(2)
	v_pk_mov_b32 v[46:47], v[36:37], v[32:33] op_sel:[1,0]
	ds_write2_b32 v21, v46, v47 offset0:28 offset1:29
	s_waitcnt vmcnt(0)
	v_pk_mov_b32 v[46:47], v[32:33], v[30:31] op_sel:[1,0]
	v_mov_b32_e32 v43, 27
	ds_write2_b32 v21, v46, v47 offset0:30 offset1:31
	ds_write_b32 v21, v31 offset:128
.LBB64_469:
	s_or_b64 exec, exec, s[0:1]
	v_cmp_lt_i32_e32 vcc, 27, v43
	s_waitcnt lgkmcnt(0)
	s_barrier
	s_and_saveexec_b64 s[0:1], vcc
	s_cbranch_execz .LBB64_471
; %bb.470:
	ds_read_b32 v40, v21 offset:112
	ds_read2_b32 v[46:47], v21 offset0:29 offset1:30
	ds_read2_b32 v[48:49], v21 offset0:31 offset1:32
	v_mul_f32_e32 v36, v42, v36
	s_waitcnt vmcnt(4) lgkmcnt(2)
	v_fma_f32 v37, -v36, v40, v37
	s_waitcnt vmcnt(2) lgkmcnt(1)
	v_pk_fma_f32 v[32:33], v[36:37], v[46:47], v[32:33] op_sel_hi:[0,1,1] neg_lo:[1,0,0] neg_hi:[1,0,0]
	s_waitcnt vmcnt(0) lgkmcnt(0)
	v_pk_fma_f32 v[30:31], v[36:37], v[48:49], v[30:31] op_sel_hi:[0,1,1] neg_lo:[1,0,0] neg_hi:[1,0,0]
.LBB64_471:
	s_or_b64 exec, exec, s[0:1]
	v_lshl_add_u32 v40, v43, 2, v21
	s_barrier
	s_waitcnt vmcnt(4)
	ds_write_b32 v40, v37
	s_waitcnt lgkmcnt(0)
	s_barrier
	ds_read_b32 v42, v21 offset:112
	s_cmp_lt_i32 s22, 30
	v_mov_b32_e32 v40, 28
	s_cbranch_scc1 .LBB64_474
; %bb.472:
	v_add_u32_e32 v45, 0x74, v21
	v_mov_b32_e32 v40, 28
	s_mov_b32 s0, 29
.LBB64_473:                             ; =>This Inner Loop Header: Depth=1
	ds_read_b32 v46, v45
	v_mov_b32_e32 v47, s0
	s_add_i32 s0, s0, 1
	v_add_u32_e32 v45, 4, v45
	s_cmp_lg_u32 s22, s0
	s_waitcnt lgkmcnt(0)
	v_cmp_lt_f32_e64 vcc, |v42|, |v46|
	s_nop 1
	v_cndmask_b32_e32 v42, v42, v46, vcc
	v_cndmask_b32_e32 v40, v40, v47, vcc
	s_cbranch_scc1 .LBB64_473
.LBB64_474:
	s_waitcnt lgkmcnt(0)
	v_cmp_eq_f32_e32 vcc, 0, v42
	s_and_saveexec_b64 s[0:1], vcc
	s_xor_b64 s[0:1], exec, s[0:1]
; %bb.475:
	v_cmp_ne_u32_e32 vcc, 0, v44
	s_nop 1
	v_cndmask_b32_e32 v44, 29, v44, vcc
; %bb.476:
	s_andn2_saveexec_b64 s[0:1], s[0:1]
	s_cbranch_execz .LBB64_478
; %bb.477:
	v_div_scale_f32 v45, s[2:3], v42, v42, 1.0
	v_rcp_f32_e32 v46, v45
	v_div_scale_f32 v47, vcc, 1.0, v42, 1.0
	v_fma_f32 v48, -v45, v46, 1.0
	v_fmac_f32_e32 v46, v48, v46
	v_mul_f32_e32 v48, v47, v46
	v_fma_f32 v49, -v45, v48, v47
	v_fmac_f32_e32 v48, v49, v46
	v_fma_f32 v45, -v45, v48, v47
	v_div_fmas_f32 v45, v45, v46, v48
	v_div_fixup_f32 v42, v45, v42, 1.0
.LBB64_478:
	s_or_b64 exec, exec, s[0:1]
	v_cmp_ne_u32_e32 vcc, v43, v40
	s_and_saveexec_b64 s[0:1], vcc
	s_xor_b64 s[0:1], exec, s[0:1]
	s_cbranch_execz .LBB64_484
; %bb.479:
	v_cmp_eq_u32_e32 vcc, 28, v43
	s_and_saveexec_b64 s[2:3], vcc
	s_cbranch_execz .LBB64_483
; %bb.480:
	v_cmp_ne_u32_e32 vcc, 28, v40
	s_xor_b64 s[18:19], s[16:17], -1
	s_and_b64 s[20:21], s[18:19], vcc
	s_and_saveexec_b64 s[18:19], s[20:21]
	s_cbranch_execz .LBB64_482
; %bb.481:
	v_ashrrev_i32_e32 v41, 31, v40
	v_lshl_add_u64 v[46:47], v[40:41], 2, v[22:23]
	global_load_dword v41, v[46:47], off
	global_load_dword v43, v[22:23], off offset:112
	s_waitcnt vmcnt(1)
	global_store_dword v[22:23], v41, off offset:112
	s_waitcnt vmcnt(1)
	global_store_dword v[46:47], v43, off
.LBB64_482:
	s_or_b64 exec, exec, s[18:19]
	v_mov_b32_e32 v41, v40
	v_mov_b32_e32 v43, v40
.LBB64_483:
	s_or_b64 exec, exec, s[2:3]
.LBB64_484:
	s_andn2_saveexec_b64 s[0:1], s[0:1]
	s_cbranch_execz .LBB64_486
; %bb.485:
	v_mov_b32_e32 v43, 28
	s_waitcnt vmcnt(2)
	ds_write2_b32 v21, v32, v33 offset0:29 offset1:30
	s_waitcnt vmcnt(0)
	ds_write2_b32 v21, v30, v31 offset0:31 offset1:32
.LBB64_486:
	s_or_b64 exec, exec, s[0:1]
	v_cmp_lt_i32_e32 vcc, 28, v43
	s_waitcnt lgkmcnt(0)
	s_barrier
	s_and_saveexec_b64 s[0:1], vcc
	s_cbranch_execz .LBB64_488
; %bb.487:
	ds_read2_b32 v[46:47], v21 offset0:29 offset1:30
	ds_read2_b32 v[48:49], v21 offset0:31 offset1:32
	v_mul_f32_e32 v40, v42, v37
	v_mov_b32_e32 v37, v40
	s_waitcnt vmcnt(2) lgkmcnt(1)
	v_pk_fma_f32 v[32:33], v[40:41], v[46:47], v[32:33] op_sel_hi:[0,1,1] neg_lo:[1,0,0] neg_hi:[1,0,0]
	s_waitcnt vmcnt(0) lgkmcnt(0)
	v_pk_fma_f32 v[30:31], v[40:41], v[48:49], v[30:31] op_sel_hi:[0,1,1] neg_lo:[1,0,0] neg_hi:[1,0,0]
.LBB64_488:
	s_or_b64 exec, exec, s[0:1]
	v_lshl_add_u32 v40, v43, 2, v21
	s_barrier
	s_waitcnt vmcnt(3)
	ds_write_b32 v40, v32
	s_waitcnt lgkmcnt(0)
	s_barrier
	ds_read_b32 v42, v21 offset:116
	s_cmp_lt_i32 s22, 31
	v_mov_b32_e32 v40, 29
	s_cbranch_scc1 .LBB64_491
; %bb.489:
	v_add_u32_e32 v45, 0x78, v21
	v_mov_b32_e32 v40, 29
	s_mov_b32 s0, 30
.LBB64_490:                             ; =>This Inner Loop Header: Depth=1
	ds_read_b32 v46, v45
	v_mov_b32_e32 v47, s0
	s_add_i32 s0, s0, 1
	v_add_u32_e32 v45, 4, v45
	s_cmp_lg_u32 s22, s0
	s_waitcnt lgkmcnt(0)
	v_cmp_lt_f32_e64 vcc, |v42|, |v46|
	s_nop 1
	v_cndmask_b32_e32 v42, v42, v46, vcc
	v_cndmask_b32_e32 v40, v40, v47, vcc
	s_cbranch_scc1 .LBB64_490
.LBB64_491:
	s_waitcnt lgkmcnt(0)
	v_cmp_eq_f32_e32 vcc, 0, v42
	s_and_saveexec_b64 s[0:1], vcc
	s_xor_b64 s[0:1], exec, s[0:1]
; %bb.492:
	v_cmp_ne_u32_e32 vcc, 0, v44
	s_nop 1
	v_cndmask_b32_e32 v44, 30, v44, vcc
; %bb.493:
	s_andn2_saveexec_b64 s[0:1], s[0:1]
	s_cbranch_execz .LBB64_495
; %bb.494:
	v_div_scale_f32 v45, s[2:3], v42, v42, 1.0
	v_rcp_f32_e32 v46, v45
	v_div_scale_f32 v47, vcc, 1.0, v42, 1.0
	v_fma_f32 v48, -v45, v46, 1.0
	v_fmac_f32_e32 v46, v48, v46
	v_mul_f32_e32 v48, v47, v46
	v_fma_f32 v49, -v45, v48, v47
	v_fmac_f32_e32 v48, v49, v46
	v_fma_f32 v45, -v45, v48, v47
	v_div_fmas_f32 v45, v45, v46, v48
	v_div_fixup_f32 v42, v45, v42, 1.0
.LBB64_495:
	s_or_b64 exec, exec, s[0:1]
	v_cmp_ne_u32_e32 vcc, v43, v40
	s_and_saveexec_b64 s[0:1], vcc
	s_xor_b64 s[0:1], exec, s[0:1]
	s_cbranch_execz .LBB64_501
; %bb.496:
	v_cmp_eq_u32_e32 vcc, 29, v43
	s_and_saveexec_b64 s[2:3], vcc
	s_cbranch_execz .LBB64_500
; %bb.497:
	v_cmp_ne_u32_e32 vcc, 29, v40
	s_xor_b64 s[18:19], s[16:17], -1
	s_and_b64 s[20:21], s[18:19], vcc
	s_and_saveexec_b64 s[18:19], s[20:21]
	s_cbranch_execz .LBB64_499
; %bb.498:
	v_ashrrev_i32_e32 v41, 31, v40
	v_lshl_add_u64 v[46:47], v[40:41], 2, v[22:23]
	global_load_dword v41, v[46:47], off
	global_load_dword v43, v[22:23], off offset:116
	s_waitcnt vmcnt(1)
	global_store_dword v[22:23], v41, off offset:116
	s_waitcnt vmcnt(1)
	global_store_dword v[46:47], v43, off
.LBB64_499:
	s_or_b64 exec, exec, s[18:19]
	v_mov_b32_e32 v41, v40
	v_mov_b32_e32 v43, v40
.LBB64_500:
	s_or_b64 exec, exec, s[2:3]
.LBB64_501:
	s_andn2_saveexec_b64 s[0:1], s[0:1]
	s_cbranch_execz .LBB64_503
; %bb.502:
	s_waitcnt vmcnt(0)
	v_pk_mov_b32 v[46:47], v[32:33], v[30:31] op_sel:[1,0]
	v_mov_b32_e32 v43, 29
	ds_write2_b32 v21, v46, v47 offset0:30 offset1:31
	ds_write_b32 v21, v31 offset:128
.LBB64_503:
	s_or_b64 exec, exec, s[0:1]
	v_cmp_lt_i32_e32 vcc, 29, v43
	s_waitcnt lgkmcnt(0)
	s_barrier
	s_and_saveexec_b64 s[0:1], vcc
	s_cbranch_execz .LBB64_505
; %bb.504:
	ds_read_b32 v40, v21 offset:120
	ds_read2_b32 v[46:47], v21 offset0:31 offset1:32
	v_mul_f32_e32 v32, v42, v32
	s_waitcnt vmcnt(2) lgkmcnt(1)
	v_fma_f32 v33, -v32, v40, v33
	s_waitcnt vmcnt(0) lgkmcnt(0)
	v_pk_fma_f32 v[30:31], v[32:33], v[46:47], v[30:31] op_sel_hi:[0,1,1] neg_lo:[1,0,0] neg_hi:[1,0,0]
.LBB64_505:
	s_or_b64 exec, exec, s[0:1]
	v_lshl_add_u32 v40, v43, 2, v21
	s_barrier
	s_waitcnt vmcnt(2)
	ds_write_b32 v40, v33
	s_waitcnt lgkmcnt(0)
	s_barrier
	ds_read_b32 v42, v21 offset:120
	s_cmp_lt_i32 s22, 32
	v_mov_b32_e32 v40, 30
	s_cbranch_scc1 .LBB64_508
; %bb.506:
	v_add_u32_e32 v45, 0x7c, v21
	v_mov_b32_e32 v40, 30
	s_mov_b32 s0, 31
.LBB64_507:                             ; =>This Inner Loop Header: Depth=1
	ds_read_b32 v46, v45
	v_mov_b32_e32 v47, s0
	s_add_i32 s0, s0, 1
	v_add_u32_e32 v45, 4, v45
	s_cmp_lg_u32 s22, s0
	s_waitcnt lgkmcnt(0)
	v_cmp_lt_f32_e64 vcc, |v42|, |v46|
	s_nop 1
	v_cndmask_b32_e32 v42, v42, v46, vcc
	v_cndmask_b32_e32 v40, v40, v47, vcc
	s_cbranch_scc1 .LBB64_507
.LBB64_508:
	s_waitcnt lgkmcnt(0)
	v_cmp_eq_f32_e32 vcc, 0, v42
	s_and_saveexec_b64 s[0:1], vcc
	s_xor_b64 s[0:1], exec, s[0:1]
; %bb.509:
	v_cmp_ne_u32_e32 vcc, 0, v44
	s_nop 1
	v_cndmask_b32_e32 v44, 31, v44, vcc
; %bb.510:
	s_andn2_saveexec_b64 s[0:1], s[0:1]
	s_cbranch_execz .LBB64_512
; %bb.511:
	v_div_scale_f32 v45, s[2:3], v42, v42, 1.0
	v_rcp_f32_e32 v46, v45
	v_div_scale_f32 v47, vcc, 1.0, v42, 1.0
	v_fma_f32 v48, -v45, v46, 1.0
	v_fmac_f32_e32 v46, v48, v46
	v_mul_f32_e32 v48, v47, v46
	v_fma_f32 v49, -v45, v48, v47
	v_fmac_f32_e32 v48, v49, v46
	v_fma_f32 v45, -v45, v48, v47
	v_div_fmas_f32 v45, v45, v46, v48
	v_div_fixup_f32 v42, v45, v42, 1.0
.LBB64_512:
	s_or_b64 exec, exec, s[0:1]
	v_cmp_ne_u32_e32 vcc, v43, v40
	s_and_saveexec_b64 s[0:1], vcc
	s_xor_b64 s[0:1], exec, s[0:1]
	s_cbranch_execz .LBB64_518
; %bb.513:
	v_cmp_eq_u32_e32 vcc, 30, v43
	s_and_saveexec_b64 s[2:3], vcc
	s_cbranch_execz .LBB64_517
; %bb.514:
	v_cmp_ne_u32_e32 vcc, 30, v40
	s_xor_b64 s[18:19], s[16:17], -1
	s_and_b64 s[20:21], s[18:19], vcc
	s_and_saveexec_b64 s[18:19], s[20:21]
	s_cbranch_execz .LBB64_516
; %bb.515:
	v_ashrrev_i32_e32 v41, 31, v40
	v_lshl_add_u64 v[46:47], v[40:41], 2, v[22:23]
	global_load_dword v41, v[46:47], off
	global_load_dword v43, v[22:23], off offset:120
	s_waitcnt vmcnt(1)
	global_store_dword v[22:23], v41, off offset:120
	s_waitcnt vmcnt(1)
	global_store_dword v[46:47], v43, off
.LBB64_516:
	s_or_b64 exec, exec, s[18:19]
	v_mov_b32_e32 v41, v40
	v_mov_b32_e32 v43, v40
.LBB64_517:
	s_or_b64 exec, exec, s[2:3]
.LBB64_518:
	s_andn2_saveexec_b64 s[0:1], s[0:1]
	s_cbranch_execz .LBB64_520
; %bb.519:
	v_mov_b32_e32 v43, 30
	s_waitcnt vmcnt(0)
	ds_write2_b32 v21, v30, v31 offset0:31 offset1:32
.LBB64_520:
	s_or_b64 exec, exec, s[0:1]
	v_cmp_lt_i32_e32 vcc, 30, v43
	s_waitcnt lgkmcnt(0)
	s_barrier
	s_and_saveexec_b64 s[0:1], vcc
	s_cbranch_execz .LBB64_522
; %bb.521:
	ds_read2_b32 v[46:47], v21 offset0:31 offset1:32
	v_mul_f32_e32 v40, v42, v33
	v_mov_b32_e32 v33, v40
	s_waitcnt vmcnt(0) lgkmcnt(0)
	v_pk_fma_f32 v[30:31], v[40:41], v[46:47], v[30:31] op_sel_hi:[0,1,1] neg_lo:[1,0,0] neg_hi:[1,0,0]
.LBB64_522:
	s_or_b64 exec, exec, s[0:1]
	v_lshl_add_u32 v40, v43, 2, v21
	s_barrier
	s_waitcnt vmcnt(1)
	ds_write_b32 v40, v30
	s_waitcnt lgkmcnt(0)
	s_barrier
	ds_read_b32 v42, v21 offset:124
	s_cmp_lt_i32 s22, 33
	v_mov_b32_e32 v40, 31
	s_cbranch_scc1 .LBB64_525
; %bb.523:
	v_add_u32_e32 v45, 0x80, v21
	v_mov_b32_e32 v40, 31
	s_mov_b32 s0, 32
.LBB64_524:                             ; =>This Inner Loop Header: Depth=1
	ds_read_b32 v46, v45
	v_mov_b32_e32 v47, s0
	s_add_i32 s0, s0, 1
	v_add_u32_e32 v45, 4, v45
	s_cmp_lg_u32 s22, s0
	s_waitcnt lgkmcnt(0)
	v_cmp_lt_f32_e64 vcc, |v42|, |v46|
	s_nop 1
	v_cndmask_b32_e32 v42, v42, v46, vcc
	v_cndmask_b32_e32 v40, v40, v47, vcc
	s_cbranch_scc1 .LBB64_524
.LBB64_525:
	s_waitcnt lgkmcnt(0)
	v_cmp_eq_f32_e32 vcc, 0, v42
	s_and_saveexec_b64 s[0:1], vcc
	s_xor_b64 s[0:1], exec, s[0:1]
; %bb.526:
	v_cmp_ne_u32_e32 vcc, 0, v44
	s_nop 1
	v_cndmask_b32_e32 v44, 32, v44, vcc
; %bb.527:
	s_andn2_saveexec_b64 s[0:1], s[0:1]
	s_cbranch_execz .LBB64_529
; %bb.528:
	v_div_scale_f32 v45, s[2:3], v42, v42, 1.0
	v_rcp_f32_e32 v46, v45
	v_div_scale_f32 v47, vcc, 1.0, v42, 1.0
	v_fma_f32 v48, -v45, v46, 1.0
	v_fmac_f32_e32 v46, v48, v46
	v_mul_f32_e32 v48, v47, v46
	v_fma_f32 v49, -v45, v48, v47
	v_fmac_f32_e32 v48, v49, v46
	v_fma_f32 v45, -v45, v48, v47
	v_div_fmas_f32 v45, v45, v46, v48
	v_div_fixup_f32 v42, v45, v42, 1.0
.LBB64_529:
	s_or_b64 exec, exec, s[0:1]
	v_cmp_ne_u32_e32 vcc, v43, v40
	s_and_saveexec_b64 s[0:1], vcc
	s_xor_b64 s[0:1], exec, s[0:1]
	s_cbranch_execz .LBB64_535
; %bb.530:
	v_cmp_eq_u32_e32 vcc, 31, v43
	s_and_saveexec_b64 s[2:3], vcc
	s_cbranch_execz .LBB64_534
; %bb.531:
	v_cmp_ne_u32_e32 vcc, 31, v40
	s_xor_b64 s[18:19], s[16:17], -1
	s_and_b64 s[20:21], s[18:19], vcc
	s_and_saveexec_b64 s[18:19], s[20:21]
	s_cbranch_execz .LBB64_533
; %bb.532:
	v_ashrrev_i32_e32 v41, 31, v40
	v_lshl_add_u64 v[46:47], v[40:41], 2, v[22:23]
	global_load_dword v41, v[46:47], off
	global_load_dword v43, v[22:23], off offset:124
	s_waitcnt vmcnt(1)
	global_store_dword v[22:23], v41, off offset:124
	s_waitcnt vmcnt(1)
	global_store_dword v[46:47], v43, off
.LBB64_533:
	s_or_b64 exec, exec, s[18:19]
	v_mov_b32_e32 v41, v40
	v_mov_b32_e32 v43, v40
.LBB64_534:
	s_or_b64 exec, exec, s[2:3]
.LBB64_535:
	s_andn2_saveexec_b64 s[0:1], s[0:1]
	s_cbranch_execz .LBB64_537
; %bb.536:
	v_mov_b32_e32 v43, 31
	s_waitcnt vmcnt(0)
	ds_write_b32 v21, v31 offset:128
.LBB64_537:
	s_or_b64 exec, exec, s[0:1]
	v_cmp_lt_i32_e32 vcc, 31, v43
	s_waitcnt lgkmcnt(0)
	s_barrier
	s_and_saveexec_b64 s[0:1], vcc
	s_cbranch_execz .LBB64_539
; %bb.538:
	ds_read_b32 v40, v21 offset:128
	v_mul_f32_e32 v30, v42, v30
	s_waitcnt vmcnt(0) lgkmcnt(0)
	v_fma_f32 v31, -v30, v40, v31
.LBB64_539:
	s_or_b64 exec, exec, s[0:1]
	v_lshl_add_u32 v40, v43, 2, v21
	s_barrier
	s_waitcnt vmcnt(0)
	ds_write_b32 v40, v31
	s_waitcnt lgkmcnt(0)
	s_barrier
	ds_read_b32 v45, v21 offset:128
	s_cmp_lt_i32 s22, 34
	v_mov_b32_e32 v40, 32
	s_cbranch_scc1 .LBB64_542
; %bb.540:
	v_add_u32_e32 v21, 0x84, v21
	v_mov_b32_e32 v40, 32
	s_mov_b32 s0, 33
.LBB64_541:                             ; =>This Inner Loop Header: Depth=1
	ds_read_b32 v42, v21
	v_mov_b32_e32 v46, s0
	s_add_i32 s0, s0, 1
	v_add_u32_e32 v21, 4, v21
	s_cmp_lg_u32 s22, s0
	s_waitcnt lgkmcnt(0)
	v_cmp_lt_f32_e64 vcc, |v45|, |v42|
	s_nop 1
	v_cndmask_b32_e32 v45, v45, v42, vcc
	v_cndmask_b32_e32 v40, v40, v46, vcc
	s_cbranch_scc1 .LBB64_541
.LBB64_542:
	s_waitcnt lgkmcnt(0)
	v_cmp_eq_f32_e32 vcc, 0, v45
	s_and_saveexec_b64 s[0:1], vcc
	s_xor_b64 s[0:1], exec, s[0:1]
; %bb.543:
	v_cmp_ne_u32_e32 vcc, 0, v44
	s_nop 1
	v_cndmask_b32_e32 v44, 33, v44, vcc
; %bb.544:
	s_andn2_saveexec_b64 s[0:1], s[0:1]
	s_cbranch_execz .LBB64_546
; %bb.545:
	v_div_scale_f32 v21, s[2:3], v45, v45, 1.0
	v_rcp_f32_e32 v42, v21
	v_div_scale_f32 v46, vcc, 1.0, v45, 1.0
	v_fma_f32 v47, -v21, v42, 1.0
	v_fmac_f32_e32 v42, v47, v42
	v_mul_f32_e32 v47, v46, v42
	v_fma_f32 v48, -v21, v47, v46
	v_fmac_f32_e32 v47, v48, v42
	v_fma_f32 v21, -v21, v47, v46
	v_div_fmas_f32 v21, v21, v42, v47
	v_div_fixup_f32 v45, v21, v45, 1.0
.LBB64_546:
	s_or_b64 exec, exec, s[0:1]
	v_cmp_ne_u32_e32 vcc, v43, v40
	v_mov_b32_e32 v42, 32
	s_and_saveexec_b64 s[0:1], vcc
	s_cbranch_execz .LBB64_552
; %bb.547:
	v_cmp_eq_u32_e32 vcc, 32, v43
	s_and_saveexec_b64 s[2:3], vcc
	s_cbranch_execz .LBB64_551
; %bb.548:
	v_cmp_ne_u32_e32 vcc, 32, v40
	s_xor_b64 s[16:17], s[16:17], -1
	s_and_b64 s[18:19], s[16:17], vcc
	s_and_saveexec_b64 s[16:17], s[18:19]
	s_cbranch_execz .LBB64_550
; %bb.549:
	v_ashrrev_i32_e32 v41, 31, v40
	v_lshl_add_u64 v[42:43], v[40:41], 2, v[22:23]
	global_load_dword v21, v[42:43], off
	global_load_dword v41, v[22:23], off offset:128
	s_waitcnt vmcnt(1)
	global_store_dword v[22:23], v21, off offset:128
	s_waitcnt vmcnt(1)
	global_store_dword v[42:43], v41, off
.LBB64_550:
	s_or_b64 exec, exec, s[16:17]
	v_mov_b32_e32 v41, v40
	v_mov_b32_e32 v43, v40
.LBB64_551:
	s_or_b64 exec, exec, s[2:3]
	v_mov_b32_e32 v42, v43
.LBB64_552:
	s_or_b64 exec, exec, s[0:1]
	v_cmp_gt_i32_e32 vcc, 33, v42
	v_ashrrev_i32_e32 v43, 31, v42
	s_barrier
	s_barrier
	s_and_saveexec_b64 s[0:1], vcc
	s_cbranch_execz .LBB64_554
; %bb.553:
	v_mul_lo_u32 v21, s11, v4
	v_mul_lo_u32 v40, s10, v5
	v_mad_u64_u32 v[46:47], s[2:3], s10, v4, 0
	v_mov_b32_e32 v22, s6
	v_mov_b32_e32 v23, s7
	v_add3_u32 v47, v47, v40, v21
	v_lshl_add_u64 v[22:23], v[46:47], 2, v[22:23]
	v_lshl_add_u64 v[22:23], s[8:9], 2, v[22:23]
	;; [unrolled: 1-line block ×3, first 2 shown]
	v_add3_u32 v21, v41, s15, 1
	global_store_dword v[22:23], v21, off
.LBB64_554:
	s_or_b64 exec, exec, s[0:1]
	v_cmp_eq_u32_e32 vcc, 0, v42
	s_and_saveexec_b64 s[2:3], vcc
	s_cbranch_execz .LBB64_557
; %bb.555:
	v_mov_b32_e32 v22, s4
	v_mov_b32_e32 v23, s5
	v_lshl_add_u64 v[4:5], v[4:5], 2, v[22:23]
	global_load_dword v21, v[4:5], off
	v_cmp_ne_u32_e64 s[0:1], 0, v44
	s_waitcnt vmcnt(0)
	v_cmp_eq_u32_e32 vcc, 0, v21
	s_and_b64 s[0:1], vcc, s[0:1]
	s_and_b64 exec, exec, s[0:1]
	s_cbranch_execz .LBB64_557
; %bb.556:
	v_add_u32_e32 v21, s15, v44
	global_store_dword v[4:5], v21, off
.LBB64_557:
	s_or_b64 exec, exec, s[2:3]
	v_mul_f32_e32 v4, v45, v31
	v_cmp_lt_i32_e32 vcc, 32, v42
	s_nop 1
	v_cndmask_b32_e32 v22, v31, v4, vcc
	v_lshl_add_u64 v[4:5], v[42:43], 2, v[2:3]
	global_store_dword v[4:5], v20, off
	v_lshl_add_u64 v[4:5], s[12:13], 2, v[4:5]
	global_store_dword v[4:5], v14, off
	v_add_u32_e32 v4, s14, v42
	v_ashrrev_i32_e32 v5, 31, v4
	v_lshl_add_u64 v[20:21], v[4:5], 2, v[2:3]
	v_add_u32_e32 v4, s12, v4
	v_ashrrev_i32_e32 v5, 31, v4
	global_store_dword v[20:21], v15, off
	v_lshl_add_u64 v[14:15], v[4:5], 2, v[2:3]
	v_add_u32_e32 v4, s12, v4
	v_ashrrev_i32_e32 v5, 31, v4
	global_store_dword v[14:15], v10, off
	;; [unrolled: 4-line block ×6, first 2 shown]
	v_lshl_add_u64 v[6:7], v[4:5], 2, v[2:3]
	v_add_u32_e32 v0, s12, v4
	global_store_dword v[6:7], v1, off
	v_ashrrev_i32_e32 v1, 31, v0
	v_lshl_add_u64 v[4:5], v[0:1], 2, v[2:3]
	v_add_u32_e32 v0, s12, v0
	v_ashrrev_i32_e32 v1, 31, v0
	global_store_dword v[4:5], v26, off
	v_lshl_add_u64 v[4:5], v[0:1], 2, v[2:3]
	v_add_u32_e32 v0, s12, v0
	v_ashrrev_i32_e32 v1, 31, v0
	global_store_dword v[4:5], v27, off
	;; [unrolled: 4-line block ×22, first 2 shown]
	v_lshl_add_u64 v[4:5], v[0:1], 2, v[2:3]
	v_add_u32_e32 v0, s12, v0
	v_ashrrev_i32_e32 v1, 31, v0
	v_lshl_add_u64 v[0:1], v[0:1], 2, v[2:3]
	global_store_dword v[4:5], v30, off
	global_store_dword v[0:1], v22, off
.LBB64_558:
	s_endpgm
	.section	.rodata,"a",@progbits
	.p2align	6, 0x0
	.amdhsa_kernel _ZN9rocsolver6v33100L18getf2_small_kernelILi33EfiiPfEEvT1_T3_lS3_lPS3_llPT2_S3_S3_S5_l
		.amdhsa_group_segment_fixed_size 0
		.amdhsa_private_segment_fixed_size 0
		.amdhsa_kernarg_size 352
		.amdhsa_user_sgpr_count 2
		.amdhsa_user_sgpr_dispatch_ptr 0
		.amdhsa_user_sgpr_queue_ptr 0
		.amdhsa_user_sgpr_kernarg_segment_ptr 1
		.amdhsa_user_sgpr_dispatch_id 0
		.amdhsa_user_sgpr_kernarg_preload_length 0
		.amdhsa_user_sgpr_kernarg_preload_offset 0
		.amdhsa_user_sgpr_private_segment_size 0
		.amdhsa_uses_dynamic_stack 0
		.amdhsa_enable_private_segment 0
		.amdhsa_system_sgpr_workgroup_id_x 1
		.amdhsa_system_sgpr_workgroup_id_y 1
		.amdhsa_system_sgpr_workgroup_id_z 0
		.amdhsa_system_sgpr_workgroup_info 0
		.amdhsa_system_vgpr_workitem_id 1
		.amdhsa_next_free_vgpr 62
		.amdhsa_next_free_sgpr 26
		.amdhsa_accum_offset 64
		.amdhsa_reserve_vcc 1
		.amdhsa_float_round_mode_32 0
		.amdhsa_float_round_mode_16_64 0
		.amdhsa_float_denorm_mode_32 3
		.amdhsa_float_denorm_mode_16_64 3
		.amdhsa_dx10_clamp 1
		.amdhsa_ieee_mode 1
		.amdhsa_fp16_overflow 0
		.amdhsa_tg_split 0
		.amdhsa_exception_fp_ieee_invalid_op 0
		.amdhsa_exception_fp_denorm_src 0
		.amdhsa_exception_fp_ieee_div_zero 0
		.amdhsa_exception_fp_ieee_overflow 0
		.amdhsa_exception_fp_ieee_underflow 0
		.amdhsa_exception_fp_ieee_inexact 0
		.amdhsa_exception_int_div_zero 0
	.end_amdhsa_kernel
	.section	.text._ZN9rocsolver6v33100L18getf2_small_kernelILi33EfiiPfEEvT1_T3_lS3_lPS3_llPT2_S3_S3_S5_l,"axG",@progbits,_ZN9rocsolver6v33100L18getf2_small_kernelILi33EfiiPfEEvT1_T3_lS3_lPS3_llPT2_S3_S3_S5_l,comdat
.Lfunc_end64:
	.size	_ZN9rocsolver6v33100L18getf2_small_kernelILi33EfiiPfEEvT1_T3_lS3_lPS3_llPT2_S3_S3_S5_l, .Lfunc_end64-_ZN9rocsolver6v33100L18getf2_small_kernelILi33EfiiPfEEvT1_T3_lS3_lPS3_llPT2_S3_S3_S5_l
                                        ; -- End function
	.set _ZN9rocsolver6v33100L18getf2_small_kernelILi33EfiiPfEEvT1_T3_lS3_lPS3_llPT2_S3_S3_S5_l.num_vgpr, 62
	.set _ZN9rocsolver6v33100L18getf2_small_kernelILi33EfiiPfEEvT1_T3_lS3_lPS3_llPT2_S3_S3_S5_l.num_agpr, 0
	.set _ZN9rocsolver6v33100L18getf2_small_kernelILi33EfiiPfEEvT1_T3_lS3_lPS3_llPT2_S3_S3_S5_l.numbered_sgpr, 26
	.set _ZN9rocsolver6v33100L18getf2_small_kernelILi33EfiiPfEEvT1_T3_lS3_lPS3_llPT2_S3_S3_S5_l.num_named_barrier, 0
	.set _ZN9rocsolver6v33100L18getf2_small_kernelILi33EfiiPfEEvT1_T3_lS3_lPS3_llPT2_S3_S3_S5_l.private_seg_size, 0
	.set _ZN9rocsolver6v33100L18getf2_small_kernelILi33EfiiPfEEvT1_T3_lS3_lPS3_llPT2_S3_S3_S5_l.uses_vcc, 1
	.set _ZN9rocsolver6v33100L18getf2_small_kernelILi33EfiiPfEEvT1_T3_lS3_lPS3_llPT2_S3_S3_S5_l.uses_flat_scratch, 0
	.set _ZN9rocsolver6v33100L18getf2_small_kernelILi33EfiiPfEEvT1_T3_lS3_lPS3_llPT2_S3_S3_S5_l.has_dyn_sized_stack, 0
	.set _ZN9rocsolver6v33100L18getf2_small_kernelILi33EfiiPfEEvT1_T3_lS3_lPS3_llPT2_S3_S3_S5_l.has_recursion, 0
	.set _ZN9rocsolver6v33100L18getf2_small_kernelILi33EfiiPfEEvT1_T3_lS3_lPS3_llPT2_S3_S3_S5_l.has_indirect_call, 0
	.section	.AMDGPU.csdata,"",@progbits
; Kernel info:
; codeLenInByte = 24580
; TotalNumSgprs: 32
; NumVgprs: 62
; NumAgprs: 0
; TotalNumVgprs: 62
; ScratchSize: 0
; MemoryBound: 0
; FloatMode: 240
; IeeeMode: 1
; LDSByteSize: 0 bytes/workgroup (compile time only)
; SGPRBlocks: 3
; VGPRBlocks: 7
; NumSGPRsForWavesPerEU: 32
; NumVGPRsForWavesPerEU: 62
; AccumOffset: 64
; Occupancy: 8
; WaveLimiterHint : 0
; COMPUTE_PGM_RSRC2:SCRATCH_EN: 0
; COMPUTE_PGM_RSRC2:USER_SGPR: 2
; COMPUTE_PGM_RSRC2:TRAP_HANDLER: 0
; COMPUTE_PGM_RSRC2:TGID_X_EN: 1
; COMPUTE_PGM_RSRC2:TGID_Y_EN: 1
; COMPUTE_PGM_RSRC2:TGID_Z_EN: 0
; COMPUTE_PGM_RSRC2:TIDIG_COMP_CNT: 1
; COMPUTE_PGM_RSRC3_GFX90A:ACCUM_OFFSET: 15
; COMPUTE_PGM_RSRC3_GFX90A:TG_SPLIT: 0
	.section	.text._ZN9rocsolver6v33100L23getf2_npvt_small_kernelILi33EfiiPfEEvT1_T3_lS3_lPT2_S3_S3_,"axG",@progbits,_ZN9rocsolver6v33100L23getf2_npvt_small_kernelILi33EfiiPfEEvT1_T3_lS3_lPT2_S3_S3_,comdat
	.globl	_ZN9rocsolver6v33100L23getf2_npvt_small_kernelILi33EfiiPfEEvT1_T3_lS3_lPT2_S3_S3_ ; -- Begin function _ZN9rocsolver6v33100L23getf2_npvt_small_kernelILi33EfiiPfEEvT1_T3_lS3_lPT2_S3_S3_
	.p2align	8
	.type	_ZN9rocsolver6v33100L23getf2_npvt_small_kernelILi33EfiiPfEEvT1_T3_lS3_lPT2_S3_S3_,@function
_ZN9rocsolver6v33100L23getf2_npvt_small_kernelILi33EfiiPfEEvT1_T3_lS3_lPT2_S3_S3_: ; @_ZN9rocsolver6v33100L23getf2_npvt_small_kernelILi33EfiiPfEEvT1_T3_lS3_lPT2_S3_S3_
; %bb.0:
	s_load_dword s2, s[0:1], 0x44
	s_load_dwordx2 s[8:9], s[0:1], 0x30
	v_bfe_u32 v102, v0, 10, 10
	s_waitcnt lgkmcnt(0)
	s_lshr_b32 s10, s2, 16
	s_mul_i32 s3, s3, s10
	v_add_u32_e32 v34, s3, v102
	v_cmp_gt_i32_e32 vcc, s8, v34
	s_and_saveexec_b64 s[2:3], vcc
	s_cbranch_execz .LBB65_184
; %bb.1:
	s_load_dwordx4 s[12:15], s[0:1], 0x8
	s_load_dword s2, s[0:1], 0x18
	s_load_dwordx4 s[4:7], s[0:1], 0x20
	v_and_b32_e32 v25, 0x3ff, v0
	v_ashrrev_i32_e32 v35, 31, v34
	s_waitcnt lgkmcnt(0)
	v_mov_b32_e32 v2, s12
	v_mov_b32_e32 v3, s13
	v_mad_u64_u32 v[0:1], s[0:1], s4, v34, 0
	s_add_i32 s0, s2, s2
	s_nop 0
	v_add_u32_e32 v6, s0, v25
	v_add_u32_e32 v8, s2, v6
	;; [unrolled: 1-line block ×26, first 2 shown]
	v_mul_lo_u32 v4, s5, v34
	v_mul_lo_u32 v5, s4, v35
	v_add_u32_e32 v86, s2, v84
	v_add3_u32 v1, v1, v5, v4
	v_add_u32_e32 v88, s2, v86
	v_lshl_add_u64 v[0:1], v[0:1], 2, v[2:3]
	v_add_u32_e32 v90, s2, v88
	v_lshl_add_u64 v[100:101], s[14:15], 2, v[0:1]
	v_lshlrev_b32_e32 v0, 2, v25
	v_mov_b32_e32 v1, 0
	v_ashrrev_i32_e32 v7, 31, v6
	v_ashrrev_i32_e32 v9, 31, v8
	;; [unrolled: 1-line block ×23, first 2 shown]
	v_add_u32_e32 v104, s2, v90
	s_ashr_i32 s3, s2, 31
	v_lshl_add_u64 v[0:1], v[100:101], 0, v[0:1]
	v_lshl_add_u64 v[4:5], v[6:7], 2, v[100:101]
	;; [unrolled: 1-line block ×24, first 2 shown]
	v_ashrrev_i32_e32 v81, 31, v80
	v_ashrrev_i32_e32 v83, 31, v82
	;; [unrolled: 1-line block ×7, first 2 shown]
	v_lshl_add_u64 v[2:3], s[2:3], 2, v[0:1]
	global_load_dword v24, v[0:1], off
	global_load_dword v18, v[2:3], off
	;; [unrolled: 1-line block ×24, first 2 shown]
	v_lshl_add_u64 v[78:79], v[80:81], 2, v[100:101]
	v_lshl_add_u64 v[80:81], v[82:83], 2, v[100:101]
	;; [unrolled: 1-line block ×7, first 2 shown]
	global_load_dword v73, v[76:77], off
	global_load_dword v92, v[78:79], off
	;; [unrolled: 1-line block ×8, first 2 shown]
	v_add_u32_e32 v104, s2, v104
	v_ashrrev_i32_e32 v105, 31, v104
	v_lshl_add_u64 v[100:101], v[104:105], 2, v[100:101]
	global_load_dword v99, v[100:101], off
	s_mulk_i32 s10, 0x84
	v_cmp_eq_u32_e64 s[0:1], 0, v25
	v_cmp_ne_u32_e64 s[2:3], 0, v25
	s_movk_i32 s11, 0x84
	s_add_i32 s8, s10, 0
	s_and_saveexec_b64 s[4:5], s[2:3]
	s_xor_b64 s[4:5], exec, s[4:5]
	s_or_saveexec_b64 s[4:5], s[4:5]
	v_mad_u32_u24 v103, v102, s11, 0
	v_lshl_add_u32 v102, v102, 2, s8
	s_xor_b64 exec, exec, s[4:5]
	s_cbranch_execz .LBB65_5
; %bb.2:
	s_waitcnt vmcnt(32)
	ds_write_b32 v102, v24
	s_waitcnt vmcnt(30)
	ds_write2_b32 v103, v18, v19 offset0:1 offset1:2
	s_waitcnt vmcnt(28)
	ds_write2_b32 v103, v20, v21 offset0:3 offset1:4
	;; [unrolled: 2-line block ×16, first 2 shown]
	ds_read_b32 v104, v102
	s_waitcnt lgkmcnt(0)
	v_cmp_neq_f32_e32 vcc, 0, v104
	s_and_saveexec_b64 s[10:11], vcc
	s_cbranch_execz .LBB65_4
; %bb.3:
	v_div_scale_f32 v105, s[12:13], v104, v104, 1.0
	v_rcp_f32_e32 v106, v105
	v_div_scale_f32 v107, vcc, 1.0, v104, 1.0
	v_fma_f32 v108, -v105, v106, 1.0
	v_fmac_f32_e32 v106, v108, v106
	v_mul_f32_e32 v108, v107, v106
	v_fma_f32 v109, -v105, v108, v107
	v_fmac_f32_e32 v108, v109, v106
	v_fma_f32 v105, -v105, v108, v107
	v_div_fmas_f32 v105, v105, v106, v108
	v_div_fixup_f32 v104, v105, v104, 1.0
	ds_write_b32 v102, v104
.LBB65_4:
	s_or_b64 exec, exec, s[10:11]
.LBB65_5:
	s_or_b64 exec, exec, s[4:5]
	s_waitcnt lgkmcnt(0)
	s_barrier
	ds_read_b32 v104, v102
	s_and_saveexec_b64 s[4:5], s[2:3]
	s_cbranch_execz .LBB65_7
; %bb.6:
	ds_read2_b32 v[106:107], v103 offset0:1 offset1:2
	ds_read2_b32 v[108:109], v103 offset0:3 offset1:4
	;; [unrolled: 1-line block ×3, first 2 shown]
	s_waitcnt vmcnt(32) lgkmcnt(3)
	v_mul_f32_e32 v24, v104, v24
	ds_read2_b32 v[112:113], v103 offset0:7 offset1:8
	s_waitcnt vmcnt(30) lgkmcnt(3)
	v_pk_fma_f32 v[18:19], v[24:25], v[106:107], v[18:19] op_sel_hi:[0,1,1] neg_lo:[1,0,0] neg_hi:[1,0,0]
	s_waitcnt vmcnt(28) lgkmcnt(2)
	v_pk_fma_f32 v[20:21], v[24:25], v[108:109], v[20:21] op_sel_hi:[0,1,1] neg_lo:[1,0,0] neg_hi:[1,0,0]
	;; [unrolled: 2-line block ×3, first 2 shown]
	ds_read2_b32 v[106:107], v103 offset0:9 offset1:10
	ds_read2_b32 v[108:109], v103 offset0:11 offset1:12
	;; [unrolled: 1-line block ×3, first 2 shown]
	s_waitcnt vmcnt(24) lgkmcnt(3)
	v_pk_fma_f32 v[16:17], v[24:25], v[112:113], v[16:17] op_sel_hi:[0,1,1] neg_lo:[1,0,0] neg_hi:[1,0,0]
	ds_read2_b32 v[112:113], v103 offset0:15 offset1:16
	s_waitcnt vmcnt(22) lgkmcnt(3)
	v_pk_fma_f32 v[46:47], v[24:25], v[106:107], v[46:47] op_sel_hi:[0,1,1] neg_lo:[1,0,0] neg_hi:[1,0,0]
	s_waitcnt vmcnt(20) lgkmcnt(2)
	v_pk_fma_f32 v[50:51], v[24:25], v[108:109], v[50:51] op_sel_hi:[0,1,1] neg_lo:[1,0,0] neg_hi:[1,0,0]
	;; [unrolled: 2-line block ×3, first 2 shown]
	ds_read2_b32 v[106:107], v103 offset0:17 offset1:18
	ds_read2_b32 v[108:109], v103 offset0:19 offset1:20
	;; [unrolled: 1-line block ×3, first 2 shown]
	s_waitcnt vmcnt(16) lgkmcnt(3)
	v_pk_fma_f32 v[48:49], v[24:25], v[112:113], v[48:49] op_sel_hi:[0,1,1] neg_lo:[1,0,0] neg_hi:[1,0,0]
	ds_read2_b32 v[112:113], v103 offset0:23 offset1:24
	s_waitcnt vmcnt(14) lgkmcnt(3)
	v_pk_fma_f32 v[74:75], v[24:25], v[106:107], v[74:75] op_sel_hi:[0,1,1] neg_lo:[1,0,0] neg_hi:[1,0,0]
	s_waitcnt vmcnt(12) lgkmcnt(2)
	v_pk_fma_f32 v[68:69], v[24:25], v[108:109], v[68:69] op_sel_hi:[0,1,1] neg_lo:[1,0,0] neg_hi:[1,0,0]
	;; [unrolled: 2-line block ×3, first 2 shown]
	ds_read2_b32 v[106:107], v103 offset0:25 offset1:26
	ds_read2_b32 v[108:109], v103 offset0:27 offset1:28
	;; [unrolled: 1-line block ×4, first 2 shown]
	s_waitcnt vmcnt(8) lgkmcnt(4)
	v_pk_fma_f32 v[72:73], v[24:25], v[112:113], v[72:73] op_sel_hi:[0,1,1] neg_lo:[1,0,0] neg_hi:[1,0,0]
	s_waitcnt vmcnt(6) lgkmcnt(3)
	v_pk_fma_f32 v[92:93], v[24:25], v[106:107], v[92:93] op_sel_hi:[0,1,1] neg_lo:[1,0,0] neg_hi:[1,0,0]
	;; [unrolled: 2-line block ×5, first 2 shown]
.LBB65_7:
	s_or_b64 exec, exec, s[4:5]
	v_cmp_eq_u32_e32 vcc, 1, v25
	s_waitcnt lgkmcnt(0)
	s_barrier
	s_and_saveexec_b64 s[2:3], vcc
	s_cbranch_execz .LBB65_10
; %bb.8:
	s_waitcnt vmcnt(28)
	v_pk_mov_b32 v[106:107], v[18:19], v[20:21] op_sel:[1,0]
	ds_write_b32 v102, v18
	ds_write2_b32 v103, v106, v107 offset0:2 offset1:3
	s_waitcnt vmcnt(26)
	v_pk_mov_b32 v[106:107], v[20:21], v[22:23] op_sel:[1,0]
	ds_write2_b32 v103, v106, v107 offset0:4 offset1:5
	s_waitcnt vmcnt(24)
	v_pk_mov_b32 v[106:107], v[22:23], v[16:17] op_sel:[1,0]
	;; [unrolled: 3-line block ×14, first 2 shown]
	ds_write2_b32 v103, v106, v107 offset0:30 offset1:31
	ds_write_b32 v103, v99 offset:128
	ds_read_b32 v105, v102
	s_waitcnt lgkmcnt(0)
	v_cmp_neq_f32_e32 vcc, 0, v105
	s_and_b64 exec, exec, vcc
	s_cbranch_execz .LBB65_10
; %bb.9:
	v_div_scale_f32 v106, s[4:5], v105, v105, 1.0
	v_rcp_f32_e32 v107, v106
	v_div_scale_f32 v108, vcc, 1.0, v105, 1.0
	v_fma_f32 v109, -v106, v107, 1.0
	v_fmac_f32_e32 v107, v109, v107
	v_mul_f32_e32 v109, v108, v107
	v_fma_f32 v110, -v106, v109, v108
	v_fmac_f32_e32 v109, v110, v107
	v_fma_f32 v106, -v106, v109, v108
	v_div_fmas_f32 v106, v106, v107, v109
	v_div_fixup_f32 v105, v106, v105, 1.0
	ds_write_b32 v102, v105
.LBB65_10:
	s_or_b64 exec, exec, s[2:3]
	s_waitcnt lgkmcnt(0)
	s_barrier
	ds_read_b32 v105, v102
	v_cmp_lt_u32_e32 vcc, 1, v25
	s_and_saveexec_b64 s[2:3], vcc
	s_cbranch_execz .LBB65_12
; %bb.11:
	ds_read_b32 v112, v103 offset:8
	ds_read2_b32 v[106:107], v103 offset0:3 offset1:4
	ds_read2_b32 v[108:109], v103 offset0:5 offset1:6
	s_waitcnt vmcnt(31) lgkmcnt(3)
	v_mul_f32_e32 v18, v105, v18
	ds_read2_b32 v[110:111], v103 offset0:7 offset1:8
	s_waitcnt vmcnt(30) lgkmcnt(3)
	v_fma_f32 v19, -v18, v112, v19
	s_waitcnt vmcnt(28) lgkmcnt(2)
	v_pk_fma_f32 v[20:21], v[18:19], v[106:107], v[20:21] op_sel_hi:[0,1,1] neg_lo:[1,0,0] neg_hi:[1,0,0]
	s_waitcnt vmcnt(26) lgkmcnt(1)
	v_pk_fma_f32 v[22:23], v[18:19], v[108:109], v[22:23] op_sel_hi:[0,1,1] neg_lo:[1,0,0] neg_hi:[1,0,0]
	ds_read2_b32 v[106:107], v103 offset0:9 offset1:10
	ds_read2_b32 v[108:109], v103 offset0:11 offset1:12
	;; [unrolled: 1-line block ×3, first 2 shown]
	s_waitcnt vmcnt(24) lgkmcnt(3)
	v_pk_fma_f32 v[16:17], v[18:19], v[110:111], v[16:17] op_sel_hi:[0,1,1] neg_lo:[1,0,0] neg_hi:[1,0,0]
	ds_read2_b32 v[110:111], v103 offset0:15 offset1:16
	s_waitcnt vmcnt(22) lgkmcnt(3)
	v_pk_fma_f32 v[46:47], v[18:19], v[106:107], v[46:47] op_sel_hi:[0,1,1] neg_lo:[1,0,0] neg_hi:[1,0,0]
	s_waitcnt vmcnt(20) lgkmcnt(2)
	v_pk_fma_f32 v[50:51], v[18:19], v[108:109], v[50:51] op_sel_hi:[0,1,1] neg_lo:[1,0,0] neg_hi:[1,0,0]
	;; [unrolled: 2-line block ×3, first 2 shown]
	ds_read2_b32 v[106:107], v103 offset0:17 offset1:18
	ds_read2_b32 v[108:109], v103 offset0:19 offset1:20
	;; [unrolled: 1-line block ×3, first 2 shown]
	s_waitcnt vmcnt(16) lgkmcnt(3)
	v_pk_fma_f32 v[48:49], v[18:19], v[110:111], v[48:49] op_sel_hi:[0,1,1] neg_lo:[1,0,0] neg_hi:[1,0,0]
	ds_read2_b32 v[110:111], v103 offset0:23 offset1:24
	s_waitcnt vmcnt(14) lgkmcnt(3)
	v_pk_fma_f32 v[74:75], v[18:19], v[106:107], v[74:75] op_sel_hi:[0,1,1] neg_lo:[1,0,0] neg_hi:[1,0,0]
	s_waitcnt vmcnt(12) lgkmcnt(2)
	v_pk_fma_f32 v[68:69], v[18:19], v[108:109], v[68:69] op_sel_hi:[0,1,1] neg_lo:[1,0,0] neg_hi:[1,0,0]
	;; [unrolled: 2-line block ×3, first 2 shown]
	ds_read2_b32 v[106:107], v103 offset0:25 offset1:26
	ds_read2_b32 v[108:109], v103 offset0:27 offset1:28
	;; [unrolled: 1-line block ×4, first 2 shown]
	s_waitcnt vmcnt(8) lgkmcnt(4)
	v_pk_fma_f32 v[72:73], v[18:19], v[110:111], v[72:73] op_sel_hi:[0,1,1] neg_lo:[1,0,0] neg_hi:[1,0,0]
	s_waitcnt vmcnt(6) lgkmcnt(3)
	v_pk_fma_f32 v[92:93], v[18:19], v[106:107], v[92:93] op_sel_hi:[0,1,1] neg_lo:[1,0,0] neg_hi:[1,0,0]
	;; [unrolled: 2-line block ×5, first 2 shown]
.LBB65_12:
	s_or_b64 exec, exec, s[2:3]
	v_cmp_eq_u32_e32 vcc, 2, v25
	s_waitcnt lgkmcnt(0)
	s_barrier
	s_and_saveexec_b64 s[2:3], vcc
	s_cbranch_execz .LBB65_15
; %bb.13:
	s_waitcnt vmcnt(30)
	ds_write_b32 v102, v19
	s_waitcnt vmcnt(28)
	ds_write2_b32 v103, v20, v21 offset0:3 offset1:4
	s_waitcnt vmcnt(26)
	ds_write2_b32 v103, v22, v23 offset0:5 offset1:6
	;; [unrolled: 2-line block ×15, first 2 shown]
	ds_read_b32 v106, v102
	s_waitcnt lgkmcnt(0)
	v_cmp_neq_f32_e32 vcc, 0, v106
	s_and_b64 exec, exec, vcc
	s_cbranch_execz .LBB65_15
; %bb.14:
	v_div_scale_f32 v107, s[4:5], v106, v106, 1.0
	v_rcp_f32_e32 v108, v107
	v_div_scale_f32 v109, vcc, 1.0, v106, 1.0
	v_fma_f32 v110, -v107, v108, 1.0
	v_fmac_f32_e32 v108, v110, v108
	v_mul_f32_e32 v110, v109, v108
	v_fma_f32 v111, -v107, v110, v109
	v_fmac_f32_e32 v110, v111, v108
	v_fma_f32 v107, -v107, v110, v109
	v_div_fmas_f32 v107, v107, v108, v110
	v_div_fixup_f32 v106, v107, v106, 1.0
	ds_write_b32 v102, v106
.LBB65_15:
	s_or_b64 exec, exec, s[2:3]
	s_waitcnt lgkmcnt(0)
	s_barrier
	ds_read_b32 v106, v102
	v_cmp_lt_u32_e32 vcc, 2, v25
	s_and_saveexec_b64 s[2:3], vcc
	s_cbranch_execz .LBB65_17
; %bb.16:
	ds_read2_b32 v[108:109], v103 offset0:3 offset1:4
	ds_read2_b32 v[110:111], v103 offset0:5 offset1:6
	ds_read2_b32 v[112:113], v103 offset0:7 offset1:8
	s_waitcnt vmcnt(30) lgkmcnt(3)
	v_mul_f32_e32 v114, v106, v19
	ds_read2_b32 v[116:117], v103 offset0:9 offset1:10
	s_waitcnt vmcnt(28) lgkmcnt(3)
	v_pk_fma_f32 v[20:21], v[114:115], v[108:109], v[20:21] op_sel_hi:[0,1,1] neg_lo:[1,0,0] neg_hi:[1,0,0]
	s_waitcnt vmcnt(26) lgkmcnt(2)
	v_pk_fma_f32 v[22:23], v[114:115], v[110:111], v[22:23] op_sel_hi:[0,1,1] neg_lo:[1,0,0] neg_hi:[1,0,0]
	;; [unrolled: 2-line block ×3, first 2 shown]
	ds_read2_b32 v[108:109], v103 offset0:11 offset1:12
	ds_read2_b32 v[110:111], v103 offset0:13 offset1:14
	;; [unrolled: 1-line block ×3, first 2 shown]
	s_waitcnt vmcnt(22) lgkmcnt(3)
	v_pk_fma_f32 v[46:47], v[114:115], v[116:117], v[46:47] op_sel_hi:[0,1,1] neg_lo:[1,0,0] neg_hi:[1,0,0]
	ds_read2_b32 v[116:117], v103 offset0:17 offset1:18
	s_waitcnt vmcnt(20) lgkmcnt(3)
	v_pk_fma_f32 v[50:51], v[114:115], v[108:109], v[50:51] op_sel_hi:[0,1,1] neg_lo:[1,0,0] neg_hi:[1,0,0]
	s_waitcnt vmcnt(18) lgkmcnt(2)
	v_pk_fma_f32 v[44:45], v[114:115], v[110:111], v[44:45] op_sel_hi:[0,1,1] neg_lo:[1,0,0] neg_hi:[1,0,0]
	ds_read2_b32 v[108:109], v103 offset0:19 offset1:20
	ds_read2_b32 v[110:111], v103 offset0:21 offset1:22
	s_waitcnt vmcnt(16) lgkmcnt(3)
	v_pk_fma_f32 v[48:49], v[114:115], v[112:113], v[48:49] op_sel_hi:[0,1,1] neg_lo:[1,0,0] neg_hi:[1,0,0]
	s_waitcnt vmcnt(14) lgkmcnt(2)
	v_pk_fma_f32 v[74:75], v[114:115], v[116:117], v[74:75] op_sel_hi:[0,1,1] neg_lo:[1,0,0] neg_hi:[1,0,0]
	ds_read2_b32 v[112:113], v103 offset0:23 offset1:24
	ds_read2_b32 v[116:117], v103 offset0:25 offset1:26
	s_waitcnt vmcnt(12) lgkmcnt(3)
	v_pk_fma_f32 v[68:69], v[114:115], v[108:109], v[68:69] op_sel_hi:[0,1,1] neg_lo:[1,0,0] neg_hi:[1,0,0]
	s_waitcnt vmcnt(10) lgkmcnt(2)
	v_pk_fma_f32 v[70:71], v[114:115], v[110:111], v[70:71] op_sel_hi:[0,1,1] neg_lo:[1,0,0] neg_hi:[1,0,0]
	ds_read2_b32 v[108:109], v103 offset0:27 offset1:28
	ds_read2_b32 v[110:111], v103 offset0:29 offset1:30
	ds_read2_b32 v[118:119], v103 offset0:31 offset1:32
	s_waitcnt vmcnt(8) lgkmcnt(4)
	v_pk_fma_f32 v[72:73], v[114:115], v[112:113], v[72:73] op_sel_hi:[0,1,1] neg_lo:[1,0,0] neg_hi:[1,0,0]
	s_waitcnt vmcnt(6) lgkmcnt(3)
	v_pk_fma_f32 v[92:93], v[114:115], v[116:117], v[92:93] op_sel_hi:[0,1,1] neg_lo:[1,0,0] neg_hi:[1,0,0]
	;; [unrolled: 2-line block ×5, first 2 shown]
	v_mov_b32_e32 v19, v114
.LBB65_17:
	s_or_b64 exec, exec, s[2:3]
	v_cmp_eq_u32_e32 vcc, 3, v25
	s_waitcnt lgkmcnt(0)
	s_barrier
	s_and_saveexec_b64 s[2:3], vcc
	s_cbranch_execz .LBB65_20
; %bb.18:
	s_waitcnt vmcnt(26)
	v_pk_mov_b32 v[108:109], v[20:21], v[22:23] op_sel:[1,0]
	ds_write_b32 v102, v20
	ds_write2_b32 v103, v108, v109 offset0:4 offset1:5
	s_waitcnt vmcnt(24)
	v_pk_mov_b32 v[108:109], v[22:23], v[16:17] op_sel:[1,0]
	ds_write2_b32 v103, v108, v109 offset0:6 offset1:7
	s_waitcnt vmcnt(22)
	v_pk_mov_b32 v[108:109], v[16:17], v[46:47] op_sel:[1,0]
	;; [unrolled: 3-line block ×13, first 2 shown]
	ds_write2_b32 v103, v108, v109 offset0:30 offset1:31
	ds_write_b32 v103, v99 offset:128
	ds_read_b32 v107, v102
	s_waitcnt lgkmcnt(0)
	v_cmp_neq_f32_e32 vcc, 0, v107
	s_and_b64 exec, exec, vcc
	s_cbranch_execz .LBB65_20
; %bb.19:
	v_div_scale_f32 v108, s[4:5], v107, v107, 1.0
	v_rcp_f32_e32 v109, v108
	v_div_scale_f32 v110, vcc, 1.0, v107, 1.0
	v_fma_f32 v111, -v108, v109, 1.0
	v_fmac_f32_e32 v109, v111, v109
	v_mul_f32_e32 v111, v110, v109
	v_fma_f32 v112, -v108, v111, v110
	v_fmac_f32_e32 v111, v112, v109
	v_fma_f32 v108, -v108, v111, v110
	v_div_fmas_f32 v108, v108, v109, v111
	v_div_fixup_f32 v107, v108, v107, 1.0
	ds_write_b32 v102, v107
.LBB65_20:
	s_or_b64 exec, exec, s[2:3]
	s_waitcnt lgkmcnt(0)
	s_barrier
	ds_read_b32 v107, v102
	v_cmp_lt_u32_e32 vcc, 3, v25
	s_and_saveexec_b64 s[2:3], vcc
	s_cbranch_execz .LBB65_22
; %bb.21:
	ds_read_b32 v114, v103 offset:16
	ds_read2_b32 v[108:109], v103 offset0:5 offset1:6
	ds_read2_b32 v[110:111], v103 offset0:7 offset1:8
	s_waitcnt vmcnt(29) lgkmcnt(3)
	v_mul_f32_e32 v20, v107, v20
	ds_read2_b32 v[112:113], v103 offset0:9 offset1:10
	s_waitcnt vmcnt(28) lgkmcnt(3)
	v_fma_f32 v21, -v20, v114, v21
	s_waitcnt vmcnt(26) lgkmcnt(2)
	v_pk_fma_f32 v[22:23], v[20:21], v[108:109], v[22:23] op_sel_hi:[0,1,1] neg_lo:[1,0,0] neg_hi:[1,0,0]
	s_waitcnt vmcnt(24) lgkmcnt(1)
	v_pk_fma_f32 v[16:17], v[20:21], v[110:111], v[16:17] op_sel_hi:[0,1,1] neg_lo:[1,0,0] neg_hi:[1,0,0]
	ds_read2_b32 v[108:109], v103 offset0:11 offset1:12
	ds_read2_b32 v[110:111], v103 offset0:13 offset1:14
	;; [unrolled: 1-line block ×3, first 2 shown]
	s_waitcnt vmcnt(22) lgkmcnt(3)
	v_pk_fma_f32 v[46:47], v[20:21], v[112:113], v[46:47] op_sel_hi:[0,1,1] neg_lo:[1,0,0] neg_hi:[1,0,0]
	ds_read2_b32 v[112:113], v103 offset0:17 offset1:18
	s_waitcnt vmcnt(20) lgkmcnt(3)
	v_pk_fma_f32 v[50:51], v[20:21], v[108:109], v[50:51] op_sel_hi:[0,1,1] neg_lo:[1,0,0] neg_hi:[1,0,0]
	s_waitcnt vmcnt(18) lgkmcnt(2)
	v_pk_fma_f32 v[44:45], v[20:21], v[110:111], v[44:45] op_sel_hi:[0,1,1] neg_lo:[1,0,0] neg_hi:[1,0,0]
	ds_read2_b32 v[108:109], v103 offset0:19 offset1:20
	ds_read2_b32 v[110:111], v103 offset0:21 offset1:22
	s_waitcnt vmcnt(16) lgkmcnt(3)
	v_pk_fma_f32 v[48:49], v[20:21], v[114:115], v[48:49] op_sel_hi:[0,1,1] neg_lo:[1,0,0] neg_hi:[1,0,0]
	s_waitcnt vmcnt(14) lgkmcnt(2)
	v_pk_fma_f32 v[74:75], v[20:21], v[112:113], v[74:75] op_sel_hi:[0,1,1] neg_lo:[1,0,0] neg_hi:[1,0,0]
	ds_read2_b32 v[112:113], v103 offset0:23 offset1:24
	;; [unrolled: 6-line block ×3, first 2 shown]
	ds_read2_b32 v[110:111], v103 offset0:29 offset1:30
	ds_read2_b32 v[116:117], v103 offset0:31 offset1:32
	s_waitcnt vmcnt(8) lgkmcnt(4)
	v_pk_fma_f32 v[72:73], v[20:21], v[112:113], v[72:73] op_sel_hi:[0,1,1] neg_lo:[1,0,0] neg_hi:[1,0,0]
	s_waitcnt vmcnt(6) lgkmcnt(3)
	v_pk_fma_f32 v[92:93], v[20:21], v[114:115], v[92:93] op_sel_hi:[0,1,1] neg_lo:[1,0,0] neg_hi:[1,0,0]
	;; [unrolled: 2-line block ×5, first 2 shown]
.LBB65_22:
	s_or_b64 exec, exec, s[2:3]
	v_cmp_ne_u32_e32 vcc, 4, v25
	s_waitcnt lgkmcnt(0)
	s_barrier
	s_and_saveexec_b64 s[2:3], vcc
	s_xor_b64 s[2:3], exec, s[2:3]
	s_andn2_saveexec_b64 s[2:3], s[2:3]
	s_cbranch_execz .LBB65_26
; %bb.23:
	s_waitcnt vmcnt(28)
	ds_write_b32 v102, v21
	s_waitcnt vmcnt(26)
	ds_write2_b32 v103, v22, v23 offset0:5 offset1:6
	s_waitcnt vmcnt(24)
	ds_write2_b32 v103, v16, v17 offset0:7 offset1:8
	;; [unrolled: 2-line block ×14, first 2 shown]
	ds_read_b32 v108, v102
	s_waitcnt lgkmcnt(0)
	v_cmp_neq_f32_e32 vcc, 0, v108
	s_and_saveexec_b64 s[4:5], vcc
	s_cbranch_execz .LBB65_25
; %bb.24:
	v_div_scale_f32 v109, s[10:11], v108, v108, 1.0
	v_rcp_f32_e32 v110, v109
	v_div_scale_f32 v111, vcc, 1.0, v108, 1.0
	v_fma_f32 v112, -v109, v110, 1.0
	v_fmac_f32_e32 v110, v112, v110
	v_mul_f32_e32 v112, v111, v110
	v_fma_f32 v113, -v109, v112, v111
	v_fmac_f32_e32 v112, v113, v110
	v_fma_f32 v109, -v109, v112, v111
	v_div_fmas_f32 v109, v109, v110, v112
	v_div_fixup_f32 v108, v109, v108, 1.0
	ds_write_b32 v102, v108
.LBB65_25:
	s_or_b64 exec, exec, s[4:5]
.LBB65_26:
	s_or_b64 exec, exec, s[2:3]
	s_waitcnt lgkmcnt(0)
	s_barrier
	ds_read_b32 v108, v102
	v_cmp_lt_u32_e32 vcc, 4, v25
	s_and_saveexec_b64 s[2:3], vcc
	s_cbranch_execz .LBB65_28
; %bb.27:
	ds_read2_b32 v[110:111], v103 offset0:5 offset1:6
	ds_read2_b32 v[112:113], v103 offset0:7 offset1:8
	;; [unrolled: 1-line block ×4, first 2 shown]
	s_waitcnt vmcnt(28) lgkmcnt(4)
	v_mul_f32_e32 v116, v108, v21
	s_waitcnt vmcnt(26) lgkmcnt(3)
	v_pk_fma_f32 v[22:23], v[116:117], v[110:111], v[22:23] op_sel_hi:[0,1,1] neg_lo:[1,0,0] neg_hi:[1,0,0]
	s_waitcnt vmcnt(24) lgkmcnt(2)
	v_pk_fma_f32 v[16:17], v[116:117], v[112:113], v[16:17] op_sel_hi:[0,1,1] neg_lo:[1,0,0] neg_hi:[1,0,0]
	;; [unrolled: 2-line block ×3, first 2 shown]
	ds_read2_b32 v[110:111], v103 offset0:13 offset1:14
	ds_read2_b32 v[112:113], v103 offset0:15 offset1:16
	;; [unrolled: 1-line block ×3, first 2 shown]
	s_waitcnt vmcnt(20) lgkmcnt(3)
	v_pk_fma_f32 v[50:51], v[116:117], v[118:119], v[50:51] op_sel_hi:[0,1,1] neg_lo:[1,0,0] neg_hi:[1,0,0]
	ds_read2_b32 v[118:119], v103 offset0:19 offset1:20
	s_waitcnt vmcnt(18) lgkmcnt(3)
	v_pk_fma_f32 v[44:45], v[116:117], v[110:111], v[44:45] op_sel_hi:[0,1,1] neg_lo:[1,0,0] neg_hi:[1,0,0]
	ds_read2_b32 v[110:111], v103 offset0:21 offset1:22
	s_waitcnt vmcnt(16) lgkmcnt(3)
	v_pk_fma_f32 v[48:49], v[116:117], v[112:113], v[48:49] op_sel_hi:[0,1,1] neg_lo:[1,0,0] neg_hi:[1,0,0]
	s_waitcnt vmcnt(14) lgkmcnt(2)
	v_pk_fma_f32 v[74:75], v[116:117], v[114:115], v[74:75] op_sel_hi:[0,1,1] neg_lo:[1,0,0] neg_hi:[1,0,0]
	;; [unrolled: 2-line block ×3, first 2 shown]
	ds_read2_b32 v[112:113], v103 offset0:23 offset1:24
	ds_read2_b32 v[114:115], v103 offset0:25 offset1:26
	;; [unrolled: 1-line block ×3, first 2 shown]
	s_waitcnt vmcnt(10) lgkmcnt(3)
	v_pk_fma_f32 v[70:71], v[116:117], v[110:111], v[70:71] op_sel_hi:[0,1,1] neg_lo:[1,0,0] neg_hi:[1,0,0]
	ds_read2_b32 v[110:111], v103 offset0:29 offset1:30
	ds_read2_b32 v[120:121], v103 offset0:31 offset1:32
	s_waitcnt vmcnt(8) lgkmcnt(4)
	v_pk_fma_f32 v[72:73], v[116:117], v[112:113], v[72:73] op_sel_hi:[0,1,1] neg_lo:[1,0,0] neg_hi:[1,0,0]
	s_waitcnt vmcnt(6) lgkmcnt(3)
	v_pk_fma_f32 v[92:93], v[116:117], v[114:115], v[92:93] op_sel_hi:[0,1,1] neg_lo:[1,0,0] neg_hi:[1,0,0]
	;; [unrolled: 2-line block ×5, first 2 shown]
	v_mov_b32_e32 v21, v116
.LBB65_28:
	s_or_b64 exec, exec, s[2:3]
	v_cmp_eq_u32_e32 vcc, 5, v25
	s_waitcnt lgkmcnt(0)
	s_barrier
	s_and_saveexec_b64 s[2:3], vcc
	s_cbranch_execz .LBB65_31
; %bb.29:
	s_waitcnt vmcnt(24)
	v_pk_mov_b32 v[110:111], v[22:23], v[16:17] op_sel:[1,0]
	ds_write_b32 v102, v22
	ds_write2_b32 v103, v110, v111 offset0:6 offset1:7
	s_waitcnt vmcnt(22)
	v_pk_mov_b32 v[110:111], v[16:17], v[46:47] op_sel:[1,0]
	ds_write2_b32 v103, v110, v111 offset0:8 offset1:9
	s_waitcnt vmcnt(20)
	v_pk_mov_b32 v[110:111], v[46:47], v[50:51] op_sel:[1,0]
	;; [unrolled: 3-line block ×12, first 2 shown]
	ds_write2_b32 v103, v110, v111 offset0:30 offset1:31
	ds_write_b32 v103, v99 offset:128
	ds_read_b32 v109, v102
	s_waitcnt lgkmcnt(0)
	v_cmp_neq_f32_e32 vcc, 0, v109
	s_and_b64 exec, exec, vcc
	s_cbranch_execz .LBB65_31
; %bb.30:
	v_div_scale_f32 v110, s[4:5], v109, v109, 1.0
	v_rcp_f32_e32 v111, v110
	v_div_scale_f32 v112, vcc, 1.0, v109, 1.0
	v_fma_f32 v113, -v110, v111, 1.0
	v_fmac_f32_e32 v111, v113, v111
	v_mul_f32_e32 v113, v112, v111
	v_fma_f32 v114, -v110, v113, v112
	v_fmac_f32_e32 v113, v114, v111
	v_fma_f32 v110, -v110, v113, v112
	v_div_fmas_f32 v110, v110, v111, v113
	v_div_fixup_f32 v109, v110, v109, 1.0
	ds_write_b32 v102, v109
.LBB65_31:
	s_or_b64 exec, exec, s[2:3]
	s_waitcnt lgkmcnt(0)
	s_barrier
	ds_read_b32 v109, v102
	v_cmp_lt_u32_e32 vcc, 5, v25
	s_and_saveexec_b64 s[2:3], vcc
	s_cbranch_execz .LBB65_33
; %bb.32:
	ds_read_b32 v116, v103 offset:24
	ds_read2_b32 v[110:111], v103 offset0:7 offset1:8
	ds_read2_b32 v[112:113], v103 offset0:9 offset1:10
	s_waitcnt vmcnt(27) lgkmcnt(3)
	v_mul_f32_e32 v22, v109, v22
	ds_read2_b32 v[114:115], v103 offset0:11 offset1:12
	s_waitcnt vmcnt(26) lgkmcnt(3)
	v_fma_f32 v23, -v22, v116, v23
	s_waitcnt vmcnt(24) lgkmcnt(2)
	v_pk_fma_f32 v[16:17], v[22:23], v[110:111], v[16:17] op_sel_hi:[0,1,1] neg_lo:[1,0,0] neg_hi:[1,0,0]
	s_waitcnt vmcnt(22) lgkmcnt(1)
	v_pk_fma_f32 v[46:47], v[22:23], v[112:113], v[46:47] op_sel_hi:[0,1,1] neg_lo:[1,0,0] neg_hi:[1,0,0]
	ds_read2_b32 v[110:111], v103 offset0:13 offset1:14
	ds_read2_b32 v[112:113], v103 offset0:15 offset1:16
	;; [unrolled: 1-line block ×3, first 2 shown]
	s_waitcnt vmcnt(20) lgkmcnt(3)
	v_pk_fma_f32 v[50:51], v[22:23], v[114:115], v[50:51] op_sel_hi:[0,1,1] neg_lo:[1,0,0] neg_hi:[1,0,0]
	ds_read2_b32 v[114:115], v103 offset0:19 offset1:20
	s_waitcnt vmcnt(18) lgkmcnt(3)
	v_pk_fma_f32 v[44:45], v[22:23], v[110:111], v[44:45] op_sel_hi:[0,1,1] neg_lo:[1,0,0] neg_hi:[1,0,0]
	ds_read2_b32 v[110:111], v103 offset0:21 offset1:22
	s_waitcnt vmcnt(16) lgkmcnt(3)
	v_pk_fma_f32 v[48:49], v[22:23], v[112:113], v[48:49] op_sel_hi:[0,1,1] neg_lo:[1,0,0] neg_hi:[1,0,0]
	s_waitcnt vmcnt(14) lgkmcnt(2)
	v_pk_fma_f32 v[74:75], v[22:23], v[116:117], v[74:75] op_sel_hi:[0,1,1] neg_lo:[1,0,0] neg_hi:[1,0,0]
	;; [unrolled: 2-line block ×3, first 2 shown]
	ds_read2_b32 v[112:113], v103 offset0:23 offset1:24
	ds_read2_b32 v[114:115], v103 offset0:25 offset1:26
	;; [unrolled: 1-line block ×3, first 2 shown]
	s_waitcnt vmcnt(10) lgkmcnt(3)
	v_pk_fma_f32 v[70:71], v[22:23], v[110:111], v[70:71] op_sel_hi:[0,1,1] neg_lo:[1,0,0] neg_hi:[1,0,0]
	ds_read2_b32 v[110:111], v103 offset0:29 offset1:30
	ds_read2_b32 v[118:119], v103 offset0:31 offset1:32
	s_waitcnt vmcnt(8) lgkmcnt(4)
	v_pk_fma_f32 v[72:73], v[22:23], v[112:113], v[72:73] op_sel_hi:[0,1,1] neg_lo:[1,0,0] neg_hi:[1,0,0]
	s_waitcnt vmcnt(6) lgkmcnt(3)
	v_pk_fma_f32 v[92:93], v[22:23], v[114:115], v[92:93] op_sel_hi:[0,1,1] neg_lo:[1,0,0] neg_hi:[1,0,0]
	;; [unrolled: 2-line block ×5, first 2 shown]
.LBB65_33:
	s_or_b64 exec, exec, s[2:3]
	v_cmp_ne_u32_e32 vcc, 6, v25
	s_waitcnt lgkmcnt(0)
	s_barrier
	s_and_saveexec_b64 s[2:3], vcc
	s_xor_b64 s[2:3], exec, s[2:3]
	s_andn2_saveexec_b64 s[2:3], s[2:3]
	s_cbranch_execz .LBB65_37
; %bb.34:
	s_waitcnt vmcnt(26)
	ds_write_b32 v102, v23
	s_waitcnt vmcnt(24)
	ds_write2_b32 v103, v16, v17 offset0:7 offset1:8
	s_waitcnt vmcnt(22)
	ds_write2_b32 v103, v46, v47 offset0:9 offset1:10
	;; [unrolled: 2-line block ×13, first 2 shown]
	ds_read_b32 v110, v102
	s_waitcnt lgkmcnt(0)
	v_cmp_neq_f32_e32 vcc, 0, v110
	s_and_saveexec_b64 s[4:5], vcc
	s_cbranch_execz .LBB65_36
; %bb.35:
	v_div_scale_f32 v111, s[10:11], v110, v110, 1.0
	v_rcp_f32_e32 v112, v111
	v_div_scale_f32 v113, vcc, 1.0, v110, 1.0
	v_fma_f32 v114, -v111, v112, 1.0
	v_fmac_f32_e32 v112, v114, v112
	v_mul_f32_e32 v114, v113, v112
	v_fma_f32 v115, -v111, v114, v113
	v_fmac_f32_e32 v114, v115, v112
	v_fma_f32 v111, -v111, v114, v113
	v_div_fmas_f32 v111, v111, v112, v114
	v_div_fixup_f32 v110, v111, v110, 1.0
	ds_write_b32 v102, v110
.LBB65_36:
	s_or_b64 exec, exec, s[4:5]
.LBB65_37:
	s_or_b64 exec, exec, s[2:3]
	s_waitcnt lgkmcnt(0)
	s_barrier
	ds_read_b32 v110, v102
	v_cmp_lt_u32_e32 vcc, 6, v25
	s_and_saveexec_b64 s[2:3], vcc
	s_cbranch_execz .LBB65_39
; %bb.38:
	ds_read2_b32 v[112:113], v103 offset0:7 offset1:8
	ds_read2_b32 v[114:115], v103 offset0:9 offset1:10
	;; [unrolled: 1-line block ×3, first 2 shown]
	s_waitcnt vmcnt(26) lgkmcnt(3)
	v_mul_f32_e32 v118, v110, v23
	ds_read2_b32 v[120:121], v103 offset0:13 offset1:14
	s_waitcnt vmcnt(24) lgkmcnt(3)
	v_pk_fma_f32 v[16:17], v[118:119], v[112:113], v[16:17] op_sel_hi:[0,1,1] neg_lo:[1,0,0] neg_hi:[1,0,0]
	s_waitcnt vmcnt(22) lgkmcnt(2)
	v_pk_fma_f32 v[46:47], v[118:119], v[114:115], v[46:47] op_sel_hi:[0,1,1] neg_lo:[1,0,0] neg_hi:[1,0,0]
	;; [unrolled: 2-line block ×3, first 2 shown]
	ds_read2_b32 v[112:113], v103 offset0:15 offset1:16
	ds_read2_b32 v[114:115], v103 offset0:17 offset1:18
	;; [unrolled: 1-line block ×4, first 2 shown]
	s_waitcnt vmcnt(18) lgkmcnt(4)
	v_pk_fma_f32 v[44:45], v[118:119], v[120:121], v[44:45] op_sel_hi:[0,1,1] neg_lo:[1,0,0] neg_hi:[1,0,0]
	s_waitcnt vmcnt(16) lgkmcnt(3)
	v_pk_fma_f32 v[48:49], v[118:119], v[112:113], v[48:49] op_sel_hi:[0,1,1] neg_lo:[1,0,0] neg_hi:[1,0,0]
	;; [unrolled: 2-line block ×5, first 2 shown]
	ds_read2_b32 v[112:113], v103 offset0:23 offset1:24
	ds_read2_b32 v[114:115], v103 offset0:25 offset1:26
	;; [unrolled: 1-line block ×5, first 2 shown]
	s_waitcnt vmcnt(8) lgkmcnt(4)
	v_pk_fma_f32 v[72:73], v[118:119], v[112:113], v[72:73] op_sel_hi:[0,1,1] neg_lo:[1,0,0] neg_hi:[1,0,0]
	s_waitcnt vmcnt(6) lgkmcnt(3)
	v_pk_fma_f32 v[92:93], v[118:119], v[114:115], v[92:93] op_sel_hi:[0,1,1] neg_lo:[1,0,0] neg_hi:[1,0,0]
	;; [unrolled: 2-line block ×5, first 2 shown]
	v_mov_b32_e32 v23, v118
.LBB65_39:
	s_or_b64 exec, exec, s[2:3]
	v_cmp_eq_u32_e32 vcc, 7, v25
	s_waitcnt lgkmcnt(0)
	s_barrier
	s_and_saveexec_b64 s[2:3], vcc
	s_cbranch_execz .LBB65_42
; %bb.40:
	s_waitcnt vmcnt(22)
	v_pk_mov_b32 v[112:113], v[16:17], v[46:47] op_sel:[1,0]
	ds_write_b32 v102, v16
	ds_write2_b32 v103, v112, v113 offset0:8 offset1:9
	s_waitcnt vmcnt(20)
	v_pk_mov_b32 v[112:113], v[46:47], v[50:51] op_sel:[1,0]
	ds_write2_b32 v103, v112, v113 offset0:10 offset1:11
	s_waitcnt vmcnt(18)
	v_pk_mov_b32 v[112:113], v[50:51], v[44:45] op_sel:[1,0]
	;; [unrolled: 3-line block ×11, first 2 shown]
	ds_write2_b32 v103, v112, v113 offset0:30 offset1:31
	ds_write_b32 v103, v99 offset:128
	ds_read_b32 v111, v102
	s_waitcnt lgkmcnt(0)
	v_cmp_neq_f32_e32 vcc, 0, v111
	s_and_b64 exec, exec, vcc
	s_cbranch_execz .LBB65_42
; %bb.41:
	v_div_scale_f32 v112, s[4:5], v111, v111, 1.0
	v_rcp_f32_e32 v113, v112
	v_div_scale_f32 v114, vcc, 1.0, v111, 1.0
	v_fma_f32 v115, -v112, v113, 1.0
	v_fmac_f32_e32 v113, v115, v113
	v_mul_f32_e32 v115, v114, v113
	v_fma_f32 v116, -v112, v115, v114
	v_fmac_f32_e32 v115, v116, v113
	v_fma_f32 v112, -v112, v115, v114
	v_div_fmas_f32 v112, v112, v113, v115
	v_div_fixup_f32 v111, v112, v111, 1.0
	ds_write_b32 v102, v111
.LBB65_42:
	s_or_b64 exec, exec, s[2:3]
	s_waitcnt lgkmcnt(0)
	s_barrier
	ds_read_b32 v111, v102
	v_cmp_lt_u32_e32 vcc, 7, v25
	s_and_saveexec_b64 s[2:3], vcc
	s_cbranch_execz .LBB65_44
; %bb.43:
	ds_read_b32 v118, v103 offset:32
	ds_read2_b32 v[112:113], v103 offset0:9 offset1:10
	ds_read2_b32 v[114:115], v103 offset0:11 offset1:12
	s_waitcnt vmcnt(25) lgkmcnt(3)
	v_mul_f32_e32 v16, v111, v16
	ds_read2_b32 v[116:117], v103 offset0:13 offset1:14
	s_waitcnt vmcnt(24) lgkmcnt(3)
	v_fma_f32 v17, -v16, v118, v17
	s_waitcnt vmcnt(22) lgkmcnt(2)
	v_pk_fma_f32 v[46:47], v[16:17], v[112:113], v[46:47] op_sel_hi:[0,1,1] neg_lo:[1,0,0] neg_hi:[1,0,0]
	s_waitcnt vmcnt(20) lgkmcnt(1)
	v_pk_fma_f32 v[50:51], v[16:17], v[114:115], v[50:51] op_sel_hi:[0,1,1] neg_lo:[1,0,0] neg_hi:[1,0,0]
	ds_read2_b32 v[112:113], v103 offset0:15 offset1:16
	ds_read2_b32 v[114:115], v103 offset0:17 offset1:18
	;; [unrolled: 1-line block ×4, first 2 shown]
	s_waitcnt vmcnt(18) lgkmcnt(4)
	v_pk_fma_f32 v[44:45], v[16:17], v[116:117], v[44:45] op_sel_hi:[0,1,1] neg_lo:[1,0,0] neg_hi:[1,0,0]
	s_waitcnt vmcnt(16) lgkmcnt(3)
	v_pk_fma_f32 v[48:49], v[16:17], v[112:113], v[48:49] op_sel_hi:[0,1,1] neg_lo:[1,0,0] neg_hi:[1,0,0]
	;; [unrolled: 2-line block ×5, first 2 shown]
	ds_read2_b32 v[112:113], v103 offset0:23 offset1:24
	ds_read2_b32 v[114:115], v103 offset0:25 offset1:26
	;; [unrolled: 1-line block ×5, first 2 shown]
	s_waitcnt vmcnt(8) lgkmcnt(4)
	v_pk_fma_f32 v[72:73], v[16:17], v[112:113], v[72:73] op_sel_hi:[0,1,1] neg_lo:[1,0,0] neg_hi:[1,0,0]
	s_waitcnt vmcnt(6) lgkmcnt(3)
	v_pk_fma_f32 v[92:93], v[16:17], v[114:115], v[92:93] op_sel_hi:[0,1,1] neg_lo:[1,0,0] neg_hi:[1,0,0]
	;; [unrolled: 2-line block ×5, first 2 shown]
.LBB65_44:
	s_or_b64 exec, exec, s[2:3]
	v_cmp_ne_u32_e32 vcc, 8, v25
	s_waitcnt lgkmcnt(0)
	s_barrier
	s_and_saveexec_b64 s[2:3], vcc
	s_xor_b64 s[2:3], exec, s[2:3]
	s_andn2_saveexec_b64 s[2:3], s[2:3]
	s_cbranch_execz .LBB65_48
; %bb.45:
	s_waitcnt vmcnt(24)
	ds_write_b32 v102, v17
	s_waitcnt vmcnt(22)
	ds_write2_b32 v103, v46, v47 offset0:9 offset1:10
	s_waitcnt vmcnt(20)
	ds_write2_b32 v103, v50, v51 offset0:11 offset1:12
	;; [unrolled: 2-line block ×12, first 2 shown]
	ds_read_b32 v112, v102
	s_waitcnt lgkmcnt(0)
	v_cmp_neq_f32_e32 vcc, 0, v112
	s_and_saveexec_b64 s[4:5], vcc
	s_cbranch_execz .LBB65_47
; %bb.46:
	v_div_scale_f32 v113, s[10:11], v112, v112, 1.0
	v_rcp_f32_e32 v114, v113
	v_div_scale_f32 v115, vcc, 1.0, v112, 1.0
	v_fma_f32 v116, -v113, v114, 1.0
	v_fmac_f32_e32 v114, v116, v114
	v_mul_f32_e32 v116, v115, v114
	v_fma_f32 v117, -v113, v116, v115
	v_fmac_f32_e32 v116, v117, v114
	v_fma_f32 v113, -v113, v116, v115
	v_div_fmas_f32 v113, v113, v114, v116
	v_div_fixup_f32 v112, v113, v112, 1.0
	ds_write_b32 v102, v112
.LBB65_47:
	s_or_b64 exec, exec, s[4:5]
.LBB65_48:
	s_or_b64 exec, exec, s[2:3]
	s_waitcnt lgkmcnt(0)
	s_barrier
	ds_read_b32 v112, v102
	v_cmp_lt_u32_e32 vcc, 8, v25
	s_and_saveexec_b64 s[2:3], vcc
	s_cbranch_execz .LBB65_50
; %bb.49:
	ds_read2_b32 v[114:115], v103 offset0:9 offset1:10
	ds_read2_b32 v[116:117], v103 offset0:11 offset1:12
	;; [unrolled: 1-line block ×3, first 2 shown]
	s_waitcnt vmcnt(24) lgkmcnt(3)
	v_mul_f32_e32 v120, v112, v17
	ds_read2_b32 v[122:123], v103 offset0:15 offset1:16
	s_waitcnt vmcnt(22) lgkmcnt(3)
	v_pk_fma_f32 v[46:47], v[120:121], v[114:115], v[46:47] op_sel_hi:[0,1,1] neg_lo:[1,0,0] neg_hi:[1,0,0]
	s_waitcnt vmcnt(20) lgkmcnt(2)
	v_pk_fma_f32 v[50:51], v[120:121], v[116:117], v[50:51] op_sel_hi:[0,1,1] neg_lo:[1,0,0] neg_hi:[1,0,0]
	;; [unrolled: 2-line block ×3, first 2 shown]
	ds_read2_b32 v[114:115], v103 offset0:17 offset1:18
	ds_read2_b32 v[116:117], v103 offset0:19 offset1:20
	;; [unrolled: 1-line block ×3, first 2 shown]
	s_waitcnt vmcnt(16) lgkmcnt(3)
	v_pk_fma_f32 v[48:49], v[120:121], v[122:123], v[48:49] op_sel_hi:[0,1,1] neg_lo:[1,0,0] neg_hi:[1,0,0]
	ds_read2_b32 v[122:123], v103 offset0:23 offset1:24
	s_waitcnt vmcnt(14) lgkmcnt(3)
	v_pk_fma_f32 v[74:75], v[120:121], v[114:115], v[74:75] op_sel_hi:[0,1,1] neg_lo:[1,0,0] neg_hi:[1,0,0]
	s_waitcnt vmcnt(12) lgkmcnt(2)
	v_pk_fma_f32 v[68:69], v[120:121], v[116:117], v[68:69] op_sel_hi:[0,1,1] neg_lo:[1,0,0] neg_hi:[1,0,0]
	;; [unrolled: 2-line block ×3, first 2 shown]
	ds_read2_b32 v[114:115], v103 offset0:25 offset1:26
	ds_read2_b32 v[116:117], v103 offset0:27 offset1:28
	;; [unrolled: 1-line block ×4, first 2 shown]
	s_waitcnt vmcnt(8) lgkmcnt(4)
	v_pk_fma_f32 v[72:73], v[120:121], v[122:123], v[72:73] op_sel_hi:[0,1,1] neg_lo:[1,0,0] neg_hi:[1,0,0]
	s_waitcnt vmcnt(6) lgkmcnt(3)
	v_pk_fma_f32 v[92:93], v[120:121], v[114:115], v[92:93] op_sel_hi:[0,1,1] neg_lo:[1,0,0] neg_hi:[1,0,0]
	;; [unrolled: 2-line block ×5, first 2 shown]
	v_mov_b32_e32 v17, v120
.LBB65_50:
	s_or_b64 exec, exec, s[2:3]
	v_cmp_eq_u32_e32 vcc, 9, v25
	s_waitcnt lgkmcnt(0)
	s_barrier
	s_and_saveexec_b64 s[2:3], vcc
	s_cbranch_execz .LBB65_53
; %bb.51:
	s_waitcnt vmcnt(20)
	v_pk_mov_b32 v[114:115], v[46:47], v[50:51] op_sel:[1,0]
	ds_write_b32 v102, v46
	ds_write2_b32 v103, v114, v115 offset0:10 offset1:11
	s_waitcnt vmcnt(18)
	v_pk_mov_b32 v[114:115], v[50:51], v[44:45] op_sel:[1,0]
	ds_write2_b32 v103, v114, v115 offset0:12 offset1:13
	s_waitcnt vmcnt(16)
	v_pk_mov_b32 v[114:115], v[44:45], v[48:49] op_sel:[1,0]
	;; [unrolled: 3-line block ×10, first 2 shown]
	ds_write2_b32 v103, v114, v115 offset0:30 offset1:31
	ds_write_b32 v103, v99 offset:128
	ds_read_b32 v113, v102
	s_waitcnt lgkmcnt(0)
	v_cmp_neq_f32_e32 vcc, 0, v113
	s_and_b64 exec, exec, vcc
	s_cbranch_execz .LBB65_53
; %bb.52:
	v_div_scale_f32 v114, s[4:5], v113, v113, 1.0
	v_rcp_f32_e32 v115, v114
	v_div_scale_f32 v116, vcc, 1.0, v113, 1.0
	v_fma_f32 v117, -v114, v115, 1.0
	v_fmac_f32_e32 v115, v117, v115
	v_mul_f32_e32 v117, v116, v115
	v_fma_f32 v118, -v114, v117, v116
	v_fmac_f32_e32 v117, v118, v115
	v_fma_f32 v114, -v114, v117, v116
	v_div_fmas_f32 v114, v114, v115, v117
	v_div_fixup_f32 v113, v114, v113, 1.0
	ds_write_b32 v102, v113
.LBB65_53:
	s_or_b64 exec, exec, s[2:3]
	s_waitcnt lgkmcnt(0)
	s_barrier
	ds_read_b32 v113, v102
	v_cmp_lt_u32_e32 vcc, 9, v25
	s_and_saveexec_b64 s[2:3], vcc
	s_cbranch_execz .LBB65_55
; %bb.54:
	ds_read_b32 v120, v103 offset:40
	ds_read2_b32 v[114:115], v103 offset0:11 offset1:12
	ds_read2_b32 v[116:117], v103 offset0:13 offset1:14
	s_waitcnt vmcnt(23) lgkmcnt(3)
	v_mul_f32_e32 v46, v113, v46
	ds_read2_b32 v[118:119], v103 offset0:15 offset1:16
	s_waitcnt vmcnt(22) lgkmcnt(3)
	v_fma_f32 v47, -v46, v120, v47
	s_waitcnt vmcnt(20) lgkmcnt(2)
	v_pk_fma_f32 v[50:51], v[46:47], v[114:115], v[50:51] op_sel_hi:[0,1,1] neg_lo:[1,0,0] neg_hi:[1,0,0]
	s_waitcnt vmcnt(18) lgkmcnt(1)
	v_pk_fma_f32 v[44:45], v[46:47], v[116:117], v[44:45] op_sel_hi:[0,1,1] neg_lo:[1,0,0] neg_hi:[1,0,0]
	ds_read2_b32 v[114:115], v103 offset0:17 offset1:18
	ds_read2_b32 v[116:117], v103 offset0:19 offset1:20
	;; [unrolled: 1-line block ×3, first 2 shown]
	s_waitcnt vmcnt(16) lgkmcnt(3)
	v_pk_fma_f32 v[48:49], v[46:47], v[118:119], v[48:49] op_sel_hi:[0,1,1] neg_lo:[1,0,0] neg_hi:[1,0,0]
	ds_read2_b32 v[118:119], v103 offset0:23 offset1:24
	s_waitcnt vmcnt(14) lgkmcnt(3)
	v_pk_fma_f32 v[74:75], v[46:47], v[114:115], v[74:75] op_sel_hi:[0,1,1] neg_lo:[1,0,0] neg_hi:[1,0,0]
	s_waitcnt vmcnt(12) lgkmcnt(2)
	v_pk_fma_f32 v[68:69], v[46:47], v[116:117], v[68:69] op_sel_hi:[0,1,1] neg_lo:[1,0,0] neg_hi:[1,0,0]
	;; [unrolled: 2-line block ×3, first 2 shown]
	ds_read2_b32 v[114:115], v103 offset0:25 offset1:26
	ds_read2_b32 v[116:117], v103 offset0:27 offset1:28
	ds_read2_b32 v[120:121], v103 offset0:29 offset1:30
	ds_read2_b32 v[122:123], v103 offset0:31 offset1:32
	s_waitcnt vmcnt(8) lgkmcnt(4)
	v_pk_fma_f32 v[72:73], v[46:47], v[118:119], v[72:73] op_sel_hi:[0,1,1] neg_lo:[1,0,0] neg_hi:[1,0,0]
	s_waitcnt vmcnt(6) lgkmcnt(3)
	v_pk_fma_f32 v[92:93], v[46:47], v[114:115], v[92:93] op_sel_hi:[0,1,1] neg_lo:[1,0,0] neg_hi:[1,0,0]
	;; [unrolled: 2-line block ×5, first 2 shown]
.LBB65_55:
	s_or_b64 exec, exec, s[2:3]
	v_cmp_ne_u32_e32 vcc, 10, v25
	s_waitcnt lgkmcnt(0)
	s_barrier
	s_and_saveexec_b64 s[2:3], vcc
	s_xor_b64 s[2:3], exec, s[2:3]
	s_andn2_saveexec_b64 s[2:3], s[2:3]
	s_cbranch_execz .LBB65_59
; %bb.56:
	s_waitcnt vmcnt(22)
	ds_write_b32 v102, v47
	s_waitcnt vmcnt(20)
	ds_write2_b32 v103, v50, v51 offset0:11 offset1:12
	s_waitcnt vmcnt(18)
	ds_write2_b32 v103, v44, v45 offset0:13 offset1:14
	;; [unrolled: 2-line block ×11, first 2 shown]
	ds_read_b32 v114, v102
	s_waitcnt lgkmcnt(0)
	v_cmp_neq_f32_e32 vcc, 0, v114
	s_and_saveexec_b64 s[4:5], vcc
	s_cbranch_execz .LBB65_58
; %bb.57:
	v_div_scale_f32 v115, s[10:11], v114, v114, 1.0
	v_rcp_f32_e32 v116, v115
	v_div_scale_f32 v117, vcc, 1.0, v114, 1.0
	v_fma_f32 v118, -v115, v116, 1.0
	v_fmac_f32_e32 v116, v118, v116
	v_mul_f32_e32 v118, v117, v116
	v_fma_f32 v119, -v115, v118, v117
	v_fmac_f32_e32 v118, v119, v116
	v_fma_f32 v115, -v115, v118, v117
	v_div_fmas_f32 v115, v115, v116, v118
	v_div_fixup_f32 v114, v115, v114, 1.0
	ds_write_b32 v102, v114
.LBB65_58:
	s_or_b64 exec, exec, s[4:5]
.LBB65_59:
	s_or_b64 exec, exec, s[2:3]
	s_waitcnt lgkmcnt(0)
	s_barrier
	ds_read_b32 v114, v102
	v_cmp_lt_u32_e32 vcc, 10, v25
	s_and_saveexec_b64 s[2:3], vcc
	s_cbranch_execz .LBB65_61
; %bb.60:
	ds_read2_b32 v[116:117], v103 offset0:11 offset1:12
	ds_read2_b32 v[118:119], v103 offset0:13 offset1:14
	;; [unrolled: 1-line block ×3, first 2 shown]
	s_waitcnt vmcnt(22) lgkmcnt(3)
	v_mul_f32_e32 v122, v114, v47
	ds_read2_b32 v[124:125], v103 offset0:17 offset1:18
	s_waitcnt vmcnt(20) lgkmcnt(3)
	v_pk_fma_f32 v[50:51], v[122:123], v[116:117], v[50:51] op_sel_hi:[0,1,1] neg_lo:[1,0,0] neg_hi:[1,0,0]
	s_waitcnt vmcnt(18) lgkmcnt(2)
	v_pk_fma_f32 v[44:45], v[122:123], v[118:119], v[44:45] op_sel_hi:[0,1,1] neg_lo:[1,0,0] neg_hi:[1,0,0]
	ds_read2_b32 v[116:117], v103 offset0:19 offset1:20
	ds_read2_b32 v[118:119], v103 offset0:21 offset1:22
	s_waitcnt vmcnt(16) lgkmcnt(3)
	v_pk_fma_f32 v[48:49], v[122:123], v[120:121], v[48:49] op_sel_hi:[0,1,1] neg_lo:[1,0,0] neg_hi:[1,0,0]
	s_waitcnt vmcnt(14) lgkmcnt(2)
	v_pk_fma_f32 v[74:75], v[122:123], v[124:125], v[74:75] op_sel_hi:[0,1,1] neg_lo:[1,0,0] neg_hi:[1,0,0]
	ds_read2_b32 v[120:121], v103 offset0:23 offset1:24
	ds_read2_b32 v[124:125], v103 offset0:25 offset1:26
	s_waitcnt vmcnt(12) lgkmcnt(3)
	v_pk_fma_f32 v[68:69], v[122:123], v[116:117], v[68:69] op_sel_hi:[0,1,1] neg_lo:[1,0,0] neg_hi:[1,0,0]
	s_waitcnt vmcnt(10) lgkmcnt(2)
	v_pk_fma_f32 v[70:71], v[122:123], v[118:119], v[70:71] op_sel_hi:[0,1,1] neg_lo:[1,0,0] neg_hi:[1,0,0]
	ds_read2_b32 v[116:117], v103 offset0:27 offset1:28
	ds_read2_b32 v[118:119], v103 offset0:29 offset1:30
	ds_read2_b32 v[126:127], v103 offset0:31 offset1:32
	s_waitcnt vmcnt(8) lgkmcnt(4)
	v_pk_fma_f32 v[72:73], v[122:123], v[120:121], v[72:73] op_sel_hi:[0,1,1] neg_lo:[1,0,0] neg_hi:[1,0,0]
	s_waitcnt vmcnt(6) lgkmcnt(3)
	v_pk_fma_f32 v[92:93], v[122:123], v[124:125], v[92:93] op_sel_hi:[0,1,1] neg_lo:[1,0,0] neg_hi:[1,0,0]
	;; [unrolled: 2-line block ×5, first 2 shown]
	v_mov_b32_e32 v47, v122
.LBB65_61:
	s_or_b64 exec, exec, s[2:3]
	v_cmp_eq_u32_e32 vcc, 11, v25
	s_waitcnt lgkmcnt(0)
	s_barrier
	s_and_saveexec_b64 s[2:3], vcc
	s_cbranch_execz .LBB65_64
; %bb.62:
	s_waitcnt vmcnt(18)
	v_pk_mov_b32 v[116:117], v[50:51], v[44:45] op_sel:[1,0]
	ds_write_b32 v102, v50
	ds_write2_b32 v103, v116, v117 offset0:12 offset1:13
	s_waitcnt vmcnt(16)
	v_pk_mov_b32 v[116:117], v[44:45], v[48:49] op_sel:[1,0]
	ds_write2_b32 v103, v116, v117 offset0:14 offset1:15
	s_waitcnt vmcnt(14)
	v_pk_mov_b32 v[116:117], v[48:49], v[74:75] op_sel:[1,0]
	;; [unrolled: 3-line block ×9, first 2 shown]
	ds_write2_b32 v103, v116, v117 offset0:30 offset1:31
	ds_write_b32 v103, v99 offset:128
	ds_read_b32 v115, v102
	s_waitcnt lgkmcnt(0)
	v_cmp_neq_f32_e32 vcc, 0, v115
	s_and_b64 exec, exec, vcc
	s_cbranch_execz .LBB65_64
; %bb.63:
	v_div_scale_f32 v116, s[4:5], v115, v115, 1.0
	v_rcp_f32_e32 v117, v116
	v_div_scale_f32 v118, vcc, 1.0, v115, 1.0
	v_fma_f32 v119, -v116, v117, 1.0
	v_fmac_f32_e32 v117, v119, v117
	v_mul_f32_e32 v119, v118, v117
	v_fma_f32 v120, -v116, v119, v118
	v_fmac_f32_e32 v119, v120, v117
	v_fma_f32 v116, -v116, v119, v118
	v_div_fmas_f32 v116, v116, v117, v119
	v_div_fixup_f32 v115, v116, v115, 1.0
	ds_write_b32 v102, v115
.LBB65_64:
	s_or_b64 exec, exec, s[2:3]
	s_waitcnt lgkmcnt(0)
	s_barrier
	ds_read_b32 v115, v102
	v_cmp_lt_u32_e32 vcc, 11, v25
	s_and_saveexec_b64 s[2:3], vcc
	s_cbranch_execz .LBB65_66
; %bb.65:
	ds_read_b32 v122, v103 offset:48
	ds_read2_b32 v[116:117], v103 offset0:13 offset1:14
	ds_read2_b32 v[118:119], v103 offset0:15 offset1:16
	s_waitcnt vmcnt(21) lgkmcnt(3)
	v_mul_f32_e32 v50, v115, v50
	ds_read2_b32 v[120:121], v103 offset0:17 offset1:18
	s_waitcnt vmcnt(20) lgkmcnt(3)
	v_fma_f32 v51, -v50, v122, v51
	s_waitcnt vmcnt(18) lgkmcnt(2)
	v_pk_fma_f32 v[44:45], v[50:51], v[116:117], v[44:45] op_sel_hi:[0,1,1] neg_lo:[1,0,0] neg_hi:[1,0,0]
	s_waitcnt vmcnt(16) lgkmcnt(1)
	v_pk_fma_f32 v[48:49], v[50:51], v[118:119], v[48:49] op_sel_hi:[0,1,1] neg_lo:[1,0,0] neg_hi:[1,0,0]
	ds_read2_b32 v[116:117], v103 offset0:19 offset1:20
	ds_read2_b32 v[118:119], v103 offset0:21 offset1:22
	s_waitcnt vmcnt(14) lgkmcnt(2)
	v_pk_fma_f32 v[74:75], v[50:51], v[120:121], v[74:75] op_sel_hi:[0,1,1] neg_lo:[1,0,0] neg_hi:[1,0,0]
	ds_read2_b32 v[120:121], v103 offset0:23 offset1:24
	ds_read2_b32 v[122:123], v103 offset0:25 offset1:26
	s_waitcnt vmcnt(12) lgkmcnt(3)
	v_pk_fma_f32 v[68:69], v[50:51], v[116:117], v[68:69] op_sel_hi:[0,1,1] neg_lo:[1,0,0] neg_hi:[1,0,0]
	s_waitcnt vmcnt(10) lgkmcnt(2)
	v_pk_fma_f32 v[70:71], v[50:51], v[118:119], v[70:71] op_sel_hi:[0,1,1] neg_lo:[1,0,0] neg_hi:[1,0,0]
	ds_read2_b32 v[116:117], v103 offset0:27 offset1:28
	ds_read2_b32 v[118:119], v103 offset0:29 offset1:30
	;; [unrolled: 1-line block ×3, first 2 shown]
	s_waitcnt vmcnt(8) lgkmcnt(4)
	v_pk_fma_f32 v[72:73], v[50:51], v[120:121], v[72:73] op_sel_hi:[0,1,1] neg_lo:[1,0,0] neg_hi:[1,0,0]
	s_waitcnt vmcnt(6) lgkmcnt(3)
	v_pk_fma_f32 v[92:93], v[50:51], v[122:123], v[92:93] op_sel_hi:[0,1,1] neg_lo:[1,0,0] neg_hi:[1,0,0]
	;; [unrolled: 2-line block ×5, first 2 shown]
.LBB65_66:
	s_or_b64 exec, exec, s[2:3]
	v_cmp_ne_u32_e32 vcc, 12, v25
	s_waitcnt lgkmcnt(0)
	s_barrier
	s_and_saveexec_b64 s[2:3], vcc
	s_xor_b64 s[2:3], exec, s[2:3]
	s_andn2_saveexec_b64 s[2:3], s[2:3]
	s_cbranch_execz .LBB65_70
; %bb.67:
	s_waitcnt vmcnt(20)
	ds_write_b32 v102, v51
	s_waitcnt vmcnt(18)
	ds_write2_b32 v103, v44, v45 offset0:13 offset1:14
	s_waitcnt vmcnt(16)
	ds_write2_b32 v103, v48, v49 offset0:15 offset1:16
	;; [unrolled: 2-line block ×10, first 2 shown]
	ds_read_b32 v116, v102
	s_waitcnt lgkmcnt(0)
	v_cmp_neq_f32_e32 vcc, 0, v116
	s_and_saveexec_b64 s[4:5], vcc
	s_cbranch_execz .LBB65_69
; %bb.68:
	v_div_scale_f32 v117, s[10:11], v116, v116, 1.0
	v_rcp_f32_e32 v118, v117
	v_div_scale_f32 v119, vcc, 1.0, v116, 1.0
	v_fma_f32 v120, -v117, v118, 1.0
	v_fmac_f32_e32 v118, v120, v118
	v_mul_f32_e32 v120, v119, v118
	v_fma_f32 v121, -v117, v120, v119
	v_fmac_f32_e32 v120, v121, v118
	v_fma_f32 v117, -v117, v120, v119
	v_div_fmas_f32 v117, v117, v118, v120
	v_div_fixup_f32 v116, v117, v116, 1.0
	ds_write_b32 v102, v116
.LBB65_69:
	s_or_b64 exec, exec, s[4:5]
.LBB65_70:
	s_or_b64 exec, exec, s[2:3]
	s_waitcnt lgkmcnt(0)
	s_barrier
	ds_read_b32 v116, v102
	v_cmp_lt_u32_e32 vcc, 12, v25
	s_and_saveexec_b64 s[2:3], vcc
	s_cbranch_execz .LBB65_72
; %bb.71:
	ds_read2_b32 v[118:119], v103 offset0:13 offset1:14
	ds_read2_b32 v[120:121], v103 offset0:15 offset1:16
	;; [unrolled: 1-line block ×3, first 2 shown]
	s_waitcnt vmcnt(20) lgkmcnt(3)
	v_mul_f32_e32 v124, v116, v51
	ds_read2_b32 v[126:127], v103 offset0:19 offset1:20
	s_waitcnt vmcnt(18) lgkmcnt(3)
	v_pk_fma_f32 v[44:45], v[124:125], v[118:119], v[44:45] op_sel_hi:[0,1,1] neg_lo:[1,0,0] neg_hi:[1,0,0]
	ds_read2_b32 v[118:119], v103 offset0:21 offset1:22
	s_waitcnt vmcnt(16) lgkmcnt(3)
	v_pk_fma_f32 v[48:49], v[124:125], v[120:121], v[48:49] op_sel_hi:[0,1,1] neg_lo:[1,0,0] neg_hi:[1,0,0]
	s_waitcnt vmcnt(14) lgkmcnt(2)
	v_pk_fma_f32 v[74:75], v[124:125], v[122:123], v[74:75] op_sel_hi:[0,1,1] neg_lo:[1,0,0] neg_hi:[1,0,0]
	;; [unrolled: 2-line block ×3, first 2 shown]
	ds_read2_b32 v[120:121], v103 offset0:23 offset1:24
	ds_read2_b32 v[122:123], v103 offset0:25 offset1:26
	;; [unrolled: 1-line block ×3, first 2 shown]
	s_waitcnt vmcnt(10) lgkmcnt(3)
	v_pk_fma_f32 v[70:71], v[124:125], v[118:119], v[70:71] op_sel_hi:[0,1,1] neg_lo:[1,0,0] neg_hi:[1,0,0]
	ds_read2_b32 v[118:119], v103 offset0:29 offset1:30
	ds_read2_b32 v[128:129], v103 offset0:31 offset1:32
	s_waitcnt vmcnt(8) lgkmcnt(4)
	v_pk_fma_f32 v[72:73], v[124:125], v[120:121], v[72:73] op_sel_hi:[0,1,1] neg_lo:[1,0,0] neg_hi:[1,0,0]
	s_waitcnt vmcnt(6) lgkmcnt(3)
	v_pk_fma_f32 v[92:93], v[124:125], v[122:123], v[92:93] op_sel_hi:[0,1,1] neg_lo:[1,0,0] neg_hi:[1,0,0]
	;; [unrolled: 2-line block ×5, first 2 shown]
	v_mov_b32_e32 v51, v124
.LBB65_72:
	s_or_b64 exec, exec, s[2:3]
	v_cmp_eq_u32_e32 vcc, 13, v25
	s_waitcnt lgkmcnt(0)
	s_barrier
	s_and_saveexec_b64 s[2:3], vcc
	s_cbranch_execz .LBB65_75
; %bb.73:
	s_waitcnt vmcnt(16)
	v_pk_mov_b32 v[118:119], v[44:45], v[48:49] op_sel:[1,0]
	ds_write_b32 v102, v44
	ds_write2_b32 v103, v118, v119 offset0:14 offset1:15
	s_waitcnt vmcnt(14)
	v_pk_mov_b32 v[118:119], v[48:49], v[74:75] op_sel:[1,0]
	ds_write2_b32 v103, v118, v119 offset0:16 offset1:17
	s_waitcnt vmcnt(12)
	v_pk_mov_b32 v[118:119], v[74:75], v[68:69] op_sel:[1,0]
	;; [unrolled: 3-line block ×8, first 2 shown]
	ds_write2_b32 v103, v118, v119 offset0:30 offset1:31
	ds_write_b32 v103, v99 offset:128
	ds_read_b32 v117, v102
	s_waitcnt lgkmcnt(0)
	v_cmp_neq_f32_e32 vcc, 0, v117
	s_and_b64 exec, exec, vcc
	s_cbranch_execz .LBB65_75
; %bb.74:
	v_div_scale_f32 v118, s[4:5], v117, v117, 1.0
	v_rcp_f32_e32 v119, v118
	v_div_scale_f32 v120, vcc, 1.0, v117, 1.0
	v_fma_f32 v121, -v118, v119, 1.0
	v_fmac_f32_e32 v119, v121, v119
	v_mul_f32_e32 v121, v120, v119
	v_fma_f32 v122, -v118, v121, v120
	v_fmac_f32_e32 v121, v122, v119
	v_fma_f32 v118, -v118, v121, v120
	v_div_fmas_f32 v118, v118, v119, v121
	v_div_fixup_f32 v117, v118, v117, 1.0
	ds_write_b32 v102, v117
.LBB65_75:
	s_or_b64 exec, exec, s[2:3]
	s_waitcnt lgkmcnt(0)
	s_barrier
	ds_read_b32 v117, v102
	v_cmp_lt_u32_e32 vcc, 13, v25
	s_and_saveexec_b64 s[2:3], vcc
	s_cbranch_execz .LBB65_77
; %bb.76:
	ds_read_b32 v124, v103 offset:56
	ds_read2_b32 v[118:119], v103 offset0:15 offset1:16
	ds_read2_b32 v[120:121], v103 offset0:17 offset1:18
	s_waitcnt vmcnt(19) lgkmcnt(3)
	v_mul_f32_e32 v44, v117, v44
	ds_read2_b32 v[122:123], v103 offset0:19 offset1:20
	s_waitcnt vmcnt(18) lgkmcnt(3)
	v_fma_f32 v45, -v44, v124, v45
	s_waitcnt vmcnt(16) lgkmcnt(2)
	v_pk_fma_f32 v[48:49], v[44:45], v[118:119], v[48:49] op_sel_hi:[0,1,1] neg_lo:[1,0,0] neg_hi:[1,0,0]
	ds_read2_b32 v[118:119], v103 offset0:21 offset1:22
	s_waitcnt vmcnt(14) lgkmcnt(2)
	v_pk_fma_f32 v[74:75], v[44:45], v[120:121], v[74:75] op_sel_hi:[0,1,1] neg_lo:[1,0,0] neg_hi:[1,0,0]
	s_waitcnt vmcnt(12) lgkmcnt(1)
	v_pk_fma_f32 v[68:69], v[44:45], v[122:123], v[68:69] op_sel_hi:[0,1,1] neg_lo:[1,0,0] neg_hi:[1,0,0]
	ds_read2_b32 v[120:121], v103 offset0:23 offset1:24
	ds_read2_b32 v[122:123], v103 offset0:25 offset1:26
	;; [unrolled: 1-line block ×3, first 2 shown]
	s_waitcnt vmcnt(10) lgkmcnt(3)
	v_pk_fma_f32 v[70:71], v[44:45], v[118:119], v[70:71] op_sel_hi:[0,1,1] neg_lo:[1,0,0] neg_hi:[1,0,0]
	ds_read2_b32 v[118:119], v103 offset0:29 offset1:30
	ds_read2_b32 v[126:127], v103 offset0:31 offset1:32
	s_waitcnt vmcnt(8) lgkmcnt(4)
	v_pk_fma_f32 v[72:73], v[44:45], v[120:121], v[72:73] op_sel_hi:[0,1,1] neg_lo:[1,0,0] neg_hi:[1,0,0]
	s_waitcnt vmcnt(6) lgkmcnt(3)
	v_pk_fma_f32 v[92:93], v[44:45], v[122:123], v[92:93] op_sel_hi:[0,1,1] neg_lo:[1,0,0] neg_hi:[1,0,0]
	;; [unrolled: 2-line block ×5, first 2 shown]
.LBB65_77:
	s_or_b64 exec, exec, s[2:3]
	v_cmp_ne_u32_e32 vcc, 14, v25
	s_waitcnt lgkmcnt(0)
	s_barrier
	s_and_saveexec_b64 s[2:3], vcc
	s_xor_b64 s[2:3], exec, s[2:3]
	s_andn2_saveexec_b64 s[2:3], s[2:3]
	s_cbranch_execz .LBB65_81
; %bb.78:
	s_waitcnt vmcnt(18)
	ds_write_b32 v102, v45
	s_waitcnt vmcnt(16)
	ds_write2_b32 v103, v48, v49 offset0:15 offset1:16
	s_waitcnt vmcnt(14)
	ds_write2_b32 v103, v74, v75 offset0:17 offset1:18
	s_waitcnt vmcnt(12)
	ds_write2_b32 v103, v68, v69 offset0:19 offset1:20
	s_waitcnt vmcnt(10)
	ds_write2_b32 v103, v70, v71 offset0:21 offset1:22
	s_waitcnt vmcnt(8)
	ds_write2_b32 v103, v72, v73 offset0:23 offset1:24
	s_waitcnt vmcnt(6)
	ds_write2_b32 v103, v92, v93 offset0:25 offset1:26
	s_waitcnt vmcnt(4)
	ds_write2_b32 v103, v94, v95 offset0:27 offset1:28
	s_waitcnt vmcnt(2)
	ds_write2_b32 v103, v96, v97 offset0:29 offset1:30
	s_waitcnt vmcnt(0)
	ds_write2_b32 v103, v98, v99 offset0:31 offset1:32
	ds_read_b32 v118, v102
	s_waitcnt lgkmcnt(0)
	v_cmp_neq_f32_e32 vcc, 0, v118
	s_and_saveexec_b64 s[4:5], vcc
	s_cbranch_execz .LBB65_80
; %bb.79:
	v_div_scale_f32 v119, s[10:11], v118, v118, 1.0
	v_rcp_f32_e32 v120, v119
	v_div_scale_f32 v121, vcc, 1.0, v118, 1.0
	v_fma_f32 v122, -v119, v120, 1.0
	v_fmac_f32_e32 v120, v122, v120
	v_mul_f32_e32 v122, v121, v120
	v_fma_f32 v123, -v119, v122, v121
	v_fmac_f32_e32 v122, v123, v120
	v_fma_f32 v119, -v119, v122, v121
	v_div_fmas_f32 v119, v119, v120, v122
	v_div_fixup_f32 v118, v119, v118, 1.0
	ds_write_b32 v102, v118
.LBB65_80:
	s_or_b64 exec, exec, s[4:5]
.LBB65_81:
	s_or_b64 exec, exec, s[2:3]
	s_waitcnt lgkmcnt(0)
	s_barrier
	ds_read_b32 v118, v102
	v_cmp_lt_u32_e32 vcc, 14, v25
	s_and_saveexec_b64 s[2:3], vcc
	s_cbranch_execz .LBB65_83
; %bb.82:
	ds_read2_b32 v[122:123], v103 offset0:15 offset1:16
	s_waitcnt vmcnt(18) lgkmcnt(1)
	v_mul_f32_e32 v120, v118, v45
	v_mov_b32_e32 v45, v120
	s_waitcnt vmcnt(16) lgkmcnt(0)
	v_pk_fma_f32 v[48:49], v[120:121], v[122:123], v[48:49] op_sel_hi:[0,1,1] neg_lo:[1,0,0] neg_hi:[1,0,0]
	ds_read2_b32 v[122:123], v103 offset0:17 offset1:18
	s_waitcnt vmcnt(14) lgkmcnt(0)
	v_pk_fma_f32 v[74:75], v[120:121], v[122:123], v[74:75] op_sel_hi:[0,1,1] neg_lo:[1,0,0] neg_hi:[1,0,0]
	ds_read2_b32 v[122:123], v103 offset0:19 offset1:20
	;; [unrolled: 3-line block ×8, first 2 shown]
	s_waitcnt vmcnt(0) lgkmcnt(0)
	v_pk_fma_f32 v[98:99], v[120:121], v[122:123], v[98:99] op_sel_hi:[0,1,1] neg_lo:[1,0,0] neg_hi:[1,0,0]
.LBB65_83:
	s_or_b64 exec, exec, s[2:3]
	v_cmp_eq_u32_e32 vcc, 15, v25
	s_waitcnt lgkmcnt(0)
	s_barrier
	s_and_saveexec_b64 s[2:3], vcc
	s_cbranch_execz .LBB65_86
; %bb.84:
	s_waitcnt vmcnt(14)
	v_pk_mov_b32 v[120:121], v[48:49], v[74:75] op_sel:[1,0]
	ds_write_b32 v102, v48
	ds_write2_b32 v103, v120, v121 offset0:16 offset1:17
	s_waitcnt vmcnt(12)
	v_pk_mov_b32 v[120:121], v[74:75], v[68:69] op_sel:[1,0]
	ds_write2_b32 v103, v120, v121 offset0:18 offset1:19
	s_waitcnt vmcnt(10)
	v_pk_mov_b32 v[120:121], v[68:69], v[70:71] op_sel:[1,0]
	ds_write2_b32 v103, v120, v121 offset0:20 offset1:21
	s_waitcnt vmcnt(8)
	v_pk_mov_b32 v[120:121], v[70:71], v[72:73] op_sel:[1,0]
	ds_write2_b32 v103, v120, v121 offset0:22 offset1:23
	s_waitcnt vmcnt(6)
	v_pk_mov_b32 v[120:121], v[72:73], v[92:93] op_sel:[1,0]
	ds_write2_b32 v103, v120, v121 offset0:24 offset1:25
	s_waitcnt vmcnt(4)
	v_pk_mov_b32 v[120:121], v[92:93], v[94:95] op_sel:[1,0]
	ds_write2_b32 v103, v120, v121 offset0:26 offset1:27
	s_waitcnt vmcnt(2)
	v_pk_mov_b32 v[120:121], v[94:95], v[96:97] op_sel:[1,0]
	ds_write2_b32 v103, v120, v121 offset0:28 offset1:29
	s_waitcnt vmcnt(0)
	v_pk_mov_b32 v[120:121], v[96:97], v[98:99] op_sel:[1,0]
	ds_write2_b32 v103, v120, v121 offset0:30 offset1:31
	ds_write_b32 v103, v99 offset:128
	ds_read_b32 v119, v102
	s_waitcnt lgkmcnt(0)
	v_cmp_neq_f32_e32 vcc, 0, v119
	s_and_b64 exec, exec, vcc
	s_cbranch_execz .LBB65_86
; %bb.85:
	v_div_scale_f32 v120, s[4:5], v119, v119, 1.0
	v_rcp_f32_e32 v121, v120
	v_div_scale_f32 v122, vcc, 1.0, v119, 1.0
	v_fma_f32 v123, -v120, v121, 1.0
	v_fmac_f32_e32 v121, v123, v121
	v_mul_f32_e32 v123, v122, v121
	v_fma_f32 v124, -v120, v123, v122
	v_fmac_f32_e32 v123, v124, v121
	v_fma_f32 v120, -v120, v123, v122
	v_div_fmas_f32 v120, v120, v121, v123
	v_div_fixup_f32 v119, v120, v119, 1.0
	ds_write_b32 v102, v119
.LBB65_86:
	s_or_b64 exec, exec, s[2:3]
	s_waitcnt lgkmcnt(0)
	s_barrier
	ds_read_b32 v119, v102
	v_cmp_lt_u32_e32 vcc, 15, v25
	s_and_saveexec_b64 s[2:3], vcc
	s_cbranch_execz .LBB65_88
; %bb.87:
	ds_read_b32 v120, v103 offset:64
	s_waitcnt vmcnt(17) lgkmcnt(1)
	v_mul_f32_e32 v48, v119, v48
	s_waitcnt vmcnt(16) lgkmcnt(0)
	v_fma_f32 v49, -v48, v120, v49
	ds_read2_b32 v[120:121], v103 offset0:17 offset1:18
	s_waitcnt vmcnt(14) lgkmcnt(0)
	v_pk_fma_f32 v[74:75], v[48:49], v[120:121], v[74:75] op_sel_hi:[0,1,1] neg_lo:[1,0,0] neg_hi:[1,0,0]
	ds_read2_b32 v[120:121], v103 offset0:19 offset1:20
	s_waitcnt vmcnt(12) lgkmcnt(0)
	v_pk_fma_f32 v[68:69], v[48:49], v[120:121], v[68:69] op_sel_hi:[0,1,1] neg_lo:[1,0,0] neg_hi:[1,0,0]
	ds_read2_b32 v[120:121], v103 offset0:21 offset1:22
	s_waitcnt vmcnt(10) lgkmcnt(0)
	v_pk_fma_f32 v[70:71], v[48:49], v[120:121], v[70:71] op_sel_hi:[0,1,1] neg_lo:[1,0,0] neg_hi:[1,0,0]
	ds_read2_b32 v[120:121], v103 offset0:23 offset1:24
	s_waitcnt vmcnt(8) lgkmcnt(0)
	v_pk_fma_f32 v[72:73], v[48:49], v[120:121], v[72:73] op_sel_hi:[0,1,1] neg_lo:[1,0,0] neg_hi:[1,0,0]
	ds_read2_b32 v[120:121], v103 offset0:25 offset1:26
	s_waitcnt vmcnt(6) lgkmcnt(0)
	v_pk_fma_f32 v[92:93], v[48:49], v[120:121], v[92:93] op_sel_hi:[0,1,1] neg_lo:[1,0,0] neg_hi:[1,0,0]
	ds_read2_b32 v[120:121], v103 offset0:27 offset1:28
	s_waitcnt vmcnt(4) lgkmcnt(0)
	v_pk_fma_f32 v[94:95], v[48:49], v[120:121], v[94:95] op_sel_hi:[0,1,1] neg_lo:[1,0,0] neg_hi:[1,0,0]
	ds_read2_b32 v[120:121], v103 offset0:29 offset1:30
	s_waitcnt vmcnt(2) lgkmcnt(0)
	v_pk_fma_f32 v[96:97], v[48:49], v[120:121], v[96:97] op_sel_hi:[0,1,1] neg_lo:[1,0,0] neg_hi:[1,0,0]
	ds_read2_b32 v[120:121], v103 offset0:31 offset1:32
	s_waitcnt vmcnt(0) lgkmcnt(0)
	v_pk_fma_f32 v[98:99], v[48:49], v[120:121], v[98:99] op_sel_hi:[0,1,1] neg_lo:[1,0,0] neg_hi:[1,0,0]
.LBB65_88:
	s_or_b64 exec, exec, s[2:3]
	v_cmp_ne_u32_e32 vcc, 16, v25
	s_waitcnt lgkmcnt(0)
	s_barrier
	s_and_saveexec_b64 s[2:3], vcc
	s_xor_b64 s[2:3], exec, s[2:3]
	s_andn2_saveexec_b64 s[2:3], s[2:3]
	s_cbranch_execz .LBB65_92
; %bb.89:
	s_waitcnt vmcnt(16)
	ds_write_b32 v102, v49
	s_waitcnt vmcnt(14)
	ds_write2_b32 v103, v74, v75 offset0:17 offset1:18
	s_waitcnt vmcnt(12)
	ds_write2_b32 v103, v68, v69 offset0:19 offset1:20
	;; [unrolled: 2-line block ×8, first 2 shown]
	ds_read_b32 v120, v102
	s_waitcnt lgkmcnt(0)
	v_cmp_neq_f32_e32 vcc, 0, v120
	s_and_saveexec_b64 s[4:5], vcc
	s_cbranch_execz .LBB65_91
; %bb.90:
	v_div_scale_f32 v121, s[10:11], v120, v120, 1.0
	v_rcp_f32_e32 v122, v121
	v_div_scale_f32 v123, vcc, 1.0, v120, 1.0
	v_fma_f32 v124, -v121, v122, 1.0
	v_fmac_f32_e32 v122, v124, v122
	v_mul_f32_e32 v124, v123, v122
	v_fma_f32 v125, -v121, v124, v123
	v_fmac_f32_e32 v124, v125, v122
	v_fma_f32 v121, -v121, v124, v123
	v_div_fmas_f32 v121, v121, v122, v124
	v_div_fixup_f32 v120, v121, v120, 1.0
	ds_write_b32 v102, v120
.LBB65_91:
	s_or_b64 exec, exec, s[4:5]
.LBB65_92:
	s_or_b64 exec, exec, s[2:3]
	s_waitcnt lgkmcnt(0)
	s_barrier
	ds_read_b32 v120, v102
	v_cmp_lt_u32_e32 vcc, 16, v25
	s_and_saveexec_b64 s[2:3], vcc
	s_cbranch_execz .LBB65_94
; %bb.93:
	ds_read2_b32 v[124:125], v103 offset0:17 offset1:18
	s_waitcnt vmcnt(16) lgkmcnt(1)
	v_mul_f32_e32 v122, v120, v49
	v_mov_b32_e32 v49, v122
	s_waitcnt vmcnt(14) lgkmcnt(0)
	v_pk_fma_f32 v[74:75], v[122:123], v[124:125], v[74:75] op_sel_hi:[0,1,1] neg_lo:[1,0,0] neg_hi:[1,0,0]
	ds_read2_b32 v[124:125], v103 offset0:19 offset1:20
	s_waitcnt vmcnt(12) lgkmcnt(0)
	v_pk_fma_f32 v[68:69], v[122:123], v[124:125], v[68:69] op_sel_hi:[0,1,1] neg_lo:[1,0,0] neg_hi:[1,0,0]
	ds_read2_b32 v[124:125], v103 offset0:21 offset1:22
	;; [unrolled: 3-line block ×7, first 2 shown]
	s_waitcnt vmcnt(0) lgkmcnt(0)
	v_pk_fma_f32 v[98:99], v[122:123], v[124:125], v[98:99] op_sel_hi:[0,1,1] neg_lo:[1,0,0] neg_hi:[1,0,0]
.LBB65_94:
	s_or_b64 exec, exec, s[2:3]
	v_cmp_eq_u32_e32 vcc, 17, v25
	s_waitcnt lgkmcnt(0)
	s_barrier
	s_and_saveexec_b64 s[2:3], vcc
	s_cbranch_execz .LBB65_97
; %bb.95:
	s_waitcnt vmcnt(12)
	v_pk_mov_b32 v[122:123], v[74:75], v[68:69] op_sel:[1,0]
	ds_write_b32 v102, v74
	ds_write2_b32 v103, v122, v123 offset0:18 offset1:19
	s_waitcnt vmcnt(10)
	v_pk_mov_b32 v[122:123], v[68:69], v[70:71] op_sel:[1,0]
	ds_write2_b32 v103, v122, v123 offset0:20 offset1:21
	s_waitcnt vmcnt(8)
	v_pk_mov_b32 v[122:123], v[70:71], v[72:73] op_sel:[1,0]
	;; [unrolled: 3-line block ×6, first 2 shown]
	ds_write2_b32 v103, v122, v123 offset0:30 offset1:31
	ds_write_b32 v103, v99 offset:128
	ds_read_b32 v121, v102
	s_waitcnt lgkmcnt(0)
	v_cmp_neq_f32_e32 vcc, 0, v121
	s_and_b64 exec, exec, vcc
	s_cbranch_execz .LBB65_97
; %bb.96:
	v_div_scale_f32 v122, s[4:5], v121, v121, 1.0
	v_rcp_f32_e32 v123, v122
	v_div_scale_f32 v124, vcc, 1.0, v121, 1.0
	v_fma_f32 v125, -v122, v123, 1.0
	v_fmac_f32_e32 v123, v125, v123
	v_mul_f32_e32 v125, v124, v123
	v_fma_f32 v126, -v122, v125, v124
	v_fmac_f32_e32 v125, v126, v123
	v_fma_f32 v122, -v122, v125, v124
	v_div_fmas_f32 v122, v122, v123, v125
	v_div_fixup_f32 v121, v122, v121, 1.0
	ds_write_b32 v102, v121
.LBB65_97:
	s_or_b64 exec, exec, s[2:3]
	s_waitcnt lgkmcnt(0)
	s_barrier
	ds_read_b32 v121, v102
	v_cmp_lt_u32_e32 vcc, 17, v25
	s_and_saveexec_b64 s[2:3], vcc
	s_cbranch_execz .LBB65_99
; %bb.98:
	ds_read_b32 v122, v103 offset:72
	s_waitcnt vmcnt(15) lgkmcnt(1)
	v_mul_f32_e32 v74, v121, v74
	s_waitcnt vmcnt(14) lgkmcnt(0)
	v_fma_f32 v75, -v74, v122, v75
	ds_read2_b32 v[122:123], v103 offset0:19 offset1:20
	s_waitcnt vmcnt(12) lgkmcnt(0)
	v_pk_fma_f32 v[68:69], v[74:75], v[122:123], v[68:69] op_sel_hi:[0,1,1] neg_lo:[1,0,0] neg_hi:[1,0,0]
	ds_read2_b32 v[122:123], v103 offset0:21 offset1:22
	s_waitcnt vmcnt(10) lgkmcnt(0)
	v_pk_fma_f32 v[70:71], v[74:75], v[122:123], v[70:71] op_sel_hi:[0,1,1] neg_lo:[1,0,0] neg_hi:[1,0,0]
	;; [unrolled: 3-line block ×7, first 2 shown]
.LBB65_99:
	s_or_b64 exec, exec, s[2:3]
	v_cmp_ne_u32_e32 vcc, 18, v25
	s_waitcnt lgkmcnt(0)
	s_barrier
	s_and_saveexec_b64 s[2:3], vcc
	s_xor_b64 s[2:3], exec, s[2:3]
	s_andn2_saveexec_b64 s[2:3], s[2:3]
	s_cbranch_execz .LBB65_103
; %bb.100:
	s_waitcnt vmcnt(14)
	ds_write_b32 v102, v75
	s_waitcnt vmcnt(12)
	ds_write2_b32 v103, v68, v69 offset0:19 offset1:20
	s_waitcnt vmcnt(10)
	ds_write2_b32 v103, v70, v71 offset0:21 offset1:22
	;; [unrolled: 2-line block ×7, first 2 shown]
	ds_read_b32 v122, v102
	s_waitcnt lgkmcnt(0)
	v_cmp_neq_f32_e32 vcc, 0, v122
	s_and_saveexec_b64 s[4:5], vcc
	s_cbranch_execz .LBB65_102
; %bb.101:
	v_div_scale_f32 v123, s[10:11], v122, v122, 1.0
	v_rcp_f32_e32 v124, v123
	v_div_scale_f32 v125, vcc, 1.0, v122, 1.0
	v_fma_f32 v126, -v123, v124, 1.0
	v_fmac_f32_e32 v124, v126, v124
	v_mul_f32_e32 v126, v125, v124
	v_fma_f32 v127, -v123, v126, v125
	v_fmac_f32_e32 v126, v127, v124
	v_fma_f32 v123, -v123, v126, v125
	v_div_fmas_f32 v123, v123, v124, v126
	v_div_fixup_f32 v122, v123, v122, 1.0
	ds_write_b32 v102, v122
.LBB65_102:
	s_or_b64 exec, exec, s[4:5]
.LBB65_103:
	s_or_b64 exec, exec, s[2:3]
	s_waitcnt lgkmcnt(0)
	s_barrier
	ds_read_b32 v122, v102
	v_cmp_lt_u32_e32 vcc, 18, v25
	s_and_saveexec_b64 s[2:3], vcc
	s_cbranch_execz .LBB65_105
; %bb.104:
	ds_read2_b32 v[126:127], v103 offset0:19 offset1:20
	s_waitcnt vmcnt(14) lgkmcnt(1)
	v_mul_f32_e32 v124, v122, v75
	v_mov_b32_e32 v75, v124
	s_waitcnt vmcnt(12) lgkmcnt(0)
	v_pk_fma_f32 v[68:69], v[124:125], v[126:127], v[68:69] op_sel_hi:[0,1,1] neg_lo:[1,0,0] neg_hi:[1,0,0]
	ds_read2_b32 v[126:127], v103 offset0:21 offset1:22
	s_waitcnt vmcnt(10) lgkmcnt(0)
	v_pk_fma_f32 v[70:71], v[124:125], v[126:127], v[70:71] op_sel_hi:[0,1,1] neg_lo:[1,0,0] neg_hi:[1,0,0]
	ds_read2_b32 v[126:127], v103 offset0:23 offset1:24
	;; [unrolled: 3-line block ×6, first 2 shown]
	s_waitcnt vmcnt(0) lgkmcnt(0)
	v_pk_fma_f32 v[98:99], v[124:125], v[126:127], v[98:99] op_sel_hi:[0,1,1] neg_lo:[1,0,0] neg_hi:[1,0,0]
.LBB65_105:
	s_or_b64 exec, exec, s[2:3]
	v_cmp_eq_u32_e32 vcc, 19, v25
	s_waitcnt lgkmcnt(0)
	s_barrier
	s_and_saveexec_b64 s[2:3], vcc
	s_cbranch_execz .LBB65_108
; %bb.106:
	s_waitcnt vmcnt(10)
	v_pk_mov_b32 v[124:125], v[68:69], v[70:71] op_sel:[1,0]
	ds_write_b32 v102, v68
	ds_write2_b32 v103, v124, v125 offset0:20 offset1:21
	s_waitcnt vmcnt(8)
	v_pk_mov_b32 v[124:125], v[70:71], v[72:73] op_sel:[1,0]
	ds_write2_b32 v103, v124, v125 offset0:22 offset1:23
	s_waitcnt vmcnt(6)
	v_pk_mov_b32 v[124:125], v[72:73], v[92:93] op_sel:[1,0]
	;; [unrolled: 3-line block ×5, first 2 shown]
	ds_write2_b32 v103, v124, v125 offset0:30 offset1:31
	ds_write_b32 v103, v99 offset:128
	ds_read_b32 v123, v102
	s_waitcnt lgkmcnt(0)
	v_cmp_neq_f32_e32 vcc, 0, v123
	s_and_b64 exec, exec, vcc
	s_cbranch_execz .LBB65_108
; %bb.107:
	v_div_scale_f32 v124, s[4:5], v123, v123, 1.0
	v_rcp_f32_e32 v125, v124
	v_div_scale_f32 v126, vcc, 1.0, v123, 1.0
	v_fma_f32 v127, -v124, v125, 1.0
	v_fmac_f32_e32 v125, v127, v125
	v_mul_f32_e32 v127, v126, v125
	v_fma_f32 v128, -v124, v127, v126
	v_fmac_f32_e32 v127, v128, v125
	v_fma_f32 v124, -v124, v127, v126
	v_div_fmas_f32 v124, v124, v125, v127
	v_div_fixup_f32 v123, v124, v123, 1.0
	ds_write_b32 v102, v123
.LBB65_108:
	s_or_b64 exec, exec, s[2:3]
	s_waitcnt lgkmcnt(0)
	s_barrier
	ds_read_b32 v123, v102
	v_cmp_lt_u32_e32 vcc, 19, v25
	s_and_saveexec_b64 s[2:3], vcc
	s_cbranch_execz .LBB65_110
; %bb.109:
	ds_read_b32 v130, v103 offset:80
	ds_read2_b32 v[124:125], v103 offset0:21 offset1:22
	s_waitcnt vmcnt(13) lgkmcnt(2)
	v_mul_f32_e32 v68, v123, v68
	ds_read2_b32 v[126:127], v103 offset0:23 offset1:24
	ds_read2_b32 v[128:129], v103 offset0:25 offset1:26
	s_waitcnt vmcnt(12) lgkmcnt(3)
	v_fma_f32 v69, -v68, v130, v69
	s_waitcnt vmcnt(10) lgkmcnt(2)
	v_pk_fma_f32 v[70:71], v[68:69], v[124:125], v[70:71] op_sel_hi:[0,1,1] neg_lo:[1,0,0] neg_hi:[1,0,0]
	ds_read2_b32 v[124:125], v103 offset0:27 offset1:28
	ds_read2_b32 v[130:131], v103 offset0:29 offset1:30
	;; [unrolled: 1-line block ×3, first 2 shown]
	s_waitcnt vmcnt(8) lgkmcnt(4)
	v_pk_fma_f32 v[72:73], v[68:69], v[126:127], v[72:73] op_sel_hi:[0,1,1] neg_lo:[1,0,0] neg_hi:[1,0,0]
	s_waitcnt vmcnt(6) lgkmcnt(3)
	v_pk_fma_f32 v[92:93], v[68:69], v[128:129], v[92:93] op_sel_hi:[0,1,1] neg_lo:[1,0,0] neg_hi:[1,0,0]
	;; [unrolled: 2-line block ×5, first 2 shown]
.LBB65_110:
	s_or_b64 exec, exec, s[2:3]
	v_cmp_ne_u32_e32 vcc, 20, v25
	s_waitcnt lgkmcnt(0)
	s_barrier
	s_and_saveexec_b64 s[2:3], vcc
	s_xor_b64 s[2:3], exec, s[2:3]
	s_andn2_saveexec_b64 s[2:3], s[2:3]
	s_cbranch_execz .LBB65_114
; %bb.111:
	s_waitcnt vmcnt(12)
	ds_write_b32 v102, v69
	s_waitcnt vmcnt(10)
	ds_write2_b32 v103, v70, v71 offset0:21 offset1:22
	s_waitcnt vmcnt(8)
	ds_write2_b32 v103, v72, v73 offset0:23 offset1:24
	;; [unrolled: 2-line block ×6, first 2 shown]
	ds_read_b32 v124, v102
	s_waitcnt lgkmcnt(0)
	v_cmp_neq_f32_e32 vcc, 0, v124
	s_and_saveexec_b64 s[4:5], vcc
	s_cbranch_execz .LBB65_113
; %bb.112:
	v_div_scale_f32 v125, s[10:11], v124, v124, 1.0
	v_rcp_f32_e32 v126, v125
	v_div_scale_f32 v127, vcc, 1.0, v124, 1.0
	v_fma_f32 v128, -v125, v126, 1.0
	v_fmac_f32_e32 v126, v128, v126
	v_mul_f32_e32 v128, v127, v126
	v_fma_f32 v129, -v125, v128, v127
	v_fmac_f32_e32 v128, v129, v126
	v_fma_f32 v125, -v125, v128, v127
	v_div_fmas_f32 v125, v125, v126, v128
	v_div_fixup_f32 v124, v125, v124, 1.0
	ds_write_b32 v102, v124
.LBB65_113:
	s_or_b64 exec, exec, s[4:5]
.LBB65_114:
	s_or_b64 exec, exec, s[2:3]
	s_waitcnt lgkmcnt(0)
	s_barrier
	ds_read_b32 v124, v102
	v_cmp_lt_u32_e32 vcc, 20, v25
	s_and_saveexec_b64 s[2:3], vcc
	s_cbranch_execz .LBB65_116
; %bb.115:
	ds_read2_b32 v[126:127], v103 offset0:21 offset1:22
	s_waitcnt vmcnt(12) lgkmcnt(1)
	v_mul_f32_e32 v128, v124, v69
	ds_read2_b32 v[130:131], v103 offset0:23 offset1:24
	ds_read2_b32 v[132:133], v103 offset0:25 offset1:26
	;; [unrolled: 1-line block ×3, first 2 shown]
	v_mov_b32_e32 v69, v128
	s_waitcnt vmcnt(8) lgkmcnt(2)
	v_pk_fma_f32 v[72:73], v[128:129], v[130:131], v[72:73] op_sel_hi:[0,1,1] neg_lo:[1,0,0] neg_hi:[1,0,0]
	v_pk_fma_f32 v[70:71], v[128:129], v[126:127], v[70:71] op_sel_hi:[0,1,1] neg_lo:[1,0,0] neg_hi:[1,0,0]
	ds_read2_b32 v[126:127], v103 offset0:29 offset1:30
	ds_read2_b32 v[136:137], v103 offset0:31 offset1:32
	s_waitcnt vmcnt(6) lgkmcnt(3)
	v_pk_fma_f32 v[92:93], v[128:129], v[132:133], v[92:93] op_sel_hi:[0,1,1] neg_lo:[1,0,0] neg_hi:[1,0,0]
	s_waitcnt vmcnt(4) lgkmcnt(2)
	v_pk_fma_f32 v[94:95], v[128:129], v[134:135], v[94:95] op_sel_hi:[0,1,1] neg_lo:[1,0,0] neg_hi:[1,0,0]
	;; [unrolled: 2-line block ×4, first 2 shown]
.LBB65_116:
	s_or_b64 exec, exec, s[2:3]
	v_cmp_eq_u32_e32 vcc, 21, v25
	s_waitcnt lgkmcnt(0)
	s_barrier
	s_and_saveexec_b64 s[2:3], vcc
	s_cbranch_execz .LBB65_119
; %bb.117:
	s_waitcnt vmcnt(8)
	v_pk_mov_b32 v[126:127], v[70:71], v[72:73] op_sel:[1,0]
	ds_write_b32 v102, v70
	ds_write2_b32 v103, v126, v127 offset0:22 offset1:23
	s_waitcnt vmcnt(6)
	v_pk_mov_b32 v[126:127], v[72:73], v[92:93] op_sel:[1,0]
	ds_write2_b32 v103, v126, v127 offset0:24 offset1:25
	s_waitcnt vmcnt(4)
	v_pk_mov_b32 v[126:127], v[92:93], v[94:95] op_sel:[1,0]
	;; [unrolled: 3-line block ×4, first 2 shown]
	ds_write2_b32 v103, v126, v127 offset0:30 offset1:31
	ds_write_b32 v103, v99 offset:128
	ds_read_b32 v125, v102
	s_waitcnt lgkmcnt(0)
	v_cmp_neq_f32_e32 vcc, 0, v125
	s_and_b64 exec, exec, vcc
	s_cbranch_execz .LBB65_119
; %bb.118:
	v_div_scale_f32 v126, s[4:5], v125, v125, 1.0
	v_rcp_f32_e32 v127, v126
	v_div_scale_f32 v128, vcc, 1.0, v125, 1.0
	v_fma_f32 v129, -v126, v127, 1.0
	v_fmac_f32_e32 v127, v129, v127
	v_mul_f32_e32 v129, v128, v127
	v_fma_f32 v130, -v126, v129, v128
	v_fmac_f32_e32 v129, v130, v127
	v_fma_f32 v126, -v126, v129, v128
	v_div_fmas_f32 v126, v126, v127, v129
	v_div_fixup_f32 v125, v126, v125, 1.0
	ds_write_b32 v102, v125
.LBB65_119:
	s_or_b64 exec, exec, s[2:3]
	s_waitcnt lgkmcnt(0)
	s_barrier
	ds_read_b32 v125, v102
	v_cmp_lt_u32_e32 vcc, 21, v25
	s_and_saveexec_b64 s[2:3], vcc
	s_cbranch_execz .LBB65_121
; %bb.120:
	ds_read_b32 v132, v103 offset:88
	s_waitcnt vmcnt(11) lgkmcnt(1)
	v_mul_f32_e32 v70, v125, v70
	ds_read2_b32 v[126:127], v103 offset0:23 offset1:24
	ds_read2_b32 v[128:129], v103 offset0:25 offset1:26
	ds_read2_b32 v[130:131], v103 offset0:27 offset1:28
	s_waitcnt vmcnt(10) lgkmcnt(3)
	v_fma_f32 v71, -v70, v132, v71
	ds_read2_b32 v[132:133], v103 offset0:29 offset1:30
	ds_read2_b32 v[134:135], v103 offset0:31 offset1:32
	s_waitcnt vmcnt(8) lgkmcnt(4)
	v_pk_fma_f32 v[72:73], v[70:71], v[126:127], v[72:73] op_sel_hi:[0,1,1] neg_lo:[1,0,0] neg_hi:[1,0,0]
	s_waitcnt vmcnt(6) lgkmcnt(3)
	v_pk_fma_f32 v[92:93], v[70:71], v[128:129], v[92:93] op_sel_hi:[0,1,1] neg_lo:[1,0,0] neg_hi:[1,0,0]
	;; [unrolled: 2-line block ×5, first 2 shown]
.LBB65_121:
	s_or_b64 exec, exec, s[2:3]
	v_cmp_ne_u32_e32 vcc, 22, v25
	s_waitcnt lgkmcnt(0)
	s_barrier
	s_and_saveexec_b64 s[2:3], vcc
	s_xor_b64 s[2:3], exec, s[2:3]
	s_andn2_saveexec_b64 s[2:3], s[2:3]
	s_cbranch_execz .LBB65_125
; %bb.122:
	s_waitcnt vmcnt(10)
	ds_write_b32 v102, v71
	s_waitcnt vmcnt(8)
	ds_write2_b32 v103, v72, v73 offset0:23 offset1:24
	s_waitcnt vmcnt(6)
	ds_write2_b32 v103, v92, v93 offset0:25 offset1:26
	;; [unrolled: 2-line block ×5, first 2 shown]
	ds_read_b32 v126, v102
	s_waitcnt lgkmcnt(0)
	v_cmp_neq_f32_e32 vcc, 0, v126
	s_and_saveexec_b64 s[4:5], vcc
	s_cbranch_execz .LBB65_124
; %bb.123:
	v_div_scale_f32 v127, s[10:11], v126, v126, 1.0
	v_rcp_f32_e32 v128, v127
	v_div_scale_f32 v129, vcc, 1.0, v126, 1.0
	v_fma_f32 v130, -v127, v128, 1.0
	v_fmac_f32_e32 v128, v130, v128
	v_mul_f32_e32 v130, v129, v128
	v_fma_f32 v131, -v127, v130, v129
	v_fmac_f32_e32 v130, v131, v128
	v_fma_f32 v127, -v127, v130, v129
	v_div_fmas_f32 v127, v127, v128, v130
	v_div_fixup_f32 v126, v127, v126, 1.0
	ds_write_b32 v102, v126
.LBB65_124:
	s_or_b64 exec, exec, s[4:5]
.LBB65_125:
	s_or_b64 exec, exec, s[2:3]
	s_waitcnt lgkmcnt(0)
	s_barrier
	ds_read_b32 v126, v102
	v_cmp_lt_u32_e32 vcc, 22, v25
	s_and_saveexec_b64 s[2:3], vcc
	s_cbranch_execz .LBB65_127
; %bb.126:
	ds_read2_b32 v[130:131], v103 offset0:23 offset1:24
	ds_read2_b32 v[132:133], v103 offset0:25 offset1:26
	;; [unrolled: 1-line block ×5, first 2 shown]
	s_waitcnt vmcnt(10) lgkmcnt(5)
	v_mul_f32_e32 v128, v126, v71
	s_waitcnt vmcnt(8) lgkmcnt(4)
	v_pk_fma_f32 v[72:73], v[128:129], v[130:131], v[72:73] op_sel_hi:[0,1,1] neg_lo:[1,0,0] neg_hi:[1,0,0]
	s_waitcnt vmcnt(6) lgkmcnt(3)
	v_pk_fma_f32 v[92:93], v[128:129], v[132:133], v[92:93] op_sel_hi:[0,1,1] neg_lo:[1,0,0] neg_hi:[1,0,0]
	;; [unrolled: 2-line block ×5, first 2 shown]
	v_mov_b32_e32 v71, v128
.LBB65_127:
	s_or_b64 exec, exec, s[2:3]
	v_cmp_eq_u32_e32 vcc, 23, v25
	s_waitcnt lgkmcnt(0)
	s_barrier
	s_and_saveexec_b64 s[2:3], vcc
	s_cbranch_execz .LBB65_130
; %bb.128:
	s_waitcnt vmcnt(6)
	v_pk_mov_b32 v[128:129], v[72:73], v[92:93] op_sel:[1,0]
	ds_write_b32 v102, v72
	ds_write2_b32 v103, v128, v129 offset0:24 offset1:25
	s_waitcnt vmcnt(4)
	v_pk_mov_b32 v[128:129], v[92:93], v[94:95] op_sel:[1,0]
	ds_write2_b32 v103, v128, v129 offset0:26 offset1:27
	s_waitcnt vmcnt(2)
	v_pk_mov_b32 v[128:129], v[94:95], v[96:97] op_sel:[1,0]
	;; [unrolled: 3-line block ×3, first 2 shown]
	ds_write2_b32 v103, v128, v129 offset0:30 offset1:31
	ds_write_b32 v103, v99 offset:128
	ds_read_b32 v127, v102
	s_waitcnt lgkmcnt(0)
	v_cmp_neq_f32_e32 vcc, 0, v127
	s_and_b64 exec, exec, vcc
	s_cbranch_execz .LBB65_130
; %bb.129:
	v_div_scale_f32 v128, s[4:5], v127, v127, 1.0
	v_rcp_f32_e32 v129, v128
	v_div_scale_f32 v130, vcc, 1.0, v127, 1.0
	v_fma_f32 v131, -v128, v129, 1.0
	v_fmac_f32_e32 v129, v131, v129
	v_mul_f32_e32 v131, v130, v129
	v_fma_f32 v132, -v128, v131, v130
	v_fmac_f32_e32 v131, v132, v129
	v_fma_f32 v128, -v128, v131, v130
	v_div_fmas_f32 v128, v128, v129, v131
	v_div_fixup_f32 v127, v128, v127, 1.0
	ds_write_b32 v102, v127
.LBB65_130:
	s_or_b64 exec, exec, s[2:3]
	s_waitcnt lgkmcnt(0)
	s_barrier
	ds_read_b32 v127, v102
	v_cmp_lt_u32_e32 vcc, 23, v25
	s_and_saveexec_b64 s[2:3], vcc
	s_cbranch_execz .LBB65_132
; %bb.131:
	ds_read_b32 v136, v103 offset:96
	ds_read2_b32 v[128:129], v103 offset0:25 offset1:26
	ds_read2_b32 v[130:131], v103 offset0:27 offset1:28
	ds_read2_b32 v[132:133], v103 offset0:29 offset1:30
	ds_read2_b32 v[134:135], v103 offset0:31 offset1:32
	s_waitcnt vmcnt(9) lgkmcnt(5)
	v_mul_f32_e32 v72, v127, v72
	s_waitcnt vmcnt(8) lgkmcnt(4)
	v_fma_f32 v73, -v72, v136, v73
	s_waitcnt vmcnt(6) lgkmcnt(3)
	v_pk_fma_f32 v[92:93], v[72:73], v[128:129], v[92:93] op_sel_hi:[0,1,1] neg_lo:[1,0,0] neg_hi:[1,0,0]
	s_waitcnt vmcnt(4) lgkmcnt(2)
	v_pk_fma_f32 v[94:95], v[72:73], v[130:131], v[94:95] op_sel_hi:[0,1,1] neg_lo:[1,0,0] neg_hi:[1,0,0]
	;; [unrolled: 2-line block ×4, first 2 shown]
.LBB65_132:
	s_or_b64 exec, exec, s[2:3]
	v_cmp_ne_u32_e32 vcc, 24, v25
	s_waitcnt lgkmcnt(0)
	s_barrier
	s_and_saveexec_b64 s[2:3], vcc
	s_xor_b64 s[2:3], exec, s[2:3]
	s_andn2_saveexec_b64 s[2:3], s[2:3]
	s_cbranch_execz .LBB65_136
; %bb.133:
	s_waitcnt vmcnt(8)
	ds_write_b32 v102, v73
	s_waitcnt vmcnt(6)
	ds_write2_b32 v103, v92, v93 offset0:25 offset1:26
	s_waitcnt vmcnt(4)
	ds_write2_b32 v103, v94, v95 offset0:27 offset1:28
	;; [unrolled: 2-line block ×4, first 2 shown]
	ds_read_b32 v128, v102
	s_waitcnt lgkmcnt(0)
	v_cmp_neq_f32_e32 vcc, 0, v128
	s_and_saveexec_b64 s[4:5], vcc
	s_cbranch_execz .LBB65_135
; %bb.134:
	v_div_scale_f32 v129, s[10:11], v128, v128, 1.0
	v_rcp_f32_e32 v130, v129
	v_div_scale_f32 v131, vcc, 1.0, v128, 1.0
	v_fma_f32 v132, -v129, v130, 1.0
	v_fmac_f32_e32 v130, v132, v130
	v_mul_f32_e32 v132, v131, v130
	v_fma_f32 v133, -v129, v132, v131
	v_fmac_f32_e32 v132, v133, v130
	v_fma_f32 v129, -v129, v132, v131
	v_div_fmas_f32 v129, v129, v130, v132
	v_div_fixup_f32 v128, v129, v128, 1.0
	ds_write_b32 v102, v128
.LBB65_135:
	s_or_b64 exec, exec, s[4:5]
.LBB65_136:
	s_or_b64 exec, exec, s[2:3]
	s_waitcnt lgkmcnt(0)
	s_barrier
	ds_read_b32 v128, v102
	v_cmp_lt_u32_e32 vcc, 24, v25
	s_and_saveexec_b64 s[2:3], vcc
	s_cbranch_execz .LBB65_138
; %bb.137:
	ds_read2_b32 v[130:131], v103 offset0:25 offset1:26
	ds_read2_b32 v[132:133], v103 offset0:27 offset1:28
	;; [unrolled: 1-line block ×4, first 2 shown]
	s_waitcnt vmcnt(8) lgkmcnt(4)
	v_mul_f32_e32 v138, v128, v73
	s_waitcnt vmcnt(6) lgkmcnt(3)
	v_pk_fma_f32 v[92:93], v[138:139], v[130:131], v[92:93] op_sel_hi:[0,1,1] neg_lo:[1,0,0] neg_hi:[1,0,0]
	s_waitcnt vmcnt(4) lgkmcnt(2)
	v_pk_fma_f32 v[94:95], v[138:139], v[132:133], v[94:95] op_sel_hi:[0,1,1] neg_lo:[1,0,0] neg_hi:[1,0,0]
	;; [unrolled: 2-line block ×4, first 2 shown]
	v_mov_b32_e32 v73, v138
.LBB65_138:
	s_or_b64 exec, exec, s[2:3]
	v_cmp_eq_u32_e32 vcc, 25, v25
	s_waitcnt lgkmcnt(0)
	s_barrier
	s_and_saveexec_b64 s[2:3], vcc
	s_cbranch_execz .LBB65_141
; %bb.139:
	s_waitcnt vmcnt(4)
	v_pk_mov_b32 v[130:131], v[92:93], v[94:95] op_sel:[1,0]
	ds_write_b32 v102, v92
	ds_write2_b32 v103, v130, v131 offset0:26 offset1:27
	s_waitcnt vmcnt(2)
	v_pk_mov_b32 v[130:131], v[94:95], v[96:97] op_sel:[1,0]
	ds_write2_b32 v103, v130, v131 offset0:28 offset1:29
	s_waitcnt vmcnt(0)
	v_pk_mov_b32 v[130:131], v[96:97], v[98:99] op_sel:[1,0]
	ds_write2_b32 v103, v130, v131 offset0:30 offset1:31
	ds_write_b32 v103, v99 offset:128
	ds_read_b32 v129, v102
	s_waitcnt lgkmcnt(0)
	v_cmp_neq_f32_e32 vcc, 0, v129
	s_and_b64 exec, exec, vcc
	s_cbranch_execz .LBB65_141
; %bb.140:
	v_div_scale_f32 v130, s[4:5], v129, v129, 1.0
	v_rcp_f32_e32 v131, v130
	v_div_scale_f32 v132, vcc, 1.0, v129, 1.0
	v_fma_f32 v133, -v130, v131, 1.0
	v_fmac_f32_e32 v131, v133, v131
	v_mul_f32_e32 v133, v132, v131
	v_fma_f32 v134, -v130, v133, v132
	v_fmac_f32_e32 v133, v134, v131
	v_fma_f32 v130, -v130, v133, v132
	v_div_fmas_f32 v130, v130, v131, v133
	v_div_fixup_f32 v129, v130, v129, 1.0
	ds_write_b32 v102, v129
.LBB65_141:
	s_or_b64 exec, exec, s[2:3]
	s_waitcnt lgkmcnt(0)
	s_barrier
	ds_read_b32 v129, v102
	v_cmp_lt_u32_e32 vcc, 25, v25
	s_and_saveexec_b64 s[2:3], vcc
	s_cbranch_execz .LBB65_143
; %bb.142:
	ds_read_b32 v136, v103 offset:104
	ds_read2_b32 v[130:131], v103 offset0:27 offset1:28
	ds_read2_b32 v[132:133], v103 offset0:29 offset1:30
	ds_read2_b32 v[134:135], v103 offset0:31 offset1:32
	s_waitcnt vmcnt(7) lgkmcnt(4)
	v_mul_f32_e32 v92, v129, v92
	s_waitcnt vmcnt(6) lgkmcnt(3)
	v_fma_f32 v93, -v92, v136, v93
	s_waitcnt vmcnt(4) lgkmcnt(2)
	v_pk_fma_f32 v[94:95], v[92:93], v[130:131], v[94:95] op_sel_hi:[0,1,1] neg_lo:[1,0,0] neg_hi:[1,0,0]
	s_waitcnt vmcnt(2) lgkmcnt(1)
	v_pk_fma_f32 v[96:97], v[92:93], v[132:133], v[96:97] op_sel_hi:[0,1,1] neg_lo:[1,0,0] neg_hi:[1,0,0]
	;; [unrolled: 2-line block ×3, first 2 shown]
.LBB65_143:
	s_or_b64 exec, exec, s[2:3]
	v_cmp_ne_u32_e32 vcc, 26, v25
	s_waitcnt lgkmcnt(0)
	s_barrier
	s_and_saveexec_b64 s[2:3], vcc
	s_xor_b64 s[2:3], exec, s[2:3]
	s_andn2_saveexec_b64 s[2:3], s[2:3]
	s_cbranch_execz .LBB65_147
; %bb.144:
	s_waitcnt vmcnt(6)
	ds_write_b32 v102, v93
	s_waitcnt vmcnt(4)
	ds_write2_b32 v103, v94, v95 offset0:27 offset1:28
	s_waitcnt vmcnt(2)
	ds_write2_b32 v103, v96, v97 offset0:29 offset1:30
	;; [unrolled: 2-line block ×3, first 2 shown]
	ds_read_b32 v130, v102
	s_waitcnt lgkmcnt(0)
	v_cmp_neq_f32_e32 vcc, 0, v130
	s_and_saveexec_b64 s[4:5], vcc
	s_cbranch_execz .LBB65_146
; %bb.145:
	v_div_scale_f32 v131, s[10:11], v130, v130, 1.0
	v_rcp_f32_e32 v132, v131
	v_div_scale_f32 v133, vcc, 1.0, v130, 1.0
	v_fma_f32 v134, -v131, v132, 1.0
	v_fmac_f32_e32 v132, v134, v132
	v_mul_f32_e32 v134, v133, v132
	v_fma_f32 v135, -v131, v134, v133
	v_fmac_f32_e32 v134, v135, v132
	v_fma_f32 v131, -v131, v134, v133
	v_div_fmas_f32 v131, v131, v132, v134
	v_div_fixup_f32 v130, v131, v130, 1.0
	ds_write_b32 v102, v130
.LBB65_146:
	s_or_b64 exec, exec, s[4:5]
.LBB65_147:
	s_or_b64 exec, exec, s[2:3]
	s_waitcnt lgkmcnt(0)
	s_barrier
	ds_read_b32 v130, v102
	v_cmp_lt_u32_e32 vcc, 26, v25
	s_and_saveexec_b64 s[2:3], vcc
	s_cbranch_execz .LBB65_149
; %bb.148:
	ds_read2_b32 v[132:133], v103 offset0:27 offset1:28
	ds_read2_b32 v[134:135], v103 offset0:29 offset1:30
	;; [unrolled: 1-line block ×3, first 2 shown]
	s_waitcnt vmcnt(6) lgkmcnt(3)
	v_mul_f32_e32 v138, v130, v93
	v_mov_b32_e32 v93, v138
	s_waitcnt vmcnt(4) lgkmcnt(2)
	v_pk_fma_f32 v[94:95], v[138:139], v[132:133], v[94:95] op_sel_hi:[0,1,1] neg_lo:[1,0,0] neg_hi:[1,0,0]
	s_waitcnt vmcnt(2) lgkmcnt(1)
	v_pk_fma_f32 v[96:97], v[138:139], v[134:135], v[96:97] op_sel_hi:[0,1,1] neg_lo:[1,0,0] neg_hi:[1,0,0]
	;; [unrolled: 2-line block ×3, first 2 shown]
.LBB65_149:
	s_or_b64 exec, exec, s[2:3]
	v_cmp_eq_u32_e32 vcc, 27, v25
	s_waitcnt lgkmcnt(0)
	s_barrier
	s_and_saveexec_b64 s[2:3], vcc
	s_cbranch_execz .LBB65_152
; %bb.150:
	s_waitcnt vmcnt(2)
	v_pk_mov_b32 v[132:133], v[94:95], v[96:97] op_sel:[1,0]
	ds_write_b32 v102, v94
	ds_write2_b32 v103, v132, v133 offset0:28 offset1:29
	s_waitcnt vmcnt(0)
	v_pk_mov_b32 v[132:133], v[96:97], v[98:99] op_sel:[1,0]
	ds_write2_b32 v103, v132, v133 offset0:30 offset1:31
	ds_write_b32 v103, v99 offset:128
	ds_read_b32 v131, v102
	s_waitcnt lgkmcnt(0)
	v_cmp_neq_f32_e32 vcc, 0, v131
	s_and_b64 exec, exec, vcc
	s_cbranch_execz .LBB65_152
; %bb.151:
	v_div_scale_f32 v132, s[4:5], v131, v131, 1.0
	v_rcp_f32_e32 v133, v132
	v_div_scale_f32 v134, vcc, 1.0, v131, 1.0
	v_fma_f32 v135, -v132, v133, 1.0
	v_fmac_f32_e32 v133, v135, v133
	v_mul_f32_e32 v135, v134, v133
	v_fma_f32 v136, -v132, v135, v134
	v_fmac_f32_e32 v135, v136, v133
	v_fma_f32 v132, -v132, v135, v134
	v_div_fmas_f32 v132, v132, v133, v135
	v_div_fixup_f32 v131, v132, v131, 1.0
	ds_write_b32 v102, v131
.LBB65_152:
	s_or_b64 exec, exec, s[2:3]
	s_waitcnt lgkmcnt(0)
	s_barrier
	ds_read_b32 v131, v102
	v_cmp_lt_u32_e32 vcc, 27, v25
	s_and_saveexec_b64 s[2:3], vcc
	s_cbranch_execz .LBB65_154
; %bb.153:
	ds_read_b32 v136, v103 offset:112
	ds_read2_b32 v[132:133], v103 offset0:29 offset1:30
	ds_read2_b32 v[134:135], v103 offset0:31 offset1:32
	s_waitcnt vmcnt(5) lgkmcnt(3)
	v_mul_f32_e32 v94, v131, v94
	s_waitcnt vmcnt(4) lgkmcnt(2)
	v_fma_f32 v95, -v94, v136, v95
	s_waitcnt vmcnt(2) lgkmcnt(1)
	v_pk_fma_f32 v[96:97], v[94:95], v[132:133], v[96:97] op_sel_hi:[0,1,1] neg_lo:[1,0,0] neg_hi:[1,0,0]
	s_waitcnt vmcnt(0) lgkmcnt(0)
	v_pk_fma_f32 v[98:99], v[94:95], v[134:135], v[98:99] op_sel_hi:[0,1,1] neg_lo:[1,0,0] neg_hi:[1,0,0]
.LBB65_154:
	s_or_b64 exec, exec, s[2:3]
	v_cmp_ne_u32_e32 vcc, 28, v25
	s_waitcnt lgkmcnt(0)
	s_barrier
	s_and_saveexec_b64 s[2:3], vcc
	s_xor_b64 s[2:3], exec, s[2:3]
	s_andn2_saveexec_b64 s[2:3], s[2:3]
	s_cbranch_execz .LBB65_158
; %bb.155:
	s_waitcnt vmcnt(4)
	ds_write_b32 v102, v95
	s_waitcnt vmcnt(2)
	ds_write2_b32 v103, v96, v97 offset0:29 offset1:30
	s_waitcnt vmcnt(0)
	ds_write2_b32 v103, v98, v99 offset0:31 offset1:32
	ds_read_b32 v132, v102
	s_waitcnt lgkmcnt(0)
	v_cmp_neq_f32_e32 vcc, 0, v132
	s_and_saveexec_b64 s[4:5], vcc
	s_cbranch_execz .LBB65_157
; %bb.156:
	v_div_scale_f32 v133, s[10:11], v132, v132, 1.0
	v_rcp_f32_e32 v134, v133
	v_div_scale_f32 v135, vcc, 1.0, v132, 1.0
	v_fma_f32 v136, -v133, v134, 1.0
	v_fmac_f32_e32 v134, v136, v134
	v_mul_f32_e32 v136, v135, v134
	v_fma_f32 v137, -v133, v136, v135
	v_fmac_f32_e32 v136, v137, v134
	v_fma_f32 v133, -v133, v136, v135
	v_div_fmas_f32 v133, v133, v134, v136
	v_div_fixup_f32 v132, v133, v132, 1.0
	ds_write_b32 v102, v132
.LBB65_157:
	s_or_b64 exec, exec, s[4:5]
.LBB65_158:
	s_or_b64 exec, exec, s[2:3]
	s_waitcnt lgkmcnt(0)
	s_barrier
	ds_read_b32 v132, v102
	v_cmp_lt_u32_e32 vcc, 28, v25
	s_and_saveexec_b64 s[2:3], vcc
	s_cbranch_execz .LBB65_160
; %bb.159:
	ds_read2_b32 v[134:135], v103 offset0:29 offset1:30
	ds_read2_b32 v[136:137], v103 offset0:31 offset1:32
	s_waitcnt vmcnt(4) lgkmcnt(2)
	v_mul_f32_e32 v138, v132, v95
	v_mov_b32_e32 v95, v138
	s_waitcnt vmcnt(2) lgkmcnt(1)
	v_pk_fma_f32 v[96:97], v[138:139], v[134:135], v[96:97] op_sel_hi:[0,1,1] neg_lo:[1,0,0] neg_hi:[1,0,0]
	s_waitcnt vmcnt(0) lgkmcnt(0)
	v_pk_fma_f32 v[98:99], v[138:139], v[136:137], v[98:99] op_sel_hi:[0,1,1] neg_lo:[1,0,0] neg_hi:[1,0,0]
.LBB65_160:
	s_or_b64 exec, exec, s[2:3]
	v_cmp_eq_u32_e32 vcc, 29, v25
	s_waitcnt lgkmcnt(0)
	s_barrier
	s_and_saveexec_b64 s[2:3], vcc
	s_cbranch_execz .LBB65_163
; %bb.161:
	s_waitcnt vmcnt(0)
	v_pk_mov_b32 v[134:135], v[96:97], v[98:99] op_sel:[1,0]
	ds_write_b32 v102, v96
	ds_write2_b32 v103, v134, v135 offset0:30 offset1:31
	ds_write_b32 v103, v99 offset:128
	ds_read_b32 v133, v102
	s_waitcnt lgkmcnt(0)
	v_cmp_neq_f32_e32 vcc, 0, v133
	s_and_b64 exec, exec, vcc
	s_cbranch_execz .LBB65_163
; %bb.162:
	v_div_scale_f32 v134, s[4:5], v133, v133, 1.0
	v_rcp_f32_e32 v135, v134
	v_div_scale_f32 v136, vcc, 1.0, v133, 1.0
	v_fma_f32 v137, -v134, v135, 1.0
	v_fmac_f32_e32 v135, v137, v135
	v_mul_f32_e32 v137, v136, v135
	v_fma_f32 v138, -v134, v137, v136
	v_fmac_f32_e32 v137, v138, v135
	v_fma_f32 v134, -v134, v137, v136
	v_div_fmas_f32 v134, v134, v135, v137
	v_div_fixup_f32 v133, v134, v133, 1.0
	ds_write_b32 v102, v133
.LBB65_163:
	s_or_b64 exec, exec, s[2:3]
	s_waitcnt lgkmcnt(0)
	s_barrier
	ds_read_b32 v133, v102
	v_cmp_lt_u32_e32 vcc, 29, v25
	s_and_saveexec_b64 s[2:3], vcc
	s_cbranch_execz .LBB65_165
; %bb.164:
	ds_read_b32 v136, v103 offset:120
	ds_read2_b32 v[134:135], v103 offset0:31 offset1:32
	s_waitcnt vmcnt(3) lgkmcnt(2)
	v_mul_f32_e32 v96, v133, v96
	s_waitcnt vmcnt(2) lgkmcnt(1)
	v_fma_f32 v97, -v96, v136, v97
	s_waitcnt vmcnt(0) lgkmcnt(0)
	v_pk_fma_f32 v[98:99], v[96:97], v[134:135], v[98:99] op_sel_hi:[0,1,1] neg_lo:[1,0,0] neg_hi:[1,0,0]
.LBB65_165:
	s_or_b64 exec, exec, s[2:3]
	v_cmp_ne_u32_e32 vcc, 30, v25
	s_waitcnt lgkmcnt(0)
	s_barrier
	s_and_saveexec_b64 s[2:3], vcc
	s_xor_b64 s[2:3], exec, s[2:3]
	s_andn2_saveexec_b64 s[2:3], s[2:3]
	s_cbranch_execz .LBB65_169
; %bb.166:
	s_waitcnt vmcnt(2)
	ds_write_b32 v102, v97
	s_waitcnt vmcnt(0)
	ds_write2_b32 v103, v98, v99 offset0:31 offset1:32
	ds_read_b32 v134, v102
	s_waitcnt lgkmcnt(0)
	v_cmp_neq_f32_e32 vcc, 0, v134
	s_and_saveexec_b64 s[4:5], vcc
	s_cbranch_execz .LBB65_168
; %bb.167:
	v_div_scale_f32 v135, s[10:11], v134, v134, 1.0
	v_rcp_f32_e32 v136, v135
	v_div_scale_f32 v137, vcc, 1.0, v134, 1.0
	v_fma_f32 v138, -v135, v136, 1.0
	v_fmac_f32_e32 v136, v138, v136
	v_mul_f32_e32 v138, v137, v136
	v_fma_f32 v139, -v135, v138, v137
	v_fmac_f32_e32 v138, v139, v136
	v_fma_f32 v135, -v135, v138, v137
	v_div_fmas_f32 v135, v135, v136, v138
	v_div_fixup_f32 v134, v135, v134, 1.0
	ds_write_b32 v102, v134
.LBB65_168:
	s_or_b64 exec, exec, s[4:5]
.LBB65_169:
	s_or_b64 exec, exec, s[2:3]
	s_waitcnt lgkmcnt(0)
	s_barrier
	ds_read_b32 v134, v102
	v_cmp_lt_u32_e32 vcc, 30, v25
	s_and_saveexec_b64 s[2:3], vcc
	s_cbranch_execz .LBB65_171
; %bb.170:
	ds_read2_b32 v[136:137], v103 offset0:31 offset1:32
	s_waitcnt vmcnt(2) lgkmcnt(1)
	v_mul_f32_e32 v138, v134, v97
	v_mov_b32_e32 v97, v138
	s_waitcnt vmcnt(0) lgkmcnt(0)
	v_pk_fma_f32 v[98:99], v[138:139], v[136:137], v[98:99] op_sel_hi:[0,1,1] neg_lo:[1,0,0] neg_hi:[1,0,0]
.LBB65_171:
	s_or_b64 exec, exec, s[2:3]
	v_cmp_eq_u32_e32 vcc, 31, v25
	s_waitcnt lgkmcnt(0)
	s_barrier
	s_and_saveexec_b64 s[2:3], vcc
	s_cbranch_execz .LBB65_174
; %bb.172:
	s_waitcnt vmcnt(1)
	ds_write_b32 v102, v98
	s_waitcnt vmcnt(0)
	ds_write_b32 v103, v99 offset:128
	ds_read_b32 v135, v102
	s_waitcnt lgkmcnt(0)
	v_cmp_neq_f32_e32 vcc, 0, v135
	s_and_b64 exec, exec, vcc
	s_cbranch_execz .LBB65_174
; %bb.173:
	v_div_scale_f32 v136, s[4:5], v135, v135, 1.0
	v_rcp_f32_e32 v137, v136
	v_div_scale_f32 v138, vcc, 1.0, v135, 1.0
	v_fma_f32 v139, -v136, v137, 1.0
	v_fmac_f32_e32 v137, v139, v137
	v_mul_f32_e32 v139, v138, v137
	v_fma_f32 v140, -v136, v139, v138
	v_fmac_f32_e32 v139, v140, v137
	v_fma_f32 v136, -v136, v139, v138
	v_div_fmas_f32 v136, v136, v137, v139
	v_div_fixup_f32 v135, v136, v135, 1.0
	ds_write_b32 v102, v135
.LBB65_174:
	s_or_b64 exec, exec, s[2:3]
	s_waitcnt lgkmcnt(0)
	s_barrier
	ds_read_b32 v135, v102
	v_cmp_lt_u32_e32 vcc, 31, v25
	s_and_saveexec_b64 s[2:3], vcc
	s_cbranch_execz .LBB65_176
; %bb.175:
	ds_read_b32 v103, v103 offset:128
	s_waitcnt vmcnt(1) lgkmcnt(1)
	v_mul_f32_e32 v98, v135, v98
	s_waitcnt vmcnt(0) lgkmcnt(0)
	v_fma_f32 v99, -v98, v103, v99
.LBB65_176:
	s_or_b64 exec, exec, s[2:3]
	v_cmp_ne_u32_e32 vcc, 32, v25
	s_waitcnt lgkmcnt(0)
	s_barrier
	s_and_saveexec_b64 s[2:3], vcc
	s_xor_b64 s[2:3], exec, s[2:3]
	s_andn2_saveexec_b64 s[2:3], s[2:3]
	s_cbranch_execz .LBB65_180
; %bb.177:
	s_waitcnt vmcnt(0)
	v_cmp_neq_f32_e32 vcc, 0, v99
	ds_write_b32 v102, v99
	s_and_saveexec_b64 s[4:5], vcc
	s_cbranch_execz .LBB65_179
; %bb.178:
	v_div_scale_f32 v103, s[10:11], v99, v99, 1.0
	v_rcp_f32_e32 v136, v103
	v_div_scale_f32 v137, vcc, 1.0, v99, 1.0
	v_fma_f32 v138, -v103, v136, 1.0
	v_fmac_f32_e32 v136, v138, v136
	v_mul_f32_e32 v138, v137, v136
	v_fma_f32 v139, -v103, v138, v137
	v_fmac_f32_e32 v138, v139, v136
	v_fma_f32 v103, -v103, v138, v137
	v_div_fmas_f32 v103, v103, v136, v138
	v_div_fixup_f32 v103, v103, v99, 1.0
	ds_write_b32 v102, v103
.LBB65_179:
	s_or_b64 exec, exec, s[4:5]
.LBB65_180:
	s_or_b64 exec, exec, s[2:3]
	s_waitcnt lgkmcnt(0)
	s_barrier
	ds_read_b32 v102, v102
	s_waitcnt lgkmcnt(0)
	s_barrier
	s_and_saveexec_b64 s[2:3], s[0:1]
	s_cbranch_execz .LBB65_183
; %bb.181:
	v_cmp_eq_f32_e32 vcc, 0, v104
	v_cmp_neq_f32_e64 s[0:1], 0, v105
	v_mov_b32_e32 v104, s6
	v_cndmask_b32_e64 v103, 0, 1, vcc
	s_or_b64 vcc, s[0:1], vcc
	v_cndmask_b32_e32 v103, 2, v103, vcc
	v_cmp_eq_f32_e32 vcc, 0, v106
	v_cmp_eq_u32_e64 s[0:1], 0, v103
	s_and_b64 s[0:1], vcc, s[0:1]
	v_cmp_eq_f32_e32 vcc, 0, v107
	v_cndmask_b32_e64 v103, v103, 3, s[0:1]
	v_cmp_eq_u32_e64 s[0:1], 0, v103
	s_and_b64 s[0:1], vcc, s[0:1]
	v_cmp_eq_f32_e32 vcc, 0, v108
	v_cndmask_b32_e64 v103, v103, 4, s[0:1]
	;; [unrolled: 4-line block ×3, first 2 shown]
	v_cmp_eq_u32_e64 s[0:1], 0, v103
	s_and_b64 s[0:1], vcc, s[0:1]
	v_mov_b32_e32 v105, s7
	v_cndmask_b32_e64 v103, v103, 6, s[0:1]
	v_cmp_eq_f32_e32 vcc, 0, v110
	v_cmp_eq_u32_e64 s[0:1], 0, v103
	v_lshl_add_u64 v[34:35], v[34:35], 2, v[104:105]
	s_and_b64 s[0:1], vcc, s[0:1]
	global_load_dword v104, v[34:35], off
	v_cndmask_b32_e64 v103, v103, 7, s[0:1]
	v_cmp_eq_f32_e32 vcc, 0, v111
	v_cmp_eq_u32_e64 s[0:1], 0, v103
	s_and_b64 s[0:1], vcc, s[0:1]
	v_cmp_eq_f32_e32 vcc, 0, v112
	v_cndmask_b32_e64 v103, v103, 8, s[0:1]
	v_cmp_eq_u32_e64 s[0:1], 0, v103
	s_and_b64 s[0:1], vcc, s[0:1]
	v_cmp_eq_f32_e32 vcc, 0, v113
	v_cndmask_b32_e64 v103, v103, 9, s[0:1]
	;; [unrolled: 4-line block ×25, first 2 shown]
	v_cmp_eq_u32_e64 s[0:1], 0, v103
	s_and_b64 s[0:1], vcc, s[0:1]
	s_waitcnt vmcnt(0)
	v_cmp_eq_u32_e32 vcc, 0, v104
	v_cndmask_b32_e64 v103, v103, 33, s[0:1]
	v_cmp_ne_u32_e64 s[0:1], 0, v103
	s_and_b64 s[0:1], vcc, s[0:1]
	s_and_b64 exec, exec, s[0:1]
	s_cbranch_execz .LBB65_183
; %bb.182:
	v_add_u32_e32 v103, s9, v103
	global_store_dword v[34:35], v103, off
.LBB65_183:
	s_or_b64 exec, exec, s[2:3]
	s_waitcnt vmcnt(0)
	v_mul_f32_e32 v34, v102, v99
	v_cmp_lt_u32_e32 vcc, 32, v25
	s_nop 1
	v_cndmask_b32_e32 v25, v99, v34, vcc
	global_store_dword v[0:1], v24, off
	global_store_dword v[2:3], v18, off
	;; [unrolled: 1-line block ×33, first 2 shown]
.LBB65_184:
	s_endpgm
	.section	.rodata,"a",@progbits
	.p2align	6, 0x0
	.amdhsa_kernel _ZN9rocsolver6v33100L23getf2_npvt_small_kernelILi33EfiiPfEEvT1_T3_lS3_lPT2_S3_S3_
		.amdhsa_group_segment_fixed_size 0
		.amdhsa_private_segment_fixed_size 0
		.amdhsa_kernarg_size 312
		.amdhsa_user_sgpr_count 2
		.amdhsa_user_sgpr_dispatch_ptr 0
		.amdhsa_user_sgpr_queue_ptr 0
		.amdhsa_user_sgpr_kernarg_segment_ptr 1
		.amdhsa_user_sgpr_dispatch_id 0
		.amdhsa_user_sgpr_kernarg_preload_length 0
		.amdhsa_user_sgpr_kernarg_preload_offset 0
		.amdhsa_user_sgpr_private_segment_size 0
		.amdhsa_uses_dynamic_stack 0
		.amdhsa_enable_private_segment 0
		.amdhsa_system_sgpr_workgroup_id_x 1
		.amdhsa_system_sgpr_workgroup_id_y 1
		.amdhsa_system_sgpr_workgroup_id_z 0
		.amdhsa_system_sgpr_workgroup_info 0
		.amdhsa_system_vgpr_workitem_id 1
		.amdhsa_next_free_vgpr 141
		.amdhsa_next_free_sgpr 16
		.amdhsa_accum_offset 144
		.amdhsa_reserve_vcc 1
		.amdhsa_float_round_mode_32 0
		.amdhsa_float_round_mode_16_64 0
		.amdhsa_float_denorm_mode_32 3
		.amdhsa_float_denorm_mode_16_64 3
		.amdhsa_dx10_clamp 1
		.amdhsa_ieee_mode 1
		.amdhsa_fp16_overflow 0
		.amdhsa_tg_split 0
		.amdhsa_exception_fp_ieee_invalid_op 0
		.amdhsa_exception_fp_denorm_src 0
		.amdhsa_exception_fp_ieee_div_zero 0
		.amdhsa_exception_fp_ieee_overflow 0
		.amdhsa_exception_fp_ieee_underflow 0
		.amdhsa_exception_fp_ieee_inexact 0
		.amdhsa_exception_int_div_zero 0
	.end_amdhsa_kernel
	.section	.text._ZN9rocsolver6v33100L23getf2_npvt_small_kernelILi33EfiiPfEEvT1_T3_lS3_lPT2_S3_S3_,"axG",@progbits,_ZN9rocsolver6v33100L23getf2_npvt_small_kernelILi33EfiiPfEEvT1_T3_lS3_lPT2_S3_S3_,comdat
.Lfunc_end65:
	.size	_ZN9rocsolver6v33100L23getf2_npvt_small_kernelILi33EfiiPfEEvT1_T3_lS3_lPT2_S3_S3_, .Lfunc_end65-_ZN9rocsolver6v33100L23getf2_npvt_small_kernelILi33EfiiPfEEvT1_T3_lS3_lPT2_S3_S3_
                                        ; -- End function
	.set _ZN9rocsolver6v33100L23getf2_npvt_small_kernelILi33EfiiPfEEvT1_T3_lS3_lPT2_S3_S3_.num_vgpr, 141
	.set _ZN9rocsolver6v33100L23getf2_npvt_small_kernelILi33EfiiPfEEvT1_T3_lS3_lPT2_S3_S3_.num_agpr, 0
	.set _ZN9rocsolver6v33100L23getf2_npvt_small_kernelILi33EfiiPfEEvT1_T3_lS3_lPT2_S3_S3_.numbered_sgpr, 16
	.set _ZN9rocsolver6v33100L23getf2_npvt_small_kernelILi33EfiiPfEEvT1_T3_lS3_lPT2_S3_S3_.num_named_barrier, 0
	.set _ZN9rocsolver6v33100L23getf2_npvt_small_kernelILi33EfiiPfEEvT1_T3_lS3_lPT2_S3_S3_.private_seg_size, 0
	.set _ZN9rocsolver6v33100L23getf2_npvt_small_kernelILi33EfiiPfEEvT1_T3_lS3_lPT2_S3_S3_.uses_vcc, 1
	.set _ZN9rocsolver6v33100L23getf2_npvt_small_kernelILi33EfiiPfEEvT1_T3_lS3_lPT2_S3_S3_.uses_flat_scratch, 0
	.set _ZN9rocsolver6v33100L23getf2_npvt_small_kernelILi33EfiiPfEEvT1_T3_lS3_lPT2_S3_S3_.has_dyn_sized_stack, 0
	.set _ZN9rocsolver6v33100L23getf2_npvt_small_kernelILi33EfiiPfEEvT1_T3_lS3_lPT2_S3_S3_.has_recursion, 0
	.set _ZN9rocsolver6v33100L23getf2_npvt_small_kernelILi33EfiiPfEEvT1_T3_lS3_lPT2_S3_S3_.has_indirect_call, 0
	.section	.AMDGPU.csdata,"",@progbits
; Kernel info:
; codeLenInByte = 17816
; TotalNumSgprs: 22
; NumVgprs: 141
; NumAgprs: 0
; TotalNumVgprs: 141
; ScratchSize: 0
; MemoryBound: 0
; FloatMode: 240
; IeeeMode: 1
; LDSByteSize: 0 bytes/workgroup (compile time only)
; SGPRBlocks: 2
; VGPRBlocks: 17
; NumSGPRsForWavesPerEU: 22
; NumVGPRsForWavesPerEU: 141
; AccumOffset: 144
; Occupancy: 3
; WaveLimiterHint : 0
; COMPUTE_PGM_RSRC2:SCRATCH_EN: 0
; COMPUTE_PGM_RSRC2:USER_SGPR: 2
; COMPUTE_PGM_RSRC2:TRAP_HANDLER: 0
; COMPUTE_PGM_RSRC2:TGID_X_EN: 1
; COMPUTE_PGM_RSRC2:TGID_Y_EN: 1
; COMPUTE_PGM_RSRC2:TGID_Z_EN: 0
; COMPUTE_PGM_RSRC2:TIDIG_COMP_CNT: 1
; COMPUTE_PGM_RSRC3_GFX90A:ACCUM_OFFSET: 35
; COMPUTE_PGM_RSRC3_GFX90A:TG_SPLIT: 0
	.section	.text._ZN9rocsolver6v33100L18getf2_small_kernelILi34EfiiPfEEvT1_T3_lS3_lPS3_llPT2_S3_S3_S5_l,"axG",@progbits,_ZN9rocsolver6v33100L18getf2_small_kernelILi34EfiiPfEEvT1_T3_lS3_lPS3_llPT2_S3_S3_S5_l,comdat
	.globl	_ZN9rocsolver6v33100L18getf2_small_kernelILi34EfiiPfEEvT1_T3_lS3_lPS3_llPT2_S3_S3_S5_l ; -- Begin function _ZN9rocsolver6v33100L18getf2_small_kernelILi34EfiiPfEEvT1_T3_lS3_lPS3_llPT2_S3_S3_S5_l
	.p2align	8
	.type	_ZN9rocsolver6v33100L18getf2_small_kernelILi34EfiiPfEEvT1_T3_lS3_lPS3_llPT2_S3_S3_S5_l,@function
_ZN9rocsolver6v33100L18getf2_small_kernelILi34EfiiPfEEvT1_T3_lS3_lPS3_llPT2_S3_S3_S5_l: ; @_ZN9rocsolver6v33100L18getf2_small_kernelILi34EfiiPfEEvT1_T3_lS3_lPS3_llPT2_S3_S3_S5_l
; %bb.0:
	s_load_dword s2, s[0:1], 0x6c
	s_load_dwordx2 s[14:15], s[0:1], 0x48
	v_bfe_u32 v17, v0, 10, 10
	s_waitcnt lgkmcnt(0)
	s_lshr_b32 s2, s2, 16
	s_mul_i32 s3, s3, s2
	v_add_u32_e32 v4, s3, v17
	v_cmp_gt_i32_e32 vcc, s14, v4
	s_and_saveexec_b64 s[2:3], vcc
	s_cbranch_execz .LBB66_575
; %bb.1:
	s_load_dwordx4 s[4:7], s[0:1], 0x50
	v_ashrrev_i32_e32 v5, 31, v4
	v_mov_b64_e32 v[20:21], 0
	s_waitcnt lgkmcnt(0)
	s_cmp_eq_u64 s[4:5], 0
	s_cselect_b64 s[16:17], -1, 0
	s_and_b64 vcc, exec, s[16:17]
	s_cbranch_vccnz .LBB66_3
; %bb.2:
	v_mul_lo_u32 v1, s7, v4
	v_mul_lo_u32 v6, s6, v5
	v_mad_u64_u32 v[2:3], s[2:3], s6, v4, 0
	v_add3_u32 v3, v3, v6, v1
	v_lshl_add_u64 v[20:21], v[2:3], 2, s[4:5]
.LBB66_3:
	s_load_dwordx4 s[20:23], s[0:1], 0x8
	s_load_dwordx8 s[4:11], s[0:1], 0x20
	s_load_dword s12, s[0:1], 0x18
	v_and_b32_e32 v19, 0x3ff, v0
	v_lshlrev_b32_e32 v42, 2, v19
	s_waitcnt lgkmcnt(0)
	v_mov_b32_e32 v2, s20
	v_mul_lo_u32 v1, s5, v4
	v_mul_lo_u32 v8, s4, v5
	v_mad_u64_u32 v[6:7], s[2:3], s4, v4, 0
	v_mov_b32_e32 v3, s21
	v_add3_u32 v7, v7, v8, v1
	s_add_i32 s14, s12, s12
	v_lshl_add_u64 v[2:3], v[6:7], 2, v[2:3]
	v_add_u32_e32 v0, s14, v19
	v_lshl_add_u64 v[2:3], s[22:23], 2, v[2:3]
	v_ashrrev_i32_e32 v1, 31, v0
	v_lshl_add_u64 v[14:15], v[0:1], 2, v[2:3]
	v_add_u32_e32 v0, s12, v0
	v_ashrrev_i32_e32 v1, 31, v0
	v_lshl_add_u64 v[22:23], v[0:1], 2, v[2:3]
	v_add_u32_e32 v0, s12, v0
	v_ashrrev_i32_e32 v1, 31, v0
	v_lshl_add_u64 v[24:25], v[0:1], 2, v[2:3]
	v_add_u32_e32 v0, s12, v0
	v_ashrrev_i32_e32 v1, 31, v0
	v_lshl_add_u64 v[26:27], v[0:1], 2, v[2:3]
	v_add_u32_e32 v0, s12, v0
	v_mov_b32_e32 v43, 0
	v_add_u32_e32 v30, s12, v0
	v_lshl_add_u64 v[8:9], v[2:3], 0, v[42:43]
	s_ashr_i32 s13, s12, 31
	v_ashrrev_i32_e32 v1, 31, v0
	v_ashrrev_i32_e32 v31, 31, v30
	v_lshl_add_u64 v[12:13], s[12:13], 2, v[8:9]
	v_lshl_add_u64 v[28:29], v[0:1], 2, v[2:3]
	v_lshl_add_u64 v[32:33], v[30:31], 2, v[2:3]
	global_load_dword v18, v[8:9], off
	global_load_dword v16, v[12:13], off
	global_load_dword v10, v[14:15], off
	global_load_dword v11, v[22:23], off
	global_load_dword v6, v[24:25], off
	global_load_dword v7, v[26:27], off
	global_load_dword v0, v[28:29], off
	global_load_dword v1, v[32:33], off
	v_add_u32_e32 v8, s12, v30
	v_ashrrev_i32_e32 v9, 31, v8
	v_lshl_add_u64 v[14:15], v[8:9], 2, v[2:3]
	v_add_u32_e32 v8, s12, v8
	v_ashrrev_i32_e32 v9, 31, v8
	v_lshl_add_u64 v[24:25], v[8:9], 2, v[2:3]
	v_add_u32_e32 v8, s12, v8
	v_ashrrev_i32_e32 v9, 31, v8
	v_lshl_add_u64 v[26:27], v[8:9], 2, v[2:3]
	v_add_u32_e32 v8, s12, v8
	v_ashrrev_i32_e32 v9, 31, v8
	v_lshl_add_u64 v[30:31], v[8:9], 2, v[2:3]
	v_add_u32_e32 v8, s12, v8
	v_ashrrev_i32_e32 v9, 31, v8
	v_lshl_add_u64 v[32:33], v[8:9], 2, v[2:3]
	v_add_u32_e32 v8, s12, v8
	v_ashrrev_i32_e32 v9, 31, v8
	v_lshl_add_u64 v[34:35], v[8:9], 2, v[2:3]
	v_add_u32_e32 v8, s12, v8
	v_add_u32_e32 v38, s12, v8
	v_ashrrev_i32_e32 v9, 31, v8
	v_ashrrev_i32_e32 v39, 31, v38
	v_lshl_add_u64 v[36:37], v[8:9], 2, v[2:3]
	v_lshl_add_u64 v[40:41], v[38:39], 2, v[2:3]
	global_load_dword v28, v[14:15], off
	global_load_dword v29, v[24:25], off
	global_load_dword v22, v[26:27], off
	global_load_dword v23, v[30:31], off
	global_load_dword v12, v[32:33], off
	global_load_dword v13, v[34:35], off
	global_load_dword v8, v[36:37], off
	global_load_dword v9, v[40:41], off
	v_add_u32_e32 v14, s12, v38
	v_ashrrev_i32_e32 v15, 31, v14
	v_lshl_add_u64 v[26:27], v[14:15], 2, v[2:3]
	v_add_u32_e32 v14, s12, v14
	v_ashrrev_i32_e32 v15, 31, v14
	v_lshl_add_u64 v[32:33], v[14:15], 2, v[2:3]
	v_add_u32_e32 v14, s12, v14
	v_ashrrev_i32_e32 v15, 31, v14
	v_lshl_add_u64 v[36:37], v[14:15], 2, v[2:3]
	v_add_u32_e32 v14, s12, v14
	v_ashrrev_i32_e32 v15, 31, v14
	v_lshl_add_u64 v[38:39], v[14:15], 2, v[2:3]
	v_add_u32_e32 v14, s12, v14
	v_ashrrev_i32_e32 v15, 31, v14
	v_lshl_add_u64 v[40:41], v[14:15], 2, v[2:3]
	v_add_u32_e32 v14, s12, v14
	v_ashrrev_i32_e32 v15, 31, v14
	v_lshl_add_u64 v[44:45], v[14:15], 2, v[2:3]
	v_add_u32_e32 v14, s12, v14
	v_add_u32_e32 v48, s12, v14
	v_ashrrev_i32_e32 v15, 31, v14
	v_ashrrev_i32_e32 v49, 31, v48
	v_lshl_add_u64 v[46:47], v[14:15], 2, v[2:3]
	v_lshl_add_u64 v[50:51], v[48:49], 2, v[2:3]
	;; [unrolled: 32-line block ×3, first 2 shown]
	global_load_dword v40, v[36:37], off
	global_load_dword v41, v[44:45], off
	;; [unrolled: 1-line block ×8, first 2 shown]
	v_add_u32_e32 v36, s12, v56
	v_ashrrev_i32_e32 v37, 31, v36
	v_lshl_add_u64 v[44:45], v[36:37], 2, v[2:3]
	v_add_u32_e32 v36, s12, v36
	v_ashrrev_i32_e32 v37, 31, v36
	v_lshl_add_u64 v[46:47], v[36:37], 2, v[2:3]
	global_load_dword v36, v[44:45], off
	global_load_dword v37, v[46:47], off
	s_load_dword s22, s[0:1], 0x0
	s_load_dwordx2 s[4:5], s[0:1], 0x40
	s_waitcnt lgkmcnt(0)
	s_max_i32 s0, s22, 34
	v_mul_lo_u32 v44, s0, v17
	v_lshl_add_u32 v17, v44, 2, 0
	v_add_u32_e32 v42, v17, v42
	s_waitcnt vmcnt(33)
	ds_write_b32 v42, v18
	s_waitcnt lgkmcnt(0)
	s_barrier
	ds_read_b32 v42, v17
	s_cmp_lt_i32 s22, 2
	v_lshlrev_b32_e32 v44, 2, v44
	s_cbranch_scc1 .LBB66_6
; %bb.4:
	v_add3_u32 v45, v44, 0, 4
	v_mov_b32_e32 v43, 0
	s_mov_b32 s0, 1
.LBB66_5:                               ; =>This Inner Loop Header: Depth=1
	ds_read_b32 v46, v45
	v_mov_b32_e32 v47, s0
	s_add_i32 s0, s0, 1
	v_add_u32_e32 v45, 4, v45
	s_cmp_eq_u32 s22, s0
	s_waitcnt lgkmcnt(0)
	v_cmp_lt_f32_e64 vcc, |v42|, |v46|
	s_nop 1
	v_cndmask_b32_e32 v42, v42, v46, vcc
	v_cndmask_b32_e32 v43, v43, v47, vcc
	s_cbranch_scc0 .LBB66_5
.LBB66_6:
	v_cmp_ne_u32_e32 vcc, v19, v43
                                        ; implicit-def: $vgpr45
	s_and_saveexec_b64 s[0:1], vcc
	s_xor_b64 s[0:1], exec, s[0:1]
	s_cbranch_execz .LBB66_12
; %bb.7:
	v_cmp_eq_u32_e32 vcc, 0, v19
	s_and_saveexec_b64 s[2:3], vcc
	s_cbranch_execz .LBB66_11
; %bb.8:
	v_cmp_ne_u32_e32 vcc, 0, v43
	s_xor_b64 s[18:19], s[16:17], -1
	s_and_b64 s[20:21], s[18:19], vcc
	s_and_saveexec_b64 s[18:19], s[20:21]
	s_cbranch_execz .LBB66_10
; %bb.9:
	v_ashrrev_i32_e32 v47, 31, v43
	v_mov_b32_e32 v46, v43
	v_lshl_add_u64 v[46:47], v[46:47], 2, v[20:21]
	global_load_dword v19, v[46:47], off
	global_load_dword v45, v[20:21], off
	s_waitcnt vmcnt(1)
	global_store_dword v[20:21], v19, off
	s_waitcnt vmcnt(1)
	global_store_dword v[46:47], v45, off
.LBB66_10:
	s_or_b64 exec, exec, s[18:19]
	v_mov_b32_e32 v19, v43
.LBB66_11:
	s_or_b64 exec, exec, s[2:3]
	v_mov_b32_e32 v45, v19
                                        ; implicit-def: $vgpr19
.LBB66_12:
	s_or_saveexec_b64 s[0:1], s[0:1]
	v_mov_b32_e32 v43, v45
	s_xor_b64 exec, exec, s[0:1]
	s_cbranch_execz .LBB66_14
; %bb.13:
	v_mov_b32_e32 v45, 0
	v_mov_b32_e32 v43, v19
	s_waitcnt vmcnt(31)
	ds_write2_b32 v17, v16, v10 offset0:1 offset1:2
	s_waitcnt vmcnt(29)
	ds_write2_b32 v17, v11, v6 offset0:3 offset1:4
	;; [unrolled: 2-line block ×16, first 2 shown]
	s_waitcnt vmcnt(0)
	ds_write_b32 v17, v37 offset:132
.LBB66_14:
	s_or_b64 exec, exec, s[0:1]
	s_waitcnt lgkmcnt(0)
	v_cmp_eq_f32_e64 s[0:1], 0, v42
	v_cmp_lt_i32_e32 vcc, 0, v45
	s_barrier
	s_and_saveexec_b64 s[2:3], vcc
	s_cbranch_execz .LBB66_16
; %bb.15:
	v_div_scale_f32 v19, s[18:19], v42, v42, 1.0
	v_rcp_f32_e32 v46, v19
	v_div_scale_f32 v47, vcc, 1.0, v42, 1.0
	v_fma_f32 v48, -v19, v46, 1.0
	v_fmac_f32_e32 v46, v48, v46
	v_mul_f32_e32 v48, v47, v46
	v_fma_f32 v49, -v19, v48, v47
	v_fmac_f32_e32 v48, v49, v46
	v_fma_f32 v19, -v19, v48, v47
	v_div_fmas_f32 v19, v19, v46, v48
	v_div_fixup_f32 v19, v19, v42, 1.0
	v_cndmask_b32_e64 v19, v19, v42, s[0:1]
	ds_read_b32 v42, v17 offset:4
	ds_read2_b32 v[46:47], v17 offset0:2 offset1:3
	ds_read2_b32 v[48:49], v17 offset0:4 offset1:5
	v_mul_f32_e32 v18, v19, v18
	ds_read2_b32 v[50:51], v17 offset0:6 offset1:7
	s_waitcnt vmcnt(32) lgkmcnt(3)
	v_fma_f32 v16, -v18, v42, v16
	s_waitcnt vmcnt(30) lgkmcnt(2)
	v_pk_fma_f32 v[10:11], v[18:19], v[46:47], v[10:11] op_sel_hi:[0,1,1] neg_lo:[1,0,0] neg_hi:[1,0,0]
	s_waitcnt vmcnt(28) lgkmcnt(1)
	v_pk_fma_f32 v[6:7], v[18:19], v[48:49], v[6:7] op_sel_hi:[0,1,1] neg_lo:[1,0,0] neg_hi:[1,0,0]
	ds_read2_b32 v[46:47], v17 offset0:8 offset1:9
	ds_read2_b32 v[48:49], v17 offset0:10 offset1:11
	;; [unrolled: 1-line block ×3, first 2 shown]
	s_waitcnt vmcnt(26) lgkmcnt(3)
	v_pk_fma_f32 v[0:1], v[18:19], v[50:51], v[0:1] op_sel_hi:[0,1,1] neg_lo:[1,0,0] neg_hi:[1,0,0]
	ds_read2_b32 v[50:51], v17 offset0:14 offset1:15
	s_waitcnt vmcnt(24) lgkmcnt(3)
	v_pk_fma_f32 v[28:29], v[18:19], v[46:47], v[28:29] op_sel_hi:[0,1,1] neg_lo:[1,0,0] neg_hi:[1,0,0]
	s_waitcnt vmcnt(22) lgkmcnt(2)
	v_pk_fma_f32 v[22:23], v[18:19], v[48:49], v[22:23] op_sel_hi:[0,1,1] neg_lo:[1,0,0] neg_hi:[1,0,0]
	;; [unrolled: 2-line block ×3, first 2 shown]
	ds_read2_b32 v[46:47], v17 offset0:16 offset1:17
	ds_read2_b32 v[48:49], v17 offset0:18 offset1:19
	;; [unrolled: 1-line block ×4, first 2 shown]
	s_waitcnt vmcnt(18) lgkmcnt(4)
	v_pk_fma_f32 v[8:9], v[18:19], v[50:51], v[8:9] op_sel_hi:[0,1,1] neg_lo:[1,0,0] neg_hi:[1,0,0]
	s_waitcnt vmcnt(16) lgkmcnt(3)
	v_pk_fma_f32 v[34:35], v[18:19], v[46:47], v[34:35] op_sel_hi:[0,1,1] neg_lo:[1,0,0] neg_hi:[1,0,0]
	;; [unrolled: 2-line block ×5, first 2 shown]
	ds_read2_b32 v[46:47], v17 offset0:24 offset1:25
	ds_read2_b32 v[48:49], v17 offset0:26 offset1:27
	ds_read2_b32 v[50:51], v17 offset0:28 offset1:29
	ds_read2_b32 v[52:53], v17 offset0:30 offset1:31
	ds_read2_b32 v[54:55], v17 offset0:32 offset1:33
	s_waitcnt vmcnt(8) lgkmcnt(4)
	v_pk_fma_f32 v[40:41], v[18:19], v[46:47], v[40:41] op_sel_hi:[0,1,1] neg_lo:[1,0,0] neg_hi:[1,0,0]
	s_waitcnt vmcnt(6) lgkmcnt(3)
	v_pk_fma_f32 v[38:39], v[18:19], v[48:49], v[38:39] op_sel_hi:[0,1,1] neg_lo:[1,0,0] neg_hi:[1,0,0]
	;; [unrolled: 2-line block ×5, first 2 shown]
.LBB66_16:
	s_or_b64 exec, exec, s[2:3]
	v_lshl_add_u32 v19, v45, 2, v17
	s_barrier
	s_waitcnt vmcnt(32)
	ds_write_b32 v19, v16
	s_waitcnt lgkmcnt(0)
	s_barrier
	ds_read_b32 v19, v17 offset:4
	s_mov_b32 s2, 2
	s_cmp_lt_i32 s22, 3
	v_mov_b32_e32 v42, 1
	s_cbranch_scc1 .LBB66_19
; %bb.17:
	v_add3_u32 v46, v44, 0, 8
	v_mov_b32_e32 v42, 1
.LBB66_18:                              ; =>This Inner Loop Header: Depth=1
	ds_read_b32 v47, v46
	v_mov_b32_e32 v48, s2
	s_add_i32 s2, s2, 1
	v_add_u32_e32 v46, 4, v46
	s_cmp_lg_u32 s22, s2
	s_waitcnt lgkmcnt(0)
	v_cmp_lt_f32_e64 vcc, |v19|, |v47|
	s_nop 1
	v_cndmask_b32_e32 v19, v19, v47, vcc
	v_cndmask_b32_e32 v42, v42, v48, vcc
	s_cbranch_scc1 .LBB66_18
.LBB66_19:
	v_cmp_ne_u32_e32 vcc, v45, v42
	s_and_saveexec_b64 s[2:3], vcc
	s_xor_b64 s[2:3], exec, s[2:3]
	s_cbranch_execz .LBB66_25
; %bb.20:
	v_cmp_eq_u32_e32 vcc, 1, v45
	s_and_saveexec_b64 s[18:19], vcc
	s_cbranch_execz .LBB66_24
; %bb.21:
	v_cmp_ne_u32_e32 vcc, 1, v42
	s_xor_b64 s[20:21], s[16:17], -1
	s_and_b64 s[24:25], s[20:21], vcc
	s_and_saveexec_b64 s[20:21], s[24:25]
	s_cbranch_execz .LBB66_23
; %bb.22:
	v_ashrrev_i32_e32 v43, 31, v42
	v_lshl_add_u64 v[46:47], v[42:43], 2, v[20:21]
	global_load_dword v43, v[46:47], off
	global_load_dword v45, v[20:21], off offset:4
	s_waitcnt vmcnt(1)
	global_store_dword v[20:21], v43, off offset:4
	s_waitcnt vmcnt(1)
	global_store_dword v[46:47], v45, off
.LBB66_23:
	s_or_b64 exec, exec, s[20:21]
	v_mov_b32_e32 v43, v42
	v_mov_b32_e32 v45, v42
.LBB66_24:
	s_or_b64 exec, exec, s[18:19]
.LBB66_25:
	s_andn2_saveexec_b64 s[2:3], s[2:3]
	s_cbranch_execz .LBB66_27
; %bb.26:
	v_mov_b32_e32 v45, 1
	s_waitcnt vmcnt(30)
	ds_write2_b32 v17, v10, v11 offset0:2 offset1:3
	s_waitcnt vmcnt(28)
	ds_write2_b32 v17, v6, v7 offset0:4 offset1:5
	;; [unrolled: 2-line block ×16, first 2 shown]
.LBB66_27:
	s_or_b64 exec, exec, s[2:3]
	s_waitcnt lgkmcnt(0)
	v_cmp_neq_f32_e64 s[2:3], 0, v19
	v_cmp_lt_i32_e32 vcc, 1, v45
	s_barrier
	s_and_saveexec_b64 s[18:19], vcc
	s_cbranch_execz .LBB66_29
; %bb.28:
	v_div_scale_f32 v42, s[20:21], v19, v19, 1.0
	v_rcp_f32_e32 v46, v42
	v_div_scale_f32 v47, vcc, 1.0, v19, 1.0
	v_fma_f32 v48, -v42, v46, 1.0
	v_fmac_f32_e32 v46, v48, v46
	v_mul_f32_e32 v48, v47, v46
	v_fma_f32 v49, -v42, v48, v47
	v_fmac_f32_e32 v48, v49, v46
	v_fma_f32 v42, -v42, v48, v47
	v_div_fmas_f32 v42, v42, v46, v48
	ds_read2_b32 v[46:47], v17 offset0:2 offset1:3
	ds_read2_b32 v[48:49], v17 offset0:4 offset1:5
	;; [unrolled: 1-line block ×3, first 2 shown]
	v_div_fixup_f32 v42, v42, v19, 1.0
	v_cndmask_b32_e64 v19, v19, v42, s[2:3]
	v_mul_f32_e32 v16, v19, v16
	ds_read2_b32 v[52:53], v17 offset0:8 offset1:9
	s_waitcnt vmcnt(30) lgkmcnt(3)
	v_pk_fma_f32 v[10:11], v[16:17], v[46:47], v[10:11] op_sel_hi:[0,1,1] neg_lo:[1,0,0] neg_hi:[1,0,0]
	s_waitcnt vmcnt(28) lgkmcnt(2)
	v_pk_fma_f32 v[6:7], v[16:17], v[48:49], v[6:7] op_sel_hi:[0,1,1] neg_lo:[1,0,0] neg_hi:[1,0,0]
	;; [unrolled: 2-line block ×3, first 2 shown]
	ds_read2_b32 v[46:47], v17 offset0:10 offset1:11
	ds_read2_b32 v[48:49], v17 offset0:12 offset1:13
	;; [unrolled: 1-line block ×3, first 2 shown]
	s_waitcnt vmcnt(24) lgkmcnt(3)
	v_pk_fma_f32 v[28:29], v[16:17], v[52:53], v[28:29] op_sel_hi:[0,1,1] neg_lo:[1,0,0] neg_hi:[1,0,0]
	ds_read2_b32 v[52:53], v17 offset0:16 offset1:17
	s_waitcnt vmcnt(22) lgkmcnt(3)
	v_pk_fma_f32 v[22:23], v[16:17], v[46:47], v[22:23] op_sel_hi:[0,1,1] neg_lo:[1,0,0] neg_hi:[1,0,0]
	s_waitcnt vmcnt(20) lgkmcnt(2)
	v_pk_fma_f32 v[12:13], v[16:17], v[48:49], v[12:13] op_sel_hi:[0,1,1] neg_lo:[1,0,0] neg_hi:[1,0,0]
	;; [unrolled: 2-line block ×3, first 2 shown]
	ds_read2_b32 v[46:47], v17 offset0:18 offset1:19
	ds_read2_b32 v[48:49], v17 offset0:20 offset1:21
	;; [unrolled: 1-line block ×3, first 2 shown]
	s_waitcnt vmcnt(16) lgkmcnt(3)
	v_pk_fma_f32 v[34:35], v[16:17], v[52:53], v[34:35] op_sel_hi:[0,1,1] neg_lo:[1,0,0] neg_hi:[1,0,0]
	ds_read2_b32 v[52:53], v17 offset0:24 offset1:25
	s_waitcnt vmcnt(14) lgkmcnt(3)
	v_pk_fma_f32 v[30:31], v[16:17], v[46:47], v[30:31] op_sel_hi:[0,1,1] neg_lo:[1,0,0] neg_hi:[1,0,0]
	s_waitcnt vmcnt(12) lgkmcnt(2)
	v_pk_fma_f32 v[24:25], v[16:17], v[48:49], v[24:25] op_sel_hi:[0,1,1] neg_lo:[1,0,0] neg_hi:[1,0,0]
	;; [unrolled: 2-line block ×3, first 2 shown]
	ds_read2_b32 v[46:47], v17 offset0:26 offset1:27
	ds_read2_b32 v[48:49], v17 offset0:28 offset1:29
	;; [unrolled: 1-line block ×4, first 2 shown]
	s_waitcnt vmcnt(8) lgkmcnt(4)
	v_pk_fma_f32 v[40:41], v[16:17], v[52:53], v[40:41] op_sel_hi:[0,1,1] neg_lo:[1,0,0] neg_hi:[1,0,0]
	s_waitcnt vmcnt(6) lgkmcnt(3)
	v_pk_fma_f32 v[38:39], v[16:17], v[46:47], v[38:39] op_sel_hi:[0,1,1] neg_lo:[1,0,0] neg_hi:[1,0,0]
	;; [unrolled: 2-line block ×5, first 2 shown]
.LBB66_29:
	s_or_b64 exec, exec, s[18:19]
	v_lshl_add_u32 v19, v45, 2, v17
	s_barrier
	s_waitcnt vmcnt(31)
	ds_write_b32 v19, v10
	s_waitcnt lgkmcnt(0)
	s_barrier
	ds_read_b32 v46, v17 offset:8
	s_cmp_lt_i32 s22, 4
	v_mov_b32_e32 v42, 2
	s_cbranch_scc1 .LBB66_32
; %bb.30:
	v_mov_b32_e32 v42, 2
	v_add3_u32 v19, v44, 0, 12
	s_mov_b32 s18, 3
.LBB66_31:                              ; =>This Inner Loop Header: Depth=1
	ds_read_b32 v47, v19
	v_mov_b32_e32 v48, s18
	s_add_i32 s18, s18, 1
	v_add_u32_e32 v19, 4, v19
	s_cmp_lg_u32 s22, s18
	s_waitcnt lgkmcnt(0)
	v_cmp_lt_f32_e64 vcc, |v46|, |v47|
	s_nop 1
	v_cndmask_b32_e32 v46, v46, v47, vcc
	v_cndmask_b32_e32 v42, v42, v48, vcc
	s_cbranch_scc1 .LBB66_31
.LBB66_32:
	v_cndmask_b32_e64 v19, 2, 1, s[0:1]
	v_cndmask_b32_e64 v47, 0, 1, s[0:1]
	;; [unrolled: 1-line block ×3, first 2 shown]
	s_waitcnt lgkmcnt(0)
	v_cmp_eq_f32_e32 vcc, 0, v46
	s_and_saveexec_b64 s[0:1], vcc
	s_xor_b64 s[0:1], exec, s[0:1]
; %bb.33:
	v_cmp_ne_u32_e32 vcc, 0, v19
	s_nop 1
	v_cndmask_b32_e32 v19, 3, v19, vcc
; %bb.34:
	s_andn2_saveexec_b64 s[0:1], s[0:1]
	s_cbranch_execz .LBB66_36
; %bb.35:
	v_div_scale_f32 v47, s[2:3], v46, v46, 1.0
	v_rcp_f32_e32 v48, v47
	v_div_scale_f32 v49, vcc, 1.0, v46, 1.0
	v_fma_f32 v50, -v47, v48, 1.0
	v_fmac_f32_e32 v48, v50, v48
	v_mul_f32_e32 v50, v49, v48
	v_fma_f32 v51, -v47, v50, v49
	v_fmac_f32_e32 v50, v51, v48
	v_fma_f32 v47, -v47, v50, v49
	v_div_fmas_f32 v47, v47, v48, v50
	v_div_fixup_f32 v46, v47, v46, 1.0
.LBB66_36:
	s_or_b64 exec, exec, s[0:1]
	v_cmp_ne_u32_e32 vcc, v45, v42
	s_and_saveexec_b64 s[0:1], vcc
	s_xor_b64 s[0:1], exec, s[0:1]
	s_cbranch_execz .LBB66_42
; %bb.37:
	v_cmp_eq_u32_e32 vcc, 2, v45
	s_and_saveexec_b64 s[2:3], vcc
	s_cbranch_execz .LBB66_41
; %bb.38:
	v_cmp_ne_u32_e32 vcc, 2, v42
	s_xor_b64 s[18:19], s[16:17], -1
	s_and_b64 s[20:21], s[18:19], vcc
	s_and_saveexec_b64 s[18:19], s[20:21]
	s_cbranch_execz .LBB66_40
; %bb.39:
	v_ashrrev_i32_e32 v43, 31, v42
	v_lshl_add_u64 v[48:49], v[42:43], 2, v[20:21]
	global_load_dword v43, v[48:49], off
	global_load_dword v45, v[20:21], off offset:8
	s_waitcnt vmcnt(1)
	global_store_dword v[20:21], v43, off offset:8
	s_waitcnt vmcnt(1)
	global_store_dword v[48:49], v45, off
.LBB66_40:
	s_or_b64 exec, exec, s[18:19]
	v_mov_b32_e32 v43, v42
	v_mov_b32_e32 v45, v42
.LBB66_41:
	s_or_b64 exec, exec, s[2:3]
.LBB66_42:
	s_andn2_saveexec_b64 s[0:1], s[0:1]
	s_cbranch_execz .LBB66_44
; %bb.43:
	s_waitcnt vmcnt(28)
	v_pk_mov_b32 v[48:49], v[10:11], v[6:7] op_sel:[1,0]
	ds_write2_b32 v17, v48, v49 offset0:3 offset1:4
	s_waitcnt vmcnt(26)
	v_pk_mov_b32 v[48:49], v[6:7], v[0:1] op_sel:[1,0]
	ds_write2_b32 v17, v48, v49 offset0:5 offset1:6
	;; [unrolled: 3-line block ×14, first 2 shown]
	s_waitcnt vmcnt(0)
	v_pk_mov_b32 v[48:49], v[26:27], v[36:37] op_sel:[1,0]
	v_mov_b32_e32 v45, 2
	ds_write2_b32 v17, v48, v49 offset0:31 offset1:32
	ds_write_b32 v17, v37 offset:132
.LBB66_44:
	s_or_b64 exec, exec, s[0:1]
	v_cmp_lt_i32_e32 vcc, 2, v45
	s_waitcnt lgkmcnt(0)
	s_barrier
	s_and_saveexec_b64 s[0:1], vcc
	s_cbranch_execz .LBB66_46
; %bb.45:
	ds_read_b32 v42, v17 offset:12
	ds_read2_b32 v[48:49], v17 offset0:4 offset1:5
	ds_read2_b32 v[50:51], v17 offset0:6 offset1:7
	v_mul_f32_e32 v10, v46, v10
	ds_read2_b32 v[46:47], v17 offset0:8 offset1:9
	s_waitcnt vmcnt(30) lgkmcnt(3)
	v_fma_f32 v11, -v10, v42, v11
	s_waitcnt vmcnt(28) lgkmcnt(2)
	v_pk_fma_f32 v[6:7], v[10:11], v[48:49], v[6:7] op_sel_hi:[0,1,1] neg_lo:[1,0,0] neg_hi:[1,0,0]
	s_waitcnt vmcnt(26) lgkmcnt(1)
	v_pk_fma_f32 v[0:1], v[10:11], v[50:51], v[0:1] op_sel_hi:[0,1,1] neg_lo:[1,0,0] neg_hi:[1,0,0]
	ds_read2_b32 v[48:49], v17 offset0:10 offset1:11
	ds_read2_b32 v[50:51], v17 offset0:12 offset1:13
	ds_read2_b32 v[52:53], v17 offset0:14 offset1:15
	s_waitcnt vmcnt(24) lgkmcnt(3)
	v_pk_fma_f32 v[28:29], v[10:11], v[46:47], v[28:29] op_sel_hi:[0,1,1] neg_lo:[1,0,0] neg_hi:[1,0,0]
	ds_read2_b32 v[46:47], v17 offset0:16 offset1:17
	s_waitcnt vmcnt(22) lgkmcnt(3)
	v_pk_fma_f32 v[22:23], v[10:11], v[48:49], v[22:23] op_sel_hi:[0,1,1] neg_lo:[1,0,0] neg_hi:[1,0,0]
	s_waitcnt vmcnt(20) lgkmcnt(2)
	v_pk_fma_f32 v[12:13], v[10:11], v[50:51], v[12:13] op_sel_hi:[0,1,1] neg_lo:[1,0,0] neg_hi:[1,0,0]
	;; [unrolled: 2-line block ×3, first 2 shown]
	ds_read2_b32 v[48:49], v17 offset0:18 offset1:19
	ds_read2_b32 v[50:51], v17 offset0:20 offset1:21
	;; [unrolled: 1-line block ×3, first 2 shown]
	s_waitcnt vmcnt(16) lgkmcnt(3)
	v_pk_fma_f32 v[34:35], v[10:11], v[46:47], v[34:35] op_sel_hi:[0,1,1] neg_lo:[1,0,0] neg_hi:[1,0,0]
	ds_read2_b32 v[46:47], v17 offset0:24 offset1:25
	s_waitcnt vmcnt(14) lgkmcnt(3)
	v_pk_fma_f32 v[30:31], v[10:11], v[48:49], v[30:31] op_sel_hi:[0,1,1] neg_lo:[1,0,0] neg_hi:[1,0,0]
	s_waitcnt vmcnt(12) lgkmcnt(2)
	v_pk_fma_f32 v[24:25], v[10:11], v[50:51], v[24:25] op_sel_hi:[0,1,1] neg_lo:[1,0,0] neg_hi:[1,0,0]
	;; [unrolled: 2-line block ×3, first 2 shown]
	ds_read2_b32 v[48:49], v17 offset0:26 offset1:27
	ds_read2_b32 v[50:51], v17 offset0:28 offset1:29
	;; [unrolled: 1-line block ×4, first 2 shown]
	s_waitcnt vmcnt(8) lgkmcnt(4)
	v_pk_fma_f32 v[40:41], v[10:11], v[46:47], v[40:41] op_sel_hi:[0,1,1] neg_lo:[1,0,0] neg_hi:[1,0,0]
	s_waitcnt vmcnt(6) lgkmcnt(3)
	v_pk_fma_f32 v[38:39], v[10:11], v[48:49], v[38:39] op_sel_hi:[0,1,1] neg_lo:[1,0,0] neg_hi:[1,0,0]
	;; [unrolled: 2-line block ×5, first 2 shown]
.LBB66_46:
	s_or_b64 exec, exec, s[0:1]
	v_lshl_add_u32 v42, v45, 2, v17
	s_barrier
	s_waitcnt vmcnt(30)
	ds_write_b32 v42, v11
	s_waitcnt lgkmcnt(0)
	s_barrier
	ds_read_b32 v46, v17 offset:12
	s_cmp_lt_i32 s22, 5
	v_mov_b32_e32 v42, 3
	s_cbranch_scc1 .LBB66_49
; %bb.47:
	v_add3_u32 v47, v44, 0, 16
	v_mov_b32_e32 v42, 3
	s_mov_b32 s0, 4
.LBB66_48:                              ; =>This Inner Loop Header: Depth=1
	ds_read_b32 v48, v47
	v_mov_b32_e32 v49, s0
	s_add_i32 s0, s0, 1
	v_add_u32_e32 v47, 4, v47
	s_cmp_lg_u32 s22, s0
	s_waitcnt lgkmcnt(0)
	v_cmp_lt_f32_e64 vcc, |v46|, |v48|
	s_nop 1
	v_cndmask_b32_e32 v46, v46, v48, vcc
	v_cndmask_b32_e32 v42, v42, v49, vcc
	s_cbranch_scc1 .LBB66_48
.LBB66_49:
	s_waitcnt lgkmcnt(0)
	v_cmp_eq_f32_e32 vcc, 0, v46
	s_and_saveexec_b64 s[0:1], vcc
	s_xor_b64 s[0:1], exec, s[0:1]
; %bb.50:
	v_cmp_ne_u32_e32 vcc, 0, v19
	s_nop 1
	v_cndmask_b32_e32 v19, 4, v19, vcc
; %bb.51:
	s_andn2_saveexec_b64 s[0:1], s[0:1]
	s_cbranch_execz .LBB66_53
; %bb.52:
	v_div_scale_f32 v47, s[2:3], v46, v46, 1.0
	v_rcp_f32_e32 v48, v47
	v_div_scale_f32 v49, vcc, 1.0, v46, 1.0
	v_fma_f32 v50, -v47, v48, 1.0
	v_fmac_f32_e32 v48, v50, v48
	v_mul_f32_e32 v50, v49, v48
	v_fma_f32 v51, -v47, v50, v49
	v_fmac_f32_e32 v50, v51, v48
	v_fma_f32 v47, -v47, v50, v49
	v_div_fmas_f32 v47, v47, v48, v50
	v_div_fixup_f32 v46, v47, v46, 1.0
.LBB66_53:
	s_or_b64 exec, exec, s[0:1]
	v_cmp_ne_u32_e32 vcc, v45, v42
	s_and_saveexec_b64 s[0:1], vcc
	s_xor_b64 s[0:1], exec, s[0:1]
	s_cbranch_execz .LBB66_59
; %bb.54:
	v_cmp_eq_u32_e32 vcc, 3, v45
	s_and_saveexec_b64 s[2:3], vcc
	s_cbranch_execz .LBB66_58
; %bb.55:
	v_cmp_ne_u32_e32 vcc, 3, v42
	s_xor_b64 s[18:19], s[16:17], -1
	s_and_b64 s[20:21], s[18:19], vcc
	s_and_saveexec_b64 s[18:19], s[20:21]
	s_cbranch_execz .LBB66_57
; %bb.56:
	v_ashrrev_i32_e32 v43, 31, v42
	v_lshl_add_u64 v[48:49], v[42:43], 2, v[20:21]
	global_load_dword v43, v[48:49], off
	global_load_dword v45, v[20:21], off offset:12
	s_waitcnt vmcnt(1)
	global_store_dword v[20:21], v43, off offset:12
	s_waitcnt vmcnt(1)
	global_store_dword v[48:49], v45, off
.LBB66_57:
	s_or_b64 exec, exec, s[18:19]
	v_mov_b32_e32 v43, v42
	v_mov_b32_e32 v45, v42
.LBB66_58:
	s_or_b64 exec, exec, s[2:3]
.LBB66_59:
	s_andn2_saveexec_b64 s[0:1], s[0:1]
	s_cbranch_execz .LBB66_61
; %bb.60:
	v_mov_b32_e32 v45, 3
	s_waitcnt vmcnt(28)
	ds_write2_b32 v17, v6, v7 offset0:4 offset1:5
	s_waitcnt vmcnt(26)
	ds_write2_b32 v17, v0, v1 offset0:6 offset1:7
	;; [unrolled: 2-line block ×15, first 2 shown]
.LBB66_61:
	s_or_b64 exec, exec, s[0:1]
	v_cmp_lt_i32_e32 vcc, 3, v45
	s_waitcnt lgkmcnt(0)
	s_barrier
	s_and_saveexec_b64 s[0:1], vcc
	s_cbranch_execz .LBB66_63
; %bb.62:
	ds_read2_b32 v[48:49], v17 offset0:4 offset1:5
	ds_read2_b32 v[50:51], v17 offset0:6 offset1:7
	;; [unrolled: 1-line block ×3, first 2 shown]
	v_mul_f32_e32 v42, v46, v11
	ds_read2_b32 v[46:47], v17 offset0:10 offset1:11
	s_waitcnt vmcnt(28) lgkmcnt(3)
	v_pk_fma_f32 v[6:7], v[42:43], v[48:49], v[6:7] op_sel_hi:[0,1,1] neg_lo:[1,0,0] neg_hi:[1,0,0]
	s_waitcnt vmcnt(26) lgkmcnt(2)
	v_pk_fma_f32 v[0:1], v[42:43], v[50:51], v[0:1] op_sel_hi:[0,1,1] neg_lo:[1,0,0] neg_hi:[1,0,0]
	;; [unrolled: 2-line block ×3, first 2 shown]
	ds_read2_b32 v[48:49], v17 offset0:12 offset1:13
	ds_read2_b32 v[50:51], v17 offset0:14 offset1:15
	;; [unrolled: 1-line block ×3, first 2 shown]
	s_waitcnt vmcnt(22) lgkmcnt(3)
	v_pk_fma_f32 v[22:23], v[42:43], v[46:47], v[22:23] op_sel_hi:[0,1,1] neg_lo:[1,0,0] neg_hi:[1,0,0]
	ds_read2_b32 v[46:47], v17 offset0:18 offset1:19
	s_waitcnt vmcnt(20) lgkmcnt(3)
	v_pk_fma_f32 v[12:13], v[42:43], v[48:49], v[12:13] op_sel_hi:[0,1,1] neg_lo:[1,0,0] neg_hi:[1,0,0]
	s_waitcnt vmcnt(18) lgkmcnt(2)
	v_pk_fma_f32 v[8:9], v[42:43], v[50:51], v[8:9] op_sel_hi:[0,1,1] neg_lo:[1,0,0] neg_hi:[1,0,0]
	ds_read2_b32 v[48:49], v17 offset0:20 offset1:21
	ds_read2_b32 v[50:51], v17 offset0:22 offset1:23
	s_waitcnt vmcnt(16) lgkmcnt(3)
	v_pk_fma_f32 v[34:35], v[42:43], v[52:53], v[34:35] op_sel_hi:[0,1,1] neg_lo:[1,0,0] neg_hi:[1,0,0]
	s_waitcnt vmcnt(14) lgkmcnt(2)
	v_pk_fma_f32 v[30:31], v[42:43], v[46:47], v[30:31] op_sel_hi:[0,1,1] neg_lo:[1,0,0] neg_hi:[1,0,0]
	ds_read2_b32 v[46:47], v17 offset0:24 offset1:25
	;; [unrolled: 6-line block ×3, first 2 shown]
	ds_read2_b32 v[50:51], v17 offset0:30 offset1:31
	ds_read2_b32 v[54:55], v17 offset0:32 offset1:33
	s_waitcnt vmcnt(8) lgkmcnt(4)
	v_pk_fma_f32 v[40:41], v[42:43], v[46:47], v[40:41] op_sel_hi:[0,1,1] neg_lo:[1,0,0] neg_hi:[1,0,0]
	s_waitcnt vmcnt(6) lgkmcnt(3)
	v_pk_fma_f32 v[38:39], v[42:43], v[52:53], v[38:39] op_sel_hi:[0,1,1] neg_lo:[1,0,0] neg_hi:[1,0,0]
	;; [unrolled: 2-line block ×5, first 2 shown]
	v_mov_b32_e32 v11, v42
.LBB66_63:
	s_or_b64 exec, exec, s[0:1]
	v_lshl_add_u32 v42, v45, 2, v17
	s_barrier
	s_waitcnt vmcnt(29)
	ds_write_b32 v42, v6
	s_waitcnt lgkmcnt(0)
	s_barrier
	ds_read_b32 v46, v17 offset:16
	s_cmp_lt_i32 s22, 6
	v_mov_b32_e32 v42, 4
	s_cbranch_scc1 .LBB66_66
; %bb.64:
	v_add3_u32 v47, v44, 0, 20
	v_mov_b32_e32 v42, 4
	s_mov_b32 s0, 5
.LBB66_65:                              ; =>This Inner Loop Header: Depth=1
	ds_read_b32 v48, v47
	v_mov_b32_e32 v49, s0
	s_add_i32 s0, s0, 1
	v_add_u32_e32 v47, 4, v47
	s_cmp_lg_u32 s22, s0
	s_waitcnt lgkmcnt(0)
	v_cmp_lt_f32_e64 vcc, |v46|, |v48|
	s_nop 1
	v_cndmask_b32_e32 v46, v46, v48, vcc
	v_cndmask_b32_e32 v42, v42, v49, vcc
	s_cbranch_scc1 .LBB66_65
.LBB66_66:
	s_waitcnt lgkmcnt(0)
	v_cmp_eq_f32_e32 vcc, 0, v46
	s_and_saveexec_b64 s[0:1], vcc
	s_xor_b64 s[0:1], exec, s[0:1]
; %bb.67:
	v_cmp_ne_u32_e32 vcc, 0, v19
	s_nop 1
	v_cndmask_b32_e32 v19, 5, v19, vcc
; %bb.68:
	s_andn2_saveexec_b64 s[0:1], s[0:1]
	s_cbranch_execz .LBB66_70
; %bb.69:
	v_div_scale_f32 v47, s[2:3], v46, v46, 1.0
	v_rcp_f32_e32 v48, v47
	v_div_scale_f32 v49, vcc, 1.0, v46, 1.0
	v_fma_f32 v50, -v47, v48, 1.0
	v_fmac_f32_e32 v48, v50, v48
	v_mul_f32_e32 v50, v49, v48
	v_fma_f32 v51, -v47, v50, v49
	v_fmac_f32_e32 v50, v51, v48
	v_fma_f32 v47, -v47, v50, v49
	v_div_fmas_f32 v47, v47, v48, v50
	v_div_fixup_f32 v46, v47, v46, 1.0
.LBB66_70:
	s_or_b64 exec, exec, s[0:1]
	v_cmp_ne_u32_e32 vcc, v45, v42
	s_and_saveexec_b64 s[0:1], vcc
	s_xor_b64 s[0:1], exec, s[0:1]
	s_cbranch_execz .LBB66_76
; %bb.71:
	v_cmp_eq_u32_e32 vcc, 4, v45
	s_and_saveexec_b64 s[2:3], vcc
	s_cbranch_execz .LBB66_75
; %bb.72:
	v_cmp_ne_u32_e32 vcc, 4, v42
	s_xor_b64 s[18:19], s[16:17], -1
	s_and_b64 s[20:21], s[18:19], vcc
	s_and_saveexec_b64 s[18:19], s[20:21]
	s_cbranch_execz .LBB66_74
; %bb.73:
	v_ashrrev_i32_e32 v43, 31, v42
	v_lshl_add_u64 v[48:49], v[42:43], 2, v[20:21]
	global_load_dword v43, v[48:49], off
	global_load_dword v45, v[20:21], off offset:16
	s_waitcnt vmcnt(1)
	global_store_dword v[20:21], v43, off offset:16
	s_waitcnt vmcnt(1)
	global_store_dword v[48:49], v45, off
.LBB66_74:
	s_or_b64 exec, exec, s[18:19]
	v_mov_b32_e32 v43, v42
	v_mov_b32_e32 v45, v42
.LBB66_75:
	s_or_b64 exec, exec, s[2:3]
.LBB66_76:
	s_andn2_saveexec_b64 s[0:1], s[0:1]
	s_cbranch_execz .LBB66_78
; %bb.77:
	s_waitcnt vmcnt(26)
	v_pk_mov_b32 v[48:49], v[6:7], v[0:1] op_sel:[1,0]
	ds_write2_b32 v17, v48, v49 offset0:5 offset1:6
	s_waitcnt vmcnt(24)
	v_pk_mov_b32 v[48:49], v[0:1], v[28:29] op_sel:[1,0]
	ds_write2_b32 v17, v48, v49 offset0:7 offset1:8
	;; [unrolled: 3-line block ×13, first 2 shown]
	s_waitcnt vmcnt(0)
	v_pk_mov_b32 v[48:49], v[26:27], v[36:37] op_sel:[1,0]
	v_mov_b32_e32 v45, 4
	ds_write2_b32 v17, v48, v49 offset0:31 offset1:32
	ds_write_b32 v17, v37 offset:132
.LBB66_78:
	s_or_b64 exec, exec, s[0:1]
	v_cmp_lt_i32_e32 vcc, 4, v45
	s_waitcnt lgkmcnt(0)
	s_barrier
	s_and_saveexec_b64 s[0:1], vcc
	s_cbranch_execz .LBB66_80
; %bb.79:
	ds_read_b32 v42, v17 offset:20
	ds_read2_b32 v[48:49], v17 offset0:6 offset1:7
	ds_read2_b32 v[50:51], v17 offset0:8 offset1:9
	v_mul_f32_e32 v6, v46, v6
	ds_read2_b32 v[46:47], v17 offset0:10 offset1:11
	s_waitcnt vmcnt(28) lgkmcnt(3)
	v_fma_f32 v7, -v6, v42, v7
	s_waitcnt vmcnt(26) lgkmcnt(2)
	v_pk_fma_f32 v[0:1], v[6:7], v[48:49], v[0:1] op_sel_hi:[0,1,1] neg_lo:[1,0,0] neg_hi:[1,0,0]
	s_waitcnt vmcnt(24) lgkmcnt(1)
	v_pk_fma_f32 v[28:29], v[6:7], v[50:51], v[28:29] op_sel_hi:[0,1,1] neg_lo:[1,0,0] neg_hi:[1,0,0]
	ds_read2_b32 v[48:49], v17 offset0:12 offset1:13
	ds_read2_b32 v[50:51], v17 offset0:14 offset1:15
	;; [unrolled: 1-line block ×3, first 2 shown]
	s_waitcnt vmcnt(22) lgkmcnt(3)
	v_pk_fma_f32 v[22:23], v[6:7], v[46:47], v[22:23] op_sel_hi:[0,1,1] neg_lo:[1,0,0] neg_hi:[1,0,0]
	ds_read2_b32 v[46:47], v17 offset0:18 offset1:19
	s_waitcnt vmcnt(20) lgkmcnt(3)
	v_pk_fma_f32 v[12:13], v[6:7], v[48:49], v[12:13] op_sel_hi:[0,1,1] neg_lo:[1,0,0] neg_hi:[1,0,0]
	s_waitcnt vmcnt(18) lgkmcnt(2)
	v_pk_fma_f32 v[8:9], v[6:7], v[50:51], v[8:9] op_sel_hi:[0,1,1] neg_lo:[1,0,0] neg_hi:[1,0,0]
	ds_read2_b32 v[48:49], v17 offset0:20 offset1:21
	ds_read2_b32 v[50:51], v17 offset0:22 offset1:23
	s_waitcnt vmcnt(16) lgkmcnt(3)
	v_pk_fma_f32 v[34:35], v[6:7], v[52:53], v[34:35] op_sel_hi:[0,1,1] neg_lo:[1,0,0] neg_hi:[1,0,0]
	s_waitcnt vmcnt(14) lgkmcnt(2)
	v_pk_fma_f32 v[30:31], v[6:7], v[46:47], v[30:31] op_sel_hi:[0,1,1] neg_lo:[1,0,0] neg_hi:[1,0,0]
	ds_read2_b32 v[46:47], v17 offset0:24 offset1:25
	;; [unrolled: 6-line block ×3, first 2 shown]
	ds_read2_b32 v[50:51], v17 offset0:30 offset1:31
	ds_read2_b32 v[54:55], v17 offset0:32 offset1:33
	s_waitcnt vmcnt(8) lgkmcnt(4)
	v_pk_fma_f32 v[40:41], v[6:7], v[46:47], v[40:41] op_sel_hi:[0,1,1] neg_lo:[1,0,0] neg_hi:[1,0,0]
	s_waitcnt vmcnt(6) lgkmcnt(3)
	v_pk_fma_f32 v[38:39], v[6:7], v[52:53], v[38:39] op_sel_hi:[0,1,1] neg_lo:[1,0,0] neg_hi:[1,0,0]
	;; [unrolled: 2-line block ×5, first 2 shown]
.LBB66_80:
	s_or_b64 exec, exec, s[0:1]
	v_lshl_add_u32 v42, v45, 2, v17
	s_barrier
	s_waitcnt vmcnt(28)
	ds_write_b32 v42, v7
	s_waitcnt lgkmcnt(0)
	s_barrier
	ds_read_b32 v46, v17 offset:20
	s_cmp_lt_i32 s22, 7
	v_mov_b32_e32 v42, 5
	s_cbranch_scc1 .LBB66_83
; %bb.81:
	v_add3_u32 v47, v44, 0, 24
	v_mov_b32_e32 v42, 5
	s_mov_b32 s0, 6
.LBB66_82:                              ; =>This Inner Loop Header: Depth=1
	ds_read_b32 v48, v47
	v_mov_b32_e32 v49, s0
	s_add_i32 s0, s0, 1
	v_add_u32_e32 v47, 4, v47
	s_cmp_lg_u32 s22, s0
	s_waitcnt lgkmcnt(0)
	v_cmp_lt_f32_e64 vcc, |v46|, |v48|
	s_nop 1
	v_cndmask_b32_e32 v46, v46, v48, vcc
	v_cndmask_b32_e32 v42, v42, v49, vcc
	s_cbranch_scc1 .LBB66_82
.LBB66_83:
	s_waitcnt lgkmcnt(0)
	v_cmp_eq_f32_e32 vcc, 0, v46
	s_and_saveexec_b64 s[0:1], vcc
	s_xor_b64 s[0:1], exec, s[0:1]
; %bb.84:
	v_cmp_ne_u32_e32 vcc, 0, v19
	s_nop 1
	v_cndmask_b32_e32 v19, 6, v19, vcc
; %bb.85:
	s_andn2_saveexec_b64 s[0:1], s[0:1]
	s_cbranch_execz .LBB66_87
; %bb.86:
	v_div_scale_f32 v47, s[2:3], v46, v46, 1.0
	v_rcp_f32_e32 v48, v47
	v_div_scale_f32 v49, vcc, 1.0, v46, 1.0
	v_fma_f32 v50, -v47, v48, 1.0
	v_fmac_f32_e32 v48, v50, v48
	v_mul_f32_e32 v50, v49, v48
	v_fma_f32 v51, -v47, v50, v49
	v_fmac_f32_e32 v50, v51, v48
	v_fma_f32 v47, -v47, v50, v49
	v_div_fmas_f32 v47, v47, v48, v50
	v_div_fixup_f32 v46, v47, v46, 1.0
.LBB66_87:
	s_or_b64 exec, exec, s[0:1]
	v_cmp_ne_u32_e32 vcc, v45, v42
	s_and_saveexec_b64 s[0:1], vcc
	s_xor_b64 s[0:1], exec, s[0:1]
	s_cbranch_execz .LBB66_93
; %bb.88:
	v_cmp_eq_u32_e32 vcc, 5, v45
	s_and_saveexec_b64 s[2:3], vcc
	s_cbranch_execz .LBB66_92
; %bb.89:
	v_cmp_ne_u32_e32 vcc, 5, v42
	s_xor_b64 s[18:19], s[16:17], -1
	s_and_b64 s[20:21], s[18:19], vcc
	s_and_saveexec_b64 s[18:19], s[20:21]
	s_cbranch_execz .LBB66_91
; %bb.90:
	v_ashrrev_i32_e32 v43, 31, v42
	v_lshl_add_u64 v[48:49], v[42:43], 2, v[20:21]
	global_load_dword v43, v[48:49], off
	global_load_dword v45, v[20:21], off offset:20
	s_waitcnt vmcnt(1)
	global_store_dword v[20:21], v43, off offset:20
	s_waitcnt vmcnt(1)
	global_store_dword v[48:49], v45, off
.LBB66_91:
	s_or_b64 exec, exec, s[18:19]
	v_mov_b32_e32 v43, v42
	v_mov_b32_e32 v45, v42
.LBB66_92:
	s_or_b64 exec, exec, s[2:3]
.LBB66_93:
	s_andn2_saveexec_b64 s[0:1], s[0:1]
	s_cbranch_execz .LBB66_95
; %bb.94:
	v_mov_b32_e32 v45, 5
	s_waitcnt vmcnt(26)
	ds_write2_b32 v17, v0, v1 offset0:6 offset1:7
	s_waitcnt vmcnt(24)
	ds_write2_b32 v17, v28, v29 offset0:8 offset1:9
	;; [unrolled: 2-line block ×14, first 2 shown]
.LBB66_95:
	s_or_b64 exec, exec, s[0:1]
	v_cmp_lt_i32_e32 vcc, 5, v45
	s_waitcnt lgkmcnt(0)
	s_barrier
	s_and_saveexec_b64 s[0:1], vcc
	s_cbranch_execz .LBB66_97
; %bb.96:
	ds_read2_b32 v[48:49], v17 offset0:6 offset1:7
	ds_read2_b32 v[50:51], v17 offset0:8 offset1:9
	;; [unrolled: 1-line block ×3, first 2 shown]
	v_mul_f32_e32 v42, v46, v7
	ds_read2_b32 v[46:47], v17 offset0:12 offset1:13
	s_waitcnt vmcnt(26) lgkmcnt(3)
	v_pk_fma_f32 v[0:1], v[42:43], v[48:49], v[0:1] op_sel_hi:[0,1,1] neg_lo:[1,0,0] neg_hi:[1,0,0]
	s_waitcnt vmcnt(24) lgkmcnt(2)
	v_pk_fma_f32 v[28:29], v[42:43], v[50:51], v[28:29] op_sel_hi:[0,1,1] neg_lo:[1,0,0] neg_hi:[1,0,0]
	;; [unrolled: 2-line block ×3, first 2 shown]
	ds_read2_b32 v[48:49], v17 offset0:14 offset1:15
	ds_read2_b32 v[50:51], v17 offset0:16 offset1:17
	;; [unrolled: 1-line block ×3, first 2 shown]
	s_waitcnt vmcnt(20) lgkmcnt(3)
	v_pk_fma_f32 v[12:13], v[42:43], v[46:47], v[12:13] op_sel_hi:[0,1,1] neg_lo:[1,0,0] neg_hi:[1,0,0]
	ds_read2_b32 v[46:47], v17 offset0:20 offset1:21
	s_waitcnt vmcnt(18) lgkmcnt(3)
	v_pk_fma_f32 v[8:9], v[42:43], v[48:49], v[8:9] op_sel_hi:[0,1,1] neg_lo:[1,0,0] neg_hi:[1,0,0]
	ds_read2_b32 v[48:49], v17 offset0:22 offset1:23
	s_waitcnt vmcnt(16) lgkmcnt(3)
	v_pk_fma_f32 v[34:35], v[42:43], v[50:51], v[34:35] op_sel_hi:[0,1,1] neg_lo:[1,0,0] neg_hi:[1,0,0]
	s_waitcnt vmcnt(14) lgkmcnt(2)
	v_pk_fma_f32 v[30:31], v[42:43], v[52:53], v[30:31] op_sel_hi:[0,1,1] neg_lo:[1,0,0] neg_hi:[1,0,0]
	s_waitcnt vmcnt(12) lgkmcnt(1)
	v_pk_fma_f32 v[24:25], v[42:43], v[46:47], v[24:25] op_sel_hi:[0,1,1] neg_lo:[1,0,0] neg_hi:[1,0,0]
	ds_read2_b32 v[46:47], v17 offset0:24 offset1:25
	ds_read2_b32 v[50:51], v17 offset0:26 offset1:27
	;; [unrolled: 1-line block ×3, first 2 shown]
	s_waitcnt vmcnt(10) lgkmcnt(3)
	v_pk_fma_f32 v[14:15], v[42:43], v[48:49], v[14:15] op_sel_hi:[0,1,1] neg_lo:[1,0,0] neg_hi:[1,0,0]
	ds_read2_b32 v[48:49], v17 offset0:30 offset1:31
	ds_read2_b32 v[54:55], v17 offset0:32 offset1:33
	s_waitcnt vmcnt(8) lgkmcnt(4)
	v_pk_fma_f32 v[40:41], v[42:43], v[46:47], v[40:41] op_sel_hi:[0,1,1] neg_lo:[1,0,0] neg_hi:[1,0,0]
	s_waitcnt vmcnt(6) lgkmcnt(3)
	v_pk_fma_f32 v[38:39], v[42:43], v[50:51], v[38:39] op_sel_hi:[0,1,1] neg_lo:[1,0,0] neg_hi:[1,0,0]
	;; [unrolled: 2-line block ×5, first 2 shown]
	v_mov_b32_e32 v7, v42
.LBB66_97:
	s_or_b64 exec, exec, s[0:1]
	v_lshl_add_u32 v42, v45, 2, v17
	s_barrier
	s_waitcnt vmcnt(27)
	ds_write_b32 v42, v0
	s_waitcnt lgkmcnt(0)
	s_barrier
	ds_read_b32 v46, v17 offset:24
	s_cmp_lt_i32 s22, 8
	v_mov_b32_e32 v42, 6
	s_cbranch_scc1 .LBB66_100
; %bb.98:
	v_add3_u32 v47, v44, 0, 28
	v_mov_b32_e32 v42, 6
	s_mov_b32 s0, 7
.LBB66_99:                              ; =>This Inner Loop Header: Depth=1
	ds_read_b32 v48, v47
	v_mov_b32_e32 v49, s0
	s_add_i32 s0, s0, 1
	v_add_u32_e32 v47, 4, v47
	s_cmp_lg_u32 s22, s0
	s_waitcnt lgkmcnt(0)
	v_cmp_lt_f32_e64 vcc, |v46|, |v48|
	s_nop 1
	v_cndmask_b32_e32 v46, v46, v48, vcc
	v_cndmask_b32_e32 v42, v42, v49, vcc
	s_cbranch_scc1 .LBB66_99
.LBB66_100:
	s_waitcnt lgkmcnt(0)
	v_cmp_eq_f32_e32 vcc, 0, v46
	s_and_saveexec_b64 s[0:1], vcc
	s_xor_b64 s[0:1], exec, s[0:1]
; %bb.101:
	v_cmp_ne_u32_e32 vcc, 0, v19
	s_nop 1
	v_cndmask_b32_e32 v19, 7, v19, vcc
; %bb.102:
	s_andn2_saveexec_b64 s[0:1], s[0:1]
	s_cbranch_execz .LBB66_104
; %bb.103:
	v_div_scale_f32 v47, s[2:3], v46, v46, 1.0
	v_rcp_f32_e32 v48, v47
	v_div_scale_f32 v49, vcc, 1.0, v46, 1.0
	v_fma_f32 v50, -v47, v48, 1.0
	v_fmac_f32_e32 v48, v50, v48
	v_mul_f32_e32 v50, v49, v48
	v_fma_f32 v51, -v47, v50, v49
	v_fmac_f32_e32 v50, v51, v48
	v_fma_f32 v47, -v47, v50, v49
	v_div_fmas_f32 v47, v47, v48, v50
	v_div_fixup_f32 v46, v47, v46, 1.0
.LBB66_104:
	s_or_b64 exec, exec, s[0:1]
	v_cmp_ne_u32_e32 vcc, v45, v42
	s_and_saveexec_b64 s[0:1], vcc
	s_xor_b64 s[0:1], exec, s[0:1]
	s_cbranch_execz .LBB66_110
; %bb.105:
	v_cmp_eq_u32_e32 vcc, 6, v45
	s_and_saveexec_b64 s[2:3], vcc
	s_cbranch_execz .LBB66_109
; %bb.106:
	v_cmp_ne_u32_e32 vcc, 6, v42
	s_xor_b64 s[18:19], s[16:17], -1
	s_and_b64 s[20:21], s[18:19], vcc
	s_and_saveexec_b64 s[18:19], s[20:21]
	s_cbranch_execz .LBB66_108
; %bb.107:
	v_ashrrev_i32_e32 v43, 31, v42
	v_lshl_add_u64 v[48:49], v[42:43], 2, v[20:21]
	global_load_dword v43, v[48:49], off
	global_load_dword v45, v[20:21], off offset:24
	s_waitcnt vmcnt(1)
	global_store_dword v[20:21], v43, off offset:24
	s_waitcnt vmcnt(1)
	global_store_dword v[48:49], v45, off
.LBB66_108:
	s_or_b64 exec, exec, s[18:19]
	v_mov_b32_e32 v43, v42
	v_mov_b32_e32 v45, v42
.LBB66_109:
	s_or_b64 exec, exec, s[2:3]
.LBB66_110:
	s_andn2_saveexec_b64 s[0:1], s[0:1]
	s_cbranch_execz .LBB66_112
; %bb.111:
	s_waitcnt vmcnt(24)
	v_pk_mov_b32 v[48:49], v[0:1], v[28:29] op_sel:[1,0]
	ds_write2_b32 v17, v48, v49 offset0:7 offset1:8
	s_waitcnt vmcnt(22)
	v_pk_mov_b32 v[48:49], v[28:29], v[22:23] op_sel:[1,0]
	ds_write2_b32 v17, v48, v49 offset0:9 offset1:10
	;; [unrolled: 3-line block ×12, first 2 shown]
	s_waitcnt vmcnt(0)
	v_pk_mov_b32 v[48:49], v[26:27], v[36:37] op_sel:[1,0]
	v_mov_b32_e32 v45, 6
	ds_write2_b32 v17, v48, v49 offset0:31 offset1:32
	ds_write_b32 v17, v37 offset:132
.LBB66_112:
	s_or_b64 exec, exec, s[0:1]
	v_cmp_lt_i32_e32 vcc, 6, v45
	s_waitcnt lgkmcnt(0)
	s_barrier
	s_and_saveexec_b64 s[0:1], vcc
	s_cbranch_execz .LBB66_114
; %bb.113:
	ds_read_b32 v42, v17 offset:28
	ds_read2_b32 v[48:49], v17 offset0:8 offset1:9
	ds_read2_b32 v[50:51], v17 offset0:10 offset1:11
	v_mul_f32_e32 v0, v46, v0
	ds_read2_b32 v[46:47], v17 offset0:12 offset1:13
	s_waitcnt vmcnt(26) lgkmcnt(3)
	v_fma_f32 v1, -v0, v42, v1
	s_waitcnt vmcnt(24) lgkmcnt(2)
	v_pk_fma_f32 v[28:29], v[0:1], v[48:49], v[28:29] op_sel_hi:[0,1,1] neg_lo:[1,0,0] neg_hi:[1,0,0]
	s_waitcnt vmcnt(22) lgkmcnt(1)
	v_pk_fma_f32 v[22:23], v[0:1], v[50:51], v[22:23] op_sel_hi:[0,1,1] neg_lo:[1,0,0] neg_hi:[1,0,0]
	ds_read2_b32 v[48:49], v17 offset0:14 offset1:15
	ds_read2_b32 v[50:51], v17 offset0:16 offset1:17
	ds_read2_b32 v[52:53], v17 offset0:18 offset1:19
	s_waitcnt vmcnt(20) lgkmcnt(3)
	v_pk_fma_f32 v[12:13], v[0:1], v[46:47], v[12:13] op_sel_hi:[0,1,1] neg_lo:[1,0,0] neg_hi:[1,0,0]
	ds_read2_b32 v[46:47], v17 offset0:20 offset1:21
	s_waitcnt vmcnt(18) lgkmcnt(3)
	v_pk_fma_f32 v[8:9], v[0:1], v[48:49], v[8:9] op_sel_hi:[0,1,1] neg_lo:[1,0,0] neg_hi:[1,0,0]
	ds_read2_b32 v[48:49], v17 offset0:22 offset1:23
	s_waitcnt vmcnt(16) lgkmcnt(3)
	v_pk_fma_f32 v[34:35], v[0:1], v[50:51], v[34:35] op_sel_hi:[0,1,1] neg_lo:[1,0,0] neg_hi:[1,0,0]
	s_waitcnt vmcnt(14) lgkmcnt(2)
	v_pk_fma_f32 v[30:31], v[0:1], v[52:53], v[30:31] op_sel_hi:[0,1,1] neg_lo:[1,0,0] neg_hi:[1,0,0]
	;; [unrolled: 2-line block ×3, first 2 shown]
	ds_read2_b32 v[46:47], v17 offset0:24 offset1:25
	ds_read2_b32 v[50:51], v17 offset0:26 offset1:27
	;; [unrolled: 1-line block ×3, first 2 shown]
	s_waitcnt vmcnt(10) lgkmcnt(3)
	v_pk_fma_f32 v[14:15], v[0:1], v[48:49], v[14:15] op_sel_hi:[0,1,1] neg_lo:[1,0,0] neg_hi:[1,0,0]
	ds_read2_b32 v[48:49], v17 offset0:30 offset1:31
	ds_read2_b32 v[54:55], v17 offset0:32 offset1:33
	s_waitcnt vmcnt(8) lgkmcnt(4)
	v_pk_fma_f32 v[40:41], v[0:1], v[46:47], v[40:41] op_sel_hi:[0,1,1] neg_lo:[1,0,0] neg_hi:[1,0,0]
	s_waitcnt vmcnt(6) lgkmcnt(3)
	v_pk_fma_f32 v[38:39], v[0:1], v[50:51], v[38:39] op_sel_hi:[0,1,1] neg_lo:[1,0,0] neg_hi:[1,0,0]
	;; [unrolled: 2-line block ×5, first 2 shown]
.LBB66_114:
	s_or_b64 exec, exec, s[0:1]
	v_lshl_add_u32 v42, v45, 2, v17
	s_barrier
	s_waitcnt vmcnt(26)
	ds_write_b32 v42, v1
	s_waitcnt lgkmcnt(0)
	s_barrier
	ds_read_b32 v46, v17 offset:28
	s_cmp_lt_i32 s22, 9
	v_mov_b32_e32 v42, 7
	s_cbranch_scc1 .LBB66_117
; %bb.115:
	v_add3_u32 v47, v44, 0, 32
	v_mov_b32_e32 v42, 7
	s_mov_b32 s0, 8
.LBB66_116:                             ; =>This Inner Loop Header: Depth=1
	ds_read_b32 v48, v47
	v_mov_b32_e32 v49, s0
	s_add_i32 s0, s0, 1
	v_add_u32_e32 v47, 4, v47
	s_cmp_lg_u32 s22, s0
	s_waitcnt lgkmcnt(0)
	v_cmp_lt_f32_e64 vcc, |v46|, |v48|
	s_nop 1
	v_cndmask_b32_e32 v46, v46, v48, vcc
	v_cndmask_b32_e32 v42, v42, v49, vcc
	s_cbranch_scc1 .LBB66_116
.LBB66_117:
	s_waitcnt lgkmcnt(0)
	v_cmp_eq_f32_e32 vcc, 0, v46
	s_and_saveexec_b64 s[0:1], vcc
	s_xor_b64 s[0:1], exec, s[0:1]
; %bb.118:
	v_cmp_ne_u32_e32 vcc, 0, v19
	s_nop 1
	v_cndmask_b32_e32 v19, 8, v19, vcc
; %bb.119:
	s_andn2_saveexec_b64 s[0:1], s[0:1]
	s_cbranch_execz .LBB66_121
; %bb.120:
	v_div_scale_f32 v47, s[2:3], v46, v46, 1.0
	v_rcp_f32_e32 v48, v47
	v_div_scale_f32 v49, vcc, 1.0, v46, 1.0
	v_fma_f32 v50, -v47, v48, 1.0
	v_fmac_f32_e32 v48, v50, v48
	v_mul_f32_e32 v50, v49, v48
	v_fma_f32 v51, -v47, v50, v49
	v_fmac_f32_e32 v50, v51, v48
	v_fma_f32 v47, -v47, v50, v49
	v_div_fmas_f32 v47, v47, v48, v50
	v_div_fixup_f32 v46, v47, v46, 1.0
.LBB66_121:
	s_or_b64 exec, exec, s[0:1]
	v_cmp_ne_u32_e32 vcc, v45, v42
	s_and_saveexec_b64 s[0:1], vcc
	s_xor_b64 s[0:1], exec, s[0:1]
	s_cbranch_execz .LBB66_127
; %bb.122:
	v_cmp_eq_u32_e32 vcc, 7, v45
	s_and_saveexec_b64 s[2:3], vcc
	s_cbranch_execz .LBB66_126
; %bb.123:
	v_cmp_ne_u32_e32 vcc, 7, v42
	s_xor_b64 s[18:19], s[16:17], -1
	s_and_b64 s[20:21], s[18:19], vcc
	s_and_saveexec_b64 s[18:19], s[20:21]
	s_cbranch_execz .LBB66_125
; %bb.124:
	v_ashrrev_i32_e32 v43, 31, v42
	v_lshl_add_u64 v[48:49], v[42:43], 2, v[20:21]
	global_load_dword v43, v[48:49], off
	global_load_dword v45, v[20:21], off offset:28
	s_waitcnt vmcnt(1)
	global_store_dword v[20:21], v43, off offset:28
	s_waitcnt vmcnt(1)
	global_store_dword v[48:49], v45, off
.LBB66_125:
	s_or_b64 exec, exec, s[18:19]
	v_mov_b32_e32 v43, v42
	v_mov_b32_e32 v45, v42
.LBB66_126:
	s_or_b64 exec, exec, s[2:3]
.LBB66_127:
	s_andn2_saveexec_b64 s[0:1], s[0:1]
	s_cbranch_execz .LBB66_129
; %bb.128:
	v_mov_b32_e32 v45, 7
	s_waitcnt vmcnt(24)
	ds_write2_b32 v17, v28, v29 offset0:8 offset1:9
	s_waitcnt vmcnt(22)
	ds_write2_b32 v17, v22, v23 offset0:10 offset1:11
	s_waitcnt vmcnt(20)
	ds_write2_b32 v17, v12, v13 offset0:12 offset1:13
	s_waitcnt vmcnt(18)
	ds_write2_b32 v17, v8, v9 offset0:14 offset1:15
	s_waitcnt vmcnt(16)
	ds_write2_b32 v17, v34, v35 offset0:16 offset1:17
	s_waitcnt vmcnt(14)
	ds_write2_b32 v17, v30, v31 offset0:18 offset1:19
	s_waitcnt vmcnt(12)
	ds_write2_b32 v17, v24, v25 offset0:20 offset1:21
	s_waitcnt vmcnt(10)
	ds_write2_b32 v17, v14, v15 offset0:22 offset1:23
	s_waitcnt vmcnt(8)
	ds_write2_b32 v17, v40, v41 offset0:24 offset1:25
	s_waitcnt vmcnt(6)
	ds_write2_b32 v17, v38, v39 offset0:26 offset1:27
	s_waitcnt vmcnt(4)
	ds_write2_b32 v17, v32, v33 offset0:28 offset1:29
	s_waitcnt vmcnt(2)
	ds_write2_b32 v17, v26, v27 offset0:30 offset1:31
	s_waitcnt vmcnt(0)
	ds_write2_b32 v17, v36, v37 offset0:32 offset1:33
.LBB66_129:
	s_or_b64 exec, exec, s[0:1]
	v_cmp_lt_i32_e32 vcc, 7, v45
	s_waitcnt lgkmcnt(0)
	s_barrier
	s_and_saveexec_b64 s[0:1], vcc
	s_cbranch_execz .LBB66_131
; %bb.130:
	ds_read2_b32 v[48:49], v17 offset0:8 offset1:9
	ds_read2_b32 v[50:51], v17 offset0:10 offset1:11
	;; [unrolled: 1-line block ×3, first 2 shown]
	v_mul_f32_e32 v42, v46, v1
	ds_read2_b32 v[46:47], v17 offset0:14 offset1:15
	s_waitcnt vmcnt(24) lgkmcnt(3)
	v_pk_fma_f32 v[28:29], v[42:43], v[48:49], v[28:29] op_sel_hi:[0,1,1] neg_lo:[1,0,0] neg_hi:[1,0,0]
	s_waitcnt vmcnt(22) lgkmcnt(2)
	v_pk_fma_f32 v[22:23], v[42:43], v[50:51], v[22:23] op_sel_hi:[0,1,1] neg_lo:[1,0,0] neg_hi:[1,0,0]
	;; [unrolled: 2-line block ×3, first 2 shown]
	ds_read2_b32 v[48:49], v17 offset0:16 offset1:17
	ds_read2_b32 v[50:51], v17 offset0:18 offset1:19
	;; [unrolled: 1-line block ×4, first 2 shown]
	s_waitcnt vmcnt(18) lgkmcnt(4)
	v_pk_fma_f32 v[8:9], v[42:43], v[46:47], v[8:9] op_sel_hi:[0,1,1] neg_lo:[1,0,0] neg_hi:[1,0,0]
	s_waitcnt vmcnt(16) lgkmcnt(3)
	v_pk_fma_f32 v[34:35], v[42:43], v[48:49], v[34:35] op_sel_hi:[0,1,1] neg_lo:[1,0,0] neg_hi:[1,0,0]
	;; [unrolled: 2-line block ×5, first 2 shown]
	ds_read2_b32 v[46:47], v17 offset0:24 offset1:25
	ds_read2_b32 v[48:49], v17 offset0:26 offset1:27
	;; [unrolled: 1-line block ×5, first 2 shown]
	s_waitcnt vmcnt(8) lgkmcnt(4)
	v_pk_fma_f32 v[40:41], v[42:43], v[46:47], v[40:41] op_sel_hi:[0,1,1] neg_lo:[1,0,0] neg_hi:[1,0,0]
	s_waitcnt vmcnt(6) lgkmcnt(3)
	v_pk_fma_f32 v[38:39], v[42:43], v[48:49], v[38:39] op_sel_hi:[0,1,1] neg_lo:[1,0,0] neg_hi:[1,0,0]
	;; [unrolled: 2-line block ×5, first 2 shown]
	v_mov_b32_e32 v1, v42
.LBB66_131:
	s_or_b64 exec, exec, s[0:1]
	v_lshl_add_u32 v42, v45, 2, v17
	s_barrier
	s_waitcnt vmcnt(25)
	ds_write_b32 v42, v28
	s_waitcnt lgkmcnt(0)
	s_barrier
	ds_read_b32 v46, v17 offset:32
	s_cmp_lt_i32 s22, 10
	v_mov_b32_e32 v42, 8
	s_cbranch_scc1 .LBB66_134
; %bb.132:
	v_add3_u32 v47, v44, 0, 36
	v_mov_b32_e32 v42, 8
	s_mov_b32 s0, 9
.LBB66_133:                             ; =>This Inner Loop Header: Depth=1
	ds_read_b32 v48, v47
	v_mov_b32_e32 v49, s0
	s_add_i32 s0, s0, 1
	v_add_u32_e32 v47, 4, v47
	s_cmp_lg_u32 s22, s0
	s_waitcnt lgkmcnt(0)
	v_cmp_lt_f32_e64 vcc, |v46|, |v48|
	s_nop 1
	v_cndmask_b32_e32 v46, v46, v48, vcc
	v_cndmask_b32_e32 v42, v42, v49, vcc
	s_cbranch_scc1 .LBB66_133
.LBB66_134:
	s_waitcnt lgkmcnt(0)
	v_cmp_eq_f32_e32 vcc, 0, v46
	s_and_saveexec_b64 s[0:1], vcc
	s_xor_b64 s[0:1], exec, s[0:1]
; %bb.135:
	v_cmp_ne_u32_e32 vcc, 0, v19
	s_nop 1
	v_cndmask_b32_e32 v19, 9, v19, vcc
; %bb.136:
	s_andn2_saveexec_b64 s[0:1], s[0:1]
	s_cbranch_execz .LBB66_138
; %bb.137:
	v_div_scale_f32 v47, s[2:3], v46, v46, 1.0
	v_rcp_f32_e32 v48, v47
	v_div_scale_f32 v49, vcc, 1.0, v46, 1.0
	v_fma_f32 v50, -v47, v48, 1.0
	v_fmac_f32_e32 v48, v50, v48
	v_mul_f32_e32 v50, v49, v48
	v_fma_f32 v51, -v47, v50, v49
	v_fmac_f32_e32 v50, v51, v48
	v_fma_f32 v47, -v47, v50, v49
	v_div_fmas_f32 v47, v47, v48, v50
	v_div_fixup_f32 v46, v47, v46, 1.0
.LBB66_138:
	s_or_b64 exec, exec, s[0:1]
	v_cmp_ne_u32_e32 vcc, v45, v42
	s_and_saveexec_b64 s[0:1], vcc
	s_xor_b64 s[0:1], exec, s[0:1]
	s_cbranch_execz .LBB66_144
; %bb.139:
	v_cmp_eq_u32_e32 vcc, 8, v45
	s_and_saveexec_b64 s[2:3], vcc
	s_cbranch_execz .LBB66_143
; %bb.140:
	v_cmp_ne_u32_e32 vcc, 8, v42
	s_xor_b64 s[18:19], s[16:17], -1
	s_and_b64 s[20:21], s[18:19], vcc
	s_and_saveexec_b64 s[18:19], s[20:21]
	s_cbranch_execz .LBB66_142
; %bb.141:
	v_ashrrev_i32_e32 v43, 31, v42
	v_lshl_add_u64 v[48:49], v[42:43], 2, v[20:21]
	global_load_dword v43, v[48:49], off
	global_load_dword v45, v[20:21], off offset:32
	s_waitcnt vmcnt(1)
	global_store_dword v[20:21], v43, off offset:32
	s_waitcnt vmcnt(1)
	global_store_dword v[48:49], v45, off
.LBB66_142:
	s_or_b64 exec, exec, s[18:19]
	v_mov_b32_e32 v43, v42
	v_mov_b32_e32 v45, v42
.LBB66_143:
	s_or_b64 exec, exec, s[2:3]
.LBB66_144:
	s_andn2_saveexec_b64 s[0:1], s[0:1]
	s_cbranch_execz .LBB66_146
; %bb.145:
	s_waitcnt vmcnt(22)
	v_pk_mov_b32 v[48:49], v[28:29], v[22:23] op_sel:[1,0]
	ds_write2_b32 v17, v48, v49 offset0:9 offset1:10
	s_waitcnt vmcnt(20)
	v_pk_mov_b32 v[48:49], v[22:23], v[12:13] op_sel:[1,0]
	ds_write2_b32 v17, v48, v49 offset0:11 offset1:12
	;; [unrolled: 3-line block ×11, first 2 shown]
	s_waitcnt vmcnt(0)
	v_pk_mov_b32 v[48:49], v[26:27], v[36:37] op_sel:[1,0]
	v_mov_b32_e32 v45, 8
	ds_write2_b32 v17, v48, v49 offset0:31 offset1:32
	ds_write_b32 v17, v37 offset:132
.LBB66_146:
	s_or_b64 exec, exec, s[0:1]
	v_cmp_lt_i32_e32 vcc, 8, v45
	s_waitcnt lgkmcnt(0)
	s_barrier
	s_and_saveexec_b64 s[0:1], vcc
	s_cbranch_execz .LBB66_148
; %bb.147:
	ds_read_b32 v42, v17 offset:36
	ds_read2_b32 v[48:49], v17 offset0:10 offset1:11
	ds_read2_b32 v[50:51], v17 offset0:12 offset1:13
	v_mul_f32_e32 v28, v46, v28
	ds_read2_b32 v[46:47], v17 offset0:14 offset1:15
	s_waitcnt vmcnt(24) lgkmcnt(3)
	v_fma_f32 v29, -v28, v42, v29
	s_waitcnt vmcnt(22) lgkmcnt(2)
	v_pk_fma_f32 v[22:23], v[28:29], v[48:49], v[22:23] op_sel_hi:[0,1,1] neg_lo:[1,0,0] neg_hi:[1,0,0]
	s_waitcnt vmcnt(20) lgkmcnt(1)
	v_pk_fma_f32 v[12:13], v[28:29], v[50:51], v[12:13] op_sel_hi:[0,1,1] neg_lo:[1,0,0] neg_hi:[1,0,0]
	ds_read2_b32 v[48:49], v17 offset0:16 offset1:17
	ds_read2_b32 v[50:51], v17 offset0:18 offset1:19
	;; [unrolled: 1-line block ×4, first 2 shown]
	s_waitcnt vmcnt(18) lgkmcnt(4)
	v_pk_fma_f32 v[8:9], v[28:29], v[46:47], v[8:9] op_sel_hi:[0,1,1] neg_lo:[1,0,0] neg_hi:[1,0,0]
	s_waitcnt vmcnt(16) lgkmcnt(3)
	v_pk_fma_f32 v[34:35], v[28:29], v[48:49], v[34:35] op_sel_hi:[0,1,1] neg_lo:[1,0,0] neg_hi:[1,0,0]
	;; [unrolled: 2-line block ×5, first 2 shown]
	ds_read2_b32 v[46:47], v17 offset0:24 offset1:25
	ds_read2_b32 v[48:49], v17 offset0:26 offset1:27
	;; [unrolled: 1-line block ×5, first 2 shown]
	s_waitcnt vmcnt(8) lgkmcnt(4)
	v_pk_fma_f32 v[40:41], v[28:29], v[46:47], v[40:41] op_sel_hi:[0,1,1] neg_lo:[1,0,0] neg_hi:[1,0,0]
	s_waitcnt vmcnt(6) lgkmcnt(3)
	v_pk_fma_f32 v[38:39], v[28:29], v[48:49], v[38:39] op_sel_hi:[0,1,1] neg_lo:[1,0,0] neg_hi:[1,0,0]
	;; [unrolled: 2-line block ×5, first 2 shown]
.LBB66_148:
	s_or_b64 exec, exec, s[0:1]
	v_lshl_add_u32 v42, v45, 2, v17
	s_barrier
	s_waitcnt vmcnt(24)
	ds_write_b32 v42, v29
	s_waitcnt lgkmcnt(0)
	s_barrier
	ds_read_b32 v46, v17 offset:36
	s_cmp_lt_i32 s22, 11
	v_mov_b32_e32 v42, 9
	s_cbranch_scc1 .LBB66_151
; %bb.149:
	v_add3_u32 v47, v44, 0, 40
	v_mov_b32_e32 v42, 9
	s_mov_b32 s0, 10
.LBB66_150:                             ; =>This Inner Loop Header: Depth=1
	ds_read_b32 v48, v47
	v_mov_b32_e32 v49, s0
	s_add_i32 s0, s0, 1
	v_add_u32_e32 v47, 4, v47
	s_cmp_lg_u32 s22, s0
	s_waitcnt lgkmcnt(0)
	v_cmp_lt_f32_e64 vcc, |v46|, |v48|
	s_nop 1
	v_cndmask_b32_e32 v46, v46, v48, vcc
	v_cndmask_b32_e32 v42, v42, v49, vcc
	s_cbranch_scc1 .LBB66_150
.LBB66_151:
	s_waitcnt lgkmcnt(0)
	v_cmp_eq_f32_e32 vcc, 0, v46
	s_and_saveexec_b64 s[0:1], vcc
	s_xor_b64 s[0:1], exec, s[0:1]
; %bb.152:
	v_cmp_ne_u32_e32 vcc, 0, v19
	s_nop 1
	v_cndmask_b32_e32 v19, 10, v19, vcc
; %bb.153:
	s_andn2_saveexec_b64 s[0:1], s[0:1]
	s_cbranch_execz .LBB66_155
; %bb.154:
	v_div_scale_f32 v47, s[2:3], v46, v46, 1.0
	v_rcp_f32_e32 v48, v47
	v_div_scale_f32 v49, vcc, 1.0, v46, 1.0
	v_fma_f32 v50, -v47, v48, 1.0
	v_fmac_f32_e32 v48, v50, v48
	v_mul_f32_e32 v50, v49, v48
	v_fma_f32 v51, -v47, v50, v49
	v_fmac_f32_e32 v50, v51, v48
	v_fma_f32 v47, -v47, v50, v49
	v_div_fmas_f32 v47, v47, v48, v50
	v_div_fixup_f32 v46, v47, v46, 1.0
.LBB66_155:
	s_or_b64 exec, exec, s[0:1]
	v_cmp_ne_u32_e32 vcc, v45, v42
	s_and_saveexec_b64 s[0:1], vcc
	s_xor_b64 s[0:1], exec, s[0:1]
	s_cbranch_execz .LBB66_161
; %bb.156:
	v_cmp_eq_u32_e32 vcc, 9, v45
	s_and_saveexec_b64 s[2:3], vcc
	s_cbranch_execz .LBB66_160
; %bb.157:
	v_cmp_ne_u32_e32 vcc, 9, v42
	s_xor_b64 s[18:19], s[16:17], -1
	s_and_b64 s[20:21], s[18:19], vcc
	s_and_saveexec_b64 s[18:19], s[20:21]
	s_cbranch_execz .LBB66_159
; %bb.158:
	v_ashrrev_i32_e32 v43, 31, v42
	v_lshl_add_u64 v[48:49], v[42:43], 2, v[20:21]
	global_load_dword v43, v[48:49], off
	global_load_dword v45, v[20:21], off offset:36
	s_waitcnt vmcnt(1)
	global_store_dword v[20:21], v43, off offset:36
	s_waitcnt vmcnt(1)
	global_store_dword v[48:49], v45, off
.LBB66_159:
	s_or_b64 exec, exec, s[18:19]
	v_mov_b32_e32 v43, v42
	v_mov_b32_e32 v45, v42
.LBB66_160:
	s_or_b64 exec, exec, s[2:3]
.LBB66_161:
	s_andn2_saveexec_b64 s[0:1], s[0:1]
	s_cbranch_execz .LBB66_163
; %bb.162:
	v_mov_b32_e32 v45, 9
	s_waitcnt vmcnt(22)
	ds_write2_b32 v17, v22, v23 offset0:10 offset1:11
	s_waitcnt vmcnt(20)
	ds_write2_b32 v17, v12, v13 offset0:12 offset1:13
	;; [unrolled: 2-line block ×12, first 2 shown]
.LBB66_163:
	s_or_b64 exec, exec, s[0:1]
	v_cmp_lt_i32_e32 vcc, 9, v45
	s_waitcnt lgkmcnt(0)
	s_barrier
	s_and_saveexec_b64 s[0:1], vcc
	s_cbranch_execz .LBB66_165
; %bb.164:
	ds_read2_b32 v[48:49], v17 offset0:10 offset1:11
	ds_read2_b32 v[50:51], v17 offset0:12 offset1:13
	;; [unrolled: 1-line block ×3, first 2 shown]
	v_mul_f32_e32 v42, v46, v29
	ds_read2_b32 v[46:47], v17 offset0:16 offset1:17
	s_waitcnt vmcnt(22) lgkmcnt(3)
	v_pk_fma_f32 v[22:23], v[42:43], v[48:49], v[22:23] op_sel_hi:[0,1,1] neg_lo:[1,0,0] neg_hi:[1,0,0]
	s_waitcnt vmcnt(20) lgkmcnt(2)
	v_pk_fma_f32 v[12:13], v[42:43], v[50:51], v[12:13] op_sel_hi:[0,1,1] neg_lo:[1,0,0] neg_hi:[1,0,0]
	s_waitcnt vmcnt(18) lgkmcnt(1)
	v_pk_fma_f32 v[8:9], v[42:43], v[52:53], v[8:9] op_sel_hi:[0,1,1] neg_lo:[1,0,0] neg_hi:[1,0,0]
	ds_read2_b32 v[48:49], v17 offset0:18 offset1:19
	ds_read2_b32 v[50:51], v17 offset0:20 offset1:21
	;; [unrolled: 1-line block ×3, first 2 shown]
	s_waitcnt vmcnt(16) lgkmcnt(3)
	v_pk_fma_f32 v[34:35], v[42:43], v[46:47], v[34:35] op_sel_hi:[0,1,1] neg_lo:[1,0,0] neg_hi:[1,0,0]
	ds_read2_b32 v[46:47], v17 offset0:24 offset1:25
	s_waitcnt vmcnt(14) lgkmcnt(3)
	v_pk_fma_f32 v[30:31], v[42:43], v[48:49], v[30:31] op_sel_hi:[0,1,1] neg_lo:[1,0,0] neg_hi:[1,0,0]
	s_waitcnt vmcnt(12) lgkmcnt(2)
	v_pk_fma_f32 v[24:25], v[42:43], v[50:51], v[24:25] op_sel_hi:[0,1,1] neg_lo:[1,0,0] neg_hi:[1,0,0]
	;; [unrolled: 2-line block ×3, first 2 shown]
	ds_read2_b32 v[48:49], v17 offset0:26 offset1:27
	ds_read2_b32 v[50:51], v17 offset0:28 offset1:29
	;; [unrolled: 1-line block ×4, first 2 shown]
	s_waitcnt vmcnt(8) lgkmcnt(4)
	v_pk_fma_f32 v[40:41], v[42:43], v[46:47], v[40:41] op_sel_hi:[0,1,1] neg_lo:[1,0,0] neg_hi:[1,0,0]
	s_waitcnt vmcnt(6) lgkmcnt(3)
	v_pk_fma_f32 v[38:39], v[42:43], v[48:49], v[38:39] op_sel_hi:[0,1,1] neg_lo:[1,0,0] neg_hi:[1,0,0]
	;; [unrolled: 2-line block ×5, first 2 shown]
	v_mov_b32_e32 v29, v42
.LBB66_165:
	s_or_b64 exec, exec, s[0:1]
	v_lshl_add_u32 v42, v45, 2, v17
	s_barrier
	s_waitcnt vmcnt(23)
	ds_write_b32 v42, v22
	s_waitcnt lgkmcnt(0)
	s_barrier
	ds_read_b32 v46, v17 offset:40
	s_cmp_lt_i32 s22, 12
	v_mov_b32_e32 v42, 10
	s_cbranch_scc1 .LBB66_168
; %bb.166:
	v_add3_u32 v47, v44, 0, 44
	v_mov_b32_e32 v42, 10
	s_mov_b32 s0, 11
.LBB66_167:                             ; =>This Inner Loop Header: Depth=1
	ds_read_b32 v48, v47
	v_mov_b32_e32 v49, s0
	s_add_i32 s0, s0, 1
	v_add_u32_e32 v47, 4, v47
	s_cmp_lg_u32 s22, s0
	s_waitcnt lgkmcnt(0)
	v_cmp_lt_f32_e64 vcc, |v46|, |v48|
	s_nop 1
	v_cndmask_b32_e32 v46, v46, v48, vcc
	v_cndmask_b32_e32 v42, v42, v49, vcc
	s_cbranch_scc1 .LBB66_167
.LBB66_168:
	s_waitcnt lgkmcnt(0)
	v_cmp_eq_f32_e32 vcc, 0, v46
	s_and_saveexec_b64 s[0:1], vcc
	s_xor_b64 s[0:1], exec, s[0:1]
; %bb.169:
	v_cmp_ne_u32_e32 vcc, 0, v19
	s_nop 1
	v_cndmask_b32_e32 v19, 11, v19, vcc
; %bb.170:
	s_andn2_saveexec_b64 s[0:1], s[0:1]
	s_cbranch_execz .LBB66_172
; %bb.171:
	v_div_scale_f32 v47, s[2:3], v46, v46, 1.0
	v_rcp_f32_e32 v48, v47
	v_div_scale_f32 v49, vcc, 1.0, v46, 1.0
	v_fma_f32 v50, -v47, v48, 1.0
	v_fmac_f32_e32 v48, v50, v48
	v_mul_f32_e32 v50, v49, v48
	v_fma_f32 v51, -v47, v50, v49
	v_fmac_f32_e32 v50, v51, v48
	v_fma_f32 v47, -v47, v50, v49
	v_div_fmas_f32 v47, v47, v48, v50
	v_div_fixup_f32 v46, v47, v46, 1.0
.LBB66_172:
	s_or_b64 exec, exec, s[0:1]
	v_cmp_ne_u32_e32 vcc, v45, v42
	s_and_saveexec_b64 s[0:1], vcc
	s_xor_b64 s[0:1], exec, s[0:1]
	s_cbranch_execz .LBB66_178
; %bb.173:
	v_cmp_eq_u32_e32 vcc, 10, v45
	s_and_saveexec_b64 s[2:3], vcc
	s_cbranch_execz .LBB66_177
; %bb.174:
	v_cmp_ne_u32_e32 vcc, 10, v42
	s_xor_b64 s[18:19], s[16:17], -1
	s_and_b64 s[20:21], s[18:19], vcc
	s_and_saveexec_b64 s[18:19], s[20:21]
	s_cbranch_execz .LBB66_176
; %bb.175:
	v_ashrrev_i32_e32 v43, 31, v42
	v_lshl_add_u64 v[48:49], v[42:43], 2, v[20:21]
	global_load_dword v43, v[48:49], off
	global_load_dword v45, v[20:21], off offset:40
	s_waitcnt vmcnt(1)
	global_store_dword v[20:21], v43, off offset:40
	s_waitcnt vmcnt(1)
	global_store_dword v[48:49], v45, off
.LBB66_176:
	s_or_b64 exec, exec, s[18:19]
	v_mov_b32_e32 v43, v42
	v_mov_b32_e32 v45, v42
.LBB66_177:
	s_or_b64 exec, exec, s[2:3]
.LBB66_178:
	s_andn2_saveexec_b64 s[0:1], s[0:1]
	s_cbranch_execz .LBB66_180
; %bb.179:
	s_waitcnt vmcnt(20)
	v_pk_mov_b32 v[48:49], v[22:23], v[12:13] op_sel:[1,0]
	ds_write2_b32 v17, v48, v49 offset0:11 offset1:12
	s_waitcnt vmcnt(18)
	v_pk_mov_b32 v[48:49], v[12:13], v[8:9] op_sel:[1,0]
	ds_write2_b32 v17, v48, v49 offset0:13 offset1:14
	;; [unrolled: 3-line block ×10, first 2 shown]
	s_waitcnt vmcnt(0)
	v_pk_mov_b32 v[48:49], v[26:27], v[36:37] op_sel:[1,0]
	v_mov_b32_e32 v45, 10
	ds_write2_b32 v17, v48, v49 offset0:31 offset1:32
	ds_write_b32 v17, v37 offset:132
.LBB66_180:
	s_or_b64 exec, exec, s[0:1]
	v_cmp_lt_i32_e32 vcc, 10, v45
	s_waitcnt lgkmcnt(0)
	s_barrier
	s_and_saveexec_b64 s[0:1], vcc
	s_cbranch_execz .LBB66_182
; %bb.181:
	ds_read_b32 v42, v17 offset:44
	ds_read2_b32 v[48:49], v17 offset0:12 offset1:13
	ds_read2_b32 v[50:51], v17 offset0:14 offset1:15
	v_mul_f32_e32 v22, v46, v22
	ds_read2_b32 v[46:47], v17 offset0:16 offset1:17
	s_waitcnt vmcnt(22) lgkmcnt(3)
	v_fma_f32 v23, -v22, v42, v23
	s_waitcnt vmcnt(20) lgkmcnt(2)
	v_pk_fma_f32 v[12:13], v[22:23], v[48:49], v[12:13] op_sel_hi:[0,1,1] neg_lo:[1,0,0] neg_hi:[1,0,0]
	s_waitcnt vmcnt(18) lgkmcnt(1)
	v_pk_fma_f32 v[8:9], v[22:23], v[50:51], v[8:9] op_sel_hi:[0,1,1] neg_lo:[1,0,0] neg_hi:[1,0,0]
	ds_read2_b32 v[48:49], v17 offset0:18 offset1:19
	ds_read2_b32 v[50:51], v17 offset0:20 offset1:21
	;; [unrolled: 1-line block ×3, first 2 shown]
	s_waitcnt vmcnt(16) lgkmcnt(3)
	v_pk_fma_f32 v[34:35], v[22:23], v[46:47], v[34:35] op_sel_hi:[0,1,1] neg_lo:[1,0,0] neg_hi:[1,0,0]
	ds_read2_b32 v[46:47], v17 offset0:24 offset1:25
	s_waitcnt vmcnt(14) lgkmcnt(3)
	v_pk_fma_f32 v[30:31], v[22:23], v[48:49], v[30:31] op_sel_hi:[0,1,1] neg_lo:[1,0,0] neg_hi:[1,0,0]
	s_waitcnt vmcnt(12) lgkmcnt(2)
	v_pk_fma_f32 v[24:25], v[22:23], v[50:51], v[24:25] op_sel_hi:[0,1,1] neg_lo:[1,0,0] neg_hi:[1,0,0]
	;; [unrolled: 2-line block ×3, first 2 shown]
	ds_read2_b32 v[48:49], v17 offset0:26 offset1:27
	ds_read2_b32 v[50:51], v17 offset0:28 offset1:29
	;; [unrolled: 1-line block ×4, first 2 shown]
	s_waitcnt vmcnt(8) lgkmcnt(4)
	v_pk_fma_f32 v[40:41], v[22:23], v[46:47], v[40:41] op_sel_hi:[0,1,1] neg_lo:[1,0,0] neg_hi:[1,0,0]
	s_waitcnt vmcnt(6) lgkmcnt(3)
	v_pk_fma_f32 v[38:39], v[22:23], v[48:49], v[38:39] op_sel_hi:[0,1,1] neg_lo:[1,0,0] neg_hi:[1,0,0]
	s_waitcnt vmcnt(4) lgkmcnt(2)
	v_pk_fma_f32 v[32:33], v[22:23], v[50:51], v[32:33] op_sel_hi:[0,1,1] neg_lo:[1,0,0] neg_hi:[1,0,0]
	s_waitcnt vmcnt(2) lgkmcnt(1)
	v_pk_fma_f32 v[26:27], v[22:23], v[52:53], v[26:27] op_sel_hi:[0,1,1] neg_lo:[1,0,0] neg_hi:[1,0,0]
	s_waitcnt vmcnt(0) lgkmcnt(0)
	v_pk_fma_f32 v[36:37], v[22:23], v[54:55], v[36:37] op_sel_hi:[0,1,1] neg_lo:[1,0,0] neg_hi:[1,0,0]
.LBB66_182:
	s_or_b64 exec, exec, s[0:1]
	v_lshl_add_u32 v42, v45, 2, v17
	s_barrier
	s_waitcnt vmcnt(22)
	ds_write_b32 v42, v23
	s_waitcnt lgkmcnt(0)
	s_barrier
	ds_read_b32 v46, v17 offset:44
	s_cmp_lt_i32 s22, 13
	v_mov_b32_e32 v42, 11
	s_cbranch_scc1 .LBB66_185
; %bb.183:
	v_add3_u32 v47, v44, 0, 48
	v_mov_b32_e32 v42, 11
	s_mov_b32 s0, 12
.LBB66_184:                             ; =>This Inner Loop Header: Depth=1
	ds_read_b32 v48, v47
	v_mov_b32_e32 v49, s0
	s_add_i32 s0, s0, 1
	v_add_u32_e32 v47, 4, v47
	s_cmp_lg_u32 s22, s0
	s_waitcnt lgkmcnt(0)
	v_cmp_lt_f32_e64 vcc, |v46|, |v48|
	s_nop 1
	v_cndmask_b32_e32 v46, v46, v48, vcc
	v_cndmask_b32_e32 v42, v42, v49, vcc
	s_cbranch_scc1 .LBB66_184
.LBB66_185:
	s_waitcnt lgkmcnt(0)
	v_cmp_eq_f32_e32 vcc, 0, v46
	s_and_saveexec_b64 s[0:1], vcc
	s_xor_b64 s[0:1], exec, s[0:1]
; %bb.186:
	v_cmp_ne_u32_e32 vcc, 0, v19
	s_nop 1
	v_cndmask_b32_e32 v19, 12, v19, vcc
; %bb.187:
	s_andn2_saveexec_b64 s[0:1], s[0:1]
	s_cbranch_execz .LBB66_189
; %bb.188:
	v_div_scale_f32 v47, s[2:3], v46, v46, 1.0
	v_rcp_f32_e32 v48, v47
	v_div_scale_f32 v49, vcc, 1.0, v46, 1.0
	v_fma_f32 v50, -v47, v48, 1.0
	v_fmac_f32_e32 v48, v50, v48
	v_mul_f32_e32 v50, v49, v48
	v_fma_f32 v51, -v47, v50, v49
	v_fmac_f32_e32 v50, v51, v48
	v_fma_f32 v47, -v47, v50, v49
	v_div_fmas_f32 v47, v47, v48, v50
	v_div_fixup_f32 v46, v47, v46, 1.0
.LBB66_189:
	s_or_b64 exec, exec, s[0:1]
	v_cmp_ne_u32_e32 vcc, v45, v42
	s_and_saveexec_b64 s[0:1], vcc
	s_xor_b64 s[0:1], exec, s[0:1]
	s_cbranch_execz .LBB66_195
; %bb.190:
	v_cmp_eq_u32_e32 vcc, 11, v45
	s_and_saveexec_b64 s[2:3], vcc
	s_cbranch_execz .LBB66_194
; %bb.191:
	v_cmp_ne_u32_e32 vcc, 11, v42
	s_xor_b64 s[18:19], s[16:17], -1
	s_and_b64 s[20:21], s[18:19], vcc
	s_and_saveexec_b64 s[18:19], s[20:21]
	s_cbranch_execz .LBB66_193
; %bb.192:
	v_ashrrev_i32_e32 v43, 31, v42
	v_lshl_add_u64 v[48:49], v[42:43], 2, v[20:21]
	global_load_dword v43, v[48:49], off
	global_load_dword v45, v[20:21], off offset:44
	s_waitcnt vmcnt(1)
	global_store_dword v[20:21], v43, off offset:44
	s_waitcnt vmcnt(1)
	global_store_dword v[48:49], v45, off
.LBB66_193:
	s_or_b64 exec, exec, s[18:19]
	v_mov_b32_e32 v43, v42
	v_mov_b32_e32 v45, v42
.LBB66_194:
	s_or_b64 exec, exec, s[2:3]
.LBB66_195:
	s_andn2_saveexec_b64 s[0:1], s[0:1]
	s_cbranch_execz .LBB66_197
; %bb.196:
	v_mov_b32_e32 v45, 11
	s_waitcnt vmcnt(20)
	ds_write2_b32 v17, v12, v13 offset0:12 offset1:13
	s_waitcnt vmcnt(18)
	ds_write2_b32 v17, v8, v9 offset0:14 offset1:15
	;; [unrolled: 2-line block ×11, first 2 shown]
.LBB66_197:
	s_or_b64 exec, exec, s[0:1]
	v_cmp_lt_i32_e32 vcc, 11, v45
	s_waitcnt lgkmcnt(0)
	s_barrier
	s_and_saveexec_b64 s[0:1], vcc
	s_cbranch_execz .LBB66_199
; %bb.198:
	ds_read2_b32 v[48:49], v17 offset0:12 offset1:13
	ds_read2_b32 v[50:51], v17 offset0:14 offset1:15
	;; [unrolled: 1-line block ×3, first 2 shown]
	v_mul_f32_e32 v42, v46, v23
	ds_read2_b32 v[46:47], v17 offset0:18 offset1:19
	s_waitcnt vmcnt(20) lgkmcnt(3)
	v_pk_fma_f32 v[12:13], v[42:43], v[48:49], v[12:13] op_sel_hi:[0,1,1] neg_lo:[1,0,0] neg_hi:[1,0,0]
	s_waitcnt vmcnt(18) lgkmcnt(2)
	v_pk_fma_f32 v[8:9], v[42:43], v[50:51], v[8:9] op_sel_hi:[0,1,1] neg_lo:[1,0,0] neg_hi:[1,0,0]
	ds_read2_b32 v[48:49], v17 offset0:20 offset1:21
	ds_read2_b32 v[50:51], v17 offset0:22 offset1:23
	s_waitcnt vmcnt(16) lgkmcnt(3)
	v_pk_fma_f32 v[34:35], v[42:43], v[52:53], v[34:35] op_sel_hi:[0,1,1] neg_lo:[1,0,0] neg_hi:[1,0,0]
	s_waitcnt vmcnt(14) lgkmcnt(2)
	v_pk_fma_f32 v[30:31], v[42:43], v[46:47], v[30:31] op_sel_hi:[0,1,1] neg_lo:[1,0,0] neg_hi:[1,0,0]
	ds_read2_b32 v[46:47], v17 offset0:24 offset1:25
	;; [unrolled: 6-line block ×3, first 2 shown]
	ds_read2_b32 v[50:51], v17 offset0:30 offset1:31
	ds_read2_b32 v[54:55], v17 offset0:32 offset1:33
	s_waitcnt vmcnt(8) lgkmcnt(4)
	v_pk_fma_f32 v[40:41], v[42:43], v[46:47], v[40:41] op_sel_hi:[0,1,1] neg_lo:[1,0,0] neg_hi:[1,0,0]
	s_waitcnt vmcnt(6) lgkmcnt(3)
	v_pk_fma_f32 v[38:39], v[42:43], v[52:53], v[38:39] op_sel_hi:[0,1,1] neg_lo:[1,0,0] neg_hi:[1,0,0]
	;; [unrolled: 2-line block ×5, first 2 shown]
	v_mov_b32_e32 v23, v42
.LBB66_199:
	s_or_b64 exec, exec, s[0:1]
	v_lshl_add_u32 v42, v45, 2, v17
	s_barrier
	s_waitcnt vmcnt(21)
	ds_write_b32 v42, v12
	s_waitcnt lgkmcnt(0)
	s_barrier
	ds_read_b32 v46, v17 offset:48
	s_cmp_lt_i32 s22, 14
	v_mov_b32_e32 v42, 12
	s_cbranch_scc1 .LBB66_202
; %bb.200:
	v_add3_u32 v47, v44, 0, 52
	v_mov_b32_e32 v42, 12
	s_mov_b32 s0, 13
.LBB66_201:                             ; =>This Inner Loop Header: Depth=1
	ds_read_b32 v48, v47
	v_mov_b32_e32 v49, s0
	s_add_i32 s0, s0, 1
	v_add_u32_e32 v47, 4, v47
	s_cmp_lg_u32 s22, s0
	s_waitcnt lgkmcnt(0)
	v_cmp_lt_f32_e64 vcc, |v46|, |v48|
	s_nop 1
	v_cndmask_b32_e32 v46, v46, v48, vcc
	v_cndmask_b32_e32 v42, v42, v49, vcc
	s_cbranch_scc1 .LBB66_201
.LBB66_202:
	s_waitcnt lgkmcnt(0)
	v_cmp_eq_f32_e32 vcc, 0, v46
	s_and_saveexec_b64 s[0:1], vcc
	s_xor_b64 s[0:1], exec, s[0:1]
; %bb.203:
	v_cmp_ne_u32_e32 vcc, 0, v19
	s_nop 1
	v_cndmask_b32_e32 v19, 13, v19, vcc
; %bb.204:
	s_andn2_saveexec_b64 s[0:1], s[0:1]
	s_cbranch_execz .LBB66_206
; %bb.205:
	v_div_scale_f32 v47, s[2:3], v46, v46, 1.0
	v_rcp_f32_e32 v48, v47
	v_div_scale_f32 v49, vcc, 1.0, v46, 1.0
	v_fma_f32 v50, -v47, v48, 1.0
	v_fmac_f32_e32 v48, v50, v48
	v_mul_f32_e32 v50, v49, v48
	v_fma_f32 v51, -v47, v50, v49
	v_fmac_f32_e32 v50, v51, v48
	v_fma_f32 v47, -v47, v50, v49
	v_div_fmas_f32 v47, v47, v48, v50
	v_div_fixup_f32 v46, v47, v46, 1.0
.LBB66_206:
	s_or_b64 exec, exec, s[0:1]
	v_cmp_ne_u32_e32 vcc, v45, v42
	s_and_saveexec_b64 s[0:1], vcc
	s_xor_b64 s[0:1], exec, s[0:1]
	s_cbranch_execz .LBB66_212
; %bb.207:
	v_cmp_eq_u32_e32 vcc, 12, v45
	s_and_saveexec_b64 s[2:3], vcc
	s_cbranch_execz .LBB66_211
; %bb.208:
	v_cmp_ne_u32_e32 vcc, 12, v42
	s_xor_b64 s[18:19], s[16:17], -1
	s_and_b64 s[20:21], s[18:19], vcc
	s_and_saveexec_b64 s[18:19], s[20:21]
	s_cbranch_execz .LBB66_210
; %bb.209:
	v_ashrrev_i32_e32 v43, 31, v42
	v_lshl_add_u64 v[48:49], v[42:43], 2, v[20:21]
	global_load_dword v43, v[48:49], off
	global_load_dword v45, v[20:21], off offset:48
	s_waitcnt vmcnt(1)
	global_store_dword v[20:21], v43, off offset:48
	s_waitcnt vmcnt(1)
	global_store_dword v[48:49], v45, off
.LBB66_210:
	s_or_b64 exec, exec, s[18:19]
	v_mov_b32_e32 v43, v42
	v_mov_b32_e32 v45, v42
.LBB66_211:
	s_or_b64 exec, exec, s[2:3]
.LBB66_212:
	s_andn2_saveexec_b64 s[0:1], s[0:1]
	s_cbranch_execz .LBB66_214
; %bb.213:
	s_waitcnt vmcnt(18)
	v_pk_mov_b32 v[48:49], v[12:13], v[8:9] op_sel:[1,0]
	ds_write2_b32 v17, v48, v49 offset0:13 offset1:14
	s_waitcnt vmcnt(16)
	v_pk_mov_b32 v[48:49], v[8:9], v[34:35] op_sel:[1,0]
	ds_write2_b32 v17, v48, v49 offset0:15 offset1:16
	;; [unrolled: 3-line block ×9, first 2 shown]
	s_waitcnt vmcnt(0)
	v_pk_mov_b32 v[48:49], v[26:27], v[36:37] op_sel:[1,0]
	v_mov_b32_e32 v45, 12
	ds_write2_b32 v17, v48, v49 offset0:31 offset1:32
	ds_write_b32 v17, v37 offset:132
.LBB66_214:
	s_or_b64 exec, exec, s[0:1]
	v_cmp_lt_i32_e32 vcc, 12, v45
	s_waitcnt lgkmcnt(0)
	s_barrier
	s_and_saveexec_b64 s[0:1], vcc
	s_cbranch_execz .LBB66_216
; %bb.215:
	ds_read_b32 v42, v17 offset:52
	ds_read2_b32 v[48:49], v17 offset0:14 offset1:15
	ds_read2_b32 v[50:51], v17 offset0:16 offset1:17
	v_mul_f32_e32 v12, v46, v12
	ds_read2_b32 v[46:47], v17 offset0:18 offset1:19
	s_waitcnt vmcnt(20) lgkmcnt(3)
	v_fma_f32 v13, -v12, v42, v13
	s_waitcnt vmcnt(18) lgkmcnt(2)
	v_pk_fma_f32 v[8:9], v[12:13], v[48:49], v[8:9] op_sel_hi:[0,1,1] neg_lo:[1,0,0] neg_hi:[1,0,0]
	s_waitcnt vmcnt(16) lgkmcnt(1)
	v_pk_fma_f32 v[34:35], v[12:13], v[50:51], v[34:35] op_sel_hi:[0,1,1] neg_lo:[1,0,0] neg_hi:[1,0,0]
	ds_read2_b32 v[48:49], v17 offset0:20 offset1:21
	ds_read2_b32 v[50:51], v17 offset0:22 offset1:23
	s_waitcnt vmcnt(14) lgkmcnt(2)
	v_pk_fma_f32 v[30:31], v[12:13], v[46:47], v[30:31] op_sel_hi:[0,1,1] neg_lo:[1,0,0] neg_hi:[1,0,0]
	ds_read2_b32 v[46:47], v17 offset0:24 offset1:25
	ds_read2_b32 v[52:53], v17 offset0:26 offset1:27
	s_waitcnt vmcnt(12) lgkmcnt(3)
	v_pk_fma_f32 v[24:25], v[12:13], v[48:49], v[24:25] op_sel_hi:[0,1,1] neg_lo:[1,0,0] neg_hi:[1,0,0]
	s_waitcnt vmcnt(10) lgkmcnt(2)
	v_pk_fma_f32 v[14:15], v[12:13], v[50:51], v[14:15] op_sel_hi:[0,1,1] neg_lo:[1,0,0] neg_hi:[1,0,0]
	ds_read2_b32 v[48:49], v17 offset0:28 offset1:29
	ds_read2_b32 v[50:51], v17 offset0:30 offset1:31
	;; [unrolled: 1-line block ×3, first 2 shown]
	s_waitcnt vmcnt(8) lgkmcnt(4)
	v_pk_fma_f32 v[40:41], v[12:13], v[46:47], v[40:41] op_sel_hi:[0,1,1] neg_lo:[1,0,0] neg_hi:[1,0,0]
	s_waitcnt vmcnt(6) lgkmcnt(3)
	v_pk_fma_f32 v[38:39], v[12:13], v[52:53], v[38:39] op_sel_hi:[0,1,1] neg_lo:[1,0,0] neg_hi:[1,0,0]
	s_waitcnt vmcnt(4) lgkmcnt(2)
	v_pk_fma_f32 v[32:33], v[12:13], v[48:49], v[32:33] op_sel_hi:[0,1,1] neg_lo:[1,0,0] neg_hi:[1,0,0]
	s_waitcnt vmcnt(2) lgkmcnt(1)
	v_pk_fma_f32 v[26:27], v[12:13], v[50:51], v[26:27] op_sel_hi:[0,1,1] neg_lo:[1,0,0] neg_hi:[1,0,0]
	s_waitcnt vmcnt(0) lgkmcnt(0)
	v_pk_fma_f32 v[36:37], v[12:13], v[54:55], v[36:37] op_sel_hi:[0,1,1] neg_lo:[1,0,0] neg_hi:[1,0,0]
.LBB66_216:
	s_or_b64 exec, exec, s[0:1]
	v_lshl_add_u32 v42, v45, 2, v17
	s_barrier
	s_waitcnt vmcnt(20)
	ds_write_b32 v42, v13
	s_waitcnt lgkmcnt(0)
	s_barrier
	ds_read_b32 v46, v17 offset:52
	s_cmp_lt_i32 s22, 15
	v_mov_b32_e32 v42, 13
	s_cbranch_scc1 .LBB66_219
; %bb.217:
	v_add3_u32 v47, v44, 0, 56
	v_mov_b32_e32 v42, 13
	s_mov_b32 s0, 14
.LBB66_218:                             ; =>This Inner Loop Header: Depth=1
	ds_read_b32 v48, v47
	v_mov_b32_e32 v49, s0
	s_add_i32 s0, s0, 1
	v_add_u32_e32 v47, 4, v47
	s_cmp_lg_u32 s22, s0
	s_waitcnt lgkmcnt(0)
	v_cmp_lt_f32_e64 vcc, |v46|, |v48|
	s_nop 1
	v_cndmask_b32_e32 v46, v46, v48, vcc
	v_cndmask_b32_e32 v42, v42, v49, vcc
	s_cbranch_scc1 .LBB66_218
.LBB66_219:
	s_waitcnt lgkmcnt(0)
	v_cmp_eq_f32_e32 vcc, 0, v46
	s_and_saveexec_b64 s[0:1], vcc
	s_xor_b64 s[0:1], exec, s[0:1]
; %bb.220:
	v_cmp_ne_u32_e32 vcc, 0, v19
	s_nop 1
	v_cndmask_b32_e32 v19, 14, v19, vcc
; %bb.221:
	s_andn2_saveexec_b64 s[0:1], s[0:1]
	s_cbranch_execz .LBB66_223
; %bb.222:
	v_div_scale_f32 v47, s[2:3], v46, v46, 1.0
	v_rcp_f32_e32 v48, v47
	v_div_scale_f32 v49, vcc, 1.0, v46, 1.0
	v_fma_f32 v50, -v47, v48, 1.0
	v_fmac_f32_e32 v48, v50, v48
	v_mul_f32_e32 v50, v49, v48
	v_fma_f32 v51, -v47, v50, v49
	v_fmac_f32_e32 v50, v51, v48
	v_fma_f32 v47, -v47, v50, v49
	v_div_fmas_f32 v47, v47, v48, v50
	v_div_fixup_f32 v46, v47, v46, 1.0
.LBB66_223:
	s_or_b64 exec, exec, s[0:1]
	v_cmp_ne_u32_e32 vcc, v45, v42
	s_and_saveexec_b64 s[0:1], vcc
	s_xor_b64 s[0:1], exec, s[0:1]
	s_cbranch_execz .LBB66_229
; %bb.224:
	v_cmp_eq_u32_e32 vcc, 13, v45
	s_and_saveexec_b64 s[2:3], vcc
	s_cbranch_execz .LBB66_228
; %bb.225:
	v_cmp_ne_u32_e32 vcc, 13, v42
	s_xor_b64 s[18:19], s[16:17], -1
	s_and_b64 s[20:21], s[18:19], vcc
	s_and_saveexec_b64 s[18:19], s[20:21]
	s_cbranch_execz .LBB66_227
; %bb.226:
	v_ashrrev_i32_e32 v43, 31, v42
	v_lshl_add_u64 v[48:49], v[42:43], 2, v[20:21]
	global_load_dword v43, v[48:49], off
	global_load_dword v45, v[20:21], off offset:52
	s_waitcnt vmcnt(1)
	global_store_dword v[20:21], v43, off offset:52
	s_waitcnt vmcnt(1)
	global_store_dword v[48:49], v45, off
.LBB66_227:
	s_or_b64 exec, exec, s[18:19]
	v_mov_b32_e32 v43, v42
	v_mov_b32_e32 v45, v42
.LBB66_228:
	s_or_b64 exec, exec, s[2:3]
.LBB66_229:
	s_andn2_saveexec_b64 s[0:1], s[0:1]
	s_cbranch_execz .LBB66_231
; %bb.230:
	v_mov_b32_e32 v45, 13
	s_waitcnt vmcnt(18)
	ds_write2_b32 v17, v8, v9 offset0:14 offset1:15
	s_waitcnt vmcnt(16)
	ds_write2_b32 v17, v34, v35 offset0:16 offset1:17
	s_waitcnt vmcnt(14)
	ds_write2_b32 v17, v30, v31 offset0:18 offset1:19
	s_waitcnt vmcnt(12)
	ds_write2_b32 v17, v24, v25 offset0:20 offset1:21
	s_waitcnt vmcnt(10)
	ds_write2_b32 v17, v14, v15 offset0:22 offset1:23
	s_waitcnt vmcnt(8)
	ds_write2_b32 v17, v40, v41 offset0:24 offset1:25
	s_waitcnt vmcnt(6)
	ds_write2_b32 v17, v38, v39 offset0:26 offset1:27
	s_waitcnt vmcnt(4)
	ds_write2_b32 v17, v32, v33 offset0:28 offset1:29
	s_waitcnt vmcnt(2)
	ds_write2_b32 v17, v26, v27 offset0:30 offset1:31
	s_waitcnt vmcnt(0)
	ds_write2_b32 v17, v36, v37 offset0:32 offset1:33
.LBB66_231:
	s_or_b64 exec, exec, s[0:1]
	v_cmp_lt_i32_e32 vcc, 13, v45
	s_waitcnt lgkmcnt(0)
	s_barrier
	s_and_saveexec_b64 s[0:1], vcc
	s_cbranch_execz .LBB66_233
; %bb.232:
	ds_read2_b32 v[48:49], v17 offset0:14 offset1:15
	ds_read2_b32 v[50:51], v17 offset0:16 offset1:17
	;; [unrolled: 1-line block ×3, first 2 shown]
	v_mul_f32_e32 v42, v46, v13
	ds_read2_b32 v[46:47], v17 offset0:20 offset1:21
	s_waitcnt vmcnt(18) lgkmcnt(3)
	v_pk_fma_f32 v[8:9], v[42:43], v[48:49], v[8:9] op_sel_hi:[0,1,1] neg_lo:[1,0,0] neg_hi:[1,0,0]
	ds_read2_b32 v[48:49], v17 offset0:22 offset1:23
	s_waitcnt vmcnt(16) lgkmcnt(3)
	v_pk_fma_f32 v[34:35], v[42:43], v[50:51], v[34:35] op_sel_hi:[0,1,1] neg_lo:[1,0,0] neg_hi:[1,0,0]
	s_waitcnt vmcnt(14) lgkmcnt(2)
	v_pk_fma_f32 v[30:31], v[42:43], v[52:53], v[30:31] op_sel_hi:[0,1,1] neg_lo:[1,0,0] neg_hi:[1,0,0]
	;; [unrolled: 2-line block ×3, first 2 shown]
	ds_read2_b32 v[46:47], v17 offset0:24 offset1:25
	ds_read2_b32 v[50:51], v17 offset0:26 offset1:27
	;; [unrolled: 1-line block ×3, first 2 shown]
	s_waitcnt vmcnt(10) lgkmcnt(3)
	v_pk_fma_f32 v[14:15], v[42:43], v[48:49], v[14:15] op_sel_hi:[0,1,1] neg_lo:[1,0,0] neg_hi:[1,0,0]
	ds_read2_b32 v[48:49], v17 offset0:30 offset1:31
	ds_read2_b32 v[54:55], v17 offset0:32 offset1:33
	s_waitcnt vmcnt(8) lgkmcnt(4)
	v_pk_fma_f32 v[40:41], v[42:43], v[46:47], v[40:41] op_sel_hi:[0,1,1] neg_lo:[1,0,0] neg_hi:[1,0,0]
	s_waitcnt vmcnt(6) lgkmcnt(3)
	v_pk_fma_f32 v[38:39], v[42:43], v[50:51], v[38:39] op_sel_hi:[0,1,1] neg_lo:[1,0,0] neg_hi:[1,0,0]
	;; [unrolled: 2-line block ×5, first 2 shown]
	v_mov_b32_e32 v13, v42
.LBB66_233:
	s_or_b64 exec, exec, s[0:1]
	v_lshl_add_u32 v42, v45, 2, v17
	s_barrier
	s_waitcnt vmcnt(19)
	ds_write_b32 v42, v8
	s_waitcnt lgkmcnt(0)
	s_barrier
	ds_read_b32 v46, v17 offset:56
	s_cmp_lt_i32 s22, 16
	v_mov_b32_e32 v42, 14
	s_cbranch_scc1 .LBB66_236
; %bb.234:
	v_add3_u32 v47, v44, 0, 60
	v_mov_b32_e32 v42, 14
	s_mov_b32 s0, 15
.LBB66_235:                             ; =>This Inner Loop Header: Depth=1
	ds_read_b32 v48, v47
	v_mov_b32_e32 v49, s0
	s_add_i32 s0, s0, 1
	v_add_u32_e32 v47, 4, v47
	s_cmp_lg_u32 s22, s0
	s_waitcnt lgkmcnt(0)
	v_cmp_lt_f32_e64 vcc, |v46|, |v48|
	s_nop 1
	v_cndmask_b32_e32 v46, v46, v48, vcc
	v_cndmask_b32_e32 v42, v42, v49, vcc
	s_cbranch_scc1 .LBB66_235
.LBB66_236:
	s_waitcnt lgkmcnt(0)
	v_cmp_eq_f32_e32 vcc, 0, v46
	s_and_saveexec_b64 s[0:1], vcc
	s_xor_b64 s[0:1], exec, s[0:1]
; %bb.237:
	v_cmp_ne_u32_e32 vcc, 0, v19
	s_nop 1
	v_cndmask_b32_e32 v19, 15, v19, vcc
; %bb.238:
	s_andn2_saveexec_b64 s[0:1], s[0:1]
	s_cbranch_execz .LBB66_240
; %bb.239:
	v_div_scale_f32 v47, s[2:3], v46, v46, 1.0
	v_rcp_f32_e32 v48, v47
	v_div_scale_f32 v49, vcc, 1.0, v46, 1.0
	v_fma_f32 v50, -v47, v48, 1.0
	v_fmac_f32_e32 v48, v50, v48
	v_mul_f32_e32 v50, v49, v48
	v_fma_f32 v51, -v47, v50, v49
	v_fmac_f32_e32 v50, v51, v48
	v_fma_f32 v47, -v47, v50, v49
	v_div_fmas_f32 v47, v47, v48, v50
	v_div_fixup_f32 v46, v47, v46, 1.0
.LBB66_240:
	s_or_b64 exec, exec, s[0:1]
	v_cmp_ne_u32_e32 vcc, v45, v42
	s_and_saveexec_b64 s[0:1], vcc
	s_xor_b64 s[0:1], exec, s[0:1]
	s_cbranch_execz .LBB66_246
; %bb.241:
	v_cmp_eq_u32_e32 vcc, 14, v45
	s_and_saveexec_b64 s[2:3], vcc
	s_cbranch_execz .LBB66_245
; %bb.242:
	v_cmp_ne_u32_e32 vcc, 14, v42
	s_xor_b64 s[18:19], s[16:17], -1
	s_and_b64 s[20:21], s[18:19], vcc
	s_and_saveexec_b64 s[18:19], s[20:21]
	s_cbranch_execz .LBB66_244
; %bb.243:
	v_ashrrev_i32_e32 v43, 31, v42
	v_lshl_add_u64 v[48:49], v[42:43], 2, v[20:21]
	global_load_dword v43, v[48:49], off
	global_load_dword v45, v[20:21], off offset:56
	s_waitcnt vmcnt(1)
	global_store_dword v[20:21], v43, off offset:56
	s_waitcnt vmcnt(1)
	global_store_dword v[48:49], v45, off
.LBB66_244:
	s_or_b64 exec, exec, s[18:19]
	v_mov_b32_e32 v43, v42
	v_mov_b32_e32 v45, v42
.LBB66_245:
	s_or_b64 exec, exec, s[2:3]
.LBB66_246:
	s_andn2_saveexec_b64 s[0:1], s[0:1]
	s_cbranch_execz .LBB66_248
; %bb.247:
	s_waitcnt vmcnt(16)
	v_pk_mov_b32 v[48:49], v[8:9], v[34:35] op_sel:[1,0]
	ds_write2_b32 v17, v48, v49 offset0:15 offset1:16
	s_waitcnt vmcnt(14)
	v_pk_mov_b32 v[48:49], v[34:35], v[30:31] op_sel:[1,0]
	ds_write2_b32 v17, v48, v49 offset0:17 offset1:18
	;; [unrolled: 3-line block ×8, first 2 shown]
	s_waitcnt vmcnt(0)
	v_pk_mov_b32 v[48:49], v[26:27], v[36:37] op_sel:[1,0]
	v_mov_b32_e32 v45, 14
	ds_write2_b32 v17, v48, v49 offset0:31 offset1:32
	ds_write_b32 v17, v37 offset:132
.LBB66_248:
	s_or_b64 exec, exec, s[0:1]
	v_cmp_lt_i32_e32 vcc, 14, v45
	s_waitcnt lgkmcnt(0)
	s_barrier
	s_and_saveexec_b64 s[0:1], vcc
	s_cbranch_execz .LBB66_250
; %bb.249:
	ds_read_b32 v42, v17 offset:60
	ds_read2_b32 v[48:49], v17 offset0:16 offset1:17
	ds_read2_b32 v[50:51], v17 offset0:18 offset1:19
	v_mul_f32_e32 v8, v46, v8
	ds_read2_b32 v[46:47], v17 offset0:20 offset1:21
	s_waitcnt vmcnt(18) lgkmcnt(3)
	v_fma_f32 v9, -v8, v42, v9
	s_waitcnt vmcnt(16) lgkmcnt(2)
	v_pk_fma_f32 v[34:35], v[8:9], v[48:49], v[34:35] op_sel_hi:[0,1,1] neg_lo:[1,0,0] neg_hi:[1,0,0]
	ds_read2_b32 v[48:49], v17 offset0:22 offset1:23
	s_waitcnt vmcnt(14) lgkmcnt(2)
	v_pk_fma_f32 v[30:31], v[8:9], v[50:51], v[30:31] op_sel_hi:[0,1,1] neg_lo:[1,0,0] neg_hi:[1,0,0]
	s_waitcnt vmcnt(12) lgkmcnt(1)
	v_pk_fma_f32 v[24:25], v[8:9], v[46:47], v[24:25] op_sel_hi:[0,1,1] neg_lo:[1,0,0] neg_hi:[1,0,0]
	ds_read2_b32 v[46:47], v17 offset0:24 offset1:25
	ds_read2_b32 v[50:51], v17 offset0:26 offset1:27
	;; [unrolled: 1-line block ×3, first 2 shown]
	s_waitcnt vmcnt(10) lgkmcnt(3)
	v_pk_fma_f32 v[14:15], v[8:9], v[48:49], v[14:15] op_sel_hi:[0,1,1] neg_lo:[1,0,0] neg_hi:[1,0,0]
	ds_read2_b32 v[48:49], v17 offset0:30 offset1:31
	ds_read2_b32 v[54:55], v17 offset0:32 offset1:33
	s_waitcnt vmcnt(8) lgkmcnt(4)
	v_pk_fma_f32 v[40:41], v[8:9], v[46:47], v[40:41] op_sel_hi:[0,1,1] neg_lo:[1,0,0] neg_hi:[1,0,0]
	s_waitcnt vmcnt(6) lgkmcnt(3)
	v_pk_fma_f32 v[38:39], v[8:9], v[50:51], v[38:39] op_sel_hi:[0,1,1] neg_lo:[1,0,0] neg_hi:[1,0,0]
	;; [unrolled: 2-line block ×5, first 2 shown]
.LBB66_250:
	s_or_b64 exec, exec, s[0:1]
	v_lshl_add_u32 v42, v45, 2, v17
	s_barrier
	s_waitcnt vmcnt(18)
	ds_write_b32 v42, v9
	s_waitcnt lgkmcnt(0)
	s_barrier
	ds_read_b32 v46, v17 offset:60
	s_cmp_lt_i32 s22, 17
	v_mov_b32_e32 v42, 15
	s_cbranch_scc1 .LBB66_253
; %bb.251:
	v_add3_u32 v44, v44, 0, 64
	v_mov_b32_e32 v42, 15
	s_mov_b32 s0, 16
.LBB66_252:                             ; =>This Inner Loop Header: Depth=1
	ds_read_b32 v47, v44
	v_mov_b32_e32 v48, s0
	s_add_i32 s0, s0, 1
	v_add_u32_e32 v44, 4, v44
	s_cmp_lg_u32 s22, s0
	s_waitcnt lgkmcnt(0)
	v_cmp_lt_f32_e64 vcc, |v46|, |v47|
	s_nop 1
	v_cndmask_b32_e32 v46, v46, v47, vcc
	v_cndmask_b32_e32 v42, v42, v48, vcc
	s_cbranch_scc1 .LBB66_252
.LBB66_253:
	s_waitcnt lgkmcnt(0)
	v_cmp_eq_f32_e32 vcc, 0, v46
	s_and_saveexec_b64 s[0:1], vcc
	s_xor_b64 s[0:1], exec, s[0:1]
; %bb.254:
	v_cmp_ne_u32_e32 vcc, 0, v19
	s_nop 1
	v_cndmask_b32_e32 v19, 16, v19, vcc
; %bb.255:
	s_andn2_saveexec_b64 s[0:1], s[0:1]
	s_cbranch_execz .LBB66_257
; %bb.256:
	v_div_scale_f32 v44, s[2:3], v46, v46, 1.0
	v_rcp_f32_e32 v47, v44
	v_div_scale_f32 v48, vcc, 1.0, v46, 1.0
	v_fma_f32 v49, -v44, v47, 1.0
	v_fmac_f32_e32 v47, v49, v47
	v_mul_f32_e32 v49, v48, v47
	v_fma_f32 v50, -v44, v49, v48
	v_fmac_f32_e32 v49, v50, v47
	v_fma_f32 v44, -v44, v49, v48
	v_div_fmas_f32 v44, v44, v47, v49
	v_div_fixup_f32 v46, v44, v46, 1.0
.LBB66_257:
	s_or_b64 exec, exec, s[0:1]
	v_cmp_ne_u32_e32 vcc, v45, v42
	s_and_saveexec_b64 s[0:1], vcc
	s_xor_b64 s[0:1], exec, s[0:1]
	s_cbranch_execz .LBB66_263
; %bb.258:
	v_cmp_eq_u32_e32 vcc, 15, v45
	s_and_saveexec_b64 s[2:3], vcc
	s_cbranch_execz .LBB66_262
; %bb.259:
	v_cmp_ne_u32_e32 vcc, 15, v42
	s_xor_b64 s[18:19], s[16:17], -1
	s_and_b64 s[20:21], s[18:19], vcc
	s_and_saveexec_b64 s[18:19], s[20:21]
	s_cbranch_execz .LBB66_261
; %bb.260:
	v_ashrrev_i32_e32 v43, 31, v42
	v_lshl_add_u64 v[44:45], v[42:43], 2, v[20:21]
	global_load_dword v43, v[44:45], off
	global_load_dword v47, v[20:21], off offset:60
	s_waitcnt vmcnt(1)
	global_store_dword v[20:21], v43, off offset:60
	s_waitcnt vmcnt(1)
	global_store_dword v[44:45], v47, off
.LBB66_261:
	s_or_b64 exec, exec, s[18:19]
	v_mov_b32_e32 v43, v42
	v_mov_b32_e32 v45, v42
.LBB66_262:
	s_or_b64 exec, exec, s[2:3]
.LBB66_263:
	s_andn2_saveexec_b64 s[0:1], s[0:1]
	s_cbranch_execz .LBB66_265
; %bb.264:
	v_mov_b32_e32 v45, 15
	s_waitcnt vmcnt(16)
	ds_write2_b32 v17, v34, v35 offset0:16 offset1:17
	s_waitcnt vmcnt(14)
	ds_write2_b32 v17, v30, v31 offset0:18 offset1:19
	;; [unrolled: 2-line block ×9, first 2 shown]
.LBB66_265:
	s_or_b64 exec, exec, s[0:1]
	v_cmp_lt_i32_e32 vcc, 15, v45
	s_waitcnt lgkmcnt(0)
	s_barrier
	s_and_saveexec_b64 s[0:1], vcc
	s_cbranch_execz .LBB66_267
; %bb.266:
	ds_read2_b32 v[48:49], v17 offset0:16 offset1:17
	ds_read2_b32 v[50:51], v17 offset0:18 offset1:19
	;; [unrolled: 1-line block ×4, first 2 shown]
	v_mul_f32_e32 v42, v46, v9
	s_waitcnt vmcnt(16) lgkmcnt(3)
	v_pk_fma_f32 v[34:35], v[42:43], v[48:49], v[34:35] op_sel_hi:[0,1,1] neg_lo:[1,0,0] neg_hi:[1,0,0]
	s_waitcnt vmcnt(14) lgkmcnt(2)
	v_pk_fma_f32 v[30:31], v[42:43], v[50:51], v[30:31] op_sel_hi:[0,1,1] neg_lo:[1,0,0] neg_hi:[1,0,0]
	;; [unrolled: 2-line block ×4, first 2 shown]
	ds_read2_b32 v[46:47], v17 offset0:24 offset1:25
	ds_read2_b32 v[48:49], v17 offset0:26 offset1:27
	;; [unrolled: 1-line block ×5, first 2 shown]
	s_waitcnt vmcnt(8) lgkmcnt(4)
	v_pk_fma_f32 v[40:41], v[42:43], v[46:47], v[40:41] op_sel_hi:[0,1,1] neg_lo:[1,0,0] neg_hi:[1,0,0]
	s_waitcnt vmcnt(6) lgkmcnt(3)
	v_pk_fma_f32 v[38:39], v[42:43], v[48:49], v[38:39] op_sel_hi:[0,1,1] neg_lo:[1,0,0] neg_hi:[1,0,0]
	;; [unrolled: 2-line block ×5, first 2 shown]
	v_mov_b32_e32 v9, v42
.LBB66_267:
	s_or_b64 exec, exec, s[0:1]
	v_lshl_add_u32 v42, v45, 2, v17
	s_barrier
	s_waitcnt vmcnt(17)
	ds_write_b32 v42, v34
	s_waitcnt lgkmcnt(0)
	s_barrier
	ds_read_b32 v44, v17 offset:64
	s_cmp_lt_i32 s22, 18
	v_mov_b32_e32 v42, 16
	s_cbranch_scc1 .LBB66_270
; %bb.268:
	v_add_u32_e32 v46, 0x44, v17
	v_mov_b32_e32 v42, 16
	s_mov_b32 s0, 17
.LBB66_269:                             ; =>This Inner Loop Header: Depth=1
	ds_read_b32 v47, v46
	v_mov_b32_e32 v48, s0
	s_add_i32 s0, s0, 1
	v_add_u32_e32 v46, 4, v46
	s_cmp_lg_u32 s22, s0
	s_waitcnt lgkmcnt(0)
	v_cmp_lt_f32_e64 vcc, |v44|, |v47|
	s_nop 1
	v_cndmask_b32_e32 v44, v44, v47, vcc
	v_cndmask_b32_e32 v42, v42, v48, vcc
	s_cbranch_scc1 .LBB66_269
.LBB66_270:
	s_waitcnt lgkmcnt(0)
	v_cmp_eq_f32_e32 vcc, 0, v44
	s_and_saveexec_b64 s[0:1], vcc
	s_xor_b64 s[0:1], exec, s[0:1]
; %bb.271:
	v_cmp_ne_u32_e32 vcc, 0, v19
	s_nop 1
	v_cndmask_b32_e32 v19, 17, v19, vcc
; %bb.272:
	s_andn2_saveexec_b64 s[0:1], s[0:1]
	s_cbranch_execz .LBB66_274
; %bb.273:
	v_div_scale_f32 v46, s[2:3], v44, v44, 1.0
	v_rcp_f32_e32 v47, v46
	v_div_scale_f32 v48, vcc, 1.0, v44, 1.0
	v_fma_f32 v49, -v46, v47, 1.0
	v_fmac_f32_e32 v47, v49, v47
	v_mul_f32_e32 v49, v48, v47
	v_fma_f32 v50, -v46, v49, v48
	v_fmac_f32_e32 v49, v50, v47
	v_fma_f32 v46, -v46, v49, v48
	v_div_fmas_f32 v46, v46, v47, v49
	v_div_fixup_f32 v44, v46, v44, 1.0
.LBB66_274:
	s_or_b64 exec, exec, s[0:1]
	v_cmp_ne_u32_e32 vcc, v45, v42
	s_and_saveexec_b64 s[0:1], vcc
	s_xor_b64 s[0:1], exec, s[0:1]
	s_cbranch_execz .LBB66_280
; %bb.275:
	v_cmp_eq_u32_e32 vcc, 16, v45
	s_and_saveexec_b64 s[2:3], vcc
	s_cbranch_execz .LBB66_279
; %bb.276:
	v_cmp_ne_u32_e32 vcc, 16, v42
	s_xor_b64 s[18:19], s[16:17], -1
	s_and_b64 s[20:21], s[18:19], vcc
	s_and_saveexec_b64 s[18:19], s[20:21]
	s_cbranch_execz .LBB66_278
; %bb.277:
	v_ashrrev_i32_e32 v43, 31, v42
	v_lshl_add_u64 v[46:47], v[42:43], 2, v[20:21]
	global_load_dword v43, v[46:47], off
	global_load_dword v45, v[20:21], off offset:64
	s_waitcnt vmcnt(1)
	global_store_dword v[20:21], v43, off offset:64
	s_waitcnt vmcnt(1)
	global_store_dword v[46:47], v45, off
.LBB66_278:
	s_or_b64 exec, exec, s[18:19]
	v_mov_b32_e32 v43, v42
	v_mov_b32_e32 v45, v42
.LBB66_279:
	s_or_b64 exec, exec, s[2:3]
.LBB66_280:
	s_andn2_saveexec_b64 s[0:1], s[0:1]
	s_cbranch_execz .LBB66_282
; %bb.281:
	s_waitcnt vmcnt(14)
	v_pk_mov_b32 v[46:47], v[34:35], v[30:31] op_sel:[1,0]
	ds_write2_b32 v17, v46, v47 offset0:17 offset1:18
	s_waitcnt vmcnt(12)
	v_pk_mov_b32 v[46:47], v[30:31], v[24:25] op_sel:[1,0]
	ds_write2_b32 v17, v46, v47 offset0:19 offset1:20
	;; [unrolled: 3-line block ×7, first 2 shown]
	s_waitcnt vmcnt(0)
	v_pk_mov_b32 v[46:47], v[26:27], v[36:37] op_sel:[1,0]
	v_mov_b32_e32 v45, 16
	ds_write2_b32 v17, v46, v47 offset0:31 offset1:32
	ds_write_b32 v17, v37 offset:132
.LBB66_282:
	s_or_b64 exec, exec, s[0:1]
	v_cmp_lt_i32_e32 vcc, 16, v45
	s_waitcnt lgkmcnt(0)
	s_barrier
	s_and_saveexec_b64 s[0:1], vcc
	s_cbranch_execz .LBB66_284
; %bb.283:
	ds_read_b32 v42, v17 offset:68
	ds_read2_b32 v[46:47], v17 offset0:18 offset1:19
	ds_read2_b32 v[48:49], v17 offset0:20 offset1:21
	;; [unrolled: 1-line block ×3, first 2 shown]
	v_mul_f32_e32 v34, v44, v34
	s_waitcnt vmcnt(16) lgkmcnt(3)
	v_fma_f32 v35, -v34, v42, v35
	s_waitcnt vmcnt(14) lgkmcnt(2)
	v_pk_fma_f32 v[30:31], v[34:35], v[46:47], v[30:31] op_sel_hi:[0,1,1] neg_lo:[1,0,0] neg_hi:[1,0,0]
	s_waitcnt vmcnt(12) lgkmcnt(1)
	v_pk_fma_f32 v[24:25], v[34:35], v[48:49], v[24:25] op_sel_hi:[0,1,1] neg_lo:[1,0,0] neg_hi:[1,0,0]
	;; [unrolled: 2-line block ×3, first 2 shown]
	ds_read2_b32 v[46:47], v17 offset0:24 offset1:25
	ds_read2_b32 v[48:49], v17 offset0:26 offset1:27
	;; [unrolled: 1-line block ×5, first 2 shown]
	s_waitcnt vmcnt(8) lgkmcnt(4)
	v_pk_fma_f32 v[40:41], v[34:35], v[46:47], v[40:41] op_sel_hi:[0,1,1] neg_lo:[1,0,0] neg_hi:[1,0,0]
	s_waitcnt vmcnt(6) lgkmcnt(3)
	v_pk_fma_f32 v[38:39], v[34:35], v[48:49], v[38:39] op_sel_hi:[0,1,1] neg_lo:[1,0,0] neg_hi:[1,0,0]
	s_waitcnt vmcnt(4) lgkmcnt(2)
	v_pk_fma_f32 v[32:33], v[34:35], v[50:51], v[32:33] op_sel_hi:[0,1,1] neg_lo:[1,0,0] neg_hi:[1,0,0]
	s_waitcnt vmcnt(2) lgkmcnt(1)
	v_pk_fma_f32 v[26:27], v[34:35], v[52:53], v[26:27] op_sel_hi:[0,1,1] neg_lo:[1,0,0] neg_hi:[1,0,0]
	s_waitcnt vmcnt(0) lgkmcnt(0)
	v_pk_fma_f32 v[36:37], v[34:35], v[54:55], v[36:37] op_sel_hi:[0,1,1] neg_lo:[1,0,0] neg_hi:[1,0,0]
.LBB66_284:
	s_or_b64 exec, exec, s[0:1]
	v_lshl_add_u32 v42, v45, 2, v17
	s_barrier
	s_waitcnt vmcnt(16)
	ds_write_b32 v42, v35
	s_waitcnt lgkmcnt(0)
	s_barrier
	ds_read_b32 v44, v17 offset:68
	s_cmp_lt_i32 s22, 19
	v_mov_b32_e32 v42, 17
	s_cbranch_scc1 .LBB66_287
; %bb.285:
	v_add_u32_e32 v46, 0x48, v17
	v_mov_b32_e32 v42, 17
	s_mov_b32 s0, 18
.LBB66_286:                             ; =>This Inner Loop Header: Depth=1
	ds_read_b32 v47, v46
	v_mov_b32_e32 v48, s0
	s_add_i32 s0, s0, 1
	v_add_u32_e32 v46, 4, v46
	s_cmp_lg_u32 s22, s0
	s_waitcnt lgkmcnt(0)
	v_cmp_lt_f32_e64 vcc, |v44|, |v47|
	s_nop 1
	v_cndmask_b32_e32 v44, v44, v47, vcc
	v_cndmask_b32_e32 v42, v42, v48, vcc
	s_cbranch_scc1 .LBB66_286
.LBB66_287:
	s_waitcnt lgkmcnt(0)
	v_cmp_eq_f32_e32 vcc, 0, v44
	s_and_saveexec_b64 s[0:1], vcc
	s_xor_b64 s[0:1], exec, s[0:1]
; %bb.288:
	v_cmp_ne_u32_e32 vcc, 0, v19
	s_nop 1
	v_cndmask_b32_e32 v19, 18, v19, vcc
; %bb.289:
	s_andn2_saveexec_b64 s[0:1], s[0:1]
	s_cbranch_execz .LBB66_291
; %bb.290:
	v_div_scale_f32 v46, s[2:3], v44, v44, 1.0
	v_rcp_f32_e32 v47, v46
	v_div_scale_f32 v48, vcc, 1.0, v44, 1.0
	v_fma_f32 v49, -v46, v47, 1.0
	v_fmac_f32_e32 v47, v49, v47
	v_mul_f32_e32 v49, v48, v47
	v_fma_f32 v50, -v46, v49, v48
	v_fmac_f32_e32 v49, v50, v47
	v_fma_f32 v46, -v46, v49, v48
	v_div_fmas_f32 v46, v46, v47, v49
	v_div_fixup_f32 v44, v46, v44, 1.0
.LBB66_291:
	s_or_b64 exec, exec, s[0:1]
	v_cmp_ne_u32_e32 vcc, v45, v42
	s_and_saveexec_b64 s[0:1], vcc
	s_xor_b64 s[0:1], exec, s[0:1]
	s_cbranch_execz .LBB66_297
; %bb.292:
	v_cmp_eq_u32_e32 vcc, 17, v45
	s_and_saveexec_b64 s[2:3], vcc
	s_cbranch_execz .LBB66_296
; %bb.293:
	v_cmp_ne_u32_e32 vcc, 17, v42
	s_xor_b64 s[18:19], s[16:17], -1
	s_and_b64 s[20:21], s[18:19], vcc
	s_and_saveexec_b64 s[18:19], s[20:21]
	s_cbranch_execz .LBB66_295
; %bb.294:
	v_ashrrev_i32_e32 v43, 31, v42
	v_lshl_add_u64 v[46:47], v[42:43], 2, v[20:21]
	global_load_dword v43, v[46:47], off
	global_load_dword v45, v[20:21], off offset:68
	s_waitcnt vmcnt(1)
	global_store_dword v[20:21], v43, off offset:68
	s_waitcnt vmcnt(1)
	global_store_dword v[46:47], v45, off
.LBB66_295:
	s_or_b64 exec, exec, s[18:19]
	v_mov_b32_e32 v43, v42
	v_mov_b32_e32 v45, v42
.LBB66_296:
	s_or_b64 exec, exec, s[2:3]
.LBB66_297:
	s_andn2_saveexec_b64 s[0:1], s[0:1]
	s_cbranch_execz .LBB66_299
; %bb.298:
	v_mov_b32_e32 v45, 17
	s_waitcnt vmcnt(14)
	ds_write2_b32 v17, v30, v31 offset0:18 offset1:19
	s_waitcnt vmcnt(12)
	ds_write2_b32 v17, v24, v25 offset0:20 offset1:21
	;; [unrolled: 2-line block ×8, first 2 shown]
.LBB66_299:
	s_or_b64 exec, exec, s[0:1]
	v_cmp_lt_i32_e32 vcc, 17, v45
	s_waitcnt lgkmcnt(0)
	s_barrier
	s_and_saveexec_b64 s[0:1], vcc
	s_cbranch_execz .LBB66_301
; %bb.300:
	ds_read2_b32 v[46:47], v17 offset0:18 offset1:19
	ds_read2_b32 v[48:49], v17 offset0:20 offset1:21
	;; [unrolled: 1-line block ×3, first 2 shown]
	v_mul_f32_e32 v42, v44, v35
	ds_read2_b32 v[52:53], v17 offset0:24 offset1:25
	s_waitcnt vmcnt(14) lgkmcnt(3)
	v_pk_fma_f32 v[30:31], v[42:43], v[46:47], v[30:31] op_sel_hi:[0,1,1] neg_lo:[1,0,0] neg_hi:[1,0,0]
	s_waitcnt vmcnt(12) lgkmcnt(2)
	v_pk_fma_f32 v[24:25], v[42:43], v[48:49], v[24:25] op_sel_hi:[0,1,1] neg_lo:[1,0,0] neg_hi:[1,0,0]
	;; [unrolled: 2-line block ×3, first 2 shown]
	ds_read2_b32 v[46:47], v17 offset0:26 offset1:27
	ds_read2_b32 v[48:49], v17 offset0:28 offset1:29
	;; [unrolled: 1-line block ×4, first 2 shown]
	s_waitcnt vmcnt(8) lgkmcnt(4)
	v_pk_fma_f32 v[40:41], v[42:43], v[52:53], v[40:41] op_sel_hi:[0,1,1] neg_lo:[1,0,0] neg_hi:[1,0,0]
	s_waitcnt vmcnt(6) lgkmcnt(3)
	v_pk_fma_f32 v[38:39], v[42:43], v[46:47], v[38:39] op_sel_hi:[0,1,1] neg_lo:[1,0,0] neg_hi:[1,0,0]
	;; [unrolled: 2-line block ×5, first 2 shown]
	v_mov_b32_e32 v35, v42
.LBB66_301:
	s_or_b64 exec, exec, s[0:1]
	v_lshl_add_u32 v42, v45, 2, v17
	s_barrier
	s_waitcnt vmcnt(15)
	ds_write_b32 v42, v30
	s_waitcnt lgkmcnt(0)
	s_barrier
	ds_read_b32 v44, v17 offset:72
	s_cmp_lt_i32 s22, 20
	v_mov_b32_e32 v42, 18
	s_cbranch_scc1 .LBB66_304
; %bb.302:
	v_add_u32_e32 v46, 0x4c, v17
	v_mov_b32_e32 v42, 18
	s_mov_b32 s0, 19
.LBB66_303:                             ; =>This Inner Loop Header: Depth=1
	ds_read_b32 v47, v46
	v_mov_b32_e32 v48, s0
	s_add_i32 s0, s0, 1
	v_add_u32_e32 v46, 4, v46
	s_cmp_lg_u32 s22, s0
	s_waitcnt lgkmcnt(0)
	v_cmp_lt_f32_e64 vcc, |v44|, |v47|
	s_nop 1
	v_cndmask_b32_e32 v44, v44, v47, vcc
	v_cndmask_b32_e32 v42, v42, v48, vcc
	s_cbranch_scc1 .LBB66_303
.LBB66_304:
	s_waitcnt lgkmcnt(0)
	v_cmp_eq_f32_e32 vcc, 0, v44
	s_and_saveexec_b64 s[0:1], vcc
	s_xor_b64 s[0:1], exec, s[0:1]
; %bb.305:
	v_cmp_ne_u32_e32 vcc, 0, v19
	s_nop 1
	v_cndmask_b32_e32 v19, 19, v19, vcc
; %bb.306:
	s_andn2_saveexec_b64 s[0:1], s[0:1]
	s_cbranch_execz .LBB66_308
; %bb.307:
	v_div_scale_f32 v46, s[2:3], v44, v44, 1.0
	v_rcp_f32_e32 v47, v46
	v_div_scale_f32 v48, vcc, 1.0, v44, 1.0
	v_fma_f32 v49, -v46, v47, 1.0
	v_fmac_f32_e32 v47, v49, v47
	v_mul_f32_e32 v49, v48, v47
	v_fma_f32 v50, -v46, v49, v48
	v_fmac_f32_e32 v49, v50, v47
	v_fma_f32 v46, -v46, v49, v48
	v_div_fmas_f32 v46, v46, v47, v49
	v_div_fixup_f32 v44, v46, v44, 1.0
.LBB66_308:
	s_or_b64 exec, exec, s[0:1]
	v_cmp_ne_u32_e32 vcc, v45, v42
	s_and_saveexec_b64 s[0:1], vcc
	s_xor_b64 s[0:1], exec, s[0:1]
	s_cbranch_execz .LBB66_314
; %bb.309:
	v_cmp_eq_u32_e32 vcc, 18, v45
	s_and_saveexec_b64 s[2:3], vcc
	s_cbranch_execz .LBB66_313
; %bb.310:
	v_cmp_ne_u32_e32 vcc, 18, v42
	s_xor_b64 s[18:19], s[16:17], -1
	s_and_b64 s[20:21], s[18:19], vcc
	s_and_saveexec_b64 s[18:19], s[20:21]
	s_cbranch_execz .LBB66_312
; %bb.311:
	v_ashrrev_i32_e32 v43, 31, v42
	v_lshl_add_u64 v[46:47], v[42:43], 2, v[20:21]
	global_load_dword v43, v[46:47], off
	global_load_dword v45, v[20:21], off offset:72
	s_waitcnt vmcnt(1)
	global_store_dword v[20:21], v43, off offset:72
	s_waitcnt vmcnt(1)
	global_store_dword v[46:47], v45, off
.LBB66_312:
	s_or_b64 exec, exec, s[18:19]
	v_mov_b32_e32 v43, v42
	v_mov_b32_e32 v45, v42
.LBB66_313:
	s_or_b64 exec, exec, s[2:3]
.LBB66_314:
	s_andn2_saveexec_b64 s[0:1], s[0:1]
	s_cbranch_execz .LBB66_316
; %bb.315:
	s_waitcnt vmcnt(12)
	v_pk_mov_b32 v[46:47], v[30:31], v[24:25] op_sel:[1,0]
	ds_write2_b32 v17, v46, v47 offset0:19 offset1:20
	s_waitcnt vmcnt(10)
	v_pk_mov_b32 v[46:47], v[24:25], v[14:15] op_sel:[1,0]
	ds_write2_b32 v17, v46, v47 offset0:21 offset1:22
	;; [unrolled: 3-line block ×6, first 2 shown]
	s_waitcnt vmcnt(0)
	v_pk_mov_b32 v[46:47], v[26:27], v[36:37] op_sel:[1,0]
	v_mov_b32_e32 v45, 18
	ds_write2_b32 v17, v46, v47 offset0:31 offset1:32
	ds_write_b32 v17, v37 offset:132
.LBB66_316:
	s_or_b64 exec, exec, s[0:1]
	v_cmp_lt_i32_e32 vcc, 18, v45
	s_waitcnt lgkmcnt(0)
	s_barrier
	s_and_saveexec_b64 s[0:1], vcc
	s_cbranch_execz .LBB66_318
; %bb.317:
	ds_read_b32 v42, v17 offset:76
	ds_read2_b32 v[46:47], v17 offset0:20 offset1:21
	ds_read2_b32 v[48:49], v17 offset0:22 offset1:23
	v_mul_f32_e32 v30, v44, v30
	ds_read2_b32 v[50:51], v17 offset0:24 offset1:25
	s_waitcnt vmcnt(14) lgkmcnt(3)
	v_fma_f32 v31, -v30, v42, v31
	s_waitcnt vmcnt(12) lgkmcnt(2)
	v_pk_fma_f32 v[24:25], v[30:31], v[46:47], v[24:25] op_sel_hi:[0,1,1] neg_lo:[1,0,0] neg_hi:[1,0,0]
	s_waitcnt vmcnt(10) lgkmcnt(1)
	v_pk_fma_f32 v[14:15], v[30:31], v[48:49], v[14:15] op_sel_hi:[0,1,1] neg_lo:[1,0,0] neg_hi:[1,0,0]
	ds_read2_b32 v[46:47], v17 offset0:26 offset1:27
	ds_read2_b32 v[48:49], v17 offset0:28 offset1:29
	;; [unrolled: 1-line block ×4, first 2 shown]
	s_waitcnt vmcnt(8) lgkmcnt(4)
	v_pk_fma_f32 v[40:41], v[30:31], v[50:51], v[40:41] op_sel_hi:[0,1,1] neg_lo:[1,0,0] neg_hi:[1,0,0]
	s_waitcnt vmcnt(6) lgkmcnt(3)
	v_pk_fma_f32 v[38:39], v[30:31], v[46:47], v[38:39] op_sel_hi:[0,1,1] neg_lo:[1,0,0] neg_hi:[1,0,0]
	s_waitcnt vmcnt(4) lgkmcnt(2)
	v_pk_fma_f32 v[32:33], v[30:31], v[48:49], v[32:33] op_sel_hi:[0,1,1] neg_lo:[1,0,0] neg_hi:[1,0,0]
	s_waitcnt vmcnt(2) lgkmcnt(1)
	v_pk_fma_f32 v[26:27], v[30:31], v[52:53], v[26:27] op_sel_hi:[0,1,1] neg_lo:[1,0,0] neg_hi:[1,0,0]
	s_waitcnt vmcnt(0) lgkmcnt(0)
	v_pk_fma_f32 v[36:37], v[30:31], v[54:55], v[36:37] op_sel_hi:[0,1,1] neg_lo:[1,0,0] neg_hi:[1,0,0]
.LBB66_318:
	s_or_b64 exec, exec, s[0:1]
	v_lshl_add_u32 v42, v45, 2, v17
	s_barrier
	s_waitcnt vmcnt(14)
	ds_write_b32 v42, v31
	s_waitcnt lgkmcnt(0)
	s_barrier
	ds_read_b32 v44, v17 offset:76
	s_cmp_lt_i32 s22, 21
	v_mov_b32_e32 v42, 19
	s_cbranch_scc1 .LBB66_321
; %bb.319:
	v_add_u32_e32 v46, 0x50, v17
	v_mov_b32_e32 v42, 19
	s_mov_b32 s0, 20
.LBB66_320:                             ; =>This Inner Loop Header: Depth=1
	ds_read_b32 v47, v46
	v_mov_b32_e32 v48, s0
	s_add_i32 s0, s0, 1
	v_add_u32_e32 v46, 4, v46
	s_cmp_lg_u32 s22, s0
	s_waitcnt lgkmcnt(0)
	v_cmp_lt_f32_e64 vcc, |v44|, |v47|
	s_nop 1
	v_cndmask_b32_e32 v44, v44, v47, vcc
	v_cndmask_b32_e32 v42, v42, v48, vcc
	s_cbranch_scc1 .LBB66_320
.LBB66_321:
	s_waitcnt lgkmcnt(0)
	v_cmp_eq_f32_e32 vcc, 0, v44
	s_and_saveexec_b64 s[0:1], vcc
	s_xor_b64 s[0:1], exec, s[0:1]
; %bb.322:
	v_cmp_ne_u32_e32 vcc, 0, v19
	s_nop 1
	v_cndmask_b32_e32 v19, 20, v19, vcc
; %bb.323:
	s_andn2_saveexec_b64 s[0:1], s[0:1]
	s_cbranch_execz .LBB66_325
; %bb.324:
	v_div_scale_f32 v46, s[2:3], v44, v44, 1.0
	v_rcp_f32_e32 v47, v46
	v_div_scale_f32 v48, vcc, 1.0, v44, 1.0
	v_fma_f32 v49, -v46, v47, 1.0
	v_fmac_f32_e32 v47, v49, v47
	v_mul_f32_e32 v49, v48, v47
	v_fma_f32 v50, -v46, v49, v48
	v_fmac_f32_e32 v49, v50, v47
	v_fma_f32 v46, -v46, v49, v48
	v_div_fmas_f32 v46, v46, v47, v49
	v_div_fixup_f32 v44, v46, v44, 1.0
.LBB66_325:
	s_or_b64 exec, exec, s[0:1]
	v_cmp_ne_u32_e32 vcc, v45, v42
	s_and_saveexec_b64 s[0:1], vcc
	s_xor_b64 s[0:1], exec, s[0:1]
	s_cbranch_execz .LBB66_331
; %bb.326:
	v_cmp_eq_u32_e32 vcc, 19, v45
	s_and_saveexec_b64 s[2:3], vcc
	s_cbranch_execz .LBB66_330
; %bb.327:
	v_cmp_ne_u32_e32 vcc, 19, v42
	s_xor_b64 s[18:19], s[16:17], -1
	s_and_b64 s[20:21], s[18:19], vcc
	s_and_saveexec_b64 s[18:19], s[20:21]
	s_cbranch_execz .LBB66_329
; %bb.328:
	v_ashrrev_i32_e32 v43, 31, v42
	v_lshl_add_u64 v[46:47], v[42:43], 2, v[20:21]
	global_load_dword v43, v[46:47], off
	global_load_dword v45, v[20:21], off offset:76
	s_waitcnt vmcnt(1)
	global_store_dword v[20:21], v43, off offset:76
	s_waitcnt vmcnt(1)
	global_store_dword v[46:47], v45, off
.LBB66_329:
	s_or_b64 exec, exec, s[18:19]
	v_mov_b32_e32 v43, v42
	v_mov_b32_e32 v45, v42
.LBB66_330:
	s_or_b64 exec, exec, s[2:3]
.LBB66_331:
	s_andn2_saveexec_b64 s[0:1], s[0:1]
	s_cbranch_execz .LBB66_333
; %bb.332:
	v_mov_b32_e32 v45, 19
	s_waitcnt vmcnt(12)
	ds_write2_b32 v17, v24, v25 offset0:20 offset1:21
	s_waitcnt vmcnt(10)
	ds_write2_b32 v17, v14, v15 offset0:22 offset1:23
	;; [unrolled: 2-line block ×7, first 2 shown]
.LBB66_333:
	s_or_b64 exec, exec, s[0:1]
	v_cmp_lt_i32_e32 vcc, 19, v45
	s_waitcnt lgkmcnt(0)
	s_barrier
	s_and_saveexec_b64 s[0:1], vcc
	s_cbranch_execz .LBB66_335
; %bb.334:
	ds_read2_b32 v[46:47], v17 offset0:20 offset1:21
	ds_read2_b32 v[48:49], v17 offset0:22 offset1:23
	v_mul_f32_e32 v42, v44, v31
	ds_read2_b32 v[50:51], v17 offset0:24 offset1:25
	ds_read2_b32 v[52:53], v17 offset0:26 offset1:27
	v_mov_b32_e32 v31, v42
	s_waitcnt vmcnt(12) lgkmcnt(3)
	v_pk_fma_f32 v[24:25], v[42:43], v[46:47], v[24:25] op_sel_hi:[0,1,1] neg_lo:[1,0,0] neg_hi:[1,0,0]
	s_waitcnt vmcnt(10) lgkmcnt(2)
	v_pk_fma_f32 v[14:15], v[42:43], v[48:49], v[14:15] op_sel_hi:[0,1,1] neg_lo:[1,0,0] neg_hi:[1,0,0]
	ds_read2_b32 v[46:47], v17 offset0:28 offset1:29
	ds_read2_b32 v[48:49], v17 offset0:30 offset1:31
	;; [unrolled: 1-line block ×3, first 2 shown]
	s_waitcnt vmcnt(8) lgkmcnt(4)
	v_pk_fma_f32 v[40:41], v[42:43], v[50:51], v[40:41] op_sel_hi:[0,1,1] neg_lo:[1,0,0] neg_hi:[1,0,0]
	s_waitcnt vmcnt(6) lgkmcnt(3)
	v_pk_fma_f32 v[38:39], v[42:43], v[52:53], v[38:39] op_sel_hi:[0,1,1] neg_lo:[1,0,0] neg_hi:[1,0,0]
	;; [unrolled: 2-line block ×5, first 2 shown]
.LBB66_335:
	s_or_b64 exec, exec, s[0:1]
	v_lshl_add_u32 v42, v45, 2, v17
	s_barrier
	s_waitcnt vmcnt(13)
	ds_write_b32 v42, v24
	s_waitcnt lgkmcnt(0)
	s_barrier
	ds_read_b32 v44, v17 offset:80
	s_cmp_lt_i32 s22, 22
	v_mov_b32_e32 v42, 20
	s_cbranch_scc1 .LBB66_338
; %bb.336:
	v_add_u32_e32 v46, 0x54, v17
	v_mov_b32_e32 v42, 20
	s_mov_b32 s0, 21
.LBB66_337:                             ; =>This Inner Loop Header: Depth=1
	ds_read_b32 v47, v46
	v_mov_b32_e32 v48, s0
	s_add_i32 s0, s0, 1
	v_add_u32_e32 v46, 4, v46
	s_cmp_lg_u32 s22, s0
	s_waitcnt lgkmcnt(0)
	v_cmp_lt_f32_e64 vcc, |v44|, |v47|
	s_nop 1
	v_cndmask_b32_e32 v44, v44, v47, vcc
	v_cndmask_b32_e32 v42, v42, v48, vcc
	s_cbranch_scc1 .LBB66_337
.LBB66_338:
	s_waitcnt lgkmcnt(0)
	v_cmp_eq_f32_e32 vcc, 0, v44
	s_and_saveexec_b64 s[0:1], vcc
	s_xor_b64 s[0:1], exec, s[0:1]
; %bb.339:
	v_cmp_ne_u32_e32 vcc, 0, v19
	s_nop 1
	v_cndmask_b32_e32 v19, 21, v19, vcc
; %bb.340:
	s_andn2_saveexec_b64 s[0:1], s[0:1]
	s_cbranch_execz .LBB66_342
; %bb.341:
	v_div_scale_f32 v46, s[2:3], v44, v44, 1.0
	v_rcp_f32_e32 v47, v46
	v_div_scale_f32 v48, vcc, 1.0, v44, 1.0
	v_fma_f32 v49, -v46, v47, 1.0
	v_fmac_f32_e32 v47, v49, v47
	v_mul_f32_e32 v49, v48, v47
	v_fma_f32 v50, -v46, v49, v48
	v_fmac_f32_e32 v49, v50, v47
	v_fma_f32 v46, -v46, v49, v48
	v_div_fmas_f32 v46, v46, v47, v49
	v_div_fixup_f32 v44, v46, v44, 1.0
.LBB66_342:
	s_or_b64 exec, exec, s[0:1]
	v_cmp_ne_u32_e32 vcc, v45, v42
	s_and_saveexec_b64 s[0:1], vcc
	s_xor_b64 s[0:1], exec, s[0:1]
	s_cbranch_execz .LBB66_348
; %bb.343:
	v_cmp_eq_u32_e32 vcc, 20, v45
	s_and_saveexec_b64 s[2:3], vcc
	s_cbranch_execz .LBB66_347
; %bb.344:
	v_cmp_ne_u32_e32 vcc, 20, v42
	s_xor_b64 s[18:19], s[16:17], -1
	s_and_b64 s[20:21], s[18:19], vcc
	s_and_saveexec_b64 s[18:19], s[20:21]
	s_cbranch_execz .LBB66_346
; %bb.345:
	v_ashrrev_i32_e32 v43, 31, v42
	v_lshl_add_u64 v[46:47], v[42:43], 2, v[20:21]
	global_load_dword v43, v[46:47], off
	global_load_dword v45, v[20:21], off offset:80
	s_waitcnt vmcnt(1)
	global_store_dword v[20:21], v43, off offset:80
	s_waitcnt vmcnt(1)
	global_store_dword v[46:47], v45, off
.LBB66_346:
	s_or_b64 exec, exec, s[18:19]
	v_mov_b32_e32 v43, v42
	v_mov_b32_e32 v45, v42
.LBB66_347:
	s_or_b64 exec, exec, s[2:3]
.LBB66_348:
	s_andn2_saveexec_b64 s[0:1], s[0:1]
	s_cbranch_execz .LBB66_350
; %bb.349:
	s_waitcnt vmcnt(10)
	v_pk_mov_b32 v[46:47], v[24:25], v[14:15] op_sel:[1,0]
	ds_write2_b32 v17, v46, v47 offset0:21 offset1:22
	s_waitcnt vmcnt(8)
	v_pk_mov_b32 v[46:47], v[14:15], v[40:41] op_sel:[1,0]
	ds_write2_b32 v17, v46, v47 offset0:23 offset1:24
	s_waitcnt vmcnt(6)
	v_pk_mov_b32 v[46:47], v[40:41], v[38:39] op_sel:[1,0]
	ds_write2_b32 v17, v46, v47 offset0:25 offset1:26
	s_waitcnt vmcnt(4)
	v_pk_mov_b32 v[46:47], v[38:39], v[32:33] op_sel:[1,0]
	ds_write2_b32 v17, v46, v47 offset0:27 offset1:28
	s_waitcnt vmcnt(2)
	v_pk_mov_b32 v[46:47], v[32:33], v[26:27] op_sel:[1,0]
	ds_write2_b32 v17, v46, v47 offset0:29 offset1:30
	s_waitcnt vmcnt(0)
	v_pk_mov_b32 v[46:47], v[26:27], v[36:37] op_sel:[1,0]
	v_mov_b32_e32 v45, 20
	ds_write2_b32 v17, v46, v47 offset0:31 offset1:32
	ds_write_b32 v17, v37 offset:132
.LBB66_350:
	s_or_b64 exec, exec, s[0:1]
	v_cmp_lt_i32_e32 vcc, 20, v45
	s_waitcnt lgkmcnt(0)
	s_barrier
	s_and_saveexec_b64 s[0:1], vcc
	s_cbranch_execz .LBB66_352
; %bb.351:
	ds_read_b32 v42, v17 offset:84
	ds_read2_b32 v[46:47], v17 offset0:22 offset1:23
	v_mul_f32_e32 v24, v44, v24
	ds_read2_b32 v[48:49], v17 offset0:24 offset1:25
	ds_read2_b32 v[50:51], v17 offset0:26 offset1:27
	s_waitcnt vmcnt(12) lgkmcnt(3)
	v_fma_f32 v25, -v24, v42, v25
	s_waitcnt vmcnt(10) lgkmcnt(2)
	v_pk_fma_f32 v[14:15], v[24:25], v[46:47], v[14:15] op_sel_hi:[0,1,1] neg_lo:[1,0,0] neg_hi:[1,0,0]
	ds_read2_b32 v[46:47], v17 offset0:28 offset1:29
	ds_read2_b32 v[52:53], v17 offset0:30 offset1:31
	;; [unrolled: 1-line block ×3, first 2 shown]
	s_waitcnt vmcnt(8) lgkmcnt(4)
	v_pk_fma_f32 v[40:41], v[24:25], v[48:49], v[40:41] op_sel_hi:[0,1,1] neg_lo:[1,0,0] neg_hi:[1,0,0]
	s_waitcnt vmcnt(6) lgkmcnt(3)
	v_pk_fma_f32 v[38:39], v[24:25], v[50:51], v[38:39] op_sel_hi:[0,1,1] neg_lo:[1,0,0] neg_hi:[1,0,0]
	;; [unrolled: 2-line block ×5, first 2 shown]
.LBB66_352:
	s_or_b64 exec, exec, s[0:1]
	v_lshl_add_u32 v42, v45, 2, v17
	s_barrier
	s_waitcnt vmcnt(12)
	ds_write_b32 v42, v25
	s_waitcnt lgkmcnt(0)
	s_barrier
	ds_read_b32 v44, v17 offset:84
	s_cmp_lt_i32 s22, 23
	v_mov_b32_e32 v42, 21
	s_cbranch_scc1 .LBB66_355
; %bb.353:
	v_add_u32_e32 v46, 0x58, v17
	v_mov_b32_e32 v42, 21
	s_mov_b32 s0, 22
.LBB66_354:                             ; =>This Inner Loop Header: Depth=1
	ds_read_b32 v47, v46
	v_mov_b32_e32 v48, s0
	s_add_i32 s0, s0, 1
	v_add_u32_e32 v46, 4, v46
	s_cmp_lg_u32 s22, s0
	s_waitcnt lgkmcnt(0)
	v_cmp_lt_f32_e64 vcc, |v44|, |v47|
	s_nop 1
	v_cndmask_b32_e32 v44, v44, v47, vcc
	v_cndmask_b32_e32 v42, v42, v48, vcc
	s_cbranch_scc1 .LBB66_354
.LBB66_355:
	s_waitcnt lgkmcnt(0)
	v_cmp_eq_f32_e32 vcc, 0, v44
	s_and_saveexec_b64 s[0:1], vcc
	s_xor_b64 s[0:1], exec, s[0:1]
; %bb.356:
	v_cmp_ne_u32_e32 vcc, 0, v19
	s_nop 1
	v_cndmask_b32_e32 v19, 22, v19, vcc
; %bb.357:
	s_andn2_saveexec_b64 s[0:1], s[0:1]
	s_cbranch_execz .LBB66_359
; %bb.358:
	v_div_scale_f32 v46, s[2:3], v44, v44, 1.0
	v_rcp_f32_e32 v47, v46
	v_div_scale_f32 v48, vcc, 1.0, v44, 1.0
	v_fma_f32 v49, -v46, v47, 1.0
	v_fmac_f32_e32 v47, v49, v47
	v_mul_f32_e32 v49, v48, v47
	v_fma_f32 v50, -v46, v49, v48
	v_fmac_f32_e32 v49, v50, v47
	v_fma_f32 v46, -v46, v49, v48
	v_div_fmas_f32 v46, v46, v47, v49
	v_div_fixup_f32 v44, v46, v44, 1.0
.LBB66_359:
	s_or_b64 exec, exec, s[0:1]
	v_cmp_ne_u32_e32 vcc, v45, v42
	s_and_saveexec_b64 s[0:1], vcc
	s_xor_b64 s[0:1], exec, s[0:1]
	s_cbranch_execz .LBB66_365
; %bb.360:
	v_cmp_eq_u32_e32 vcc, 21, v45
	s_and_saveexec_b64 s[2:3], vcc
	s_cbranch_execz .LBB66_364
; %bb.361:
	v_cmp_ne_u32_e32 vcc, 21, v42
	s_xor_b64 s[18:19], s[16:17], -1
	s_and_b64 s[20:21], s[18:19], vcc
	s_and_saveexec_b64 s[18:19], s[20:21]
	s_cbranch_execz .LBB66_363
; %bb.362:
	v_ashrrev_i32_e32 v43, 31, v42
	v_lshl_add_u64 v[46:47], v[42:43], 2, v[20:21]
	global_load_dword v43, v[46:47], off
	global_load_dword v45, v[20:21], off offset:84
	s_waitcnt vmcnt(1)
	global_store_dword v[20:21], v43, off offset:84
	s_waitcnt vmcnt(1)
	global_store_dword v[46:47], v45, off
.LBB66_363:
	s_or_b64 exec, exec, s[18:19]
	v_mov_b32_e32 v43, v42
	v_mov_b32_e32 v45, v42
.LBB66_364:
	s_or_b64 exec, exec, s[2:3]
.LBB66_365:
	s_andn2_saveexec_b64 s[0:1], s[0:1]
	s_cbranch_execz .LBB66_367
; %bb.366:
	v_mov_b32_e32 v45, 21
	s_waitcnt vmcnt(10)
	ds_write2_b32 v17, v14, v15 offset0:22 offset1:23
	s_waitcnt vmcnt(8)
	ds_write2_b32 v17, v40, v41 offset0:24 offset1:25
	;; [unrolled: 2-line block ×6, first 2 shown]
.LBB66_367:
	s_or_b64 exec, exec, s[0:1]
	v_cmp_lt_i32_e32 vcc, 21, v45
	s_waitcnt lgkmcnt(0)
	s_barrier
	s_and_saveexec_b64 s[0:1], vcc
	s_cbranch_execz .LBB66_369
; %bb.368:
	ds_read2_b32 v[46:47], v17 offset0:22 offset1:23
	v_mul_f32_e32 v42, v44, v25
	ds_read2_b32 v[48:49], v17 offset0:24 offset1:25
	ds_read2_b32 v[50:51], v17 offset0:26 offset1:27
	;; [unrolled: 1-line block ×3, first 2 shown]
	v_mov_b32_e32 v25, v42
	s_waitcnt vmcnt(8) lgkmcnt(2)
	v_pk_fma_f32 v[40:41], v[42:43], v[48:49], v[40:41] op_sel_hi:[0,1,1] neg_lo:[1,0,0] neg_hi:[1,0,0]
	v_pk_fma_f32 v[14:15], v[42:43], v[46:47], v[14:15] op_sel_hi:[0,1,1] neg_lo:[1,0,0] neg_hi:[1,0,0]
	ds_read2_b32 v[46:47], v17 offset0:30 offset1:31
	ds_read2_b32 v[54:55], v17 offset0:32 offset1:33
	s_waitcnt vmcnt(6) lgkmcnt(3)
	v_pk_fma_f32 v[38:39], v[42:43], v[50:51], v[38:39] op_sel_hi:[0,1,1] neg_lo:[1,0,0] neg_hi:[1,0,0]
	s_waitcnt vmcnt(4) lgkmcnt(2)
	v_pk_fma_f32 v[32:33], v[42:43], v[52:53], v[32:33] op_sel_hi:[0,1,1] neg_lo:[1,0,0] neg_hi:[1,0,0]
	s_waitcnt vmcnt(2) lgkmcnt(1)
	v_pk_fma_f32 v[26:27], v[42:43], v[46:47], v[26:27] op_sel_hi:[0,1,1] neg_lo:[1,0,0] neg_hi:[1,0,0]
	s_waitcnt vmcnt(0) lgkmcnt(0)
	v_pk_fma_f32 v[36:37], v[42:43], v[54:55], v[36:37] op_sel_hi:[0,1,1] neg_lo:[1,0,0] neg_hi:[1,0,0]
.LBB66_369:
	s_or_b64 exec, exec, s[0:1]
	v_lshl_add_u32 v42, v45, 2, v17
	s_barrier
	s_waitcnt vmcnt(11)
	ds_write_b32 v42, v14
	s_waitcnt lgkmcnt(0)
	s_barrier
	ds_read_b32 v44, v17 offset:88
	s_cmp_lt_i32 s22, 24
	v_mov_b32_e32 v42, 22
	s_cbranch_scc1 .LBB66_372
; %bb.370:
	v_add_u32_e32 v46, 0x5c, v17
	v_mov_b32_e32 v42, 22
	s_mov_b32 s0, 23
.LBB66_371:                             ; =>This Inner Loop Header: Depth=1
	ds_read_b32 v47, v46
	v_mov_b32_e32 v48, s0
	s_add_i32 s0, s0, 1
	v_add_u32_e32 v46, 4, v46
	s_cmp_lg_u32 s22, s0
	s_waitcnt lgkmcnt(0)
	v_cmp_lt_f32_e64 vcc, |v44|, |v47|
	s_nop 1
	v_cndmask_b32_e32 v44, v44, v47, vcc
	v_cndmask_b32_e32 v42, v42, v48, vcc
	s_cbranch_scc1 .LBB66_371
.LBB66_372:
	s_waitcnt lgkmcnt(0)
	v_cmp_eq_f32_e32 vcc, 0, v44
	s_and_saveexec_b64 s[0:1], vcc
	s_xor_b64 s[0:1], exec, s[0:1]
; %bb.373:
	v_cmp_ne_u32_e32 vcc, 0, v19
	s_nop 1
	v_cndmask_b32_e32 v19, 23, v19, vcc
; %bb.374:
	s_andn2_saveexec_b64 s[0:1], s[0:1]
	s_cbranch_execz .LBB66_376
; %bb.375:
	v_div_scale_f32 v46, s[2:3], v44, v44, 1.0
	v_rcp_f32_e32 v47, v46
	v_div_scale_f32 v48, vcc, 1.0, v44, 1.0
	v_fma_f32 v49, -v46, v47, 1.0
	v_fmac_f32_e32 v47, v49, v47
	v_mul_f32_e32 v49, v48, v47
	v_fma_f32 v50, -v46, v49, v48
	v_fmac_f32_e32 v49, v50, v47
	v_fma_f32 v46, -v46, v49, v48
	v_div_fmas_f32 v46, v46, v47, v49
	v_div_fixup_f32 v44, v46, v44, 1.0
.LBB66_376:
	s_or_b64 exec, exec, s[0:1]
	v_cmp_ne_u32_e32 vcc, v45, v42
	s_and_saveexec_b64 s[0:1], vcc
	s_xor_b64 s[0:1], exec, s[0:1]
	s_cbranch_execz .LBB66_382
; %bb.377:
	v_cmp_eq_u32_e32 vcc, 22, v45
	s_and_saveexec_b64 s[2:3], vcc
	s_cbranch_execz .LBB66_381
; %bb.378:
	v_cmp_ne_u32_e32 vcc, 22, v42
	s_xor_b64 s[18:19], s[16:17], -1
	s_and_b64 s[20:21], s[18:19], vcc
	s_and_saveexec_b64 s[18:19], s[20:21]
	s_cbranch_execz .LBB66_380
; %bb.379:
	v_ashrrev_i32_e32 v43, 31, v42
	v_lshl_add_u64 v[46:47], v[42:43], 2, v[20:21]
	global_load_dword v43, v[46:47], off
	global_load_dword v45, v[20:21], off offset:88
	s_waitcnt vmcnt(1)
	global_store_dword v[20:21], v43, off offset:88
	s_waitcnt vmcnt(1)
	global_store_dword v[46:47], v45, off
.LBB66_380:
	s_or_b64 exec, exec, s[18:19]
	v_mov_b32_e32 v43, v42
	v_mov_b32_e32 v45, v42
.LBB66_381:
	s_or_b64 exec, exec, s[2:3]
.LBB66_382:
	s_andn2_saveexec_b64 s[0:1], s[0:1]
	s_cbranch_execz .LBB66_384
; %bb.383:
	s_waitcnt vmcnt(8)
	v_pk_mov_b32 v[46:47], v[14:15], v[40:41] op_sel:[1,0]
	ds_write2_b32 v17, v46, v47 offset0:23 offset1:24
	s_waitcnt vmcnt(6)
	v_pk_mov_b32 v[46:47], v[40:41], v[38:39] op_sel:[1,0]
	ds_write2_b32 v17, v46, v47 offset0:25 offset1:26
	;; [unrolled: 3-line block ×4, first 2 shown]
	s_waitcnt vmcnt(0)
	v_pk_mov_b32 v[46:47], v[26:27], v[36:37] op_sel:[1,0]
	v_mov_b32_e32 v45, 22
	ds_write2_b32 v17, v46, v47 offset0:31 offset1:32
	ds_write_b32 v17, v37 offset:132
.LBB66_384:
	s_or_b64 exec, exec, s[0:1]
	v_cmp_lt_i32_e32 vcc, 22, v45
	s_waitcnt lgkmcnt(0)
	s_barrier
	s_and_saveexec_b64 s[0:1], vcc
	s_cbranch_execz .LBB66_386
; %bb.385:
	ds_read_b32 v42, v17 offset:92
	ds_read2_b32 v[46:47], v17 offset0:24 offset1:25
	ds_read2_b32 v[48:49], v17 offset0:26 offset1:27
	;; [unrolled: 1-line block ×5, first 2 shown]
	v_mul_f32_e32 v14, v44, v14
	s_waitcnt vmcnt(10) lgkmcnt(5)
	v_fma_f32 v15, -v14, v42, v15
	s_waitcnt vmcnt(8) lgkmcnt(4)
	v_pk_fma_f32 v[40:41], v[14:15], v[46:47], v[40:41] op_sel_hi:[0,1,1] neg_lo:[1,0,0] neg_hi:[1,0,0]
	s_waitcnt vmcnt(6) lgkmcnt(3)
	v_pk_fma_f32 v[38:39], v[14:15], v[48:49], v[38:39] op_sel_hi:[0,1,1] neg_lo:[1,0,0] neg_hi:[1,0,0]
	;; [unrolled: 2-line block ×5, first 2 shown]
.LBB66_386:
	s_or_b64 exec, exec, s[0:1]
	v_lshl_add_u32 v42, v45, 2, v17
	s_barrier
	s_waitcnt vmcnt(10)
	ds_write_b32 v42, v15
	s_waitcnt lgkmcnt(0)
	s_barrier
	ds_read_b32 v44, v17 offset:92
	s_cmp_lt_i32 s22, 25
	v_mov_b32_e32 v42, 23
	s_cbranch_scc1 .LBB66_389
; %bb.387:
	v_add_u32_e32 v46, 0x60, v17
	v_mov_b32_e32 v42, 23
	s_mov_b32 s0, 24
.LBB66_388:                             ; =>This Inner Loop Header: Depth=1
	ds_read_b32 v47, v46
	v_mov_b32_e32 v48, s0
	s_add_i32 s0, s0, 1
	v_add_u32_e32 v46, 4, v46
	s_cmp_lg_u32 s22, s0
	s_waitcnt lgkmcnt(0)
	v_cmp_lt_f32_e64 vcc, |v44|, |v47|
	s_nop 1
	v_cndmask_b32_e32 v44, v44, v47, vcc
	v_cndmask_b32_e32 v42, v42, v48, vcc
	s_cbranch_scc1 .LBB66_388
.LBB66_389:
	s_waitcnt lgkmcnt(0)
	v_cmp_eq_f32_e32 vcc, 0, v44
	s_and_saveexec_b64 s[0:1], vcc
	s_xor_b64 s[0:1], exec, s[0:1]
; %bb.390:
	v_cmp_ne_u32_e32 vcc, 0, v19
	s_nop 1
	v_cndmask_b32_e32 v19, 24, v19, vcc
; %bb.391:
	s_andn2_saveexec_b64 s[0:1], s[0:1]
	s_cbranch_execz .LBB66_393
; %bb.392:
	v_div_scale_f32 v46, s[2:3], v44, v44, 1.0
	v_rcp_f32_e32 v47, v46
	v_div_scale_f32 v48, vcc, 1.0, v44, 1.0
	v_fma_f32 v49, -v46, v47, 1.0
	v_fmac_f32_e32 v47, v49, v47
	v_mul_f32_e32 v49, v48, v47
	v_fma_f32 v50, -v46, v49, v48
	v_fmac_f32_e32 v49, v50, v47
	v_fma_f32 v46, -v46, v49, v48
	v_div_fmas_f32 v46, v46, v47, v49
	v_div_fixup_f32 v44, v46, v44, 1.0
.LBB66_393:
	s_or_b64 exec, exec, s[0:1]
	v_cmp_ne_u32_e32 vcc, v45, v42
	s_and_saveexec_b64 s[0:1], vcc
	s_xor_b64 s[0:1], exec, s[0:1]
	s_cbranch_execz .LBB66_399
; %bb.394:
	v_cmp_eq_u32_e32 vcc, 23, v45
	s_and_saveexec_b64 s[2:3], vcc
	s_cbranch_execz .LBB66_398
; %bb.395:
	v_cmp_ne_u32_e32 vcc, 23, v42
	s_xor_b64 s[18:19], s[16:17], -1
	s_and_b64 s[20:21], s[18:19], vcc
	s_and_saveexec_b64 s[18:19], s[20:21]
	s_cbranch_execz .LBB66_397
; %bb.396:
	v_ashrrev_i32_e32 v43, 31, v42
	v_lshl_add_u64 v[46:47], v[42:43], 2, v[20:21]
	global_load_dword v43, v[46:47], off
	global_load_dword v45, v[20:21], off offset:92
	s_waitcnt vmcnt(1)
	global_store_dword v[20:21], v43, off offset:92
	s_waitcnt vmcnt(1)
	global_store_dword v[46:47], v45, off
.LBB66_397:
	s_or_b64 exec, exec, s[18:19]
	v_mov_b32_e32 v43, v42
	v_mov_b32_e32 v45, v42
.LBB66_398:
	s_or_b64 exec, exec, s[2:3]
.LBB66_399:
	s_andn2_saveexec_b64 s[0:1], s[0:1]
	s_cbranch_execz .LBB66_401
; %bb.400:
	v_mov_b32_e32 v45, 23
	s_waitcnt vmcnt(8)
	ds_write2_b32 v17, v40, v41 offset0:24 offset1:25
	s_waitcnt vmcnt(6)
	ds_write2_b32 v17, v38, v39 offset0:26 offset1:27
	;; [unrolled: 2-line block ×5, first 2 shown]
.LBB66_401:
	s_or_b64 exec, exec, s[0:1]
	v_cmp_lt_i32_e32 vcc, 23, v45
	s_waitcnt lgkmcnt(0)
	s_barrier
	s_and_saveexec_b64 s[0:1], vcc
	s_cbranch_execz .LBB66_403
; %bb.402:
	ds_read2_b32 v[46:47], v17 offset0:24 offset1:25
	ds_read2_b32 v[48:49], v17 offset0:26 offset1:27
	;; [unrolled: 1-line block ×5, first 2 shown]
	v_mul_f32_e32 v42, v44, v15
	s_waitcnt vmcnt(8) lgkmcnt(4)
	v_pk_fma_f32 v[40:41], v[42:43], v[46:47], v[40:41] op_sel_hi:[0,1,1] neg_lo:[1,0,0] neg_hi:[1,0,0]
	s_waitcnt vmcnt(6) lgkmcnt(3)
	v_pk_fma_f32 v[38:39], v[42:43], v[48:49], v[38:39] op_sel_hi:[0,1,1] neg_lo:[1,0,0] neg_hi:[1,0,0]
	;; [unrolled: 2-line block ×5, first 2 shown]
	v_mov_b32_e32 v15, v42
.LBB66_403:
	s_or_b64 exec, exec, s[0:1]
	v_lshl_add_u32 v42, v45, 2, v17
	s_barrier
	s_waitcnt vmcnt(9)
	ds_write_b32 v42, v40
	s_waitcnt lgkmcnt(0)
	s_barrier
	ds_read_b32 v44, v17 offset:96
	s_cmp_lt_i32 s22, 26
	v_mov_b32_e32 v42, 24
	s_cbranch_scc1 .LBB66_406
; %bb.404:
	v_add_u32_e32 v46, 0x64, v17
	v_mov_b32_e32 v42, 24
	s_mov_b32 s0, 25
.LBB66_405:                             ; =>This Inner Loop Header: Depth=1
	ds_read_b32 v47, v46
	v_mov_b32_e32 v48, s0
	s_add_i32 s0, s0, 1
	v_add_u32_e32 v46, 4, v46
	s_cmp_lg_u32 s22, s0
	s_waitcnt lgkmcnt(0)
	v_cmp_lt_f32_e64 vcc, |v44|, |v47|
	s_nop 1
	v_cndmask_b32_e32 v44, v44, v47, vcc
	v_cndmask_b32_e32 v42, v42, v48, vcc
	s_cbranch_scc1 .LBB66_405
.LBB66_406:
	s_waitcnt lgkmcnt(0)
	v_cmp_eq_f32_e32 vcc, 0, v44
	s_and_saveexec_b64 s[0:1], vcc
	s_xor_b64 s[0:1], exec, s[0:1]
; %bb.407:
	v_cmp_ne_u32_e32 vcc, 0, v19
	s_nop 1
	v_cndmask_b32_e32 v19, 25, v19, vcc
; %bb.408:
	s_andn2_saveexec_b64 s[0:1], s[0:1]
	s_cbranch_execz .LBB66_410
; %bb.409:
	v_div_scale_f32 v46, s[2:3], v44, v44, 1.0
	v_rcp_f32_e32 v47, v46
	v_div_scale_f32 v48, vcc, 1.0, v44, 1.0
	v_fma_f32 v49, -v46, v47, 1.0
	v_fmac_f32_e32 v47, v49, v47
	v_mul_f32_e32 v49, v48, v47
	v_fma_f32 v50, -v46, v49, v48
	v_fmac_f32_e32 v49, v50, v47
	v_fma_f32 v46, -v46, v49, v48
	v_div_fmas_f32 v46, v46, v47, v49
	v_div_fixup_f32 v44, v46, v44, 1.0
.LBB66_410:
	s_or_b64 exec, exec, s[0:1]
	v_cmp_ne_u32_e32 vcc, v45, v42
	s_and_saveexec_b64 s[0:1], vcc
	s_xor_b64 s[0:1], exec, s[0:1]
	s_cbranch_execz .LBB66_416
; %bb.411:
	v_cmp_eq_u32_e32 vcc, 24, v45
	s_and_saveexec_b64 s[2:3], vcc
	s_cbranch_execz .LBB66_415
; %bb.412:
	v_cmp_ne_u32_e32 vcc, 24, v42
	s_xor_b64 s[18:19], s[16:17], -1
	s_and_b64 s[20:21], s[18:19], vcc
	s_and_saveexec_b64 s[18:19], s[20:21]
	s_cbranch_execz .LBB66_414
; %bb.413:
	v_ashrrev_i32_e32 v43, 31, v42
	v_lshl_add_u64 v[46:47], v[42:43], 2, v[20:21]
	global_load_dword v43, v[46:47], off
	global_load_dword v45, v[20:21], off offset:96
	s_waitcnt vmcnt(1)
	global_store_dword v[20:21], v43, off offset:96
	s_waitcnt vmcnt(1)
	global_store_dword v[46:47], v45, off
.LBB66_414:
	s_or_b64 exec, exec, s[18:19]
	v_mov_b32_e32 v43, v42
	v_mov_b32_e32 v45, v42
.LBB66_415:
	s_or_b64 exec, exec, s[2:3]
.LBB66_416:
	s_andn2_saveexec_b64 s[0:1], s[0:1]
	s_cbranch_execz .LBB66_418
; %bb.417:
	s_waitcnt vmcnt(6)
	v_pk_mov_b32 v[46:47], v[40:41], v[38:39] op_sel:[1,0]
	ds_write2_b32 v17, v46, v47 offset0:25 offset1:26
	s_waitcnt vmcnt(4)
	v_pk_mov_b32 v[46:47], v[38:39], v[32:33] op_sel:[1,0]
	ds_write2_b32 v17, v46, v47 offset0:27 offset1:28
	;; [unrolled: 3-line block ×3, first 2 shown]
	s_waitcnt vmcnt(0)
	v_pk_mov_b32 v[46:47], v[26:27], v[36:37] op_sel:[1,0]
	v_mov_b32_e32 v45, 24
	ds_write2_b32 v17, v46, v47 offset0:31 offset1:32
	ds_write_b32 v17, v37 offset:132
.LBB66_418:
	s_or_b64 exec, exec, s[0:1]
	v_cmp_lt_i32_e32 vcc, 24, v45
	s_waitcnt lgkmcnt(0)
	s_barrier
	s_and_saveexec_b64 s[0:1], vcc
	s_cbranch_execz .LBB66_420
; %bb.419:
	ds_read_b32 v42, v17 offset:100
	ds_read2_b32 v[46:47], v17 offset0:26 offset1:27
	ds_read2_b32 v[48:49], v17 offset0:28 offset1:29
	;; [unrolled: 1-line block ×4, first 2 shown]
	v_mul_f32_e32 v40, v44, v40
	s_waitcnt vmcnt(8) lgkmcnt(4)
	v_fma_f32 v41, -v40, v42, v41
	s_waitcnt vmcnt(6) lgkmcnt(3)
	v_pk_fma_f32 v[38:39], v[40:41], v[46:47], v[38:39] op_sel_hi:[0,1,1] neg_lo:[1,0,0] neg_hi:[1,0,0]
	s_waitcnt vmcnt(4) lgkmcnt(2)
	v_pk_fma_f32 v[32:33], v[40:41], v[48:49], v[32:33] op_sel_hi:[0,1,1] neg_lo:[1,0,0] neg_hi:[1,0,0]
	;; [unrolled: 2-line block ×4, first 2 shown]
.LBB66_420:
	s_or_b64 exec, exec, s[0:1]
	v_lshl_add_u32 v42, v45, 2, v17
	s_barrier
	s_waitcnt vmcnt(8)
	ds_write_b32 v42, v41
	s_waitcnt lgkmcnt(0)
	s_barrier
	ds_read_b32 v44, v17 offset:100
	s_cmp_lt_i32 s22, 27
	v_mov_b32_e32 v42, 25
	s_cbranch_scc1 .LBB66_423
; %bb.421:
	v_add_u32_e32 v46, 0x68, v17
	v_mov_b32_e32 v42, 25
	s_mov_b32 s0, 26
.LBB66_422:                             ; =>This Inner Loop Header: Depth=1
	ds_read_b32 v47, v46
	v_mov_b32_e32 v48, s0
	s_add_i32 s0, s0, 1
	v_add_u32_e32 v46, 4, v46
	s_cmp_lg_u32 s22, s0
	s_waitcnt lgkmcnt(0)
	v_cmp_lt_f32_e64 vcc, |v44|, |v47|
	s_nop 1
	v_cndmask_b32_e32 v44, v44, v47, vcc
	v_cndmask_b32_e32 v42, v42, v48, vcc
	s_cbranch_scc1 .LBB66_422
.LBB66_423:
	s_waitcnt lgkmcnt(0)
	v_cmp_eq_f32_e32 vcc, 0, v44
	s_and_saveexec_b64 s[0:1], vcc
	s_xor_b64 s[0:1], exec, s[0:1]
; %bb.424:
	v_cmp_ne_u32_e32 vcc, 0, v19
	s_nop 1
	v_cndmask_b32_e32 v19, 26, v19, vcc
; %bb.425:
	s_andn2_saveexec_b64 s[0:1], s[0:1]
	s_cbranch_execz .LBB66_427
; %bb.426:
	v_div_scale_f32 v46, s[2:3], v44, v44, 1.0
	v_rcp_f32_e32 v47, v46
	v_div_scale_f32 v48, vcc, 1.0, v44, 1.0
	v_fma_f32 v49, -v46, v47, 1.0
	v_fmac_f32_e32 v47, v49, v47
	v_mul_f32_e32 v49, v48, v47
	v_fma_f32 v50, -v46, v49, v48
	v_fmac_f32_e32 v49, v50, v47
	v_fma_f32 v46, -v46, v49, v48
	v_div_fmas_f32 v46, v46, v47, v49
	v_div_fixup_f32 v44, v46, v44, 1.0
.LBB66_427:
	s_or_b64 exec, exec, s[0:1]
	v_cmp_ne_u32_e32 vcc, v45, v42
	s_and_saveexec_b64 s[0:1], vcc
	s_xor_b64 s[0:1], exec, s[0:1]
	s_cbranch_execz .LBB66_433
; %bb.428:
	v_cmp_eq_u32_e32 vcc, 25, v45
	s_and_saveexec_b64 s[2:3], vcc
	s_cbranch_execz .LBB66_432
; %bb.429:
	v_cmp_ne_u32_e32 vcc, 25, v42
	s_xor_b64 s[18:19], s[16:17], -1
	s_and_b64 s[20:21], s[18:19], vcc
	s_and_saveexec_b64 s[18:19], s[20:21]
	s_cbranch_execz .LBB66_431
; %bb.430:
	v_ashrrev_i32_e32 v43, 31, v42
	v_lshl_add_u64 v[46:47], v[42:43], 2, v[20:21]
	global_load_dword v43, v[46:47], off
	global_load_dword v45, v[20:21], off offset:100
	s_waitcnt vmcnt(1)
	global_store_dword v[20:21], v43, off offset:100
	s_waitcnt vmcnt(1)
	global_store_dword v[46:47], v45, off
.LBB66_431:
	s_or_b64 exec, exec, s[18:19]
	v_mov_b32_e32 v43, v42
	v_mov_b32_e32 v45, v42
.LBB66_432:
	s_or_b64 exec, exec, s[2:3]
.LBB66_433:
	s_andn2_saveexec_b64 s[0:1], s[0:1]
	s_cbranch_execz .LBB66_435
; %bb.434:
	v_mov_b32_e32 v45, 25
	s_waitcnt vmcnt(6)
	ds_write2_b32 v17, v38, v39 offset0:26 offset1:27
	s_waitcnt vmcnt(4)
	ds_write2_b32 v17, v32, v33 offset0:28 offset1:29
	;; [unrolled: 2-line block ×4, first 2 shown]
.LBB66_435:
	s_or_b64 exec, exec, s[0:1]
	v_cmp_lt_i32_e32 vcc, 25, v45
	s_waitcnt lgkmcnt(0)
	s_barrier
	s_and_saveexec_b64 s[0:1], vcc
	s_cbranch_execz .LBB66_437
; %bb.436:
	ds_read2_b32 v[46:47], v17 offset0:26 offset1:27
	ds_read2_b32 v[48:49], v17 offset0:28 offset1:29
	;; [unrolled: 1-line block ×4, first 2 shown]
	v_mul_f32_e32 v42, v44, v41
	s_waitcnt vmcnt(6) lgkmcnt(3)
	v_pk_fma_f32 v[38:39], v[42:43], v[46:47], v[38:39] op_sel_hi:[0,1,1] neg_lo:[1,0,0] neg_hi:[1,0,0]
	s_waitcnt vmcnt(4) lgkmcnt(2)
	v_pk_fma_f32 v[32:33], v[42:43], v[48:49], v[32:33] op_sel_hi:[0,1,1] neg_lo:[1,0,0] neg_hi:[1,0,0]
	;; [unrolled: 2-line block ×4, first 2 shown]
	v_mov_b32_e32 v41, v42
.LBB66_437:
	s_or_b64 exec, exec, s[0:1]
	v_lshl_add_u32 v42, v45, 2, v17
	s_barrier
	s_waitcnt vmcnt(7)
	ds_write_b32 v42, v38
	s_waitcnt lgkmcnt(0)
	s_barrier
	ds_read_b32 v44, v17 offset:104
	s_cmp_lt_i32 s22, 28
	v_mov_b32_e32 v42, 26
	s_cbranch_scc1 .LBB66_440
; %bb.438:
	v_add_u32_e32 v46, 0x6c, v17
	v_mov_b32_e32 v42, 26
	s_mov_b32 s0, 27
.LBB66_439:                             ; =>This Inner Loop Header: Depth=1
	ds_read_b32 v47, v46
	v_mov_b32_e32 v48, s0
	s_add_i32 s0, s0, 1
	v_add_u32_e32 v46, 4, v46
	s_cmp_lg_u32 s22, s0
	s_waitcnt lgkmcnt(0)
	v_cmp_lt_f32_e64 vcc, |v44|, |v47|
	s_nop 1
	v_cndmask_b32_e32 v44, v44, v47, vcc
	v_cndmask_b32_e32 v42, v42, v48, vcc
	s_cbranch_scc1 .LBB66_439
.LBB66_440:
	s_waitcnt lgkmcnt(0)
	v_cmp_eq_f32_e32 vcc, 0, v44
	s_and_saveexec_b64 s[0:1], vcc
	s_xor_b64 s[0:1], exec, s[0:1]
; %bb.441:
	v_cmp_ne_u32_e32 vcc, 0, v19
	s_nop 1
	v_cndmask_b32_e32 v19, 27, v19, vcc
; %bb.442:
	s_andn2_saveexec_b64 s[0:1], s[0:1]
	s_cbranch_execz .LBB66_444
; %bb.443:
	v_div_scale_f32 v46, s[2:3], v44, v44, 1.0
	v_rcp_f32_e32 v47, v46
	v_div_scale_f32 v48, vcc, 1.0, v44, 1.0
	v_fma_f32 v49, -v46, v47, 1.0
	v_fmac_f32_e32 v47, v49, v47
	v_mul_f32_e32 v49, v48, v47
	v_fma_f32 v50, -v46, v49, v48
	v_fmac_f32_e32 v49, v50, v47
	v_fma_f32 v46, -v46, v49, v48
	v_div_fmas_f32 v46, v46, v47, v49
	v_div_fixup_f32 v44, v46, v44, 1.0
.LBB66_444:
	s_or_b64 exec, exec, s[0:1]
	v_cmp_ne_u32_e32 vcc, v45, v42
	s_and_saveexec_b64 s[0:1], vcc
	s_xor_b64 s[0:1], exec, s[0:1]
	s_cbranch_execz .LBB66_450
; %bb.445:
	v_cmp_eq_u32_e32 vcc, 26, v45
	s_and_saveexec_b64 s[2:3], vcc
	s_cbranch_execz .LBB66_449
; %bb.446:
	v_cmp_ne_u32_e32 vcc, 26, v42
	s_xor_b64 s[18:19], s[16:17], -1
	s_and_b64 s[20:21], s[18:19], vcc
	s_and_saveexec_b64 s[18:19], s[20:21]
	s_cbranch_execz .LBB66_448
; %bb.447:
	v_ashrrev_i32_e32 v43, 31, v42
	v_lshl_add_u64 v[46:47], v[42:43], 2, v[20:21]
	global_load_dword v43, v[46:47], off
	global_load_dword v45, v[20:21], off offset:104
	s_waitcnt vmcnt(1)
	global_store_dword v[20:21], v43, off offset:104
	s_waitcnt vmcnt(1)
	global_store_dword v[46:47], v45, off
.LBB66_448:
	s_or_b64 exec, exec, s[18:19]
	v_mov_b32_e32 v43, v42
	v_mov_b32_e32 v45, v42
.LBB66_449:
	s_or_b64 exec, exec, s[2:3]
.LBB66_450:
	s_andn2_saveexec_b64 s[0:1], s[0:1]
	s_cbranch_execz .LBB66_452
; %bb.451:
	s_waitcnt vmcnt(4)
	v_pk_mov_b32 v[46:47], v[38:39], v[32:33] op_sel:[1,0]
	ds_write2_b32 v17, v46, v47 offset0:27 offset1:28
	s_waitcnt vmcnt(2)
	v_pk_mov_b32 v[46:47], v[32:33], v[26:27] op_sel:[1,0]
	ds_write2_b32 v17, v46, v47 offset0:29 offset1:30
	s_waitcnt vmcnt(0)
	v_pk_mov_b32 v[46:47], v[26:27], v[36:37] op_sel:[1,0]
	v_mov_b32_e32 v45, 26
	ds_write2_b32 v17, v46, v47 offset0:31 offset1:32
	ds_write_b32 v17, v37 offset:132
.LBB66_452:
	s_or_b64 exec, exec, s[0:1]
	v_cmp_lt_i32_e32 vcc, 26, v45
	s_waitcnt lgkmcnt(0)
	s_barrier
	s_and_saveexec_b64 s[0:1], vcc
	s_cbranch_execz .LBB66_454
; %bb.453:
	ds_read_b32 v42, v17 offset:108
	ds_read2_b32 v[46:47], v17 offset0:28 offset1:29
	ds_read2_b32 v[48:49], v17 offset0:30 offset1:31
	;; [unrolled: 1-line block ×3, first 2 shown]
	v_mul_f32_e32 v38, v44, v38
	s_waitcnt vmcnt(6) lgkmcnt(3)
	v_fma_f32 v39, -v38, v42, v39
	s_waitcnt vmcnt(4) lgkmcnt(2)
	v_pk_fma_f32 v[32:33], v[38:39], v[46:47], v[32:33] op_sel_hi:[0,1,1] neg_lo:[1,0,0] neg_hi:[1,0,0]
	s_waitcnt vmcnt(2) lgkmcnt(1)
	v_pk_fma_f32 v[26:27], v[38:39], v[48:49], v[26:27] op_sel_hi:[0,1,1] neg_lo:[1,0,0] neg_hi:[1,0,0]
	;; [unrolled: 2-line block ×3, first 2 shown]
.LBB66_454:
	s_or_b64 exec, exec, s[0:1]
	v_lshl_add_u32 v42, v45, 2, v17
	s_barrier
	s_waitcnt vmcnt(6)
	ds_write_b32 v42, v39
	s_waitcnt lgkmcnt(0)
	s_barrier
	ds_read_b32 v44, v17 offset:108
	s_cmp_lt_i32 s22, 29
	v_mov_b32_e32 v42, 27
	s_cbranch_scc1 .LBB66_457
; %bb.455:
	v_add_u32_e32 v46, 0x70, v17
	v_mov_b32_e32 v42, 27
	s_mov_b32 s0, 28
.LBB66_456:                             ; =>This Inner Loop Header: Depth=1
	ds_read_b32 v47, v46
	v_mov_b32_e32 v48, s0
	s_add_i32 s0, s0, 1
	v_add_u32_e32 v46, 4, v46
	s_cmp_lg_u32 s22, s0
	s_waitcnt lgkmcnt(0)
	v_cmp_lt_f32_e64 vcc, |v44|, |v47|
	s_nop 1
	v_cndmask_b32_e32 v44, v44, v47, vcc
	v_cndmask_b32_e32 v42, v42, v48, vcc
	s_cbranch_scc1 .LBB66_456
.LBB66_457:
	s_waitcnt lgkmcnt(0)
	v_cmp_eq_f32_e32 vcc, 0, v44
	s_and_saveexec_b64 s[0:1], vcc
	s_xor_b64 s[0:1], exec, s[0:1]
; %bb.458:
	v_cmp_ne_u32_e32 vcc, 0, v19
	s_nop 1
	v_cndmask_b32_e32 v19, 28, v19, vcc
; %bb.459:
	s_andn2_saveexec_b64 s[0:1], s[0:1]
	s_cbranch_execz .LBB66_461
; %bb.460:
	v_div_scale_f32 v46, s[2:3], v44, v44, 1.0
	v_rcp_f32_e32 v47, v46
	v_div_scale_f32 v48, vcc, 1.0, v44, 1.0
	v_fma_f32 v49, -v46, v47, 1.0
	v_fmac_f32_e32 v47, v49, v47
	v_mul_f32_e32 v49, v48, v47
	v_fma_f32 v50, -v46, v49, v48
	v_fmac_f32_e32 v49, v50, v47
	v_fma_f32 v46, -v46, v49, v48
	v_div_fmas_f32 v46, v46, v47, v49
	v_div_fixup_f32 v44, v46, v44, 1.0
.LBB66_461:
	s_or_b64 exec, exec, s[0:1]
	v_cmp_ne_u32_e32 vcc, v45, v42
	s_and_saveexec_b64 s[0:1], vcc
	s_xor_b64 s[0:1], exec, s[0:1]
	s_cbranch_execz .LBB66_467
; %bb.462:
	v_cmp_eq_u32_e32 vcc, 27, v45
	s_and_saveexec_b64 s[2:3], vcc
	s_cbranch_execz .LBB66_466
; %bb.463:
	v_cmp_ne_u32_e32 vcc, 27, v42
	s_xor_b64 s[18:19], s[16:17], -1
	s_and_b64 s[20:21], s[18:19], vcc
	s_and_saveexec_b64 s[18:19], s[20:21]
	s_cbranch_execz .LBB66_465
; %bb.464:
	v_ashrrev_i32_e32 v43, 31, v42
	v_lshl_add_u64 v[46:47], v[42:43], 2, v[20:21]
	global_load_dword v43, v[46:47], off
	global_load_dword v45, v[20:21], off offset:108
	s_waitcnt vmcnt(1)
	global_store_dword v[20:21], v43, off offset:108
	s_waitcnt vmcnt(1)
	global_store_dword v[46:47], v45, off
.LBB66_465:
	s_or_b64 exec, exec, s[18:19]
	v_mov_b32_e32 v43, v42
	v_mov_b32_e32 v45, v42
.LBB66_466:
	s_or_b64 exec, exec, s[2:3]
.LBB66_467:
	s_andn2_saveexec_b64 s[0:1], s[0:1]
	s_cbranch_execz .LBB66_469
; %bb.468:
	v_mov_b32_e32 v45, 27
	s_waitcnt vmcnt(4)
	ds_write2_b32 v17, v32, v33 offset0:28 offset1:29
	s_waitcnt vmcnt(2)
	ds_write2_b32 v17, v26, v27 offset0:30 offset1:31
	s_waitcnt vmcnt(0)
	ds_write2_b32 v17, v36, v37 offset0:32 offset1:33
.LBB66_469:
	s_or_b64 exec, exec, s[0:1]
	v_cmp_lt_i32_e32 vcc, 27, v45
	s_waitcnt lgkmcnt(0)
	s_barrier
	s_and_saveexec_b64 s[0:1], vcc
	s_cbranch_execz .LBB66_471
; %bb.470:
	ds_read2_b32 v[46:47], v17 offset0:28 offset1:29
	ds_read2_b32 v[48:49], v17 offset0:30 offset1:31
	;; [unrolled: 1-line block ×3, first 2 shown]
	v_mul_f32_e32 v42, v44, v39
	v_mov_b32_e32 v39, v42
	s_waitcnt vmcnt(4) lgkmcnt(2)
	v_pk_fma_f32 v[32:33], v[42:43], v[46:47], v[32:33] op_sel_hi:[0,1,1] neg_lo:[1,0,0] neg_hi:[1,0,0]
	s_waitcnt vmcnt(2) lgkmcnt(1)
	v_pk_fma_f32 v[26:27], v[42:43], v[48:49], v[26:27] op_sel_hi:[0,1,1] neg_lo:[1,0,0] neg_hi:[1,0,0]
	;; [unrolled: 2-line block ×3, first 2 shown]
.LBB66_471:
	s_or_b64 exec, exec, s[0:1]
	v_lshl_add_u32 v42, v45, 2, v17
	s_barrier
	s_waitcnt vmcnt(5)
	ds_write_b32 v42, v32
	s_waitcnt lgkmcnt(0)
	s_barrier
	ds_read_b32 v44, v17 offset:112
	s_cmp_lt_i32 s22, 30
	v_mov_b32_e32 v42, 28
	s_cbranch_scc1 .LBB66_474
; %bb.472:
	v_add_u32_e32 v46, 0x74, v17
	v_mov_b32_e32 v42, 28
	s_mov_b32 s0, 29
.LBB66_473:                             ; =>This Inner Loop Header: Depth=1
	ds_read_b32 v47, v46
	v_mov_b32_e32 v48, s0
	s_add_i32 s0, s0, 1
	v_add_u32_e32 v46, 4, v46
	s_cmp_lg_u32 s22, s0
	s_waitcnt lgkmcnt(0)
	v_cmp_lt_f32_e64 vcc, |v44|, |v47|
	s_nop 1
	v_cndmask_b32_e32 v44, v44, v47, vcc
	v_cndmask_b32_e32 v42, v42, v48, vcc
	s_cbranch_scc1 .LBB66_473
.LBB66_474:
	s_waitcnt lgkmcnt(0)
	v_cmp_eq_f32_e32 vcc, 0, v44
	s_and_saveexec_b64 s[0:1], vcc
	s_xor_b64 s[0:1], exec, s[0:1]
; %bb.475:
	v_cmp_ne_u32_e32 vcc, 0, v19
	s_nop 1
	v_cndmask_b32_e32 v19, 29, v19, vcc
; %bb.476:
	s_andn2_saveexec_b64 s[0:1], s[0:1]
	s_cbranch_execz .LBB66_478
; %bb.477:
	v_div_scale_f32 v46, s[2:3], v44, v44, 1.0
	v_rcp_f32_e32 v47, v46
	v_div_scale_f32 v48, vcc, 1.0, v44, 1.0
	v_fma_f32 v49, -v46, v47, 1.0
	v_fmac_f32_e32 v47, v49, v47
	v_mul_f32_e32 v49, v48, v47
	v_fma_f32 v50, -v46, v49, v48
	v_fmac_f32_e32 v49, v50, v47
	v_fma_f32 v46, -v46, v49, v48
	v_div_fmas_f32 v46, v46, v47, v49
	v_div_fixup_f32 v44, v46, v44, 1.0
.LBB66_478:
	s_or_b64 exec, exec, s[0:1]
	v_cmp_ne_u32_e32 vcc, v45, v42
	s_and_saveexec_b64 s[0:1], vcc
	s_xor_b64 s[0:1], exec, s[0:1]
	s_cbranch_execz .LBB66_484
; %bb.479:
	v_cmp_eq_u32_e32 vcc, 28, v45
	s_and_saveexec_b64 s[2:3], vcc
	s_cbranch_execz .LBB66_483
; %bb.480:
	v_cmp_ne_u32_e32 vcc, 28, v42
	s_xor_b64 s[18:19], s[16:17], -1
	s_and_b64 s[20:21], s[18:19], vcc
	s_and_saveexec_b64 s[18:19], s[20:21]
	s_cbranch_execz .LBB66_482
; %bb.481:
	v_ashrrev_i32_e32 v43, 31, v42
	v_lshl_add_u64 v[46:47], v[42:43], 2, v[20:21]
	global_load_dword v43, v[46:47], off
	global_load_dword v45, v[20:21], off offset:112
	s_waitcnt vmcnt(1)
	global_store_dword v[20:21], v43, off offset:112
	s_waitcnt vmcnt(1)
	global_store_dword v[46:47], v45, off
.LBB66_482:
	s_or_b64 exec, exec, s[18:19]
	v_mov_b32_e32 v43, v42
	v_mov_b32_e32 v45, v42
.LBB66_483:
	s_or_b64 exec, exec, s[2:3]
.LBB66_484:
	s_andn2_saveexec_b64 s[0:1], s[0:1]
	s_cbranch_execz .LBB66_486
; %bb.485:
	s_waitcnt vmcnt(2)
	v_pk_mov_b32 v[46:47], v[32:33], v[26:27] op_sel:[1,0]
	ds_write2_b32 v17, v46, v47 offset0:29 offset1:30
	s_waitcnt vmcnt(0)
	v_pk_mov_b32 v[46:47], v[26:27], v[36:37] op_sel:[1,0]
	v_mov_b32_e32 v45, 28
	ds_write2_b32 v17, v46, v47 offset0:31 offset1:32
	ds_write_b32 v17, v37 offset:132
.LBB66_486:
	s_or_b64 exec, exec, s[0:1]
	v_cmp_lt_i32_e32 vcc, 28, v45
	s_waitcnt lgkmcnt(0)
	s_barrier
	s_and_saveexec_b64 s[0:1], vcc
	s_cbranch_execz .LBB66_488
; %bb.487:
	ds_read_b32 v42, v17 offset:116
	ds_read2_b32 v[46:47], v17 offset0:30 offset1:31
	ds_read2_b32 v[48:49], v17 offset0:32 offset1:33
	v_mul_f32_e32 v32, v44, v32
	s_waitcnt vmcnt(4) lgkmcnt(2)
	v_fma_f32 v33, -v32, v42, v33
	s_waitcnt vmcnt(2) lgkmcnt(1)
	v_pk_fma_f32 v[26:27], v[32:33], v[46:47], v[26:27] op_sel_hi:[0,1,1] neg_lo:[1,0,0] neg_hi:[1,0,0]
	s_waitcnt vmcnt(0) lgkmcnt(0)
	v_pk_fma_f32 v[36:37], v[32:33], v[48:49], v[36:37] op_sel_hi:[0,1,1] neg_lo:[1,0,0] neg_hi:[1,0,0]
.LBB66_488:
	s_or_b64 exec, exec, s[0:1]
	v_lshl_add_u32 v42, v45, 2, v17
	s_barrier
	s_waitcnt vmcnt(4)
	ds_write_b32 v42, v33
	s_waitcnt lgkmcnt(0)
	s_barrier
	ds_read_b32 v44, v17 offset:116
	s_cmp_lt_i32 s22, 31
	v_mov_b32_e32 v42, 29
	s_cbranch_scc1 .LBB66_491
; %bb.489:
	v_add_u32_e32 v46, 0x78, v17
	v_mov_b32_e32 v42, 29
	s_mov_b32 s0, 30
.LBB66_490:                             ; =>This Inner Loop Header: Depth=1
	ds_read_b32 v47, v46
	v_mov_b32_e32 v48, s0
	s_add_i32 s0, s0, 1
	v_add_u32_e32 v46, 4, v46
	s_cmp_lg_u32 s22, s0
	s_waitcnt lgkmcnt(0)
	v_cmp_lt_f32_e64 vcc, |v44|, |v47|
	s_nop 1
	v_cndmask_b32_e32 v44, v44, v47, vcc
	v_cndmask_b32_e32 v42, v42, v48, vcc
	s_cbranch_scc1 .LBB66_490
.LBB66_491:
	s_waitcnt lgkmcnt(0)
	v_cmp_eq_f32_e32 vcc, 0, v44
	s_and_saveexec_b64 s[0:1], vcc
	s_xor_b64 s[0:1], exec, s[0:1]
; %bb.492:
	v_cmp_ne_u32_e32 vcc, 0, v19
	s_nop 1
	v_cndmask_b32_e32 v19, 30, v19, vcc
; %bb.493:
	s_andn2_saveexec_b64 s[0:1], s[0:1]
	s_cbranch_execz .LBB66_495
; %bb.494:
	v_div_scale_f32 v46, s[2:3], v44, v44, 1.0
	v_rcp_f32_e32 v47, v46
	v_div_scale_f32 v48, vcc, 1.0, v44, 1.0
	v_fma_f32 v49, -v46, v47, 1.0
	v_fmac_f32_e32 v47, v49, v47
	v_mul_f32_e32 v49, v48, v47
	v_fma_f32 v50, -v46, v49, v48
	v_fmac_f32_e32 v49, v50, v47
	v_fma_f32 v46, -v46, v49, v48
	v_div_fmas_f32 v46, v46, v47, v49
	v_div_fixup_f32 v44, v46, v44, 1.0
.LBB66_495:
	s_or_b64 exec, exec, s[0:1]
	v_cmp_ne_u32_e32 vcc, v45, v42
	s_and_saveexec_b64 s[0:1], vcc
	s_xor_b64 s[0:1], exec, s[0:1]
	s_cbranch_execz .LBB66_501
; %bb.496:
	v_cmp_eq_u32_e32 vcc, 29, v45
	s_and_saveexec_b64 s[2:3], vcc
	s_cbranch_execz .LBB66_500
; %bb.497:
	v_cmp_ne_u32_e32 vcc, 29, v42
	s_xor_b64 s[18:19], s[16:17], -1
	s_and_b64 s[20:21], s[18:19], vcc
	s_and_saveexec_b64 s[18:19], s[20:21]
	s_cbranch_execz .LBB66_499
; %bb.498:
	v_ashrrev_i32_e32 v43, 31, v42
	v_lshl_add_u64 v[46:47], v[42:43], 2, v[20:21]
	global_load_dword v43, v[46:47], off
	global_load_dword v45, v[20:21], off offset:116
	s_waitcnt vmcnt(1)
	global_store_dword v[20:21], v43, off offset:116
	s_waitcnt vmcnt(1)
	global_store_dword v[46:47], v45, off
.LBB66_499:
	s_or_b64 exec, exec, s[18:19]
	v_mov_b32_e32 v43, v42
	v_mov_b32_e32 v45, v42
.LBB66_500:
	s_or_b64 exec, exec, s[2:3]
.LBB66_501:
	s_andn2_saveexec_b64 s[0:1], s[0:1]
	s_cbranch_execz .LBB66_503
; %bb.502:
	v_mov_b32_e32 v45, 29
	s_waitcnt vmcnt(2)
	ds_write2_b32 v17, v26, v27 offset0:30 offset1:31
	s_waitcnt vmcnt(0)
	ds_write2_b32 v17, v36, v37 offset0:32 offset1:33
.LBB66_503:
	s_or_b64 exec, exec, s[0:1]
	v_cmp_lt_i32_e32 vcc, 29, v45
	s_waitcnt lgkmcnt(0)
	s_barrier
	s_and_saveexec_b64 s[0:1], vcc
	s_cbranch_execz .LBB66_505
; %bb.504:
	ds_read2_b32 v[46:47], v17 offset0:30 offset1:31
	ds_read2_b32 v[48:49], v17 offset0:32 offset1:33
	v_mul_f32_e32 v42, v44, v33
	v_mov_b32_e32 v33, v42
	s_waitcnt vmcnt(2) lgkmcnt(1)
	v_pk_fma_f32 v[26:27], v[42:43], v[46:47], v[26:27] op_sel_hi:[0,1,1] neg_lo:[1,0,0] neg_hi:[1,0,0]
	s_waitcnt vmcnt(0) lgkmcnt(0)
	v_pk_fma_f32 v[36:37], v[42:43], v[48:49], v[36:37] op_sel_hi:[0,1,1] neg_lo:[1,0,0] neg_hi:[1,0,0]
.LBB66_505:
	s_or_b64 exec, exec, s[0:1]
	v_lshl_add_u32 v42, v45, 2, v17
	s_barrier
	s_waitcnt vmcnt(3)
	ds_write_b32 v42, v26
	s_waitcnt lgkmcnt(0)
	s_barrier
	ds_read_b32 v44, v17 offset:120
	s_cmp_lt_i32 s22, 32
	v_mov_b32_e32 v42, 30
	s_cbranch_scc1 .LBB66_508
; %bb.506:
	v_add_u32_e32 v46, 0x7c, v17
	v_mov_b32_e32 v42, 30
	s_mov_b32 s0, 31
.LBB66_507:                             ; =>This Inner Loop Header: Depth=1
	ds_read_b32 v47, v46
	v_mov_b32_e32 v48, s0
	s_add_i32 s0, s0, 1
	v_add_u32_e32 v46, 4, v46
	s_cmp_lg_u32 s22, s0
	s_waitcnt lgkmcnt(0)
	v_cmp_lt_f32_e64 vcc, |v44|, |v47|
	s_nop 1
	v_cndmask_b32_e32 v44, v44, v47, vcc
	v_cndmask_b32_e32 v42, v42, v48, vcc
	s_cbranch_scc1 .LBB66_507
.LBB66_508:
	s_waitcnt lgkmcnt(0)
	v_cmp_eq_f32_e32 vcc, 0, v44
	s_and_saveexec_b64 s[0:1], vcc
	s_xor_b64 s[0:1], exec, s[0:1]
; %bb.509:
	v_cmp_ne_u32_e32 vcc, 0, v19
	s_nop 1
	v_cndmask_b32_e32 v19, 31, v19, vcc
; %bb.510:
	s_andn2_saveexec_b64 s[0:1], s[0:1]
	s_cbranch_execz .LBB66_512
; %bb.511:
	v_div_scale_f32 v46, s[2:3], v44, v44, 1.0
	v_rcp_f32_e32 v47, v46
	v_div_scale_f32 v48, vcc, 1.0, v44, 1.0
	v_fma_f32 v49, -v46, v47, 1.0
	v_fmac_f32_e32 v47, v49, v47
	v_mul_f32_e32 v49, v48, v47
	v_fma_f32 v50, -v46, v49, v48
	v_fmac_f32_e32 v49, v50, v47
	v_fma_f32 v46, -v46, v49, v48
	v_div_fmas_f32 v46, v46, v47, v49
	v_div_fixup_f32 v44, v46, v44, 1.0
.LBB66_512:
	s_or_b64 exec, exec, s[0:1]
	v_cmp_ne_u32_e32 vcc, v45, v42
	s_and_saveexec_b64 s[0:1], vcc
	s_xor_b64 s[0:1], exec, s[0:1]
	s_cbranch_execz .LBB66_518
; %bb.513:
	v_cmp_eq_u32_e32 vcc, 30, v45
	s_and_saveexec_b64 s[2:3], vcc
	s_cbranch_execz .LBB66_517
; %bb.514:
	v_cmp_ne_u32_e32 vcc, 30, v42
	s_xor_b64 s[18:19], s[16:17], -1
	s_and_b64 s[20:21], s[18:19], vcc
	s_and_saveexec_b64 s[18:19], s[20:21]
	s_cbranch_execz .LBB66_516
; %bb.515:
	v_ashrrev_i32_e32 v43, 31, v42
	v_lshl_add_u64 v[46:47], v[42:43], 2, v[20:21]
	global_load_dword v43, v[46:47], off
	global_load_dword v45, v[20:21], off offset:120
	s_waitcnt vmcnt(1)
	global_store_dword v[20:21], v43, off offset:120
	s_waitcnt vmcnt(1)
	global_store_dword v[46:47], v45, off
.LBB66_516:
	s_or_b64 exec, exec, s[18:19]
	v_mov_b32_e32 v43, v42
	v_mov_b32_e32 v45, v42
.LBB66_517:
	s_or_b64 exec, exec, s[2:3]
.LBB66_518:
	s_andn2_saveexec_b64 s[0:1], s[0:1]
	s_cbranch_execz .LBB66_520
; %bb.519:
	s_waitcnt vmcnt(0)
	v_pk_mov_b32 v[46:47], v[26:27], v[36:37] op_sel:[1,0]
	v_mov_b32_e32 v45, 30
	ds_write2_b32 v17, v46, v47 offset0:31 offset1:32
	ds_write_b32 v17, v37 offset:132
.LBB66_520:
	s_or_b64 exec, exec, s[0:1]
	v_cmp_lt_i32_e32 vcc, 30, v45
	s_waitcnt lgkmcnt(0)
	s_barrier
	s_and_saveexec_b64 s[0:1], vcc
	s_cbranch_execz .LBB66_522
; %bb.521:
	ds_read_b32 v42, v17 offset:124
	ds_read2_b32 v[46:47], v17 offset0:32 offset1:33
	v_mul_f32_e32 v26, v44, v26
	s_waitcnt vmcnt(2) lgkmcnt(1)
	v_fma_f32 v27, -v26, v42, v27
	s_waitcnt vmcnt(0) lgkmcnt(0)
	v_pk_fma_f32 v[36:37], v[26:27], v[46:47], v[36:37] op_sel_hi:[0,1,1] neg_lo:[1,0,0] neg_hi:[1,0,0]
.LBB66_522:
	s_or_b64 exec, exec, s[0:1]
	v_lshl_add_u32 v42, v45, 2, v17
	s_barrier
	s_waitcnt vmcnt(2)
	ds_write_b32 v42, v27
	s_waitcnt lgkmcnt(0)
	s_barrier
	ds_read_b32 v44, v17 offset:124
	s_cmp_lt_i32 s22, 33
	v_mov_b32_e32 v42, 31
	s_cbranch_scc1 .LBB66_525
; %bb.523:
	v_add_u32_e32 v46, 0x80, v17
	v_mov_b32_e32 v42, 31
	s_mov_b32 s0, 32
.LBB66_524:                             ; =>This Inner Loop Header: Depth=1
	ds_read_b32 v47, v46
	v_mov_b32_e32 v48, s0
	s_add_i32 s0, s0, 1
	v_add_u32_e32 v46, 4, v46
	s_cmp_lg_u32 s22, s0
	s_waitcnt lgkmcnt(0)
	v_cmp_lt_f32_e64 vcc, |v44|, |v47|
	s_nop 1
	v_cndmask_b32_e32 v44, v44, v47, vcc
	v_cndmask_b32_e32 v42, v42, v48, vcc
	s_cbranch_scc1 .LBB66_524
.LBB66_525:
	s_waitcnt lgkmcnt(0)
	v_cmp_eq_f32_e32 vcc, 0, v44
	s_and_saveexec_b64 s[0:1], vcc
	s_xor_b64 s[0:1], exec, s[0:1]
; %bb.526:
	v_cmp_ne_u32_e32 vcc, 0, v19
	s_nop 1
	v_cndmask_b32_e32 v19, 32, v19, vcc
; %bb.527:
	s_andn2_saveexec_b64 s[0:1], s[0:1]
	s_cbranch_execz .LBB66_529
; %bb.528:
	v_div_scale_f32 v46, s[2:3], v44, v44, 1.0
	v_rcp_f32_e32 v47, v46
	v_div_scale_f32 v48, vcc, 1.0, v44, 1.0
	v_fma_f32 v49, -v46, v47, 1.0
	v_fmac_f32_e32 v47, v49, v47
	v_mul_f32_e32 v49, v48, v47
	v_fma_f32 v50, -v46, v49, v48
	v_fmac_f32_e32 v49, v50, v47
	v_fma_f32 v46, -v46, v49, v48
	v_div_fmas_f32 v46, v46, v47, v49
	v_div_fixup_f32 v44, v46, v44, 1.0
.LBB66_529:
	s_or_b64 exec, exec, s[0:1]
	v_cmp_ne_u32_e32 vcc, v45, v42
	s_and_saveexec_b64 s[0:1], vcc
	s_xor_b64 s[0:1], exec, s[0:1]
	s_cbranch_execz .LBB66_535
; %bb.530:
	v_cmp_eq_u32_e32 vcc, 31, v45
	s_and_saveexec_b64 s[2:3], vcc
	s_cbranch_execz .LBB66_534
; %bb.531:
	v_cmp_ne_u32_e32 vcc, 31, v42
	s_xor_b64 s[18:19], s[16:17], -1
	s_and_b64 s[20:21], s[18:19], vcc
	s_and_saveexec_b64 s[18:19], s[20:21]
	s_cbranch_execz .LBB66_533
; %bb.532:
	v_ashrrev_i32_e32 v43, 31, v42
	v_lshl_add_u64 v[46:47], v[42:43], 2, v[20:21]
	global_load_dword v43, v[46:47], off
	global_load_dword v45, v[20:21], off offset:124
	s_waitcnt vmcnt(1)
	global_store_dword v[20:21], v43, off offset:124
	s_waitcnt vmcnt(1)
	global_store_dword v[46:47], v45, off
.LBB66_533:
	s_or_b64 exec, exec, s[18:19]
	v_mov_b32_e32 v43, v42
	v_mov_b32_e32 v45, v42
.LBB66_534:
	s_or_b64 exec, exec, s[2:3]
.LBB66_535:
	s_andn2_saveexec_b64 s[0:1], s[0:1]
	s_cbranch_execz .LBB66_537
; %bb.536:
	v_mov_b32_e32 v45, 31
	s_waitcnt vmcnt(0)
	ds_write2_b32 v17, v36, v37 offset0:32 offset1:33
.LBB66_537:
	s_or_b64 exec, exec, s[0:1]
	v_cmp_lt_i32_e32 vcc, 31, v45
	s_waitcnt lgkmcnt(0)
	s_barrier
	s_and_saveexec_b64 s[0:1], vcc
	s_cbranch_execz .LBB66_539
; %bb.538:
	ds_read2_b32 v[46:47], v17 offset0:32 offset1:33
	v_mul_f32_e32 v42, v44, v27
	v_mov_b32_e32 v27, v42
	s_waitcnt vmcnt(0) lgkmcnt(0)
	v_pk_fma_f32 v[36:37], v[42:43], v[46:47], v[36:37] op_sel_hi:[0,1,1] neg_lo:[1,0,0] neg_hi:[1,0,0]
.LBB66_539:
	s_or_b64 exec, exec, s[0:1]
	v_lshl_add_u32 v42, v45, 2, v17
	s_barrier
	s_waitcnt vmcnt(1)
	ds_write_b32 v42, v36
	s_waitcnt lgkmcnt(0)
	s_barrier
	ds_read_b32 v44, v17 offset:128
	s_cmp_lt_i32 s22, 34
	v_mov_b32_e32 v42, 32
	s_cbranch_scc1 .LBB66_542
; %bb.540:
	v_add_u32_e32 v46, 0x84, v17
	v_mov_b32_e32 v42, 32
	s_mov_b32 s0, 33
.LBB66_541:                             ; =>This Inner Loop Header: Depth=1
	ds_read_b32 v47, v46
	v_mov_b32_e32 v48, s0
	s_add_i32 s0, s0, 1
	v_add_u32_e32 v46, 4, v46
	s_cmp_lg_u32 s22, s0
	s_waitcnt lgkmcnt(0)
	v_cmp_lt_f32_e64 vcc, |v44|, |v47|
	s_nop 1
	v_cndmask_b32_e32 v44, v44, v47, vcc
	v_cndmask_b32_e32 v42, v42, v48, vcc
	s_cbranch_scc1 .LBB66_541
.LBB66_542:
	s_waitcnt lgkmcnt(0)
	v_cmp_eq_f32_e32 vcc, 0, v44
	s_and_saveexec_b64 s[0:1], vcc
	s_xor_b64 s[0:1], exec, s[0:1]
; %bb.543:
	v_cmp_ne_u32_e32 vcc, 0, v19
	s_nop 1
	v_cndmask_b32_e32 v19, 33, v19, vcc
; %bb.544:
	s_andn2_saveexec_b64 s[0:1], s[0:1]
	s_cbranch_execz .LBB66_546
; %bb.545:
	v_div_scale_f32 v46, s[2:3], v44, v44, 1.0
	v_rcp_f32_e32 v47, v46
	v_div_scale_f32 v48, vcc, 1.0, v44, 1.0
	v_fma_f32 v49, -v46, v47, 1.0
	v_fmac_f32_e32 v47, v49, v47
	v_mul_f32_e32 v49, v48, v47
	v_fma_f32 v50, -v46, v49, v48
	v_fmac_f32_e32 v49, v50, v47
	v_fma_f32 v46, -v46, v49, v48
	v_div_fmas_f32 v46, v46, v47, v49
	v_div_fixup_f32 v44, v46, v44, 1.0
.LBB66_546:
	s_or_b64 exec, exec, s[0:1]
	v_cmp_ne_u32_e32 vcc, v45, v42
	s_and_saveexec_b64 s[0:1], vcc
	s_xor_b64 s[0:1], exec, s[0:1]
	s_cbranch_execz .LBB66_552
; %bb.547:
	v_cmp_eq_u32_e32 vcc, 32, v45
	s_and_saveexec_b64 s[2:3], vcc
	s_cbranch_execz .LBB66_551
; %bb.548:
	v_cmp_ne_u32_e32 vcc, 32, v42
	s_xor_b64 s[18:19], s[16:17], -1
	s_and_b64 s[20:21], s[18:19], vcc
	s_and_saveexec_b64 s[18:19], s[20:21]
	s_cbranch_execz .LBB66_550
; %bb.549:
	v_ashrrev_i32_e32 v43, 31, v42
	v_lshl_add_u64 v[46:47], v[42:43], 2, v[20:21]
	global_load_dword v43, v[46:47], off
	global_load_dword v45, v[20:21], off offset:128
	s_waitcnt vmcnt(1)
	global_store_dword v[20:21], v43, off offset:128
	s_waitcnt vmcnt(1)
	global_store_dword v[46:47], v45, off
.LBB66_550:
	s_or_b64 exec, exec, s[18:19]
	v_mov_b32_e32 v43, v42
	v_mov_b32_e32 v45, v42
.LBB66_551:
	s_or_b64 exec, exec, s[2:3]
.LBB66_552:
	s_andn2_saveexec_b64 s[0:1], s[0:1]
	s_cbranch_execz .LBB66_554
; %bb.553:
	v_mov_b32_e32 v45, 32
	s_waitcnt vmcnt(0)
	ds_write_b32 v17, v37 offset:132
.LBB66_554:
	s_or_b64 exec, exec, s[0:1]
	v_cmp_lt_i32_e32 vcc, 32, v45
	s_waitcnt lgkmcnt(0)
	s_barrier
	s_and_saveexec_b64 s[0:1], vcc
	s_cbranch_execz .LBB66_556
; %bb.555:
	ds_read_b32 v42, v17 offset:132
	v_mul_f32_e32 v36, v44, v36
	s_waitcnt vmcnt(0) lgkmcnt(0)
	v_fma_f32 v37, -v36, v42, v37
.LBB66_556:
	s_or_b64 exec, exec, s[0:1]
	v_lshl_add_u32 v42, v45, 2, v17
	s_barrier
	s_waitcnt vmcnt(0)
	ds_write_b32 v42, v37
	s_waitcnt lgkmcnt(0)
	s_barrier
	ds_read_b32 v46, v17 offset:132
	s_cmp_lt_i32 s22, 35
	v_mov_b32_e32 v42, 33
	s_cbranch_scc1 .LBB66_559
; %bb.557:
	v_add_u32_e32 v17, 0x88, v17
	v_mov_b32_e32 v42, 33
	s_mov_b32 s0, 34
.LBB66_558:                             ; =>This Inner Loop Header: Depth=1
	ds_read_b32 v44, v17
	v_mov_b32_e32 v47, s0
	s_add_i32 s0, s0, 1
	v_add_u32_e32 v17, 4, v17
	s_cmp_lg_u32 s22, s0
	s_waitcnt lgkmcnt(0)
	v_cmp_lt_f32_e64 vcc, |v46|, |v44|
	s_nop 1
	v_cndmask_b32_e32 v46, v46, v44, vcc
	v_cndmask_b32_e32 v42, v42, v47, vcc
	s_cbranch_scc1 .LBB66_558
.LBB66_559:
	s_waitcnt lgkmcnt(0)
	v_cmp_eq_f32_e32 vcc, 0, v46
	s_and_saveexec_b64 s[0:1], vcc
	s_xor_b64 s[0:1], exec, s[0:1]
; %bb.560:
	v_cmp_ne_u32_e32 vcc, 0, v19
	s_nop 1
	v_cndmask_b32_e32 v19, 34, v19, vcc
; %bb.561:
	s_andn2_saveexec_b64 s[0:1], s[0:1]
	s_cbranch_execz .LBB66_563
; %bb.562:
	v_div_scale_f32 v17, s[2:3], v46, v46, 1.0
	v_rcp_f32_e32 v44, v17
	v_div_scale_f32 v47, vcc, 1.0, v46, 1.0
	v_fma_f32 v48, -v17, v44, 1.0
	v_fmac_f32_e32 v44, v48, v44
	v_mul_f32_e32 v48, v47, v44
	v_fma_f32 v49, -v17, v48, v47
	v_fmac_f32_e32 v48, v49, v44
	v_fma_f32 v17, -v17, v48, v47
	v_div_fmas_f32 v17, v17, v44, v48
	v_div_fixup_f32 v46, v17, v46, 1.0
.LBB66_563:
	s_or_b64 exec, exec, s[0:1]
	v_cmp_ne_u32_e32 vcc, v45, v42
	v_mov_b32_e32 v44, 33
	s_and_saveexec_b64 s[0:1], vcc
	s_cbranch_execz .LBB66_569
; %bb.564:
	v_cmp_eq_u32_e32 vcc, 33, v45
	s_and_saveexec_b64 s[2:3], vcc
	s_cbranch_execz .LBB66_568
; %bb.565:
	v_cmp_ne_u32_e32 vcc, 33, v42
	s_xor_b64 s[16:17], s[16:17], -1
	s_and_b64 s[18:19], s[16:17], vcc
	s_and_saveexec_b64 s[16:17], s[18:19]
	s_cbranch_execz .LBB66_567
; %bb.566:
	v_ashrrev_i32_e32 v43, 31, v42
	v_lshl_add_u64 v[44:45], v[42:43], 2, v[20:21]
	global_load_dword v17, v[44:45], off
	global_load_dword v43, v[20:21], off offset:132
	s_waitcnt vmcnt(1)
	global_store_dword v[20:21], v17, off offset:132
	s_waitcnt vmcnt(1)
	global_store_dword v[44:45], v43, off
.LBB66_567:
	s_or_b64 exec, exec, s[16:17]
	v_mov_b32_e32 v43, v42
	v_mov_b32_e32 v45, v42
.LBB66_568:
	s_or_b64 exec, exec, s[2:3]
	v_mov_b32_e32 v44, v45
.LBB66_569:
	s_or_b64 exec, exec, s[0:1]
	v_cmp_gt_i32_e32 vcc, 34, v44
	v_ashrrev_i32_e32 v45, 31, v44
	s_barrier
	s_barrier
	s_and_saveexec_b64 s[0:1], vcc
	s_cbranch_execz .LBB66_571
; %bb.570:
	v_mul_lo_u32 v17, s11, v4
	v_mul_lo_u32 v42, s10, v5
	v_mad_u64_u32 v[48:49], s[2:3], s10, v4, 0
	v_mov_b32_e32 v20, s6
	v_mov_b32_e32 v21, s7
	v_add3_u32 v49, v49, v42, v17
	v_lshl_add_u64 v[20:21], v[48:49], 2, v[20:21]
	v_lshl_add_u64 v[20:21], s[8:9], 2, v[20:21]
	;; [unrolled: 1-line block ×3, first 2 shown]
	v_add3_u32 v17, v43, s15, 1
	global_store_dword v[20:21], v17, off
.LBB66_571:
	s_or_b64 exec, exec, s[0:1]
	v_cmp_eq_u32_e32 vcc, 0, v44
	s_and_saveexec_b64 s[2:3], vcc
	s_cbranch_execz .LBB66_574
; %bb.572:
	v_mov_b32_e32 v20, s4
	v_mov_b32_e32 v21, s5
	v_lshl_add_u64 v[4:5], v[4:5], 2, v[20:21]
	global_load_dword v17, v[4:5], off
	v_cmp_ne_u32_e64 s[0:1], 0, v19
	s_waitcnt vmcnt(0)
	v_cmp_eq_u32_e32 vcc, 0, v17
	s_and_b64 s[0:1], vcc, s[0:1]
	s_and_b64 exec, exec, s[0:1]
	s_cbranch_execz .LBB66_574
; %bb.573:
	v_add_u32_e32 v17, s15, v19
	global_store_dword v[4:5], v17, off
.LBB66_574:
	s_or_b64 exec, exec, s[2:3]
	v_mul_f32_e32 v4, v46, v37
	v_cmp_lt_i32_e32 vcc, 33, v44
	s_nop 1
	v_cndmask_b32_e32 v19, v37, v4, vcc
	v_lshl_add_u64 v[4:5], v[44:45], 2, v[2:3]
	global_store_dword v[4:5], v18, off
	v_lshl_add_u64 v[4:5], s[12:13], 2, v[4:5]
	global_store_dword v[4:5], v16, off
	v_add_u32_e32 v4, s14, v44
	v_ashrrev_i32_e32 v5, 31, v4
	v_lshl_add_u64 v[16:17], v[4:5], 2, v[2:3]
	v_add_u32_e32 v4, s12, v4
	v_ashrrev_i32_e32 v5, 31, v4
	global_store_dword v[16:17], v10, off
	v_lshl_add_u64 v[16:17], v[4:5], 2, v[2:3]
	v_add_u32_e32 v4, s12, v4
	v_ashrrev_i32_e32 v5, 31, v4
	global_store_dword v[16:17], v11, off
	v_lshl_add_u64 v[10:11], v[4:5], 2, v[2:3]
	v_add_u32_e32 v4, s12, v4
	v_ashrrev_i32_e32 v5, 31, v4
	global_store_dword v[10:11], v6, off
	v_lshl_add_u64 v[10:11], v[4:5], 2, v[2:3]
	v_add_u32_e32 v4, s12, v4
	v_ashrrev_i32_e32 v5, 31, v4
	global_store_dword v[10:11], v7, off
	v_lshl_add_u64 v[6:7], v[4:5], 2, v[2:3]
	v_add_u32_e32 v4, s12, v4
	v_ashrrev_i32_e32 v5, 31, v4
	global_store_dword v[6:7], v0, off
	v_lshl_add_u64 v[6:7], v[4:5], 2, v[2:3]
	v_add_u32_e32 v0, s12, v4
	global_store_dword v[6:7], v1, off
	v_ashrrev_i32_e32 v1, 31, v0
	v_lshl_add_u64 v[4:5], v[0:1], 2, v[2:3]
	v_add_u32_e32 v0, s12, v0
	v_ashrrev_i32_e32 v1, 31, v0
	global_store_dword v[4:5], v28, off
	v_lshl_add_u64 v[4:5], v[0:1], 2, v[2:3]
	v_add_u32_e32 v0, s12, v0
	v_ashrrev_i32_e32 v1, 31, v0
	global_store_dword v[4:5], v29, off
	;; [unrolled: 4-line block ×24, first 2 shown]
	v_lshl_add_u64 v[4:5], v[0:1], 2, v[2:3]
	v_add_u32_e32 v0, s12, v0
	v_ashrrev_i32_e32 v1, 31, v0
	v_lshl_add_u64 v[0:1], v[0:1], 2, v[2:3]
	global_store_dword v[4:5], v36, off
	global_store_dword v[0:1], v19, off
.LBB66_575:
	s_endpgm
	.section	.rodata,"a",@progbits
	.p2align	6, 0x0
	.amdhsa_kernel _ZN9rocsolver6v33100L18getf2_small_kernelILi34EfiiPfEEvT1_T3_lS3_lPS3_llPT2_S3_S3_S5_l
		.amdhsa_group_segment_fixed_size 0
		.amdhsa_private_segment_fixed_size 0
		.amdhsa_kernarg_size 352
		.amdhsa_user_sgpr_count 2
		.amdhsa_user_sgpr_dispatch_ptr 0
		.amdhsa_user_sgpr_queue_ptr 0
		.amdhsa_user_sgpr_kernarg_segment_ptr 1
		.amdhsa_user_sgpr_dispatch_id 0
		.amdhsa_user_sgpr_kernarg_preload_length 0
		.amdhsa_user_sgpr_kernarg_preload_offset 0
		.amdhsa_user_sgpr_private_segment_size 0
		.amdhsa_uses_dynamic_stack 0
		.amdhsa_enable_private_segment 0
		.amdhsa_system_sgpr_workgroup_id_x 1
		.amdhsa_system_sgpr_workgroup_id_y 1
		.amdhsa_system_sgpr_workgroup_id_z 0
		.amdhsa_system_sgpr_workgroup_info 0
		.amdhsa_system_vgpr_workitem_id 1
		.amdhsa_next_free_vgpr 60
		.amdhsa_next_free_sgpr 26
		.amdhsa_accum_offset 60
		.amdhsa_reserve_vcc 1
		.amdhsa_float_round_mode_32 0
		.amdhsa_float_round_mode_16_64 0
		.amdhsa_float_denorm_mode_32 3
		.amdhsa_float_denorm_mode_16_64 3
		.amdhsa_dx10_clamp 1
		.amdhsa_ieee_mode 1
		.amdhsa_fp16_overflow 0
		.amdhsa_tg_split 0
		.amdhsa_exception_fp_ieee_invalid_op 0
		.amdhsa_exception_fp_denorm_src 0
		.amdhsa_exception_fp_ieee_div_zero 0
		.amdhsa_exception_fp_ieee_overflow 0
		.amdhsa_exception_fp_ieee_underflow 0
		.amdhsa_exception_fp_ieee_inexact 0
		.amdhsa_exception_int_div_zero 0
	.end_amdhsa_kernel
	.section	.text._ZN9rocsolver6v33100L18getf2_small_kernelILi34EfiiPfEEvT1_T3_lS3_lPS3_llPT2_S3_S3_S5_l,"axG",@progbits,_ZN9rocsolver6v33100L18getf2_small_kernelILi34EfiiPfEEvT1_T3_lS3_lPS3_llPT2_S3_S3_S5_l,comdat
.Lfunc_end66:
	.size	_ZN9rocsolver6v33100L18getf2_small_kernelILi34EfiiPfEEvT1_T3_lS3_lPS3_llPT2_S3_S3_S5_l, .Lfunc_end66-_ZN9rocsolver6v33100L18getf2_small_kernelILi34EfiiPfEEvT1_T3_lS3_lPS3_llPT2_S3_S3_S5_l
                                        ; -- End function
	.set _ZN9rocsolver6v33100L18getf2_small_kernelILi34EfiiPfEEvT1_T3_lS3_lPS3_llPT2_S3_S3_S5_l.num_vgpr, 60
	.set _ZN9rocsolver6v33100L18getf2_small_kernelILi34EfiiPfEEvT1_T3_lS3_lPS3_llPT2_S3_S3_S5_l.num_agpr, 0
	.set _ZN9rocsolver6v33100L18getf2_small_kernelILi34EfiiPfEEvT1_T3_lS3_lPS3_llPT2_S3_S3_S5_l.numbered_sgpr, 26
	.set _ZN9rocsolver6v33100L18getf2_small_kernelILi34EfiiPfEEvT1_T3_lS3_lPS3_llPT2_S3_S3_S5_l.num_named_barrier, 0
	.set _ZN9rocsolver6v33100L18getf2_small_kernelILi34EfiiPfEEvT1_T3_lS3_lPS3_llPT2_S3_S3_S5_l.private_seg_size, 0
	.set _ZN9rocsolver6v33100L18getf2_small_kernelILi34EfiiPfEEvT1_T3_lS3_lPS3_llPT2_S3_S3_S5_l.uses_vcc, 1
	.set _ZN9rocsolver6v33100L18getf2_small_kernelILi34EfiiPfEEvT1_T3_lS3_lPS3_llPT2_S3_S3_S5_l.uses_flat_scratch, 0
	.set _ZN9rocsolver6v33100L18getf2_small_kernelILi34EfiiPfEEvT1_T3_lS3_lPS3_llPT2_S3_S3_S5_l.has_dyn_sized_stack, 0
	.set _ZN9rocsolver6v33100L18getf2_small_kernelILi34EfiiPfEEvT1_T3_lS3_lPS3_llPT2_S3_S3_S5_l.has_recursion, 0
	.set _ZN9rocsolver6v33100L18getf2_small_kernelILi34EfiiPfEEvT1_T3_lS3_lPS3_llPT2_S3_S3_S5_l.has_indirect_call, 0
	.section	.AMDGPU.csdata,"",@progbits
; Kernel info:
; codeLenInByte = 25564
; TotalNumSgprs: 32
; NumVgprs: 60
; NumAgprs: 0
; TotalNumVgprs: 60
; ScratchSize: 0
; MemoryBound: 0
; FloatMode: 240
; IeeeMode: 1
; LDSByteSize: 0 bytes/workgroup (compile time only)
; SGPRBlocks: 3
; VGPRBlocks: 7
; NumSGPRsForWavesPerEU: 32
; NumVGPRsForWavesPerEU: 60
; AccumOffset: 60
; Occupancy: 8
; WaveLimiterHint : 0
; COMPUTE_PGM_RSRC2:SCRATCH_EN: 0
; COMPUTE_PGM_RSRC2:USER_SGPR: 2
; COMPUTE_PGM_RSRC2:TRAP_HANDLER: 0
; COMPUTE_PGM_RSRC2:TGID_X_EN: 1
; COMPUTE_PGM_RSRC2:TGID_Y_EN: 1
; COMPUTE_PGM_RSRC2:TGID_Z_EN: 0
; COMPUTE_PGM_RSRC2:TIDIG_COMP_CNT: 1
; COMPUTE_PGM_RSRC3_GFX90A:ACCUM_OFFSET: 14
; COMPUTE_PGM_RSRC3_GFX90A:TG_SPLIT: 0
	.section	.text._ZN9rocsolver6v33100L23getf2_npvt_small_kernelILi34EfiiPfEEvT1_T3_lS3_lPT2_S3_S3_,"axG",@progbits,_ZN9rocsolver6v33100L23getf2_npvt_small_kernelILi34EfiiPfEEvT1_T3_lS3_lPT2_S3_S3_,comdat
	.globl	_ZN9rocsolver6v33100L23getf2_npvt_small_kernelILi34EfiiPfEEvT1_T3_lS3_lPT2_S3_S3_ ; -- Begin function _ZN9rocsolver6v33100L23getf2_npvt_small_kernelILi34EfiiPfEEvT1_T3_lS3_lPT2_S3_S3_
	.p2align	8
	.type	_ZN9rocsolver6v33100L23getf2_npvt_small_kernelILi34EfiiPfEEvT1_T3_lS3_lPT2_S3_S3_,@function
_ZN9rocsolver6v33100L23getf2_npvt_small_kernelILi34EfiiPfEEvT1_T3_lS3_lPT2_S3_S3_: ; @_ZN9rocsolver6v33100L23getf2_npvt_small_kernelILi34EfiiPfEEvT1_T3_lS3_lPT2_S3_S3_
; %bb.0:
	s_load_dword s2, s[0:1], 0x44
	s_load_dwordx2 s[8:9], s[0:1], 0x30
	v_bfe_u32 v105, v0, 10, 10
	s_waitcnt lgkmcnt(0)
	s_lshr_b32 s10, s2, 16
	s_mul_i32 s3, s3, s10
	v_add_u32_e32 v24, s3, v105
	v_cmp_gt_i32_e32 vcc, s8, v24
	s_and_saveexec_b64 s[2:3], vcc
	s_cbranch_execz .LBB67_188
; %bb.1:
	s_load_dwordx4 s[12:15], s[0:1], 0x8
	s_load_dword s2, s[0:1], 0x18
	s_load_dwordx4 s[4:7], s[0:1], 0x20
	v_ashrrev_i32_e32 v25, 31, v24
	v_and_b32_e32 v103, 0x3ff, v0
	s_waitcnt lgkmcnt(0)
	v_mov_b32_e32 v0, s12
	v_mov_b32_e32 v1, s13
	v_mad_u64_u32 v[2:3], s[0:1], s4, v24, 0
	v_mul_lo_u32 v4, s5, v24
	v_mul_lo_u32 v5, s4, v25
	s_add_i32 s0, s2, s2
	v_add3_u32 v3, v3, v5, v4
	v_add_u32_e32 v4, s0, v103
	v_add_u32_e32 v6, s2, v4
	;; [unrolled: 1-line block ×30, first 2 shown]
	v_lshl_add_u64 v[0:1], v[2:3], 2, v[0:1]
	v_add_u32_e32 v68, s2, v64
	v_lshl_add_u64 v[66:67], s[14:15], 2, v[0:1]
	v_ashrrev_i32_e32 v5, 31, v4
	v_ashrrev_i32_e32 v7, 31, v6
	;; [unrolled: 1-line block ×31, first 2 shown]
	v_lshl_add_u64 v[2:3], v[4:5], 2, v[66:67]
	v_lshl_add_u64 v[4:5], v[6:7], 2, v[66:67]
	;; [unrolled: 1-line block ×31, first 2 shown]
	v_add_u32_e32 v68, s2, v68
	v_lshlrev_b32_e32 v0, 2, v103
	v_mov_b32_e32 v1, 0
	v_ashrrev_i32_e32 v69, 31, v68
	v_lshl_add_u64 v[0:1], v[66:67], 0, v[0:1]
	v_lshl_add_u64 v[66:67], v[68:69], 2, v[66:67]
	global_load_dword v90, v[14:15], off
	global_load_dword v91, v[16:17], off
	;; [unrolled: 1-line block ×26, first 2 shown]
	s_ashr_i32 s3, s2, 31
	v_lshl_add_u64 v[100:101], s[2:3], 2, v[0:1]
	global_load_dword v96, v[2:3], off
	global_load_dword v97, v[4:5], off
	;; [unrolled: 1-line block ×8, first 2 shown]
	s_mulk_i32 s10, 0x88
	s_movk_i32 s0, 0x88
	s_add_i32 s1, s10, 0
	v_mad_u32_u24 v107, v105, s0, 0
	v_lshl_add_u32 v105, v105, 2, s1
	v_cmp_ne_u32_e64 s[2:3], 0, v103
	v_cmp_eq_u32_e64 s[0:1], 0, v103
	s_and_saveexec_b64 s[4:5], s[0:1]
	s_cbranch_execz .LBB67_4
; %bb.2:
	s_waitcnt vmcnt(1)
	ds_write_b32 v105, v102
	s_waitcnt vmcnt(0)
	ds_write2_b32 v107, v104, v96 offset0:1 offset1:2
	ds_write2_b32 v107, v97, v98 offset0:3 offset1:4
	;; [unrolled: 1-line block ×16, first 2 shown]
	ds_write_b32 v107, v93 offset:132
	ds_read_b32 v106, v105
	s_waitcnt lgkmcnt(0)
	v_cmp_neq_f32_e32 vcc, 0, v106
	s_and_b64 exec, exec, vcc
	s_cbranch_execz .LBB67_4
; %bb.3:
	v_div_scale_f32 v108, s[10:11], v106, v106, 1.0
	v_rcp_f32_e32 v109, v108
	v_div_scale_f32 v110, vcc, 1.0, v106, 1.0
	v_fma_f32 v111, -v108, v109, 1.0
	v_fmac_f32_e32 v109, v111, v109
	v_mul_f32_e32 v111, v110, v109
	v_fma_f32 v112, -v108, v111, v110
	v_fmac_f32_e32 v111, v112, v109
	v_fma_f32 v108, -v108, v111, v110
	v_div_fmas_f32 v108, v108, v109, v111
	v_div_fixup_f32 v106, v108, v106, 1.0
	ds_write_b32 v105, v106
.LBB67_4:
	s_or_b64 exec, exec, s[4:5]
	s_waitcnt lgkmcnt(0)
	s_barrier
	ds_read_b32 v106, v105
	s_and_saveexec_b64 s[4:5], s[2:3]
	s_cbranch_execz .LBB67_6
; %bb.5:
	ds_read_b32 v116, v107 offset:4
	ds_read2_b64 v[108:111], v107 offset0:1 offset1:2
	ds_read2_b64 v[112:115], v107 offset0:3 offset1:4
	s_waitcnt vmcnt(1) lgkmcnt(3)
	v_mul_f32_e32 v102, v106, v102
	s_waitcnt vmcnt(0) lgkmcnt(2)
	v_fma_f32 v104, -v102, v116, v104
	s_waitcnt lgkmcnt(1)
	v_pk_fma_f32 v[96:97], v[102:103], v[108:109], v[96:97] op_sel_hi:[0,1,1] neg_lo:[1,0,0] neg_hi:[1,0,0]
	ds_read2_b64 v[116:119], v107 offset0:5 offset1:6
	v_pk_fma_f32 v[98:99], v[102:103], v[110:111], v[98:99] op_sel_hi:[0,1,1] neg_lo:[1,0,0] neg_hi:[1,0,0]
	s_waitcnt lgkmcnt(1)
	v_pk_fma_f32 v[94:95], v[102:103], v[112:113], v[94:95] op_sel_hi:[0,1,1] neg_lo:[1,0,0] neg_hi:[1,0,0]
	ds_read2_b64 v[108:111], v107 offset0:7 offset1:8
	v_pk_fma_f32 v[90:91], v[102:103], v[114:115], v[90:91] op_sel_hi:[0,1,1] neg_lo:[1,0,0] neg_hi:[1,0,0]
	ds_read2_b64 v[112:115], v107 offset0:9 offset1:10
	s_waitcnt lgkmcnt(2)
	v_pk_fma_f32 v[78:79], v[102:103], v[116:117], v[78:79] op_sel_hi:[0,1,1] neg_lo:[1,0,0] neg_hi:[1,0,0]
	v_pk_fma_f32 v[88:89], v[102:103], v[118:119], v[88:89] op_sel_hi:[0,1,1] neg_lo:[1,0,0] neg_hi:[1,0,0]
	s_waitcnt lgkmcnt(1)
	v_pk_fma_f32 v[76:77], v[102:103], v[108:109], v[76:77] op_sel_hi:[0,1,1] neg_lo:[1,0,0] neg_hi:[1,0,0]
	v_pk_fma_f32 v[86:87], v[102:103], v[110:111], v[86:87] op_sel_hi:[0,1,1] neg_lo:[1,0,0] neg_hi:[1,0,0]
	ds_read2_b64 v[108:111], v107 offset0:11 offset1:12
	ds_read2_b64 v[116:119], v107 offset0:13 offset1:14
	s_waitcnt lgkmcnt(2)
	v_pk_fma_f32 v[74:75], v[102:103], v[112:113], v[74:75] op_sel_hi:[0,1,1] neg_lo:[1,0,0] neg_hi:[1,0,0]
	v_pk_fma_f32 v[84:85], v[102:103], v[114:115], v[84:85] op_sel_hi:[0,1,1] neg_lo:[1,0,0] neg_hi:[1,0,0]
	ds_read2_b64 v[112:115], v107 offset0:15 offset1:16
	s_waitcnt lgkmcnt(2)
	v_pk_fma_f32 v[72:73], v[102:103], v[108:109], v[72:73] op_sel_hi:[0,1,1] neg_lo:[1,0,0] neg_hi:[1,0,0]
	v_pk_fma_f32 v[82:83], v[102:103], v[110:111], v[82:83] op_sel_hi:[0,1,1] neg_lo:[1,0,0] neg_hi:[1,0,0]
	s_waitcnt lgkmcnt(1)
	v_pk_fma_f32 v[70:71], v[102:103], v[116:117], v[70:71] op_sel_hi:[0,1,1] neg_lo:[1,0,0] neg_hi:[1,0,0]
	v_pk_fma_f32 v[80:81], v[102:103], v[118:119], v[80:81] op_sel_hi:[0,1,1] neg_lo:[1,0,0] neg_hi:[1,0,0]
	;; [unrolled: 3-line block ×3, first 2 shown]
.LBB67_6:
	s_or_b64 exec, exec, s[4:5]
	v_cmp_eq_u32_e32 vcc, 1, v103
	s_waitcnt lgkmcnt(0)
	s_barrier
	s_and_saveexec_b64 s[2:3], vcc
	s_cbranch_execz .LBB67_9
; %bb.7:
	s_waitcnt vmcnt(0)
	ds_write_b32 v105, v104
	ds_write2_b64 v107, v[96:97], v[98:99] offset0:1 offset1:2
	ds_write2_b64 v107, v[94:95], v[90:91] offset0:3 offset1:4
	;; [unrolled: 1-line block ×8, first 2 shown]
	ds_read_b32 v108, v105
	s_waitcnt lgkmcnt(0)
	v_cmp_neq_f32_e32 vcc, 0, v108
	s_and_b64 exec, exec, vcc
	s_cbranch_execz .LBB67_9
; %bb.8:
	v_div_scale_f32 v109, s[4:5], v108, v108, 1.0
	v_rcp_f32_e32 v110, v109
	v_div_scale_f32 v111, vcc, 1.0, v108, 1.0
	v_fma_f32 v112, -v109, v110, 1.0
	v_fmac_f32_e32 v110, v112, v110
	v_mul_f32_e32 v112, v111, v110
	v_fma_f32 v113, -v109, v112, v111
	v_fmac_f32_e32 v112, v113, v110
	v_fma_f32 v109, -v109, v112, v111
	v_div_fmas_f32 v109, v109, v110, v112
	v_div_fixup_f32 v108, v109, v108, 1.0
	ds_write_b32 v105, v108
.LBB67_9:
	s_or_b64 exec, exec, s[2:3]
	s_waitcnt lgkmcnt(0)
	s_barrier
	ds_read_b32 v108, v105
	v_cmp_lt_u32_e32 vcc, 1, v103
	s_and_saveexec_b64 s[2:3], vcc
	s_cbranch_execz .LBB67_11
; %bb.10:
	ds_read2_b64 v[110:113], v107 offset0:1 offset1:2
	ds_read2_b64 v[114:117], v107 offset0:3 offset1:4
	s_waitcnt vmcnt(0) lgkmcnt(2)
	v_mul_f32_e32 v104, v108, v104
	ds_read2_b64 v[118:121], v107 offset0:5 offset1:6
	s_waitcnt lgkmcnt(2)
	v_pk_fma_f32 v[96:97], v[104:105], v[110:111], v[96:97] op_sel_hi:[0,1,1] neg_lo:[1,0,0] neg_hi:[1,0,0]
	v_pk_fma_f32 v[98:99], v[104:105], v[112:113], v[98:99] op_sel_hi:[0,1,1] neg_lo:[1,0,0] neg_hi:[1,0,0]
	s_waitcnt lgkmcnt(1)
	v_pk_fma_f32 v[94:95], v[104:105], v[114:115], v[94:95] op_sel_hi:[0,1,1] neg_lo:[1,0,0] neg_hi:[1,0,0]
	ds_read2_b64 v[110:113], v107 offset0:7 offset1:8
	v_pk_fma_f32 v[90:91], v[104:105], v[116:117], v[90:91] op_sel_hi:[0,1,1] neg_lo:[1,0,0] neg_hi:[1,0,0]
	ds_read2_b64 v[114:117], v107 offset0:9 offset1:10
	s_waitcnt lgkmcnt(2)
	v_pk_fma_f32 v[78:79], v[104:105], v[118:119], v[78:79] op_sel_hi:[0,1,1] neg_lo:[1,0,0] neg_hi:[1,0,0]
	v_pk_fma_f32 v[88:89], v[104:105], v[120:121], v[88:89] op_sel_hi:[0,1,1] neg_lo:[1,0,0] neg_hi:[1,0,0]
	s_waitcnt lgkmcnt(1)
	v_pk_fma_f32 v[76:77], v[104:105], v[110:111], v[76:77] op_sel_hi:[0,1,1] neg_lo:[1,0,0] neg_hi:[1,0,0]
	v_pk_fma_f32 v[86:87], v[104:105], v[112:113], v[86:87] op_sel_hi:[0,1,1] neg_lo:[1,0,0] neg_hi:[1,0,0]
	ds_read2_b64 v[110:113], v107 offset0:11 offset1:12
	s_waitcnt lgkmcnt(1)
	v_pk_fma_f32 v[74:75], v[104:105], v[114:115], v[74:75] op_sel_hi:[0,1,1] neg_lo:[1,0,0] neg_hi:[1,0,0]
	ds_read2_b64 v[118:121], v107 offset0:13 offset1:14
	v_pk_fma_f32 v[84:85], v[104:105], v[116:117], v[84:85] op_sel_hi:[0,1,1] neg_lo:[1,0,0] neg_hi:[1,0,0]
	ds_read2_b64 v[114:117], v107 offset0:15 offset1:16
	s_waitcnt lgkmcnt(2)
	v_pk_fma_f32 v[72:73], v[104:105], v[110:111], v[72:73] op_sel_hi:[0,1,1] neg_lo:[1,0,0] neg_hi:[1,0,0]
	v_pk_fma_f32 v[82:83], v[104:105], v[112:113], v[82:83] op_sel_hi:[0,1,1] neg_lo:[1,0,0] neg_hi:[1,0,0]
	s_waitcnt lgkmcnt(1)
	v_pk_fma_f32 v[70:71], v[104:105], v[118:119], v[70:71] op_sel_hi:[0,1,1] neg_lo:[1,0,0] neg_hi:[1,0,0]
	v_pk_fma_f32 v[80:81], v[104:105], v[120:121], v[80:81] op_sel_hi:[0,1,1] neg_lo:[1,0,0] neg_hi:[1,0,0]
	s_waitcnt lgkmcnt(0)
	v_pk_fma_f32 v[68:69], v[104:105], v[114:115], v[68:69] op_sel_hi:[0,1,1] neg_lo:[1,0,0] neg_hi:[1,0,0]
	v_pk_fma_f32 v[92:93], v[104:105], v[116:117], v[92:93] op_sel_hi:[0,1,1] neg_lo:[1,0,0] neg_hi:[1,0,0]
.LBB67_11:
	s_or_b64 exec, exec, s[2:3]
	v_cmp_eq_u32_e32 vcc, 2, v103
	s_waitcnt lgkmcnt(0)
	s_barrier
	s_and_saveexec_b64 s[2:3], vcc
	s_cbranch_execz .LBB67_14
; %bb.12:
	s_waitcnt vmcnt(4)
	v_pk_mov_b32 v[110:111], v[96:97], v[98:99] op_sel:[1,0]
	ds_write_b32 v105, v96
	ds_write2_b32 v107, v110, v111 offset0:3 offset1:4
	s_waitcnt vmcnt(2)
	v_pk_mov_b32 v[110:111], v[98:99], v[94:95] op_sel:[1,0]
	ds_write2_b32 v107, v110, v111 offset0:5 offset1:6
	v_pk_mov_b32 v[110:111], v[94:95], v[90:91] op_sel:[1,0]
	ds_write2_b32 v107, v110, v111 offset0:7 offset1:8
	;; [unrolled: 2-line block ×14, first 2 shown]
	ds_write_b32 v107, v93 offset:132
	ds_read_b32 v109, v105
	s_waitcnt lgkmcnt(0)
	v_cmp_neq_f32_e32 vcc, 0, v109
	s_and_b64 exec, exec, vcc
	s_cbranch_execz .LBB67_14
; %bb.13:
	v_div_scale_f32 v110, s[4:5], v109, v109, 1.0
	v_rcp_f32_e32 v111, v110
	v_div_scale_f32 v112, vcc, 1.0, v109, 1.0
	v_fma_f32 v113, -v110, v111, 1.0
	v_fmac_f32_e32 v111, v113, v111
	v_mul_f32_e32 v113, v112, v111
	v_fma_f32 v114, -v110, v113, v112
	v_fmac_f32_e32 v113, v114, v111
	v_fma_f32 v110, -v110, v113, v112
	v_div_fmas_f32 v110, v110, v111, v113
	v_div_fixup_f32 v109, v110, v109, 1.0
	ds_write_b32 v105, v109
.LBB67_14:
	s_or_b64 exec, exec, s[2:3]
	s_waitcnt lgkmcnt(0)
	s_barrier
	ds_read_b32 v109, v105
	v_cmp_lt_u32_e32 vcc, 2, v103
	s_and_saveexec_b64 s[2:3], vcc
	s_cbranch_execz .LBB67_16
; %bb.15:
	ds_read_b32 v122, v107 offset:12
	ds_read2_b64 v[110:113], v107 offset0:2 offset1:3
	ds_read2_b64 v[114:117], v107 offset0:4 offset1:5
	;; [unrolled: 1-line block ×3, first 2 shown]
	s_waitcnt vmcnt(7) lgkmcnt(4)
	v_mul_f32_e32 v96, v109, v96
	s_waitcnt vmcnt(6) lgkmcnt(3)
	v_fma_f32 v97, -v96, v122, v97
	s_waitcnt vmcnt(4) lgkmcnt(2)
	v_pk_fma_f32 v[98:99], v[96:97], v[110:111], v[98:99] op_sel_hi:[0,1,1] neg_lo:[1,0,0] neg_hi:[1,0,0]
	s_waitcnt vmcnt(2)
	v_pk_fma_f32 v[94:95], v[96:97], v[112:113], v[94:95] op_sel_hi:[0,1,1] neg_lo:[1,0,0] neg_hi:[1,0,0]
	s_waitcnt lgkmcnt(1)
	v_pk_fma_f32 v[90:91], v[96:97], v[114:115], v[90:91] op_sel_hi:[0,1,1] neg_lo:[1,0,0] neg_hi:[1,0,0]
	ds_read2_b64 v[110:113], v107 offset0:8 offset1:9
	v_pk_fma_f32 v[78:79], v[96:97], v[116:117], v[78:79] op_sel_hi:[0,1,1] neg_lo:[1,0,0] neg_hi:[1,0,0]
	ds_read2_b64 v[114:117], v107 offset0:10 offset1:11
	s_waitcnt lgkmcnt(2)
	v_pk_fma_f32 v[88:89], v[96:97], v[118:119], v[88:89] op_sel_hi:[0,1,1] neg_lo:[1,0,0] neg_hi:[1,0,0]
	v_pk_fma_f32 v[76:77], v[96:97], v[120:121], v[76:77] op_sel_hi:[0,1,1] neg_lo:[1,0,0] neg_hi:[1,0,0]
	s_waitcnt lgkmcnt(1)
	v_pk_fma_f32 v[86:87], v[96:97], v[110:111], v[86:87] op_sel_hi:[0,1,1] neg_lo:[1,0,0] neg_hi:[1,0,0]
	v_pk_fma_f32 v[74:75], v[96:97], v[112:113], v[74:75] op_sel_hi:[0,1,1] neg_lo:[1,0,0] neg_hi:[1,0,0]
	ds_read2_b64 v[110:113], v107 offset0:12 offset1:13
	ds_read2_b64 v[118:121], v107 offset0:14 offset1:15
	s_waitcnt lgkmcnt(2)
	v_pk_fma_f32 v[84:85], v[96:97], v[114:115], v[84:85] op_sel_hi:[0,1,1] neg_lo:[1,0,0] neg_hi:[1,0,0]
	ds_read_b64 v[114:115], v107 offset:128
	v_pk_fma_f32 v[72:73], v[96:97], v[116:117], v[72:73] op_sel_hi:[0,1,1] neg_lo:[1,0,0] neg_hi:[1,0,0]
	s_waitcnt lgkmcnt(2)
	v_pk_fma_f32 v[82:83], v[96:97], v[110:111], v[82:83] op_sel_hi:[0,1,1] neg_lo:[1,0,0] neg_hi:[1,0,0]
	v_pk_fma_f32 v[70:71], v[96:97], v[112:113], v[70:71] op_sel_hi:[0,1,1] neg_lo:[1,0,0] neg_hi:[1,0,0]
	s_waitcnt lgkmcnt(1)
	v_pk_fma_f32 v[80:81], v[96:97], v[118:119], v[80:81] op_sel_hi:[0,1,1] neg_lo:[1,0,0] neg_hi:[1,0,0]
	;; [unrolled: 3-line block ×3, first 2 shown]
.LBB67_16:
	s_or_b64 exec, exec, s[2:3]
	v_cmp_eq_u32_e32 vcc, 3, v103
	s_waitcnt lgkmcnt(0)
	s_barrier
	s_and_saveexec_b64 s[2:3], vcc
	s_cbranch_execz .LBB67_19
; %bb.17:
	s_waitcnt vmcnt(5)
	v_mov_b32_e32 v110, v98
	s_waitcnt vmcnt(4)
	v_mov_b32_e32 v111, v99
	;; [unrolled: 2-line block ×4, first 2 shown]
	ds_write_b32 v105, v97
	ds_write2_b64 v107, v[110:111], v[112:113] offset0:2 offset1:3
	v_mov_b32_e32 v110, v90
	v_mov_b32_e32 v111, v91
	v_mov_b32_e32 v112, v78
	v_mov_b32_e32 v113, v79
	ds_write2_b64 v107, v[110:111], v[112:113] offset0:4 offset1:5
	v_mov_b32_e32 v110, v88
	v_mov_b32_e32 v111, v89
	v_mov_b32_e32 v112, v76
	v_mov_b32_e32 v113, v77
	;; [unrolled: 5-line block ×6, first 2 shown]
	ds_write2_b64 v107, v[110:111], v[112:113] offset0:14 offset1:15
	ds_write_b64 v107, v[92:93] offset:128
	ds_read_b32 v110, v105
	s_waitcnt lgkmcnt(0)
	v_cmp_neq_f32_e32 vcc, 0, v110
	s_and_b64 exec, exec, vcc
	s_cbranch_execz .LBB67_19
; %bb.18:
	v_div_scale_f32 v111, s[4:5], v110, v110, 1.0
	v_rcp_f32_e32 v112, v111
	v_div_scale_f32 v113, vcc, 1.0, v110, 1.0
	v_fma_f32 v114, -v111, v112, 1.0
	v_fmac_f32_e32 v112, v114, v112
	v_mul_f32_e32 v114, v113, v112
	v_fma_f32 v115, -v111, v114, v113
	v_fmac_f32_e32 v114, v115, v112
	v_fma_f32 v111, -v111, v114, v113
	v_div_fmas_f32 v111, v111, v112, v114
	v_div_fixup_f32 v110, v111, v110, 1.0
	ds_write_b32 v105, v110
.LBB67_19:
	s_or_b64 exec, exec, s[2:3]
	s_waitcnt lgkmcnt(0)
	s_barrier
	ds_read_b32 v110, v105
	v_cmp_lt_u32_e32 vcc, 3, v103
	s_and_saveexec_b64 s[2:3], vcc
	s_cbranch_execz .LBB67_21
; %bb.20:
	ds_read2_b64 v[112:115], v107 offset0:2 offset1:3
	ds_read2_b64 v[116:119], v107 offset0:4 offset1:5
	s_waitcnt vmcnt(6) lgkmcnt(2)
	v_mul_f32_e32 v124, v110, v97
	ds_read2_b64 v[120:123], v107 offset0:6 offset1:7
	v_mov_b32_e32 v97, v124
	s_waitcnt vmcnt(4) lgkmcnt(2)
	v_pk_fma_f32 v[98:99], v[124:125], v[112:113], v[98:99] op_sel_hi:[0,1,1] neg_lo:[1,0,0] neg_hi:[1,0,0]
	s_waitcnt vmcnt(2)
	v_pk_fma_f32 v[94:95], v[124:125], v[114:115], v[94:95] op_sel_hi:[0,1,1] neg_lo:[1,0,0] neg_hi:[1,0,0]
	s_waitcnt lgkmcnt(1)
	v_pk_fma_f32 v[90:91], v[124:125], v[116:117], v[90:91] op_sel_hi:[0,1,1] neg_lo:[1,0,0] neg_hi:[1,0,0]
	ds_read2_b64 v[112:115], v107 offset0:8 offset1:9
	v_pk_fma_f32 v[78:79], v[124:125], v[118:119], v[78:79] op_sel_hi:[0,1,1] neg_lo:[1,0,0] neg_hi:[1,0,0]
	ds_read2_b64 v[116:119], v107 offset0:10 offset1:11
	s_waitcnt lgkmcnt(2)
	v_pk_fma_f32 v[88:89], v[124:125], v[120:121], v[88:89] op_sel_hi:[0,1,1] neg_lo:[1,0,0] neg_hi:[1,0,0]
	v_pk_fma_f32 v[76:77], v[124:125], v[122:123], v[76:77] op_sel_hi:[0,1,1] neg_lo:[1,0,0] neg_hi:[1,0,0]
	s_waitcnt lgkmcnt(1)
	v_pk_fma_f32 v[86:87], v[124:125], v[112:113], v[86:87] op_sel_hi:[0,1,1] neg_lo:[1,0,0] neg_hi:[1,0,0]
	v_pk_fma_f32 v[74:75], v[124:125], v[114:115], v[74:75] op_sel_hi:[0,1,1] neg_lo:[1,0,0] neg_hi:[1,0,0]
	ds_read2_b64 v[112:115], v107 offset0:12 offset1:13
	s_waitcnt lgkmcnt(1)
	v_pk_fma_f32 v[84:85], v[124:125], v[116:117], v[84:85] op_sel_hi:[0,1,1] neg_lo:[1,0,0] neg_hi:[1,0,0]
	ds_read2_b64 v[120:123], v107 offset0:14 offset1:15
	ds_read_b64 v[116:117], v107 offset:128
	v_pk_fma_f32 v[72:73], v[124:125], v[118:119], v[72:73] op_sel_hi:[0,1,1] neg_lo:[1,0,0] neg_hi:[1,0,0]
	s_waitcnt lgkmcnt(2)
	v_pk_fma_f32 v[82:83], v[124:125], v[112:113], v[82:83] op_sel_hi:[0,1,1] neg_lo:[1,0,0] neg_hi:[1,0,0]
	v_pk_fma_f32 v[70:71], v[124:125], v[114:115], v[70:71] op_sel_hi:[0,1,1] neg_lo:[1,0,0] neg_hi:[1,0,0]
	s_waitcnt lgkmcnt(1)
	v_pk_fma_f32 v[80:81], v[124:125], v[120:121], v[80:81] op_sel_hi:[0,1,1] neg_lo:[1,0,0] neg_hi:[1,0,0]
	;; [unrolled: 3-line block ×3, first 2 shown]
.LBB67_21:
	s_or_b64 exec, exec, s[2:3]
	v_cmp_eq_u32_e32 vcc, 4, v103
	s_waitcnt lgkmcnt(0)
	s_barrier
	s_and_saveexec_b64 s[2:3], vcc
	s_cbranch_execz .LBB67_24
; %bb.22:
	s_waitcnt vmcnt(2)
	v_pk_mov_b32 v[112:113], v[98:99], v[94:95] op_sel:[1,0]
	ds_write_b32 v105, v98
	ds_write2_b32 v107, v112, v113 offset0:5 offset1:6
	v_pk_mov_b32 v[112:113], v[94:95], v[90:91] op_sel:[1,0]
	ds_write2_b32 v107, v112, v113 offset0:7 offset1:8
	v_pk_mov_b32 v[112:113], v[90:91], v[78:79] op_sel:[1,0]
	;; [unrolled: 2-line block ×13, first 2 shown]
	ds_write2_b32 v107, v112, v113 offset0:31 offset1:32
	ds_write_b32 v107, v93 offset:132
	ds_read_b32 v111, v105
	s_waitcnt lgkmcnt(0)
	v_cmp_neq_f32_e32 vcc, 0, v111
	s_and_b64 exec, exec, vcc
	s_cbranch_execz .LBB67_24
; %bb.23:
	v_div_scale_f32 v112, s[4:5], v111, v111, 1.0
	v_rcp_f32_e32 v113, v112
	v_div_scale_f32 v114, vcc, 1.0, v111, 1.0
	v_fma_f32 v115, -v112, v113, 1.0
	v_fmac_f32_e32 v113, v115, v113
	v_mul_f32_e32 v115, v114, v113
	v_fma_f32 v116, -v112, v115, v114
	v_fmac_f32_e32 v115, v116, v113
	v_fma_f32 v112, -v112, v115, v114
	v_div_fmas_f32 v112, v112, v113, v115
	v_div_fixup_f32 v111, v112, v111, 1.0
	ds_write_b32 v105, v111
.LBB67_24:
	s_or_b64 exec, exec, s[2:3]
	s_waitcnt lgkmcnt(0)
	s_barrier
	ds_read_b32 v111, v105
	v_cmp_lt_u32_e32 vcc, 4, v103
	s_and_saveexec_b64 s[2:3], vcc
	s_cbranch_execz .LBB67_26
; %bb.25:
	ds_read_b32 v124, v107 offset:20
	ds_read2_b64 v[112:115], v107 offset0:3 offset1:4
	s_waitcnt vmcnt(5) lgkmcnt(2)
	v_mul_f32_e32 v98, v111, v98
	ds_read2_b64 v[116:119], v107 offset0:5 offset1:6
	ds_read2_b64 v[120:123], v107 offset0:7 offset1:8
	s_waitcnt vmcnt(4) lgkmcnt(3)
	v_fma_f32 v99, -v98, v124, v99
	s_waitcnt vmcnt(2) lgkmcnt(2)
	v_pk_fma_f32 v[94:95], v[98:99], v[112:113], v[94:95] op_sel_hi:[0,1,1] neg_lo:[1,0,0] neg_hi:[1,0,0]
	v_pk_fma_f32 v[90:91], v[98:99], v[114:115], v[90:91] op_sel_hi:[0,1,1] neg_lo:[1,0,0] neg_hi:[1,0,0]
	ds_read2_b64 v[112:115], v107 offset0:9 offset1:10
	s_waitcnt lgkmcnt(2)
	v_pk_fma_f32 v[78:79], v[98:99], v[116:117], v[78:79] op_sel_hi:[0,1,1] neg_lo:[1,0,0] neg_hi:[1,0,0]
	v_pk_fma_f32 v[88:89], v[98:99], v[118:119], v[88:89] op_sel_hi:[0,1,1] neg_lo:[1,0,0] neg_hi:[1,0,0]
	s_waitcnt lgkmcnt(1)
	v_pk_fma_f32 v[76:77], v[98:99], v[120:121], v[76:77] op_sel_hi:[0,1,1] neg_lo:[1,0,0] neg_hi:[1,0,0]
	v_pk_fma_f32 v[86:87], v[98:99], v[122:123], v[86:87] op_sel_hi:[0,1,1] neg_lo:[1,0,0] neg_hi:[1,0,0]
	ds_read2_b64 v[116:119], v107 offset0:11 offset1:12
	s_waitcnt lgkmcnt(1)
	v_pk_fma_f32 v[74:75], v[98:99], v[112:113], v[74:75] op_sel_hi:[0,1,1] neg_lo:[1,0,0] neg_hi:[1,0,0]
	ds_read2_b64 v[120:123], v107 offset0:13 offset1:14
	v_pk_fma_f32 v[84:85], v[98:99], v[114:115], v[84:85] op_sel_hi:[0,1,1] neg_lo:[1,0,0] neg_hi:[1,0,0]
	ds_read2_b64 v[112:115], v107 offset0:15 offset1:16
	s_waitcnt lgkmcnt(2)
	v_pk_fma_f32 v[72:73], v[98:99], v[116:117], v[72:73] op_sel_hi:[0,1,1] neg_lo:[1,0,0] neg_hi:[1,0,0]
	v_pk_fma_f32 v[82:83], v[98:99], v[118:119], v[82:83] op_sel_hi:[0,1,1] neg_lo:[1,0,0] neg_hi:[1,0,0]
	s_waitcnt lgkmcnt(1)
	v_pk_fma_f32 v[70:71], v[98:99], v[120:121], v[70:71] op_sel_hi:[0,1,1] neg_lo:[1,0,0] neg_hi:[1,0,0]
	v_pk_fma_f32 v[80:81], v[98:99], v[122:123], v[80:81] op_sel_hi:[0,1,1] neg_lo:[1,0,0] neg_hi:[1,0,0]
	;; [unrolled: 3-line block ×3, first 2 shown]
.LBB67_26:
	s_or_b64 exec, exec, s[2:3]
	v_cmp_ne_u32_e32 vcc, 5, v103
	s_waitcnt lgkmcnt(0)
	s_barrier
	s_and_saveexec_b64 s[2:3], vcc
	s_xor_b64 s[2:3], exec, s[2:3]
	s_andn2_saveexec_b64 s[2:3], s[2:3]
	s_cbranch_execz .LBB67_30
; %bb.27:
	s_waitcnt vmcnt(4)
	ds_write_b32 v105, v99
	s_waitcnt vmcnt(2)
	ds_write2_b64 v107, v[94:95], v[90:91] offset0:3 offset1:4
	ds_write2_b64 v107, v[78:79], v[88:89] offset0:5 offset1:6
	;; [unrolled: 1-line block ×7, first 2 shown]
	ds_read_b32 v112, v105
	s_waitcnt lgkmcnt(0)
	v_cmp_neq_f32_e32 vcc, 0, v112
	s_and_saveexec_b64 s[4:5], vcc
	s_cbranch_execz .LBB67_29
; %bb.28:
	v_div_scale_f32 v113, s[10:11], v112, v112, 1.0
	v_rcp_f32_e32 v114, v113
	v_div_scale_f32 v115, vcc, 1.0, v112, 1.0
	v_fma_f32 v116, -v113, v114, 1.0
	v_fmac_f32_e32 v114, v116, v114
	v_mul_f32_e32 v116, v115, v114
	v_fma_f32 v117, -v113, v116, v115
	v_fmac_f32_e32 v116, v117, v114
	v_fma_f32 v113, -v113, v116, v115
	v_div_fmas_f32 v113, v113, v114, v116
	v_div_fixup_f32 v112, v113, v112, 1.0
	ds_write_b32 v105, v112
.LBB67_29:
	s_or_b64 exec, exec, s[4:5]
.LBB67_30:
	s_or_b64 exec, exec, s[2:3]
	s_waitcnt lgkmcnt(0)
	s_barrier
	ds_read_b32 v112, v105
	v_cmp_lt_u32_e32 vcc, 5, v103
	s_and_saveexec_b64 s[2:3], vcc
	s_cbranch_execz .LBB67_32
; %bb.31:
	ds_read2_b64 v[114:117], v107 offset0:3 offset1:4
	ds_read2_b64 v[118:121], v107 offset0:5 offset1:6
	s_waitcnt vmcnt(4) lgkmcnt(2)
	v_mul_f32_e32 v126, v112, v99
	ds_read2_b64 v[122:125], v107 offset0:7 offset1:8
	v_mov_b32_e32 v99, v126
	s_waitcnt vmcnt(2) lgkmcnt(2)
	v_pk_fma_f32 v[94:95], v[126:127], v[114:115], v[94:95] op_sel_hi:[0,1,1] neg_lo:[1,0,0] neg_hi:[1,0,0]
	v_pk_fma_f32 v[90:91], v[126:127], v[116:117], v[90:91] op_sel_hi:[0,1,1] neg_lo:[1,0,0] neg_hi:[1,0,0]
	ds_read2_b64 v[114:117], v107 offset0:9 offset1:10
	s_waitcnt lgkmcnt(2)
	v_pk_fma_f32 v[78:79], v[126:127], v[118:119], v[78:79] op_sel_hi:[0,1,1] neg_lo:[1,0,0] neg_hi:[1,0,0]
	v_pk_fma_f32 v[88:89], v[126:127], v[120:121], v[88:89] op_sel_hi:[0,1,1] neg_lo:[1,0,0] neg_hi:[1,0,0]
	s_waitcnt lgkmcnt(1)
	v_pk_fma_f32 v[76:77], v[126:127], v[122:123], v[76:77] op_sel_hi:[0,1,1] neg_lo:[1,0,0] neg_hi:[1,0,0]
	v_pk_fma_f32 v[86:87], v[126:127], v[124:125], v[86:87] op_sel_hi:[0,1,1] neg_lo:[1,0,0] neg_hi:[1,0,0]
	ds_read2_b64 v[118:121], v107 offset0:11 offset1:12
	ds_read2_b64 v[122:125], v107 offset0:13 offset1:14
	s_waitcnt lgkmcnt(2)
	v_pk_fma_f32 v[74:75], v[126:127], v[114:115], v[74:75] op_sel_hi:[0,1,1] neg_lo:[1,0,0] neg_hi:[1,0,0]
	v_pk_fma_f32 v[84:85], v[126:127], v[116:117], v[84:85] op_sel_hi:[0,1,1] neg_lo:[1,0,0] neg_hi:[1,0,0]
	ds_read2_b64 v[114:117], v107 offset0:15 offset1:16
	s_waitcnt lgkmcnt(2)
	v_pk_fma_f32 v[72:73], v[126:127], v[118:119], v[72:73] op_sel_hi:[0,1,1] neg_lo:[1,0,0] neg_hi:[1,0,0]
	v_pk_fma_f32 v[82:83], v[126:127], v[120:121], v[82:83] op_sel_hi:[0,1,1] neg_lo:[1,0,0] neg_hi:[1,0,0]
	s_waitcnt lgkmcnt(1)
	v_pk_fma_f32 v[70:71], v[126:127], v[122:123], v[70:71] op_sel_hi:[0,1,1] neg_lo:[1,0,0] neg_hi:[1,0,0]
	v_pk_fma_f32 v[80:81], v[126:127], v[124:125], v[80:81] op_sel_hi:[0,1,1] neg_lo:[1,0,0] neg_hi:[1,0,0]
	s_waitcnt lgkmcnt(0)
	v_pk_fma_f32 v[68:69], v[126:127], v[114:115], v[68:69] op_sel_hi:[0,1,1] neg_lo:[1,0,0] neg_hi:[1,0,0]
	v_pk_fma_f32 v[92:93], v[126:127], v[116:117], v[92:93] op_sel_hi:[0,1,1] neg_lo:[1,0,0] neg_hi:[1,0,0]
.LBB67_32:
	s_or_b64 exec, exec, s[2:3]
	v_cmp_eq_u32_e32 vcc, 6, v103
	s_waitcnt lgkmcnt(0)
	s_barrier
	s_and_saveexec_b64 s[2:3], vcc
	s_cbranch_execz .LBB67_35
; %bb.33:
	s_waitcnt vmcnt(2)
	v_pk_mov_b32 v[114:115], v[94:95], v[90:91] op_sel:[1,0]
	ds_write_b32 v105, v94
	ds_write2_b32 v107, v114, v115 offset0:7 offset1:8
	v_pk_mov_b32 v[114:115], v[90:91], v[78:79] op_sel:[1,0]
	ds_write2_b32 v107, v114, v115 offset0:9 offset1:10
	v_pk_mov_b32 v[114:115], v[78:79], v[88:89] op_sel:[1,0]
	;; [unrolled: 2-line block ×12, first 2 shown]
	ds_write2_b32 v107, v114, v115 offset0:31 offset1:32
	ds_write_b32 v107, v93 offset:132
	ds_read_b32 v113, v105
	s_waitcnt lgkmcnt(0)
	v_cmp_neq_f32_e32 vcc, 0, v113
	s_and_b64 exec, exec, vcc
	s_cbranch_execz .LBB67_35
; %bb.34:
	v_div_scale_f32 v114, s[4:5], v113, v113, 1.0
	v_rcp_f32_e32 v115, v114
	v_div_scale_f32 v116, vcc, 1.0, v113, 1.0
	v_fma_f32 v117, -v114, v115, 1.0
	v_fmac_f32_e32 v115, v117, v115
	v_mul_f32_e32 v117, v116, v115
	v_fma_f32 v118, -v114, v117, v116
	v_fmac_f32_e32 v117, v118, v115
	v_fma_f32 v114, -v114, v117, v116
	v_div_fmas_f32 v114, v114, v115, v117
	v_div_fixup_f32 v113, v114, v113, 1.0
	ds_write_b32 v105, v113
.LBB67_35:
	s_or_b64 exec, exec, s[2:3]
	s_waitcnt lgkmcnt(0)
	s_barrier
	ds_read_b32 v113, v105
	v_cmp_lt_u32_e32 vcc, 6, v103
	s_and_saveexec_b64 s[2:3], vcc
	s_cbranch_execz .LBB67_37
; %bb.36:
	ds_read_b32 v126, v107 offset:28
	ds_read2_b64 v[114:117], v107 offset0:4 offset1:5
	s_waitcnt vmcnt(3) lgkmcnt(2)
	v_mul_f32_e32 v94, v113, v94
	ds_read2_b64 v[118:121], v107 offset0:6 offset1:7
	ds_read2_b64 v[122:125], v107 offset0:8 offset1:9
	s_waitcnt vmcnt(2) lgkmcnt(3)
	v_fma_f32 v95, -v94, v126, v95
	s_waitcnt lgkmcnt(2)
	v_pk_fma_f32 v[90:91], v[94:95], v[114:115], v[90:91] op_sel_hi:[0,1,1] neg_lo:[1,0,0] neg_hi:[1,0,0]
	v_pk_fma_f32 v[78:79], v[94:95], v[116:117], v[78:79] op_sel_hi:[0,1,1] neg_lo:[1,0,0] neg_hi:[1,0,0]
	ds_read2_b64 v[114:117], v107 offset0:10 offset1:11
	s_waitcnt lgkmcnt(2)
	v_pk_fma_f32 v[88:89], v[94:95], v[118:119], v[88:89] op_sel_hi:[0,1,1] neg_lo:[1,0,0] neg_hi:[1,0,0]
	v_pk_fma_f32 v[76:77], v[94:95], v[120:121], v[76:77] op_sel_hi:[0,1,1] neg_lo:[1,0,0] neg_hi:[1,0,0]
	s_waitcnt lgkmcnt(1)
	v_pk_fma_f32 v[86:87], v[94:95], v[122:123], v[86:87] op_sel_hi:[0,1,1] neg_lo:[1,0,0] neg_hi:[1,0,0]
	v_pk_fma_f32 v[74:75], v[94:95], v[124:125], v[74:75] op_sel_hi:[0,1,1] neg_lo:[1,0,0] neg_hi:[1,0,0]
	ds_read2_b64 v[118:121], v107 offset0:12 offset1:13
	s_waitcnt lgkmcnt(1)
	v_pk_fma_f32 v[84:85], v[94:95], v[114:115], v[84:85] op_sel_hi:[0,1,1] neg_lo:[1,0,0] neg_hi:[1,0,0]
	ds_read2_b64 v[122:125], v107 offset0:14 offset1:15
	ds_read_b64 v[114:115], v107 offset:128
	v_pk_fma_f32 v[72:73], v[94:95], v[116:117], v[72:73] op_sel_hi:[0,1,1] neg_lo:[1,0,0] neg_hi:[1,0,0]
	s_waitcnt lgkmcnt(2)
	v_pk_fma_f32 v[82:83], v[94:95], v[118:119], v[82:83] op_sel_hi:[0,1,1] neg_lo:[1,0,0] neg_hi:[1,0,0]
	v_pk_fma_f32 v[70:71], v[94:95], v[120:121], v[70:71] op_sel_hi:[0,1,1] neg_lo:[1,0,0] neg_hi:[1,0,0]
	s_waitcnt lgkmcnt(1)
	v_pk_fma_f32 v[80:81], v[94:95], v[122:123], v[80:81] op_sel_hi:[0,1,1] neg_lo:[1,0,0] neg_hi:[1,0,0]
	;; [unrolled: 3-line block ×3, first 2 shown]
.LBB67_37:
	s_or_b64 exec, exec, s[2:3]
	v_cmp_ne_u32_e32 vcc, 7, v103
	s_waitcnt lgkmcnt(0)
	s_barrier
	s_and_saveexec_b64 s[2:3], vcc
	s_xor_b64 s[2:3], exec, s[2:3]
	s_andn2_saveexec_b64 s[2:3], s[2:3]
	s_cbranch_execz .LBB67_41
; %bb.38:
	s_waitcnt vmcnt(33)
	v_mov_b32_e32 v114, v90
	s_waitcnt vmcnt(32)
	v_mov_b32_e32 v115, v91
	;; [unrolled: 2-line block ×4, first 2 shown]
	s_waitcnt vmcnt(2)
	ds_write_b32 v105, v95
	ds_write2_b64 v107, v[114:115], v[116:117] offset0:4 offset1:5
	v_mov_b32_e32 v114, v88
	v_mov_b32_e32 v115, v89
	v_mov_b32_e32 v116, v76
	v_mov_b32_e32 v117, v77
	ds_write2_b64 v107, v[114:115], v[116:117] offset0:6 offset1:7
	v_mov_b32_e32 v114, v86
	v_mov_b32_e32 v115, v87
	v_mov_b32_e32 v116, v74
	v_mov_b32_e32 v117, v75
	;; [unrolled: 5-line block ×5, first 2 shown]
	ds_write2_b64 v107, v[114:115], v[116:117] offset0:14 offset1:15
	ds_write_b64 v107, v[92:93] offset:128
	ds_read_b32 v114, v105
	s_waitcnt lgkmcnt(0)
	v_cmp_neq_f32_e32 vcc, 0, v114
	s_and_saveexec_b64 s[4:5], vcc
	s_cbranch_execz .LBB67_40
; %bb.39:
	v_div_scale_f32 v115, s[10:11], v114, v114, 1.0
	v_rcp_f32_e32 v116, v115
	v_div_scale_f32 v117, vcc, 1.0, v114, 1.0
	v_fma_f32 v118, -v115, v116, 1.0
	v_fmac_f32_e32 v116, v118, v116
	v_mul_f32_e32 v118, v117, v116
	v_fma_f32 v119, -v115, v118, v117
	v_fmac_f32_e32 v118, v119, v116
	v_fma_f32 v115, -v115, v118, v117
	v_div_fmas_f32 v115, v115, v116, v118
	v_div_fixup_f32 v114, v115, v114, 1.0
	ds_write_b32 v105, v114
.LBB67_40:
	s_or_b64 exec, exec, s[4:5]
.LBB67_41:
	s_or_b64 exec, exec, s[2:3]
	s_waitcnt lgkmcnt(0)
	s_barrier
	ds_read_b32 v114, v105
	v_cmp_lt_u32_e32 vcc, 7, v103
	s_and_saveexec_b64 s[2:3], vcc
	s_cbranch_execz .LBB67_43
; %bb.42:
	ds_read2_b64 v[116:119], v107 offset0:4 offset1:5
	ds_read2_b64 v[120:123], v107 offset0:6 offset1:7
	s_waitcnt vmcnt(2) lgkmcnt(2)
	v_mul_f32_e32 v128, v114, v95
	ds_read2_b64 v[124:127], v107 offset0:8 offset1:9
	v_mov_b32_e32 v95, v128
	s_waitcnt lgkmcnt(2)
	v_pk_fma_f32 v[90:91], v[128:129], v[116:117], v[90:91] op_sel_hi:[0,1,1] neg_lo:[1,0,0] neg_hi:[1,0,0]
	v_pk_fma_f32 v[78:79], v[128:129], v[118:119], v[78:79] op_sel_hi:[0,1,1] neg_lo:[1,0,0] neg_hi:[1,0,0]
	ds_read2_b64 v[116:119], v107 offset0:10 offset1:11
	s_waitcnt lgkmcnt(2)
	v_pk_fma_f32 v[88:89], v[128:129], v[120:121], v[88:89] op_sel_hi:[0,1,1] neg_lo:[1,0,0] neg_hi:[1,0,0]
	v_pk_fma_f32 v[76:77], v[128:129], v[122:123], v[76:77] op_sel_hi:[0,1,1] neg_lo:[1,0,0] neg_hi:[1,0,0]
	s_waitcnt lgkmcnt(1)
	v_pk_fma_f32 v[86:87], v[128:129], v[124:125], v[86:87] op_sel_hi:[0,1,1] neg_lo:[1,0,0] neg_hi:[1,0,0]
	v_pk_fma_f32 v[74:75], v[128:129], v[126:127], v[74:75] op_sel_hi:[0,1,1] neg_lo:[1,0,0] neg_hi:[1,0,0]
	ds_read2_b64 v[120:123], v107 offset0:12 offset1:13
	ds_read2_b64 v[124:127], v107 offset0:14 offset1:15
	s_waitcnt lgkmcnt(2)
	v_pk_fma_f32 v[84:85], v[128:129], v[116:117], v[84:85] op_sel_hi:[0,1,1] neg_lo:[1,0,0] neg_hi:[1,0,0]
	ds_read_b64 v[116:117], v107 offset:128
	v_pk_fma_f32 v[72:73], v[128:129], v[118:119], v[72:73] op_sel_hi:[0,1,1] neg_lo:[1,0,0] neg_hi:[1,0,0]
	s_waitcnt lgkmcnt(2)
	v_pk_fma_f32 v[82:83], v[128:129], v[120:121], v[82:83] op_sel_hi:[0,1,1] neg_lo:[1,0,0] neg_hi:[1,0,0]
	v_pk_fma_f32 v[70:71], v[128:129], v[122:123], v[70:71] op_sel_hi:[0,1,1] neg_lo:[1,0,0] neg_hi:[1,0,0]
	s_waitcnt lgkmcnt(1)
	v_pk_fma_f32 v[80:81], v[128:129], v[124:125], v[80:81] op_sel_hi:[0,1,1] neg_lo:[1,0,0] neg_hi:[1,0,0]
	;; [unrolled: 3-line block ×3, first 2 shown]
.LBB67_43:
	s_or_b64 exec, exec, s[2:3]
	v_cmp_eq_u32_e32 vcc, 8, v103
	s_waitcnt lgkmcnt(0)
	s_barrier
	s_and_saveexec_b64 s[2:3], vcc
	s_cbranch_execz .LBB67_46
; %bb.44:
	s_waitcnt vmcnt(30)
	v_pk_mov_b32 v[116:117], v[90:91], v[78:79] op_sel:[1,0]
	ds_write_b32 v105, v90
	ds_write2_b32 v107, v116, v117 offset0:9 offset1:10
	s_waitcnt vmcnt(28)
	v_pk_mov_b32 v[116:117], v[78:79], v[88:89] op_sel:[1,0]
	ds_write2_b32 v107, v116, v117 offset0:11 offset1:12
	s_waitcnt vmcnt(26)
	v_pk_mov_b32 v[116:117], v[88:89], v[76:77] op_sel:[1,0]
	;; [unrolled: 3-line block ×11, first 2 shown]
	ds_write2_b32 v107, v116, v117 offset0:31 offset1:32
	ds_write_b32 v107, v93 offset:132
	ds_read_b32 v115, v105
	s_waitcnt lgkmcnt(0)
	v_cmp_neq_f32_e32 vcc, 0, v115
	s_and_b64 exec, exec, vcc
	s_cbranch_execz .LBB67_46
; %bb.45:
	v_div_scale_f32 v116, s[4:5], v115, v115, 1.0
	v_rcp_f32_e32 v117, v116
	v_div_scale_f32 v118, vcc, 1.0, v115, 1.0
	v_fma_f32 v119, -v116, v117, 1.0
	v_fmac_f32_e32 v117, v119, v117
	v_mul_f32_e32 v119, v118, v117
	v_fma_f32 v120, -v116, v119, v118
	v_fmac_f32_e32 v119, v120, v117
	v_fma_f32 v116, -v116, v119, v118
	v_div_fmas_f32 v116, v116, v117, v119
	v_div_fixup_f32 v115, v116, v115, 1.0
	ds_write_b32 v105, v115
.LBB67_46:
	s_or_b64 exec, exec, s[2:3]
	s_waitcnt lgkmcnt(0)
	s_barrier
	ds_read_b32 v115, v105
	v_cmp_lt_u32_e32 vcc, 8, v103
	s_and_saveexec_b64 s[2:3], vcc
	s_cbranch_execz .LBB67_48
; %bb.47:
	ds_read_b32 v116, v107 offset:36
	s_waitcnt vmcnt(33) lgkmcnt(1)
	v_mul_f32_e32 v90, v115, v90
	s_waitcnt vmcnt(32) lgkmcnt(0)
	v_fma_f32 v91, -v90, v116, v91
	ds_read2_b64 v[116:119], v107 offset0:5 offset1:6
	s_waitcnt vmcnt(30) lgkmcnt(0)
	v_pk_fma_f32 v[78:79], v[90:91], v[116:117], v[78:79] op_sel_hi:[0,1,1] neg_lo:[1,0,0] neg_hi:[1,0,0]
	s_waitcnt vmcnt(28)
	v_pk_fma_f32 v[88:89], v[90:91], v[118:119], v[88:89] op_sel_hi:[0,1,1] neg_lo:[1,0,0] neg_hi:[1,0,0]
	ds_read2_b64 v[116:119], v107 offset0:7 offset1:8
	s_waitcnt vmcnt(26) lgkmcnt(0)
	v_pk_fma_f32 v[76:77], v[90:91], v[116:117], v[76:77] op_sel_hi:[0,1,1] neg_lo:[1,0,0] neg_hi:[1,0,0]
	s_waitcnt vmcnt(24)
	v_pk_fma_f32 v[86:87], v[90:91], v[118:119], v[86:87] op_sel_hi:[0,1,1] neg_lo:[1,0,0] neg_hi:[1,0,0]
	;; [unrolled: 5-line block ×6, first 2 shown]
.LBB67_48:
	s_or_b64 exec, exec, s[2:3]
	v_cmp_ne_u32_e32 vcc, 9, v103
	s_waitcnt lgkmcnt(0)
	s_barrier
	s_and_saveexec_b64 s[2:3], vcc
	s_xor_b64 s[2:3], exec, s[2:3]
	s_andn2_saveexec_b64 s[2:3], s[2:3]
	s_cbranch_execz .LBB67_52
; %bb.49:
	s_waitcnt vmcnt(32)
	ds_write_b32 v105, v91
	s_waitcnt vmcnt(28)
	ds_write2_b64 v107, v[78:79], v[88:89] offset0:5 offset1:6
	s_waitcnt vmcnt(24)
	ds_write2_b64 v107, v[76:77], v[86:87] offset0:7 offset1:8
	;; [unrolled: 2-line block ×6, first 2 shown]
	ds_read_b32 v116, v105
	s_waitcnt lgkmcnt(0)
	v_cmp_neq_f32_e32 vcc, 0, v116
	s_and_saveexec_b64 s[4:5], vcc
	s_cbranch_execz .LBB67_51
; %bb.50:
	v_div_scale_f32 v117, s[10:11], v116, v116, 1.0
	v_rcp_f32_e32 v118, v117
	v_div_scale_f32 v119, vcc, 1.0, v116, 1.0
	v_fma_f32 v120, -v117, v118, 1.0
	v_fmac_f32_e32 v118, v120, v118
	v_mul_f32_e32 v120, v119, v118
	v_fma_f32 v121, -v117, v120, v119
	v_fmac_f32_e32 v120, v121, v118
	v_fma_f32 v117, -v117, v120, v119
	v_div_fmas_f32 v117, v117, v118, v120
	v_div_fixup_f32 v116, v117, v116, 1.0
	ds_write_b32 v105, v116
.LBB67_51:
	s_or_b64 exec, exec, s[4:5]
.LBB67_52:
	s_or_b64 exec, exec, s[2:3]
	s_waitcnt lgkmcnt(0)
	s_barrier
	ds_read_b32 v116, v105
	v_cmp_lt_u32_e32 vcc, 9, v103
	s_and_saveexec_b64 s[2:3], vcc
	s_cbranch_execz .LBB67_54
; %bb.53:
	ds_read2_b64 v[118:121], v107 offset0:5 offset1:6
	s_waitcnt vmcnt(32) lgkmcnt(1)
	v_mul_f32_e32 v122, v116, v91
	v_mov_b32_e32 v91, v122
	s_waitcnt vmcnt(30) lgkmcnt(0)
	v_pk_fma_f32 v[78:79], v[122:123], v[118:119], v[78:79] op_sel_hi:[0,1,1] neg_lo:[1,0,0] neg_hi:[1,0,0]
	s_waitcnt vmcnt(28)
	v_pk_fma_f32 v[88:89], v[122:123], v[120:121], v[88:89] op_sel_hi:[0,1,1] neg_lo:[1,0,0] neg_hi:[1,0,0]
	ds_read2_b64 v[118:121], v107 offset0:7 offset1:8
	s_waitcnt vmcnt(26) lgkmcnt(0)
	v_pk_fma_f32 v[76:77], v[122:123], v[118:119], v[76:77] op_sel_hi:[0,1,1] neg_lo:[1,0,0] neg_hi:[1,0,0]
	s_waitcnt vmcnt(24)
	v_pk_fma_f32 v[86:87], v[122:123], v[120:121], v[86:87] op_sel_hi:[0,1,1] neg_lo:[1,0,0] neg_hi:[1,0,0]
	ds_read2_b64 v[118:121], v107 offset0:9 offset1:10
	s_waitcnt vmcnt(22) lgkmcnt(0)
	v_pk_fma_f32 v[74:75], v[122:123], v[118:119], v[74:75] op_sel_hi:[0,1,1] neg_lo:[1,0,0] neg_hi:[1,0,0]
	s_waitcnt vmcnt(20)
	v_pk_fma_f32 v[84:85], v[122:123], v[120:121], v[84:85] op_sel_hi:[0,1,1] neg_lo:[1,0,0] neg_hi:[1,0,0]
	ds_read2_b64 v[118:121], v107 offset0:11 offset1:12
	s_waitcnt vmcnt(18) lgkmcnt(0)
	v_pk_fma_f32 v[72:73], v[122:123], v[118:119], v[72:73] op_sel_hi:[0,1,1] neg_lo:[1,0,0] neg_hi:[1,0,0]
	s_waitcnt vmcnt(16)
	v_pk_fma_f32 v[82:83], v[122:123], v[120:121], v[82:83] op_sel_hi:[0,1,1] neg_lo:[1,0,0] neg_hi:[1,0,0]
	ds_read2_b64 v[118:121], v107 offset0:13 offset1:14
	s_waitcnt vmcnt(14) lgkmcnt(0)
	v_pk_fma_f32 v[70:71], v[122:123], v[118:119], v[70:71] op_sel_hi:[0,1,1] neg_lo:[1,0,0] neg_hi:[1,0,0]
	s_waitcnt vmcnt(12)
	v_pk_fma_f32 v[80:81], v[122:123], v[120:121], v[80:81] op_sel_hi:[0,1,1] neg_lo:[1,0,0] neg_hi:[1,0,0]
	ds_read2_b64 v[118:121], v107 offset0:15 offset1:16
	s_waitcnt vmcnt(10) lgkmcnt(0)
	v_pk_fma_f32 v[68:69], v[122:123], v[118:119], v[68:69] op_sel_hi:[0,1,1] neg_lo:[1,0,0] neg_hi:[1,0,0]
	s_waitcnt vmcnt(8)
	v_pk_fma_f32 v[92:93], v[122:123], v[120:121], v[92:93] op_sel_hi:[0,1,1] neg_lo:[1,0,0] neg_hi:[1,0,0]
.LBB67_54:
	s_or_b64 exec, exec, s[2:3]
	v_cmp_eq_u32_e32 vcc, 10, v103
	s_waitcnt lgkmcnt(0)
	s_barrier
	s_and_saveexec_b64 s[2:3], vcc
	s_cbranch_execz .LBB67_57
; %bb.55:
	s_waitcnt vmcnt(28)
	v_pk_mov_b32 v[118:119], v[78:79], v[88:89] op_sel:[1,0]
	ds_write_b32 v105, v78
	ds_write2_b32 v107, v118, v119 offset0:11 offset1:12
	s_waitcnt vmcnt(26)
	v_pk_mov_b32 v[118:119], v[88:89], v[76:77] op_sel:[1,0]
	ds_write2_b32 v107, v118, v119 offset0:13 offset1:14
	s_waitcnt vmcnt(24)
	v_pk_mov_b32 v[118:119], v[76:77], v[86:87] op_sel:[1,0]
	;; [unrolled: 3-line block ×10, first 2 shown]
	ds_write2_b32 v107, v118, v119 offset0:31 offset1:32
	ds_write_b32 v107, v93 offset:132
	ds_read_b32 v117, v105
	s_waitcnt lgkmcnt(0)
	v_cmp_neq_f32_e32 vcc, 0, v117
	s_and_b64 exec, exec, vcc
	s_cbranch_execz .LBB67_57
; %bb.56:
	v_div_scale_f32 v118, s[4:5], v117, v117, 1.0
	v_rcp_f32_e32 v119, v118
	v_div_scale_f32 v120, vcc, 1.0, v117, 1.0
	v_fma_f32 v121, -v118, v119, 1.0
	v_fmac_f32_e32 v119, v121, v119
	v_mul_f32_e32 v121, v120, v119
	v_fma_f32 v122, -v118, v121, v120
	v_fmac_f32_e32 v121, v122, v119
	v_fma_f32 v118, -v118, v121, v120
	v_div_fmas_f32 v118, v118, v119, v121
	v_div_fixup_f32 v117, v118, v117, 1.0
	ds_write_b32 v105, v117
.LBB67_57:
	s_or_b64 exec, exec, s[2:3]
	s_waitcnt lgkmcnt(0)
	s_barrier
	ds_read_b32 v117, v105
	v_cmp_lt_u32_e32 vcc, 10, v103
	s_and_saveexec_b64 s[2:3], vcc
	s_cbranch_execz .LBB67_59
; %bb.58:
	ds_read_b32 v118, v107 offset:44
	s_waitcnt vmcnt(31) lgkmcnt(1)
	v_mul_f32_e32 v78, v117, v78
	s_waitcnt vmcnt(30) lgkmcnt(0)
	v_fma_f32 v79, -v78, v118, v79
	ds_read2_b64 v[118:121], v107 offset0:6 offset1:7
	s_waitcnt vmcnt(28) lgkmcnt(0)
	v_pk_fma_f32 v[88:89], v[78:79], v[118:119], v[88:89] op_sel_hi:[0,1,1] neg_lo:[1,0,0] neg_hi:[1,0,0]
	s_waitcnt vmcnt(26)
	v_pk_fma_f32 v[76:77], v[78:79], v[120:121], v[76:77] op_sel_hi:[0,1,1] neg_lo:[1,0,0] neg_hi:[1,0,0]
	ds_read2_b64 v[118:121], v107 offset0:8 offset1:9
	s_waitcnt vmcnt(24) lgkmcnt(0)
	v_pk_fma_f32 v[86:87], v[78:79], v[118:119], v[86:87] op_sel_hi:[0,1,1] neg_lo:[1,0,0] neg_hi:[1,0,0]
	s_waitcnt vmcnt(22)
	v_pk_fma_f32 v[74:75], v[78:79], v[120:121], v[74:75] op_sel_hi:[0,1,1] neg_lo:[1,0,0] neg_hi:[1,0,0]
	;; [unrolled: 5-line block ×4, first 2 shown]
	ds_read2_b64 v[118:121], v107 offset0:14 offset1:15
	s_waitcnt vmcnt(12) lgkmcnt(0)
	v_pk_fma_f32 v[80:81], v[78:79], v[118:119], v[80:81] op_sel_hi:[0,1,1] neg_lo:[1,0,0] neg_hi:[1,0,0]
	ds_read_b64 v[118:119], v107 offset:128
	s_waitcnt vmcnt(10)
	v_pk_fma_f32 v[68:69], v[78:79], v[120:121], v[68:69] op_sel_hi:[0,1,1] neg_lo:[1,0,0] neg_hi:[1,0,0]
	s_waitcnt vmcnt(8) lgkmcnt(0)
	v_pk_fma_f32 v[92:93], v[78:79], v[118:119], v[92:93] op_sel_hi:[0,1,1] neg_lo:[1,0,0] neg_hi:[1,0,0]
.LBB67_59:
	s_or_b64 exec, exec, s[2:3]
	v_cmp_ne_u32_e32 vcc, 11, v103
	s_waitcnt lgkmcnt(0)
	s_barrier
	s_and_saveexec_b64 s[2:3], vcc
	s_xor_b64 s[2:3], exec, s[2:3]
	s_andn2_saveexec_b64 s[2:3], s[2:3]
	s_cbranch_execz .LBB67_63
; %bb.60:
	s_waitcnt vmcnt(29)
	v_mov_b32_e32 v118, v88
	s_waitcnt vmcnt(28)
	v_mov_b32_e32 v119, v89
	;; [unrolled: 2-line block ×4, first 2 shown]
	ds_write_b32 v105, v79
	ds_write2_b64 v107, v[118:119], v[120:121] offset0:6 offset1:7
	s_waitcnt vmcnt(25)
	v_mov_b32_e32 v118, v86
	s_waitcnt vmcnt(24)
	v_mov_b32_e32 v119, v87
	s_waitcnt vmcnt(23)
	v_mov_b32_e32 v120, v74
	s_waitcnt vmcnt(22)
	v_mov_b32_e32 v121, v75
	ds_write2_b64 v107, v[118:119], v[120:121] offset0:8 offset1:9
	s_waitcnt vmcnt(21)
	v_mov_b32_e32 v118, v84
	s_waitcnt vmcnt(20)
	v_mov_b32_e32 v119, v85
	s_waitcnt vmcnt(19)
	v_mov_b32_e32 v120, v72
	s_waitcnt vmcnt(18)
	v_mov_b32_e32 v121, v73
	;; [unrolled: 9-line block ×4, first 2 shown]
	ds_write2_b64 v107, v[118:119], v[120:121] offset0:14 offset1:15
	s_waitcnt vmcnt(8)
	ds_write_b64 v107, v[92:93] offset:128
	ds_read_b32 v118, v105
	s_waitcnt lgkmcnt(0)
	v_cmp_neq_f32_e32 vcc, 0, v118
	s_and_saveexec_b64 s[4:5], vcc
	s_cbranch_execz .LBB67_62
; %bb.61:
	v_div_scale_f32 v119, s[10:11], v118, v118, 1.0
	v_rcp_f32_e32 v120, v119
	v_div_scale_f32 v121, vcc, 1.0, v118, 1.0
	v_fma_f32 v122, -v119, v120, 1.0
	v_fmac_f32_e32 v120, v122, v120
	v_mul_f32_e32 v122, v121, v120
	v_fma_f32 v123, -v119, v122, v121
	v_fmac_f32_e32 v122, v123, v120
	v_fma_f32 v119, -v119, v122, v121
	v_div_fmas_f32 v119, v119, v120, v122
	v_div_fixup_f32 v118, v119, v118, 1.0
	ds_write_b32 v105, v118
.LBB67_62:
	s_or_b64 exec, exec, s[4:5]
.LBB67_63:
	s_or_b64 exec, exec, s[2:3]
	s_waitcnt lgkmcnt(0)
	s_barrier
	ds_read_b32 v118, v105
	v_cmp_lt_u32_e32 vcc, 11, v103
	s_and_saveexec_b64 s[2:3], vcc
	s_cbranch_execz .LBB67_65
; %bb.64:
	ds_read2_b64 v[120:123], v107 offset0:6 offset1:7
	s_waitcnt vmcnt(30) lgkmcnt(1)
	v_mul_f32_e32 v124, v118, v79
	v_mov_b32_e32 v79, v124
	s_waitcnt vmcnt(28) lgkmcnt(0)
	v_pk_fma_f32 v[88:89], v[124:125], v[120:121], v[88:89] op_sel_hi:[0,1,1] neg_lo:[1,0,0] neg_hi:[1,0,0]
	s_waitcnt vmcnt(26)
	v_pk_fma_f32 v[76:77], v[124:125], v[122:123], v[76:77] op_sel_hi:[0,1,1] neg_lo:[1,0,0] neg_hi:[1,0,0]
	ds_read2_b64 v[120:123], v107 offset0:8 offset1:9
	s_waitcnt vmcnt(24) lgkmcnt(0)
	v_pk_fma_f32 v[86:87], v[124:125], v[120:121], v[86:87] op_sel_hi:[0,1,1] neg_lo:[1,0,0] neg_hi:[1,0,0]
	s_waitcnt vmcnt(22)
	v_pk_fma_f32 v[74:75], v[124:125], v[122:123], v[74:75] op_sel_hi:[0,1,1] neg_lo:[1,0,0] neg_hi:[1,0,0]
	ds_read2_b64 v[120:123], v107 offset0:10 offset1:11
	;; [unrolled: 5-line block ×4, first 2 shown]
	s_waitcnt vmcnt(12) lgkmcnt(0)
	v_pk_fma_f32 v[80:81], v[124:125], v[120:121], v[80:81] op_sel_hi:[0,1,1] neg_lo:[1,0,0] neg_hi:[1,0,0]
	ds_read_b64 v[120:121], v107 offset:128
	s_waitcnt vmcnt(10)
	v_pk_fma_f32 v[68:69], v[124:125], v[122:123], v[68:69] op_sel_hi:[0,1,1] neg_lo:[1,0,0] neg_hi:[1,0,0]
	s_waitcnt vmcnt(8) lgkmcnt(0)
	v_pk_fma_f32 v[92:93], v[124:125], v[120:121], v[92:93] op_sel_hi:[0,1,1] neg_lo:[1,0,0] neg_hi:[1,0,0]
.LBB67_65:
	s_or_b64 exec, exec, s[2:3]
	v_cmp_eq_u32_e32 vcc, 12, v103
	s_waitcnt lgkmcnt(0)
	s_barrier
	s_and_saveexec_b64 s[2:3], vcc
	s_cbranch_execz .LBB67_68
; %bb.66:
	s_waitcnt vmcnt(26)
	v_pk_mov_b32 v[120:121], v[88:89], v[76:77] op_sel:[1,0]
	ds_write_b32 v105, v88
	ds_write2_b32 v107, v120, v121 offset0:13 offset1:14
	s_waitcnt vmcnt(24)
	v_pk_mov_b32 v[120:121], v[76:77], v[86:87] op_sel:[1,0]
	ds_write2_b32 v107, v120, v121 offset0:15 offset1:16
	s_waitcnt vmcnt(22)
	v_pk_mov_b32 v[120:121], v[86:87], v[74:75] op_sel:[1,0]
	;; [unrolled: 3-line block ×9, first 2 shown]
	ds_write2_b32 v107, v120, v121 offset0:31 offset1:32
	ds_write_b32 v107, v93 offset:132
	ds_read_b32 v119, v105
	s_waitcnt lgkmcnt(0)
	v_cmp_neq_f32_e32 vcc, 0, v119
	s_and_b64 exec, exec, vcc
	s_cbranch_execz .LBB67_68
; %bb.67:
	v_div_scale_f32 v120, s[4:5], v119, v119, 1.0
	v_rcp_f32_e32 v121, v120
	v_div_scale_f32 v122, vcc, 1.0, v119, 1.0
	v_fma_f32 v123, -v120, v121, 1.0
	v_fmac_f32_e32 v121, v123, v121
	v_mul_f32_e32 v123, v122, v121
	v_fma_f32 v124, -v120, v123, v122
	v_fmac_f32_e32 v123, v124, v121
	v_fma_f32 v120, -v120, v123, v122
	v_div_fmas_f32 v120, v120, v121, v123
	v_div_fixup_f32 v119, v120, v119, 1.0
	ds_write_b32 v105, v119
.LBB67_68:
	s_or_b64 exec, exec, s[2:3]
	s_waitcnt lgkmcnt(0)
	s_barrier
	ds_read_b32 v119, v105
	v_cmp_lt_u32_e32 vcc, 12, v103
	s_and_saveexec_b64 s[2:3], vcc
	s_cbranch_execz .LBB67_70
; %bb.69:
	ds_read_b32 v120, v107 offset:52
	s_waitcnt vmcnt(29) lgkmcnt(1)
	v_mul_f32_e32 v88, v119, v88
	s_waitcnt vmcnt(28) lgkmcnt(0)
	v_fma_f32 v89, -v88, v120, v89
	ds_read2_b64 v[120:123], v107 offset0:7 offset1:8
	s_waitcnt vmcnt(26) lgkmcnt(0)
	v_pk_fma_f32 v[76:77], v[88:89], v[120:121], v[76:77] op_sel_hi:[0,1,1] neg_lo:[1,0,0] neg_hi:[1,0,0]
	s_waitcnt vmcnt(24)
	v_pk_fma_f32 v[86:87], v[88:89], v[122:123], v[86:87] op_sel_hi:[0,1,1] neg_lo:[1,0,0] neg_hi:[1,0,0]
	ds_read2_b64 v[120:123], v107 offset0:9 offset1:10
	s_waitcnt vmcnt(22) lgkmcnt(0)
	v_pk_fma_f32 v[74:75], v[88:89], v[120:121], v[74:75] op_sel_hi:[0,1,1] neg_lo:[1,0,0] neg_hi:[1,0,0]
	s_waitcnt vmcnt(20)
	v_pk_fma_f32 v[84:85], v[88:89], v[122:123], v[84:85] op_sel_hi:[0,1,1] neg_lo:[1,0,0] neg_hi:[1,0,0]
	;; [unrolled: 5-line block ×5, first 2 shown]
.LBB67_70:
	s_or_b64 exec, exec, s[2:3]
	v_cmp_ne_u32_e32 vcc, 13, v103
	s_waitcnt lgkmcnt(0)
	s_barrier
	s_and_saveexec_b64 s[2:3], vcc
	s_xor_b64 s[2:3], exec, s[2:3]
	s_andn2_saveexec_b64 s[2:3], s[2:3]
	s_cbranch_execz .LBB67_74
; %bb.71:
	s_waitcnt vmcnt(28)
	ds_write_b32 v105, v89
	s_waitcnt vmcnt(24)
	ds_write2_b64 v107, v[76:77], v[86:87] offset0:7 offset1:8
	s_waitcnt vmcnt(20)
	ds_write2_b64 v107, v[74:75], v[84:85] offset0:9 offset1:10
	;; [unrolled: 2-line block ×5, first 2 shown]
	ds_read_b32 v120, v105
	s_waitcnt lgkmcnt(0)
	v_cmp_neq_f32_e32 vcc, 0, v120
	s_and_saveexec_b64 s[4:5], vcc
	s_cbranch_execz .LBB67_73
; %bb.72:
	v_div_scale_f32 v121, s[10:11], v120, v120, 1.0
	v_rcp_f32_e32 v122, v121
	v_div_scale_f32 v123, vcc, 1.0, v120, 1.0
	v_fma_f32 v124, -v121, v122, 1.0
	v_fmac_f32_e32 v122, v124, v122
	v_mul_f32_e32 v124, v123, v122
	v_fma_f32 v125, -v121, v124, v123
	v_fmac_f32_e32 v124, v125, v122
	v_fma_f32 v121, -v121, v124, v123
	v_div_fmas_f32 v121, v121, v122, v124
	v_div_fixup_f32 v120, v121, v120, 1.0
	ds_write_b32 v105, v120
.LBB67_73:
	s_or_b64 exec, exec, s[4:5]
.LBB67_74:
	s_or_b64 exec, exec, s[2:3]
	s_waitcnt lgkmcnt(0)
	s_barrier
	ds_read_b32 v120, v105
	v_cmp_lt_u32_e32 vcc, 13, v103
	s_and_saveexec_b64 s[2:3], vcc
	s_cbranch_execz .LBB67_76
; %bb.75:
	ds_read2_b64 v[122:125], v107 offset0:7 offset1:8
	s_waitcnt vmcnt(28) lgkmcnt(1)
	v_mul_f32_e32 v126, v120, v89
	v_mov_b32_e32 v89, v126
	s_waitcnt vmcnt(26) lgkmcnt(0)
	v_pk_fma_f32 v[76:77], v[126:127], v[122:123], v[76:77] op_sel_hi:[0,1,1] neg_lo:[1,0,0] neg_hi:[1,0,0]
	s_waitcnt vmcnt(24)
	v_pk_fma_f32 v[86:87], v[126:127], v[124:125], v[86:87] op_sel_hi:[0,1,1] neg_lo:[1,0,0] neg_hi:[1,0,0]
	ds_read2_b64 v[122:125], v107 offset0:9 offset1:10
	s_waitcnt vmcnt(22) lgkmcnt(0)
	v_pk_fma_f32 v[74:75], v[126:127], v[122:123], v[74:75] op_sel_hi:[0,1,1] neg_lo:[1,0,0] neg_hi:[1,0,0]
	s_waitcnt vmcnt(20)
	v_pk_fma_f32 v[84:85], v[126:127], v[124:125], v[84:85] op_sel_hi:[0,1,1] neg_lo:[1,0,0] neg_hi:[1,0,0]
	ds_read2_b64 v[122:125], v107 offset0:11 offset1:12
	;; [unrolled: 5-line block ×4, first 2 shown]
	s_waitcnt vmcnt(10) lgkmcnt(0)
	v_pk_fma_f32 v[68:69], v[126:127], v[122:123], v[68:69] op_sel_hi:[0,1,1] neg_lo:[1,0,0] neg_hi:[1,0,0]
	s_waitcnt vmcnt(8)
	v_pk_fma_f32 v[92:93], v[126:127], v[124:125], v[92:93] op_sel_hi:[0,1,1] neg_lo:[1,0,0] neg_hi:[1,0,0]
.LBB67_76:
	s_or_b64 exec, exec, s[2:3]
	v_cmp_eq_u32_e32 vcc, 14, v103
	s_waitcnt lgkmcnt(0)
	s_barrier
	s_and_saveexec_b64 s[2:3], vcc
	s_cbranch_execz .LBB67_79
; %bb.77:
	s_waitcnt vmcnt(24)
	v_pk_mov_b32 v[122:123], v[76:77], v[86:87] op_sel:[1,0]
	ds_write_b32 v105, v76
	ds_write2_b32 v107, v122, v123 offset0:15 offset1:16
	s_waitcnt vmcnt(22)
	v_pk_mov_b32 v[122:123], v[86:87], v[74:75] op_sel:[1,0]
	ds_write2_b32 v107, v122, v123 offset0:17 offset1:18
	s_waitcnt vmcnt(20)
	v_pk_mov_b32 v[122:123], v[74:75], v[84:85] op_sel:[1,0]
	;; [unrolled: 3-line block ×8, first 2 shown]
	ds_write2_b32 v107, v122, v123 offset0:31 offset1:32
	ds_write_b32 v107, v93 offset:132
	ds_read_b32 v121, v105
	s_waitcnt lgkmcnt(0)
	v_cmp_neq_f32_e32 vcc, 0, v121
	s_and_b64 exec, exec, vcc
	s_cbranch_execz .LBB67_79
; %bb.78:
	v_div_scale_f32 v122, s[4:5], v121, v121, 1.0
	v_rcp_f32_e32 v123, v122
	v_div_scale_f32 v124, vcc, 1.0, v121, 1.0
	v_fma_f32 v125, -v122, v123, 1.0
	v_fmac_f32_e32 v123, v125, v123
	v_mul_f32_e32 v125, v124, v123
	v_fma_f32 v126, -v122, v125, v124
	v_fmac_f32_e32 v125, v126, v123
	v_fma_f32 v122, -v122, v125, v124
	v_div_fmas_f32 v122, v122, v123, v125
	v_div_fixup_f32 v121, v122, v121, 1.0
	ds_write_b32 v105, v121
.LBB67_79:
	s_or_b64 exec, exec, s[2:3]
	s_waitcnt lgkmcnt(0)
	s_barrier
	ds_read_b32 v121, v105
	v_cmp_lt_u32_e32 vcc, 14, v103
	s_and_saveexec_b64 s[2:3], vcc
	s_cbranch_execz .LBB67_81
; %bb.80:
	ds_read_b32 v122, v107 offset:60
	s_waitcnt vmcnt(27) lgkmcnt(1)
	v_mul_f32_e32 v76, v121, v76
	s_waitcnt vmcnt(26) lgkmcnt(0)
	v_fma_f32 v77, -v76, v122, v77
	ds_read2_b64 v[122:125], v107 offset0:8 offset1:9
	s_waitcnt vmcnt(24) lgkmcnt(0)
	v_pk_fma_f32 v[86:87], v[76:77], v[122:123], v[86:87] op_sel_hi:[0,1,1] neg_lo:[1,0,0] neg_hi:[1,0,0]
	s_waitcnt vmcnt(22)
	v_pk_fma_f32 v[74:75], v[76:77], v[124:125], v[74:75] op_sel_hi:[0,1,1] neg_lo:[1,0,0] neg_hi:[1,0,0]
	ds_read2_b64 v[122:125], v107 offset0:10 offset1:11
	s_waitcnt vmcnt(20) lgkmcnt(0)
	v_pk_fma_f32 v[84:85], v[76:77], v[122:123], v[84:85] op_sel_hi:[0,1,1] neg_lo:[1,0,0] neg_hi:[1,0,0]
	s_waitcnt vmcnt(18)
	v_pk_fma_f32 v[72:73], v[76:77], v[124:125], v[72:73] op_sel_hi:[0,1,1] neg_lo:[1,0,0] neg_hi:[1,0,0]
	;; [unrolled: 5-line block ×3, first 2 shown]
	ds_read2_b64 v[122:125], v107 offset0:14 offset1:15
	s_waitcnt vmcnt(12) lgkmcnt(0)
	v_pk_fma_f32 v[80:81], v[76:77], v[122:123], v[80:81] op_sel_hi:[0,1,1] neg_lo:[1,0,0] neg_hi:[1,0,0]
	ds_read_b64 v[122:123], v107 offset:128
	s_waitcnt vmcnt(10)
	v_pk_fma_f32 v[68:69], v[76:77], v[124:125], v[68:69] op_sel_hi:[0,1,1] neg_lo:[1,0,0] neg_hi:[1,0,0]
	s_waitcnt vmcnt(8) lgkmcnt(0)
	v_pk_fma_f32 v[92:93], v[76:77], v[122:123], v[92:93] op_sel_hi:[0,1,1] neg_lo:[1,0,0] neg_hi:[1,0,0]
.LBB67_81:
	s_or_b64 exec, exec, s[2:3]
	v_cmp_ne_u32_e32 vcc, 15, v103
	s_waitcnt lgkmcnt(0)
	s_barrier
	s_and_saveexec_b64 s[2:3], vcc
	s_xor_b64 s[2:3], exec, s[2:3]
	s_andn2_saveexec_b64 s[2:3], s[2:3]
	s_cbranch_execz .LBB67_85
; %bb.82:
	s_waitcnt vmcnt(25)
	v_mov_b32_e32 v122, v86
	s_waitcnt vmcnt(24)
	v_mov_b32_e32 v123, v87
	;; [unrolled: 2-line block ×4, first 2 shown]
	ds_write_b32 v105, v77
	ds_write2_b64 v107, v[122:123], v[124:125] offset0:8 offset1:9
	s_waitcnt vmcnt(21)
	v_mov_b32_e32 v122, v84
	s_waitcnt vmcnt(20)
	v_mov_b32_e32 v123, v85
	s_waitcnt vmcnt(19)
	v_mov_b32_e32 v124, v72
	s_waitcnt vmcnt(18)
	v_mov_b32_e32 v125, v73
	ds_write2_b64 v107, v[122:123], v[124:125] offset0:10 offset1:11
	s_waitcnt vmcnt(17)
	v_mov_b32_e32 v122, v82
	s_waitcnt vmcnt(16)
	v_mov_b32_e32 v123, v83
	s_waitcnt vmcnt(15)
	v_mov_b32_e32 v124, v70
	s_waitcnt vmcnt(14)
	v_mov_b32_e32 v125, v71
	;; [unrolled: 9-line block ×3, first 2 shown]
	ds_write2_b64 v107, v[122:123], v[124:125] offset0:14 offset1:15
	s_waitcnt vmcnt(8)
	ds_write_b64 v107, v[92:93] offset:128
	ds_read_b32 v122, v105
	s_waitcnt lgkmcnt(0)
	v_cmp_neq_f32_e32 vcc, 0, v122
	s_and_saveexec_b64 s[4:5], vcc
	s_cbranch_execz .LBB67_84
; %bb.83:
	v_div_scale_f32 v123, s[10:11], v122, v122, 1.0
	v_rcp_f32_e32 v124, v123
	v_div_scale_f32 v125, vcc, 1.0, v122, 1.0
	v_fma_f32 v126, -v123, v124, 1.0
	v_fmac_f32_e32 v124, v126, v124
	v_mul_f32_e32 v126, v125, v124
	v_fma_f32 v127, -v123, v126, v125
	v_fmac_f32_e32 v126, v127, v124
	v_fma_f32 v123, -v123, v126, v125
	v_div_fmas_f32 v123, v123, v124, v126
	v_div_fixup_f32 v122, v123, v122, 1.0
	ds_write_b32 v105, v122
.LBB67_84:
	s_or_b64 exec, exec, s[4:5]
.LBB67_85:
	s_or_b64 exec, exec, s[2:3]
	s_waitcnt lgkmcnt(0)
	s_barrier
	ds_read_b32 v122, v105
	v_cmp_lt_u32_e32 vcc, 15, v103
	s_and_saveexec_b64 s[2:3], vcc
	s_cbranch_execz .LBB67_87
; %bb.86:
	ds_read2_b64 v[124:127], v107 offset0:8 offset1:9
	s_waitcnt vmcnt(26) lgkmcnt(1)
	v_mul_f32_e32 v128, v122, v77
	v_mov_b32_e32 v77, v128
	s_waitcnt vmcnt(24) lgkmcnt(0)
	v_pk_fma_f32 v[86:87], v[128:129], v[124:125], v[86:87] op_sel_hi:[0,1,1] neg_lo:[1,0,0] neg_hi:[1,0,0]
	s_waitcnt vmcnt(22)
	v_pk_fma_f32 v[74:75], v[128:129], v[126:127], v[74:75] op_sel_hi:[0,1,1] neg_lo:[1,0,0] neg_hi:[1,0,0]
	ds_read2_b64 v[124:127], v107 offset0:10 offset1:11
	s_waitcnt vmcnt(20) lgkmcnt(0)
	v_pk_fma_f32 v[84:85], v[128:129], v[124:125], v[84:85] op_sel_hi:[0,1,1] neg_lo:[1,0,0] neg_hi:[1,0,0]
	s_waitcnt vmcnt(18)
	v_pk_fma_f32 v[72:73], v[128:129], v[126:127], v[72:73] op_sel_hi:[0,1,1] neg_lo:[1,0,0] neg_hi:[1,0,0]
	ds_read2_b64 v[124:127], v107 offset0:12 offset1:13
	s_waitcnt vmcnt(16) lgkmcnt(0)
	v_pk_fma_f32 v[82:83], v[128:129], v[124:125], v[82:83] op_sel_hi:[0,1,1] neg_lo:[1,0,0] neg_hi:[1,0,0]
	s_waitcnt vmcnt(14)
	v_pk_fma_f32 v[70:71], v[128:129], v[126:127], v[70:71] op_sel_hi:[0,1,1] neg_lo:[1,0,0] neg_hi:[1,0,0]
	ds_read2_b64 v[124:127], v107 offset0:14 offset1:15
	s_waitcnt vmcnt(12) lgkmcnt(0)
	v_pk_fma_f32 v[80:81], v[128:129], v[124:125], v[80:81] op_sel_hi:[0,1,1] neg_lo:[1,0,0] neg_hi:[1,0,0]
	ds_read_b64 v[124:125], v107 offset:128
	s_waitcnt vmcnt(10)
	v_pk_fma_f32 v[68:69], v[128:129], v[126:127], v[68:69] op_sel_hi:[0,1,1] neg_lo:[1,0,0] neg_hi:[1,0,0]
	s_waitcnt vmcnt(8) lgkmcnt(0)
	v_pk_fma_f32 v[92:93], v[128:129], v[124:125], v[92:93] op_sel_hi:[0,1,1] neg_lo:[1,0,0] neg_hi:[1,0,0]
.LBB67_87:
	s_or_b64 exec, exec, s[2:3]
	v_cmp_eq_u32_e32 vcc, 16, v103
	s_waitcnt lgkmcnt(0)
	s_barrier
	s_and_saveexec_b64 s[2:3], vcc
	s_cbranch_execz .LBB67_90
; %bb.88:
	s_waitcnt vmcnt(22)
	v_pk_mov_b32 v[124:125], v[86:87], v[74:75] op_sel:[1,0]
	ds_write_b32 v105, v86
	ds_write2_b32 v107, v124, v125 offset0:17 offset1:18
	s_waitcnt vmcnt(20)
	v_pk_mov_b32 v[124:125], v[74:75], v[84:85] op_sel:[1,0]
	ds_write2_b32 v107, v124, v125 offset0:19 offset1:20
	s_waitcnt vmcnt(18)
	v_pk_mov_b32 v[124:125], v[84:85], v[72:73] op_sel:[1,0]
	;; [unrolled: 3-line block ×7, first 2 shown]
	ds_write2_b32 v107, v124, v125 offset0:31 offset1:32
	ds_write_b32 v107, v93 offset:132
	ds_read_b32 v123, v105
	s_waitcnt lgkmcnt(0)
	v_cmp_neq_f32_e32 vcc, 0, v123
	s_and_b64 exec, exec, vcc
	s_cbranch_execz .LBB67_90
; %bb.89:
	v_div_scale_f32 v124, s[4:5], v123, v123, 1.0
	v_rcp_f32_e32 v125, v124
	v_div_scale_f32 v126, vcc, 1.0, v123, 1.0
	v_fma_f32 v127, -v124, v125, 1.0
	v_fmac_f32_e32 v125, v127, v125
	v_mul_f32_e32 v127, v126, v125
	v_fma_f32 v128, -v124, v127, v126
	v_fmac_f32_e32 v127, v128, v125
	v_fma_f32 v124, -v124, v127, v126
	v_div_fmas_f32 v124, v124, v125, v127
	v_div_fixup_f32 v123, v124, v123, 1.0
	ds_write_b32 v105, v123
.LBB67_90:
	s_or_b64 exec, exec, s[2:3]
	s_waitcnt lgkmcnt(0)
	s_barrier
	ds_read_b32 v123, v105
	v_cmp_lt_u32_e32 vcc, 16, v103
	s_and_saveexec_b64 s[2:3], vcc
	s_cbranch_execz .LBB67_92
; %bb.91:
	ds_read_b32 v136, v107 offset:68
	ds_read2_b64 v[124:127], v107 offset0:9 offset1:10
	s_waitcnt vmcnt(25) lgkmcnt(2)
	v_mul_f32_e32 v86, v123, v86
	ds_read2_b64 v[128:131], v107 offset0:11 offset1:12
	ds_read2_b64 v[132:135], v107 offset0:13 offset1:14
	s_waitcnt vmcnt(24) lgkmcnt(3)
	v_fma_f32 v87, -v86, v136, v87
	s_waitcnt vmcnt(22) lgkmcnt(2)
	v_pk_fma_f32 v[74:75], v[86:87], v[124:125], v[74:75] op_sel_hi:[0,1,1] neg_lo:[1,0,0] neg_hi:[1,0,0]
	s_waitcnt vmcnt(20)
	v_pk_fma_f32 v[84:85], v[86:87], v[126:127], v[84:85] op_sel_hi:[0,1,1] neg_lo:[1,0,0] neg_hi:[1,0,0]
	ds_read2_b64 v[124:127], v107 offset0:15 offset1:16
	s_waitcnt vmcnt(18) lgkmcnt(2)
	v_pk_fma_f32 v[72:73], v[86:87], v[128:129], v[72:73] op_sel_hi:[0,1,1] neg_lo:[1,0,0] neg_hi:[1,0,0]
	s_waitcnt vmcnt(16)
	v_pk_fma_f32 v[82:83], v[86:87], v[130:131], v[82:83] op_sel_hi:[0,1,1] neg_lo:[1,0,0] neg_hi:[1,0,0]
	s_waitcnt vmcnt(14) lgkmcnt(1)
	v_pk_fma_f32 v[70:71], v[86:87], v[132:133], v[70:71] op_sel_hi:[0,1,1] neg_lo:[1,0,0] neg_hi:[1,0,0]
	s_waitcnt vmcnt(12)
	v_pk_fma_f32 v[80:81], v[86:87], v[134:135], v[80:81] op_sel_hi:[0,1,1] neg_lo:[1,0,0] neg_hi:[1,0,0]
	;; [unrolled: 4-line block ×3, first 2 shown]
.LBB67_92:
	s_or_b64 exec, exec, s[2:3]
	v_cmp_ne_u32_e32 vcc, 17, v103
	s_waitcnt lgkmcnt(0)
	s_barrier
	s_and_saveexec_b64 s[2:3], vcc
	s_xor_b64 s[2:3], exec, s[2:3]
	s_andn2_saveexec_b64 s[2:3], s[2:3]
	s_cbranch_execz .LBB67_96
; %bb.93:
	s_waitcnt vmcnt(24)
	ds_write_b32 v105, v87
	s_waitcnt vmcnt(20)
	ds_write2_b64 v107, v[74:75], v[84:85] offset0:9 offset1:10
	s_waitcnt vmcnt(16)
	ds_write2_b64 v107, v[72:73], v[82:83] offset0:11 offset1:12
	;; [unrolled: 2-line block ×4, first 2 shown]
	ds_read_b32 v124, v105
	s_waitcnt lgkmcnt(0)
	v_cmp_neq_f32_e32 vcc, 0, v124
	s_and_saveexec_b64 s[4:5], vcc
	s_cbranch_execz .LBB67_95
; %bb.94:
	v_div_scale_f32 v125, s[10:11], v124, v124, 1.0
	v_rcp_f32_e32 v126, v125
	v_div_scale_f32 v127, vcc, 1.0, v124, 1.0
	v_fma_f32 v128, -v125, v126, 1.0
	v_fmac_f32_e32 v126, v128, v126
	v_mul_f32_e32 v128, v127, v126
	v_fma_f32 v129, -v125, v128, v127
	v_fmac_f32_e32 v128, v129, v126
	v_fma_f32 v125, -v125, v128, v127
	v_div_fmas_f32 v125, v125, v126, v128
	v_div_fixup_f32 v124, v125, v124, 1.0
	ds_write_b32 v105, v124
.LBB67_95:
	s_or_b64 exec, exec, s[4:5]
.LBB67_96:
	s_or_b64 exec, exec, s[2:3]
	s_waitcnt lgkmcnt(0)
	s_barrier
	ds_read_b32 v124, v105
	v_cmp_lt_u32_e32 vcc, 17, v103
	s_and_saveexec_b64 s[2:3], vcc
	s_cbranch_execz .LBB67_98
; %bb.97:
	ds_read2_b64 v[126:129], v107 offset0:9 offset1:10
	s_waitcnt vmcnt(24) lgkmcnt(1)
	v_mul_f32_e32 v138, v124, v87
	ds_read2_b64 v[130:133], v107 offset0:11 offset1:12
	ds_read2_b64 v[134:137], v107 offset0:13 offset1:14
	v_mov_b32_e32 v87, v138
	s_waitcnt vmcnt(22) lgkmcnt(2)
	v_pk_fma_f32 v[74:75], v[138:139], v[126:127], v[74:75] op_sel_hi:[0,1,1] neg_lo:[1,0,0] neg_hi:[1,0,0]
	s_waitcnt vmcnt(20)
	v_pk_fma_f32 v[84:85], v[138:139], v[128:129], v[84:85] op_sel_hi:[0,1,1] neg_lo:[1,0,0] neg_hi:[1,0,0]
	ds_read2_b64 v[126:129], v107 offset0:15 offset1:16
	s_waitcnt vmcnt(18) lgkmcnt(2)
	v_pk_fma_f32 v[72:73], v[138:139], v[130:131], v[72:73] op_sel_hi:[0,1,1] neg_lo:[1,0,0] neg_hi:[1,0,0]
	s_waitcnt vmcnt(16)
	v_pk_fma_f32 v[82:83], v[138:139], v[132:133], v[82:83] op_sel_hi:[0,1,1] neg_lo:[1,0,0] neg_hi:[1,0,0]
	s_waitcnt vmcnt(14) lgkmcnt(1)
	v_pk_fma_f32 v[70:71], v[138:139], v[134:135], v[70:71] op_sel_hi:[0,1,1] neg_lo:[1,0,0] neg_hi:[1,0,0]
	s_waitcnt vmcnt(12)
	v_pk_fma_f32 v[80:81], v[138:139], v[136:137], v[80:81] op_sel_hi:[0,1,1] neg_lo:[1,0,0] neg_hi:[1,0,0]
	;; [unrolled: 4-line block ×3, first 2 shown]
.LBB67_98:
	s_or_b64 exec, exec, s[2:3]
	v_cmp_eq_u32_e32 vcc, 18, v103
	s_waitcnt lgkmcnt(0)
	s_barrier
	s_and_saveexec_b64 s[2:3], vcc
	s_cbranch_execz .LBB67_101
; %bb.99:
	s_waitcnt vmcnt(20)
	v_pk_mov_b32 v[126:127], v[74:75], v[84:85] op_sel:[1,0]
	ds_write_b32 v105, v74
	ds_write2_b32 v107, v126, v127 offset0:19 offset1:20
	s_waitcnt vmcnt(18)
	v_pk_mov_b32 v[126:127], v[84:85], v[72:73] op_sel:[1,0]
	ds_write2_b32 v107, v126, v127 offset0:21 offset1:22
	s_waitcnt vmcnt(16)
	v_pk_mov_b32 v[126:127], v[72:73], v[82:83] op_sel:[1,0]
	;; [unrolled: 3-line block ×6, first 2 shown]
	ds_write2_b32 v107, v126, v127 offset0:31 offset1:32
	ds_write_b32 v107, v93 offset:132
	ds_read_b32 v125, v105
	s_waitcnt lgkmcnt(0)
	v_cmp_neq_f32_e32 vcc, 0, v125
	s_and_b64 exec, exec, vcc
	s_cbranch_execz .LBB67_101
; %bb.100:
	v_div_scale_f32 v126, s[4:5], v125, v125, 1.0
	v_rcp_f32_e32 v127, v126
	v_div_scale_f32 v128, vcc, 1.0, v125, 1.0
	v_fma_f32 v129, -v126, v127, 1.0
	v_fmac_f32_e32 v127, v129, v127
	v_mul_f32_e32 v129, v128, v127
	v_fma_f32 v130, -v126, v129, v128
	v_fmac_f32_e32 v129, v130, v127
	v_fma_f32 v126, -v126, v129, v128
	v_div_fmas_f32 v126, v126, v127, v129
	v_div_fixup_f32 v125, v126, v125, 1.0
	ds_write_b32 v105, v125
.LBB67_101:
	s_or_b64 exec, exec, s[2:3]
	s_waitcnt lgkmcnt(0)
	s_barrier
	ds_read_b32 v125, v105
	v_cmp_lt_u32_e32 vcc, 18, v103
	s_and_saveexec_b64 s[2:3], vcc
	s_cbranch_execz .LBB67_103
; %bb.102:
	ds_read_b32 v134, v107 offset:76
	s_waitcnt vmcnt(23) lgkmcnt(1)
	v_mul_f32_e32 v74, v125, v74
	ds_read2_b64 v[126:129], v107 offset0:10 offset1:11
	ds_read_b64 v[138:139], v107 offset:128
	ds_read2_b64 v[130:133], v107 offset0:12 offset1:13
	s_waitcnt vmcnt(22) lgkmcnt(3)
	v_fma_f32 v75, -v74, v134, v75
	ds_read2_b64 v[134:137], v107 offset0:14 offset1:15
	s_waitcnt vmcnt(20) lgkmcnt(3)
	v_pk_fma_f32 v[84:85], v[74:75], v[126:127], v[84:85] op_sel_hi:[0,1,1] neg_lo:[1,0,0] neg_hi:[1,0,0]
	s_waitcnt vmcnt(18)
	v_pk_fma_f32 v[72:73], v[74:75], v[128:129], v[72:73] op_sel_hi:[0,1,1] neg_lo:[1,0,0] neg_hi:[1,0,0]
	s_waitcnt vmcnt(16) lgkmcnt(1)
	v_pk_fma_f32 v[82:83], v[74:75], v[130:131], v[82:83] op_sel_hi:[0,1,1] neg_lo:[1,0,0] neg_hi:[1,0,0]
	s_waitcnt vmcnt(14)
	v_pk_fma_f32 v[70:71], v[74:75], v[132:133], v[70:71] op_sel_hi:[0,1,1] neg_lo:[1,0,0] neg_hi:[1,0,0]
	;; [unrolled: 4-line block ×3, first 2 shown]
	s_waitcnt vmcnt(8)
	v_pk_fma_f32 v[92:93], v[74:75], v[138:139], v[92:93] op_sel_hi:[0,1,1] neg_lo:[1,0,0] neg_hi:[1,0,0]
.LBB67_103:
	s_or_b64 exec, exec, s[2:3]
	v_cmp_ne_u32_e32 vcc, 19, v103
	s_waitcnt lgkmcnt(0)
	s_barrier
	s_and_saveexec_b64 s[2:3], vcc
	s_xor_b64 s[2:3], exec, s[2:3]
	s_andn2_saveexec_b64 s[2:3], s[2:3]
	s_cbranch_execz .LBB67_107
; %bb.104:
	s_waitcnt vmcnt(21)
	v_mov_b32_e32 v126, v84
	s_waitcnt vmcnt(20)
	v_mov_b32_e32 v127, v85
	;; [unrolled: 2-line block ×4, first 2 shown]
	ds_write_b32 v105, v75
	ds_write2_b64 v107, v[126:127], v[128:129] offset0:10 offset1:11
	s_waitcnt vmcnt(17)
	v_mov_b32_e32 v126, v82
	s_waitcnt vmcnt(16)
	v_mov_b32_e32 v127, v83
	;; [unrolled: 2-line block ×4, first 2 shown]
	ds_write2_b64 v107, v[126:127], v[128:129] offset0:12 offset1:13
	s_waitcnt vmcnt(13)
	v_mov_b32_e32 v126, v80
	s_waitcnt vmcnt(12)
	v_mov_b32_e32 v127, v81
	;; [unrolled: 2-line block ×4, first 2 shown]
	ds_write2_b64 v107, v[126:127], v[128:129] offset0:14 offset1:15
	s_waitcnt vmcnt(8)
	ds_write_b64 v107, v[92:93] offset:128
	ds_read_b32 v126, v105
	s_waitcnt lgkmcnt(0)
	v_cmp_neq_f32_e32 vcc, 0, v126
	s_and_saveexec_b64 s[4:5], vcc
	s_cbranch_execz .LBB67_106
; %bb.105:
	v_div_scale_f32 v127, s[10:11], v126, v126, 1.0
	v_rcp_f32_e32 v128, v127
	v_div_scale_f32 v129, vcc, 1.0, v126, 1.0
	v_fma_f32 v130, -v127, v128, 1.0
	v_fmac_f32_e32 v128, v130, v128
	v_mul_f32_e32 v130, v129, v128
	v_fma_f32 v131, -v127, v130, v129
	v_fmac_f32_e32 v130, v131, v128
	v_fma_f32 v127, -v127, v130, v129
	v_div_fmas_f32 v127, v127, v128, v130
	v_div_fixup_f32 v126, v127, v126, 1.0
	ds_write_b32 v105, v126
.LBB67_106:
	s_or_b64 exec, exec, s[4:5]
.LBB67_107:
	s_or_b64 exec, exec, s[2:3]
	s_waitcnt lgkmcnt(0)
	s_barrier
	ds_read_b32 v126, v105
	v_cmp_lt_u32_e32 vcc, 19, v103
	s_and_saveexec_b64 s[2:3], vcc
	s_cbranch_execz .LBB67_109
; %bb.108:
	ds_read2_b64 v[128:131], v107 offset0:10 offset1:11
	s_waitcnt vmcnt(22) lgkmcnt(1)
	v_mul_f32_e32 v140, v126, v75
	ds_read2_b64 v[132:135], v107 offset0:12 offset1:13
	ds_read2_b64 v[136:139], v107 offset0:14 offset1:15
	v_mov_b32_e32 v75, v140
	s_waitcnt vmcnt(20) lgkmcnt(2)
	v_pk_fma_f32 v[84:85], v[140:141], v[128:129], v[84:85] op_sel_hi:[0,1,1] neg_lo:[1,0,0] neg_hi:[1,0,0]
	ds_read_b64 v[128:129], v107 offset:128
	s_waitcnt vmcnt(18)
	v_pk_fma_f32 v[72:73], v[140:141], v[130:131], v[72:73] op_sel_hi:[0,1,1] neg_lo:[1,0,0] neg_hi:[1,0,0]
	s_waitcnt vmcnt(16) lgkmcnt(2)
	v_pk_fma_f32 v[82:83], v[140:141], v[132:133], v[82:83] op_sel_hi:[0,1,1] neg_lo:[1,0,0] neg_hi:[1,0,0]
	s_waitcnt vmcnt(14)
	v_pk_fma_f32 v[70:71], v[140:141], v[134:135], v[70:71] op_sel_hi:[0,1,1] neg_lo:[1,0,0] neg_hi:[1,0,0]
	s_waitcnt vmcnt(12) lgkmcnt(1)
	v_pk_fma_f32 v[80:81], v[140:141], v[136:137], v[80:81] op_sel_hi:[0,1,1] neg_lo:[1,0,0] neg_hi:[1,0,0]
	;; [unrolled: 4-line block ×3, first 2 shown]
.LBB67_109:
	s_or_b64 exec, exec, s[2:3]
	v_cmp_eq_u32_e32 vcc, 20, v103
	s_waitcnt lgkmcnt(0)
	s_barrier
	s_and_saveexec_b64 s[2:3], vcc
	s_cbranch_execz .LBB67_112
; %bb.110:
	s_waitcnt vmcnt(18)
	v_pk_mov_b32 v[128:129], v[84:85], v[72:73] op_sel:[1,0]
	ds_write_b32 v105, v84
	ds_write2_b32 v107, v128, v129 offset0:21 offset1:22
	s_waitcnt vmcnt(16)
	v_pk_mov_b32 v[128:129], v[72:73], v[82:83] op_sel:[1,0]
	ds_write2_b32 v107, v128, v129 offset0:23 offset1:24
	s_waitcnt vmcnt(14)
	v_pk_mov_b32 v[128:129], v[82:83], v[70:71] op_sel:[1,0]
	;; [unrolled: 3-line block ×5, first 2 shown]
	ds_write2_b32 v107, v128, v129 offset0:31 offset1:32
	ds_write_b32 v107, v93 offset:132
	ds_read_b32 v127, v105
	s_waitcnt lgkmcnt(0)
	v_cmp_neq_f32_e32 vcc, 0, v127
	s_and_b64 exec, exec, vcc
	s_cbranch_execz .LBB67_112
; %bb.111:
	v_div_scale_f32 v128, s[4:5], v127, v127, 1.0
	v_rcp_f32_e32 v129, v128
	v_div_scale_f32 v130, vcc, 1.0, v127, 1.0
	v_fma_f32 v131, -v128, v129, 1.0
	v_fmac_f32_e32 v129, v131, v129
	v_mul_f32_e32 v131, v130, v129
	v_fma_f32 v132, -v128, v131, v130
	v_fmac_f32_e32 v131, v132, v129
	v_fma_f32 v128, -v128, v131, v130
	v_div_fmas_f32 v128, v128, v129, v131
	v_div_fixup_f32 v127, v128, v127, 1.0
	ds_write_b32 v105, v127
.LBB67_112:
	s_or_b64 exec, exec, s[2:3]
	s_waitcnt lgkmcnt(0)
	s_barrier
	ds_read_b32 v127, v105
	v_cmp_lt_u32_e32 vcc, 20, v103
	s_and_saveexec_b64 s[2:3], vcc
	s_cbranch_execz .LBB67_114
; %bb.113:
	ds_read_b32 v140, v107 offset:84
	ds_read2_b64 v[128:131], v107 offset0:11 offset1:12
	ds_read2_b64 v[132:135], v107 offset0:13 offset1:14
	;; [unrolled: 1-line block ×3, first 2 shown]
	s_waitcnt vmcnt(21) lgkmcnt(4)
	v_mul_f32_e32 v84, v127, v84
	s_waitcnt vmcnt(20) lgkmcnt(3)
	v_fma_f32 v85, -v84, v140, v85
	s_waitcnt vmcnt(18) lgkmcnt(2)
	v_pk_fma_f32 v[72:73], v[84:85], v[128:129], v[72:73] op_sel_hi:[0,1,1] neg_lo:[1,0,0] neg_hi:[1,0,0]
	s_waitcnt vmcnt(16)
	v_pk_fma_f32 v[82:83], v[84:85], v[130:131], v[82:83] op_sel_hi:[0,1,1] neg_lo:[1,0,0] neg_hi:[1,0,0]
	s_waitcnt vmcnt(14) lgkmcnt(1)
	v_pk_fma_f32 v[70:71], v[84:85], v[132:133], v[70:71] op_sel_hi:[0,1,1] neg_lo:[1,0,0] neg_hi:[1,0,0]
	s_waitcnt vmcnt(12)
	v_pk_fma_f32 v[80:81], v[84:85], v[134:135], v[80:81] op_sel_hi:[0,1,1] neg_lo:[1,0,0] neg_hi:[1,0,0]
	;; [unrolled: 4-line block ×3, first 2 shown]
.LBB67_114:
	s_or_b64 exec, exec, s[2:3]
	v_cmp_ne_u32_e32 vcc, 21, v103
	s_waitcnt lgkmcnt(0)
	s_barrier
	s_and_saveexec_b64 s[2:3], vcc
	s_xor_b64 s[2:3], exec, s[2:3]
	s_andn2_saveexec_b64 s[2:3], s[2:3]
	s_cbranch_execz .LBB67_118
; %bb.115:
	s_waitcnt vmcnt(20)
	ds_write_b32 v105, v85
	s_waitcnt vmcnt(16)
	ds_write2_b64 v107, v[72:73], v[82:83] offset0:11 offset1:12
	s_waitcnt vmcnt(12)
	ds_write2_b64 v107, v[70:71], v[80:81] offset0:13 offset1:14
	;; [unrolled: 2-line block ×3, first 2 shown]
	ds_read_b32 v128, v105
	s_waitcnt lgkmcnt(0)
	v_cmp_neq_f32_e32 vcc, 0, v128
	s_and_saveexec_b64 s[4:5], vcc
	s_cbranch_execz .LBB67_117
; %bb.116:
	v_div_scale_f32 v129, s[10:11], v128, v128, 1.0
	v_rcp_f32_e32 v130, v129
	v_div_scale_f32 v131, vcc, 1.0, v128, 1.0
	v_fma_f32 v132, -v129, v130, 1.0
	v_fmac_f32_e32 v130, v132, v130
	v_mul_f32_e32 v132, v131, v130
	v_fma_f32 v133, -v129, v132, v131
	v_fmac_f32_e32 v132, v133, v130
	v_fma_f32 v129, -v129, v132, v131
	v_div_fmas_f32 v129, v129, v130, v132
	v_div_fixup_f32 v128, v129, v128, 1.0
	ds_write_b32 v105, v128
.LBB67_117:
	s_or_b64 exec, exec, s[4:5]
.LBB67_118:
	s_or_b64 exec, exec, s[2:3]
	s_waitcnt lgkmcnt(0)
	s_barrier
	ds_read_b32 v128, v105
	v_cmp_lt_u32_e32 vcc, 21, v103
	s_and_saveexec_b64 s[2:3], vcc
	s_cbranch_execz .LBB67_120
; %bb.119:
	ds_read2_b64 v[130:133], v107 offset0:11 offset1:12
	ds_read2_b64 v[134:137], v107 offset0:13 offset1:14
	;; [unrolled: 1-line block ×3, first 2 shown]
	s_waitcnt vmcnt(20) lgkmcnt(3)
	v_mul_f32_e32 v142, v128, v85
	v_mov_b32_e32 v85, v142
	s_waitcnt vmcnt(18) lgkmcnt(2)
	v_pk_fma_f32 v[72:73], v[142:143], v[130:131], v[72:73] op_sel_hi:[0,1,1] neg_lo:[1,0,0] neg_hi:[1,0,0]
	s_waitcnt vmcnt(16)
	v_pk_fma_f32 v[82:83], v[142:143], v[132:133], v[82:83] op_sel_hi:[0,1,1] neg_lo:[1,0,0] neg_hi:[1,0,0]
	s_waitcnt vmcnt(14) lgkmcnt(1)
	v_pk_fma_f32 v[70:71], v[142:143], v[134:135], v[70:71] op_sel_hi:[0,1,1] neg_lo:[1,0,0] neg_hi:[1,0,0]
	s_waitcnt vmcnt(12)
	v_pk_fma_f32 v[80:81], v[142:143], v[136:137], v[80:81] op_sel_hi:[0,1,1] neg_lo:[1,0,0] neg_hi:[1,0,0]
	;; [unrolled: 4-line block ×3, first 2 shown]
.LBB67_120:
	s_or_b64 exec, exec, s[2:3]
	v_cmp_eq_u32_e32 vcc, 22, v103
	s_waitcnt lgkmcnt(0)
	s_barrier
	s_and_saveexec_b64 s[2:3], vcc
	s_cbranch_execz .LBB67_123
; %bb.121:
	s_waitcnt vmcnt(16)
	v_pk_mov_b32 v[130:131], v[72:73], v[82:83] op_sel:[1,0]
	ds_write_b32 v105, v72
	ds_write2_b32 v107, v130, v131 offset0:23 offset1:24
	s_waitcnt vmcnt(14)
	v_pk_mov_b32 v[130:131], v[82:83], v[70:71] op_sel:[1,0]
	ds_write2_b32 v107, v130, v131 offset0:25 offset1:26
	s_waitcnt vmcnt(12)
	v_pk_mov_b32 v[130:131], v[70:71], v[80:81] op_sel:[1,0]
	;; [unrolled: 3-line block ×4, first 2 shown]
	ds_write2_b32 v107, v130, v131 offset0:31 offset1:32
	ds_write_b32 v107, v93 offset:132
	ds_read_b32 v129, v105
	s_waitcnt lgkmcnt(0)
	v_cmp_neq_f32_e32 vcc, 0, v129
	s_and_b64 exec, exec, vcc
	s_cbranch_execz .LBB67_123
; %bb.122:
	v_div_scale_f32 v130, s[4:5], v129, v129, 1.0
	v_rcp_f32_e32 v131, v130
	v_div_scale_f32 v132, vcc, 1.0, v129, 1.0
	v_fma_f32 v133, -v130, v131, 1.0
	v_fmac_f32_e32 v131, v133, v131
	v_mul_f32_e32 v133, v132, v131
	v_fma_f32 v134, -v130, v133, v132
	v_fmac_f32_e32 v133, v134, v131
	v_fma_f32 v130, -v130, v133, v132
	v_div_fmas_f32 v130, v130, v131, v133
	v_div_fixup_f32 v129, v130, v129, 1.0
	ds_write_b32 v105, v129
.LBB67_123:
	s_or_b64 exec, exec, s[2:3]
	s_waitcnt lgkmcnt(0)
	s_barrier
	ds_read_b32 v129, v105
	v_cmp_lt_u32_e32 vcc, 22, v103
	s_and_saveexec_b64 s[2:3], vcc
	s_cbranch_execz .LBB67_125
; %bb.124:
	ds_read_b32 v140, v107 offset:92
	ds_read2_b64 v[130:133], v107 offset0:12 offset1:13
	ds_read_b64 v[138:139], v107 offset:128
	ds_read2_b64 v[134:137], v107 offset0:14 offset1:15
	s_waitcnt vmcnt(19) lgkmcnt(4)
	v_mul_f32_e32 v72, v129, v72
	s_waitcnt vmcnt(18) lgkmcnt(3)
	v_fma_f32 v73, -v72, v140, v73
	s_waitcnt vmcnt(16) lgkmcnt(2)
	v_pk_fma_f32 v[82:83], v[72:73], v[130:131], v[82:83] op_sel_hi:[0,1,1] neg_lo:[1,0,0] neg_hi:[1,0,0]
	s_waitcnt vmcnt(14)
	v_pk_fma_f32 v[70:71], v[72:73], v[132:133], v[70:71] op_sel_hi:[0,1,1] neg_lo:[1,0,0] neg_hi:[1,0,0]
	s_waitcnt vmcnt(12) lgkmcnt(0)
	v_pk_fma_f32 v[80:81], v[72:73], v[134:135], v[80:81] op_sel_hi:[0,1,1] neg_lo:[1,0,0] neg_hi:[1,0,0]
	s_waitcnt vmcnt(10)
	v_pk_fma_f32 v[68:69], v[72:73], v[136:137], v[68:69] op_sel_hi:[0,1,1] neg_lo:[1,0,0] neg_hi:[1,0,0]
	s_waitcnt vmcnt(8)
	v_pk_fma_f32 v[92:93], v[72:73], v[138:139], v[92:93] op_sel_hi:[0,1,1] neg_lo:[1,0,0] neg_hi:[1,0,0]
.LBB67_125:
	s_or_b64 exec, exec, s[2:3]
	v_cmp_ne_u32_e32 vcc, 23, v103
	s_waitcnt lgkmcnt(0)
	s_barrier
	s_and_saveexec_b64 s[2:3], vcc
	s_xor_b64 s[2:3], exec, s[2:3]
	s_andn2_saveexec_b64 s[2:3], s[2:3]
	s_cbranch_execz .LBB67_129
; %bb.126:
	s_waitcnt vmcnt(17)
	v_mov_b32_e32 v130, v82
	s_waitcnt vmcnt(16)
	v_mov_b32_e32 v131, v83
	;; [unrolled: 2-line block ×4, first 2 shown]
	ds_write_b32 v105, v73
	ds_write2_b64 v107, v[130:131], v[132:133] offset0:12 offset1:13
	s_waitcnt vmcnt(13)
	v_mov_b32_e32 v130, v80
	s_waitcnt vmcnt(12)
	v_mov_b32_e32 v131, v81
	;; [unrolled: 2-line block ×4, first 2 shown]
	ds_write2_b64 v107, v[130:131], v[132:133] offset0:14 offset1:15
	s_waitcnt vmcnt(8)
	ds_write_b64 v107, v[92:93] offset:128
	ds_read_b32 v130, v105
	s_waitcnt lgkmcnt(0)
	v_cmp_neq_f32_e32 vcc, 0, v130
	s_and_saveexec_b64 s[4:5], vcc
	s_cbranch_execz .LBB67_128
; %bb.127:
	v_div_scale_f32 v131, s[10:11], v130, v130, 1.0
	v_rcp_f32_e32 v132, v131
	v_div_scale_f32 v133, vcc, 1.0, v130, 1.0
	v_fma_f32 v134, -v131, v132, 1.0
	v_fmac_f32_e32 v132, v134, v132
	v_mul_f32_e32 v134, v133, v132
	v_fma_f32 v135, -v131, v134, v133
	v_fmac_f32_e32 v134, v135, v132
	v_fma_f32 v131, -v131, v134, v133
	v_div_fmas_f32 v131, v131, v132, v134
	v_div_fixup_f32 v130, v131, v130, 1.0
	ds_write_b32 v105, v130
.LBB67_128:
	s_or_b64 exec, exec, s[4:5]
.LBB67_129:
	s_or_b64 exec, exec, s[2:3]
	s_waitcnt lgkmcnt(0)
	s_barrier
	ds_read_b32 v130, v105
	v_cmp_lt_u32_e32 vcc, 23, v103
	s_and_saveexec_b64 s[2:3], vcc
	s_cbranch_execz .LBB67_131
; %bb.130:
	ds_read2_b64 v[132:135], v107 offset0:12 offset1:13
	ds_read2_b64 v[136:139], v107 offset0:14 offset1:15
	ds_read_b64 v[142:143], v107 offset:128
	s_waitcnt vmcnt(18) lgkmcnt(3)
	v_mul_f32_e32 v140, v130, v73
	v_mov_b32_e32 v73, v140
	s_waitcnt vmcnt(16) lgkmcnt(2)
	v_pk_fma_f32 v[82:83], v[140:141], v[132:133], v[82:83] op_sel_hi:[0,1,1] neg_lo:[1,0,0] neg_hi:[1,0,0]
	s_waitcnt vmcnt(14)
	v_pk_fma_f32 v[70:71], v[140:141], v[134:135], v[70:71] op_sel_hi:[0,1,1] neg_lo:[1,0,0] neg_hi:[1,0,0]
	s_waitcnt vmcnt(12) lgkmcnt(1)
	v_pk_fma_f32 v[80:81], v[140:141], v[136:137], v[80:81] op_sel_hi:[0,1,1] neg_lo:[1,0,0] neg_hi:[1,0,0]
	s_waitcnt vmcnt(10)
	v_pk_fma_f32 v[68:69], v[140:141], v[138:139], v[68:69] op_sel_hi:[0,1,1] neg_lo:[1,0,0] neg_hi:[1,0,0]
	s_waitcnt vmcnt(8) lgkmcnt(0)
	v_pk_fma_f32 v[92:93], v[140:141], v[142:143], v[92:93] op_sel_hi:[0,1,1] neg_lo:[1,0,0] neg_hi:[1,0,0]
.LBB67_131:
	s_or_b64 exec, exec, s[2:3]
	v_cmp_eq_u32_e32 vcc, 24, v103
	s_waitcnt lgkmcnt(0)
	s_barrier
	s_and_saveexec_b64 s[2:3], vcc
	s_cbranch_execz .LBB67_134
; %bb.132:
	s_waitcnt vmcnt(14)
	v_pk_mov_b32 v[132:133], v[82:83], v[70:71] op_sel:[1,0]
	ds_write_b32 v105, v82
	ds_write2_b32 v107, v132, v133 offset0:25 offset1:26
	s_waitcnt vmcnt(12)
	v_pk_mov_b32 v[132:133], v[70:71], v[80:81] op_sel:[1,0]
	ds_write2_b32 v107, v132, v133 offset0:27 offset1:28
	s_waitcnt vmcnt(10)
	v_pk_mov_b32 v[132:133], v[80:81], v[68:69] op_sel:[1,0]
	;; [unrolled: 3-line block ×3, first 2 shown]
	ds_write2_b32 v107, v132, v133 offset0:31 offset1:32
	ds_write_b32 v107, v93 offset:132
	ds_read_b32 v131, v105
	s_waitcnt lgkmcnt(0)
	v_cmp_neq_f32_e32 vcc, 0, v131
	s_and_b64 exec, exec, vcc
	s_cbranch_execz .LBB67_134
; %bb.133:
	v_div_scale_f32 v132, s[4:5], v131, v131, 1.0
	v_rcp_f32_e32 v133, v132
	v_div_scale_f32 v134, vcc, 1.0, v131, 1.0
	v_fma_f32 v135, -v132, v133, 1.0
	v_fmac_f32_e32 v133, v135, v133
	v_mul_f32_e32 v135, v134, v133
	v_fma_f32 v136, -v132, v135, v134
	v_fmac_f32_e32 v135, v136, v133
	v_fma_f32 v132, -v132, v135, v134
	v_div_fmas_f32 v132, v132, v133, v135
	v_div_fixup_f32 v131, v132, v131, 1.0
	ds_write_b32 v105, v131
.LBB67_134:
	s_or_b64 exec, exec, s[2:3]
	s_waitcnt lgkmcnt(0)
	s_barrier
	ds_read_b32 v131, v105
	v_cmp_lt_u32_e32 vcc, 24, v103
	s_and_saveexec_b64 s[2:3], vcc
	s_cbranch_execz .LBB67_136
; %bb.135:
	ds_read_b32 v140, v107 offset:100
	ds_read2_b64 v[132:135], v107 offset0:13 offset1:14
	ds_read2_b64 v[136:139], v107 offset0:15 offset1:16
	s_waitcnt vmcnt(17) lgkmcnt(3)
	v_mul_f32_e32 v82, v131, v82
	s_waitcnt vmcnt(16) lgkmcnt(2)
	v_fma_f32 v83, -v82, v140, v83
	s_waitcnt vmcnt(14) lgkmcnt(1)
	v_pk_fma_f32 v[70:71], v[82:83], v[132:133], v[70:71] op_sel_hi:[0,1,1] neg_lo:[1,0,0] neg_hi:[1,0,0]
	s_waitcnt vmcnt(12)
	v_pk_fma_f32 v[80:81], v[82:83], v[134:135], v[80:81] op_sel_hi:[0,1,1] neg_lo:[1,0,0] neg_hi:[1,0,0]
	s_waitcnt vmcnt(10) lgkmcnt(0)
	v_pk_fma_f32 v[68:69], v[82:83], v[136:137], v[68:69] op_sel_hi:[0,1,1] neg_lo:[1,0,0] neg_hi:[1,0,0]
	s_waitcnt vmcnt(8)
	v_pk_fma_f32 v[92:93], v[82:83], v[138:139], v[92:93] op_sel_hi:[0,1,1] neg_lo:[1,0,0] neg_hi:[1,0,0]
.LBB67_136:
	s_or_b64 exec, exec, s[2:3]
	v_cmp_ne_u32_e32 vcc, 25, v103
	s_waitcnt lgkmcnt(0)
	s_barrier
	s_and_saveexec_b64 s[2:3], vcc
	s_xor_b64 s[2:3], exec, s[2:3]
	s_andn2_saveexec_b64 s[2:3], s[2:3]
	s_cbranch_execz .LBB67_140
; %bb.137:
	s_waitcnt vmcnt(16)
	ds_write_b32 v105, v83
	s_waitcnt vmcnt(12)
	ds_write2_b64 v107, v[70:71], v[80:81] offset0:13 offset1:14
	s_waitcnt vmcnt(8)
	ds_write2_b64 v107, v[68:69], v[92:93] offset0:15 offset1:16
	ds_read_b32 v132, v105
	s_waitcnt lgkmcnt(0)
	v_cmp_neq_f32_e32 vcc, 0, v132
	s_and_saveexec_b64 s[4:5], vcc
	s_cbranch_execz .LBB67_139
; %bb.138:
	v_div_scale_f32 v133, s[10:11], v132, v132, 1.0
	v_rcp_f32_e32 v134, v133
	v_div_scale_f32 v135, vcc, 1.0, v132, 1.0
	v_fma_f32 v136, -v133, v134, 1.0
	v_fmac_f32_e32 v134, v136, v134
	v_mul_f32_e32 v136, v135, v134
	v_fma_f32 v137, -v133, v136, v135
	v_fmac_f32_e32 v136, v137, v134
	v_fma_f32 v133, -v133, v136, v135
	v_div_fmas_f32 v133, v133, v134, v136
	v_div_fixup_f32 v132, v133, v132, 1.0
	ds_write_b32 v105, v132
.LBB67_139:
	s_or_b64 exec, exec, s[4:5]
.LBB67_140:
	s_or_b64 exec, exec, s[2:3]
	s_waitcnt lgkmcnt(0)
	s_barrier
	ds_read_b32 v132, v105
	v_cmp_lt_u32_e32 vcc, 25, v103
	s_and_saveexec_b64 s[2:3], vcc
	s_cbranch_execz .LBB67_142
; %bb.141:
	ds_read2_b64 v[134:137], v107 offset0:13 offset1:14
	ds_read2_b64 v[138:141], v107 offset0:15 offset1:16
	s_waitcnt vmcnt(16) lgkmcnt(2)
	v_mul_f32_e32 v142, v132, v83
	v_mov_b32_e32 v83, v142
	s_waitcnt vmcnt(14) lgkmcnt(1)
	v_pk_fma_f32 v[70:71], v[142:143], v[134:135], v[70:71] op_sel_hi:[0,1,1] neg_lo:[1,0,0] neg_hi:[1,0,0]
	s_waitcnt vmcnt(12)
	v_pk_fma_f32 v[80:81], v[142:143], v[136:137], v[80:81] op_sel_hi:[0,1,1] neg_lo:[1,0,0] neg_hi:[1,0,0]
	s_waitcnt vmcnt(10) lgkmcnt(0)
	v_pk_fma_f32 v[68:69], v[142:143], v[138:139], v[68:69] op_sel_hi:[0,1,1] neg_lo:[1,0,0] neg_hi:[1,0,0]
	s_waitcnt vmcnt(8)
	v_pk_fma_f32 v[92:93], v[142:143], v[140:141], v[92:93] op_sel_hi:[0,1,1] neg_lo:[1,0,0] neg_hi:[1,0,0]
.LBB67_142:
	s_or_b64 exec, exec, s[2:3]
	v_cmp_eq_u32_e32 vcc, 26, v103
	s_waitcnt lgkmcnt(0)
	s_barrier
	s_and_saveexec_b64 s[2:3], vcc
	s_cbranch_execz .LBB67_145
; %bb.143:
	s_waitcnt vmcnt(12)
	v_pk_mov_b32 v[134:135], v[70:71], v[80:81] op_sel:[1,0]
	ds_write_b32 v105, v70
	ds_write2_b32 v107, v134, v135 offset0:27 offset1:28
	s_waitcnt vmcnt(10)
	v_pk_mov_b32 v[134:135], v[80:81], v[68:69] op_sel:[1,0]
	ds_write2_b32 v107, v134, v135 offset0:29 offset1:30
	s_waitcnt vmcnt(8)
	v_pk_mov_b32 v[134:135], v[68:69], v[92:93] op_sel:[1,0]
	ds_write2_b32 v107, v134, v135 offset0:31 offset1:32
	ds_write_b32 v107, v93 offset:132
	ds_read_b32 v133, v105
	s_waitcnt lgkmcnt(0)
	v_cmp_neq_f32_e32 vcc, 0, v133
	s_and_b64 exec, exec, vcc
	s_cbranch_execz .LBB67_145
; %bb.144:
	v_div_scale_f32 v134, s[4:5], v133, v133, 1.0
	v_rcp_f32_e32 v135, v134
	v_div_scale_f32 v136, vcc, 1.0, v133, 1.0
	v_fma_f32 v137, -v134, v135, 1.0
	v_fmac_f32_e32 v135, v137, v135
	v_mul_f32_e32 v137, v136, v135
	v_fma_f32 v138, -v134, v137, v136
	v_fmac_f32_e32 v137, v138, v135
	v_fma_f32 v134, -v134, v137, v136
	v_div_fmas_f32 v134, v134, v135, v137
	v_div_fixup_f32 v133, v134, v133, 1.0
	ds_write_b32 v105, v133
.LBB67_145:
	s_or_b64 exec, exec, s[2:3]
	s_waitcnt lgkmcnt(0)
	s_barrier
	ds_read_b32 v133, v105
	v_cmp_lt_u32_e32 vcc, 26, v103
	s_and_saveexec_b64 s[2:3], vcc
	s_cbranch_execz .LBB67_147
; %bb.146:
	ds_read_b32 v140, v107 offset:108
	ds_read2_b64 v[134:137], v107 offset0:14 offset1:15
	ds_read_b64 v[138:139], v107 offset:128
	s_waitcnt vmcnt(15) lgkmcnt(3)
	v_mul_f32_e32 v70, v133, v70
	s_waitcnt vmcnt(14) lgkmcnt(2)
	v_fma_f32 v71, -v70, v140, v71
	s_waitcnt vmcnt(12) lgkmcnt(1)
	v_pk_fma_f32 v[80:81], v[70:71], v[134:135], v[80:81] op_sel_hi:[0,1,1] neg_lo:[1,0,0] neg_hi:[1,0,0]
	s_waitcnt vmcnt(10)
	v_pk_fma_f32 v[68:69], v[70:71], v[136:137], v[68:69] op_sel_hi:[0,1,1] neg_lo:[1,0,0] neg_hi:[1,0,0]
	s_waitcnt vmcnt(8) lgkmcnt(0)
	v_pk_fma_f32 v[92:93], v[70:71], v[138:139], v[92:93] op_sel_hi:[0,1,1] neg_lo:[1,0,0] neg_hi:[1,0,0]
.LBB67_147:
	s_or_b64 exec, exec, s[2:3]
	v_cmp_ne_u32_e32 vcc, 27, v103
	s_waitcnt lgkmcnt(0)
	s_barrier
	s_and_saveexec_b64 s[2:3], vcc
	s_xor_b64 s[2:3], exec, s[2:3]
	s_andn2_saveexec_b64 s[2:3], s[2:3]
	s_cbranch_execz .LBB67_151
; %bb.148:
	s_waitcnt vmcnt(13)
	v_mov_b32_e32 v134, v80
	s_waitcnt vmcnt(12)
	v_mov_b32_e32 v135, v81
	;; [unrolled: 2-line block ×4, first 2 shown]
	ds_write_b32 v105, v71
	ds_write2_b64 v107, v[134:135], v[136:137] offset0:14 offset1:15
	s_waitcnt vmcnt(8)
	ds_write_b64 v107, v[92:93] offset:128
	ds_read_b32 v134, v105
	s_waitcnt lgkmcnt(0)
	v_cmp_neq_f32_e32 vcc, 0, v134
	s_and_saveexec_b64 s[4:5], vcc
	s_cbranch_execz .LBB67_150
; %bb.149:
	v_div_scale_f32 v135, s[10:11], v134, v134, 1.0
	v_rcp_f32_e32 v136, v135
	v_div_scale_f32 v137, vcc, 1.0, v134, 1.0
	v_fma_f32 v138, -v135, v136, 1.0
	v_fmac_f32_e32 v136, v138, v136
	v_mul_f32_e32 v138, v137, v136
	v_fma_f32 v139, -v135, v138, v137
	v_fmac_f32_e32 v138, v139, v136
	v_fma_f32 v135, -v135, v138, v137
	v_div_fmas_f32 v135, v135, v136, v138
	v_div_fixup_f32 v134, v135, v134, 1.0
	ds_write_b32 v105, v134
.LBB67_150:
	s_or_b64 exec, exec, s[4:5]
.LBB67_151:
	s_or_b64 exec, exec, s[2:3]
	s_waitcnt lgkmcnt(0)
	s_barrier
	ds_read_b32 v134, v105
	v_cmp_lt_u32_e32 vcc, 27, v103
	s_and_saveexec_b64 s[2:3], vcc
	s_cbranch_execz .LBB67_153
; %bb.152:
	ds_read2_b64 v[136:139], v107 offset0:14 offset1:15
	ds_read_b64 v[140:141], v107 offset:128
	s_waitcnt vmcnt(14) lgkmcnt(2)
	v_mul_f32_e32 v142, v134, v71
	v_mov_b32_e32 v71, v142
	s_waitcnt vmcnt(12) lgkmcnt(1)
	v_pk_fma_f32 v[80:81], v[142:143], v[136:137], v[80:81] op_sel_hi:[0,1,1] neg_lo:[1,0,0] neg_hi:[1,0,0]
	s_waitcnt vmcnt(10)
	v_pk_fma_f32 v[68:69], v[142:143], v[138:139], v[68:69] op_sel_hi:[0,1,1] neg_lo:[1,0,0] neg_hi:[1,0,0]
	s_waitcnt vmcnt(8) lgkmcnt(0)
	v_pk_fma_f32 v[92:93], v[142:143], v[140:141], v[92:93] op_sel_hi:[0,1,1] neg_lo:[1,0,0] neg_hi:[1,0,0]
.LBB67_153:
	s_or_b64 exec, exec, s[2:3]
	v_cmp_eq_u32_e32 vcc, 28, v103
	s_waitcnt lgkmcnt(0)
	s_barrier
	s_and_saveexec_b64 s[2:3], vcc
	s_cbranch_execz .LBB67_156
; %bb.154:
	s_waitcnt vmcnt(10)
	v_pk_mov_b32 v[136:137], v[80:81], v[68:69] op_sel:[1,0]
	ds_write_b32 v105, v80
	ds_write2_b32 v107, v136, v137 offset0:29 offset1:30
	s_waitcnt vmcnt(8)
	v_pk_mov_b32 v[136:137], v[68:69], v[92:93] op_sel:[1,0]
	ds_write2_b32 v107, v136, v137 offset0:31 offset1:32
	ds_write_b32 v107, v93 offset:132
	ds_read_b32 v135, v105
	s_waitcnt lgkmcnt(0)
	v_cmp_neq_f32_e32 vcc, 0, v135
	s_and_b64 exec, exec, vcc
	s_cbranch_execz .LBB67_156
; %bb.155:
	v_div_scale_f32 v136, s[4:5], v135, v135, 1.0
	v_rcp_f32_e32 v137, v136
	v_div_scale_f32 v138, vcc, 1.0, v135, 1.0
	v_fma_f32 v139, -v136, v137, 1.0
	v_fmac_f32_e32 v137, v139, v137
	v_mul_f32_e32 v139, v138, v137
	v_fma_f32 v140, -v136, v139, v138
	v_fmac_f32_e32 v139, v140, v137
	v_fma_f32 v136, -v136, v139, v138
	v_div_fmas_f32 v136, v136, v137, v139
	v_div_fixup_f32 v135, v136, v135, 1.0
	ds_write_b32 v105, v135
.LBB67_156:
	s_or_b64 exec, exec, s[2:3]
	s_waitcnt lgkmcnt(0)
	s_barrier
	ds_read_b32 v135, v105
	v_cmp_lt_u32_e32 vcc, 28, v103
	s_and_saveexec_b64 s[2:3], vcc
	s_cbranch_execz .LBB67_158
; %bb.157:
	ds_read_b32 v140, v107 offset:116
	ds_read2_b64 v[136:139], v107 offset0:15 offset1:16
	s_waitcnt vmcnt(13) lgkmcnt(2)
	v_mul_f32_e32 v80, v135, v80
	s_waitcnt vmcnt(12) lgkmcnt(1)
	v_fma_f32 v81, -v80, v140, v81
	s_waitcnt vmcnt(10) lgkmcnt(0)
	v_pk_fma_f32 v[68:69], v[80:81], v[136:137], v[68:69] op_sel_hi:[0,1,1] neg_lo:[1,0,0] neg_hi:[1,0,0]
	s_waitcnt vmcnt(8)
	v_pk_fma_f32 v[92:93], v[80:81], v[138:139], v[92:93] op_sel_hi:[0,1,1] neg_lo:[1,0,0] neg_hi:[1,0,0]
.LBB67_158:
	s_or_b64 exec, exec, s[2:3]
	v_cmp_ne_u32_e32 vcc, 29, v103
	s_waitcnt lgkmcnt(0)
	s_barrier
	s_and_saveexec_b64 s[2:3], vcc
	s_xor_b64 s[2:3], exec, s[2:3]
	s_andn2_saveexec_b64 s[2:3], s[2:3]
	s_cbranch_execz .LBB67_162
; %bb.159:
	s_waitcnt vmcnt(12)
	ds_write_b32 v105, v81
	s_waitcnt vmcnt(8)
	ds_write2_b64 v107, v[68:69], v[92:93] offset0:15 offset1:16
	ds_read_b32 v136, v105
	s_waitcnt lgkmcnt(0)
	v_cmp_neq_f32_e32 vcc, 0, v136
	s_and_saveexec_b64 s[4:5], vcc
	s_cbranch_execz .LBB67_161
; %bb.160:
	v_div_scale_f32 v137, s[10:11], v136, v136, 1.0
	v_rcp_f32_e32 v138, v137
	v_div_scale_f32 v139, vcc, 1.0, v136, 1.0
	v_fma_f32 v140, -v137, v138, 1.0
	v_fmac_f32_e32 v138, v140, v138
	v_mul_f32_e32 v140, v139, v138
	v_fma_f32 v141, -v137, v140, v139
	v_fmac_f32_e32 v140, v141, v138
	v_fma_f32 v137, -v137, v140, v139
	v_div_fmas_f32 v137, v137, v138, v140
	v_div_fixup_f32 v136, v137, v136, 1.0
	ds_write_b32 v105, v136
.LBB67_161:
	s_or_b64 exec, exec, s[4:5]
.LBB67_162:
	s_or_b64 exec, exec, s[2:3]
	s_waitcnt lgkmcnt(0)
	s_barrier
	ds_read_b32 v136, v105
	v_cmp_lt_u32_e32 vcc, 29, v103
	s_and_saveexec_b64 s[2:3], vcc
	s_cbranch_execz .LBB67_164
; %bb.163:
	ds_read2_b64 v[138:141], v107 offset0:15 offset1:16
	s_waitcnt vmcnt(12) lgkmcnt(1)
	v_mul_f32_e32 v142, v136, v81
	v_mov_b32_e32 v81, v142
	s_waitcnt vmcnt(10) lgkmcnt(0)
	v_pk_fma_f32 v[68:69], v[142:143], v[138:139], v[68:69] op_sel_hi:[0,1,1] neg_lo:[1,0,0] neg_hi:[1,0,0]
	s_waitcnt vmcnt(8)
	v_pk_fma_f32 v[92:93], v[142:143], v[140:141], v[92:93] op_sel_hi:[0,1,1] neg_lo:[1,0,0] neg_hi:[1,0,0]
.LBB67_164:
	s_or_b64 exec, exec, s[2:3]
	v_cmp_eq_u32_e32 vcc, 30, v103
	s_waitcnt lgkmcnt(0)
	s_barrier
	s_and_saveexec_b64 s[2:3], vcc
	s_cbranch_execz .LBB67_167
; %bb.165:
	s_waitcnt vmcnt(8)
	v_pk_mov_b32 v[138:139], v[68:69], v[92:93] op_sel:[1,0]
	ds_write_b32 v105, v68
	ds_write2_b32 v107, v138, v139 offset0:31 offset1:32
	ds_write_b32 v107, v93 offset:132
	ds_read_b32 v137, v105
	s_waitcnt lgkmcnt(0)
	v_cmp_neq_f32_e32 vcc, 0, v137
	s_and_b64 exec, exec, vcc
	s_cbranch_execz .LBB67_167
; %bb.166:
	v_div_scale_f32 v138, s[4:5], v137, v137, 1.0
	v_rcp_f32_e32 v139, v138
	v_div_scale_f32 v140, vcc, 1.0, v137, 1.0
	v_fma_f32 v141, -v138, v139, 1.0
	v_fmac_f32_e32 v139, v141, v139
	v_mul_f32_e32 v141, v140, v139
	v_fma_f32 v142, -v138, v141, v140
	v_fmac_f32_e32 v141, v142, v139
	v_fma_f32 v138, -v138, v141, v140
	v_div_fmas_f32 v138, v138, v139, v141
	v_div_fixup_f32 v137, v138, v137, 1.0
	ds_write_b32 v105, v137
.LBB67_167:
	s_or_b64 exec, exec, s[2:3]
	s_waitcnt lgkmcnt(0)
	s_barrier
	ds_read_b32 v137, v105
	v_cmp_lt_u32_e32 vcc, 30, v103
	s_and_saveexec_b64 s[2:3], vcc
	s_cbranch_execz .LBB67_169
; %bb.168:
	ds_read_b32 v140, v107 offset:124
	ds_read_b64 v[138:139], v107 offset:128
	s_waitcnt vmcnt(11) lgkmcnt(2)
	v_mul_f32_e32 v68, v137, v68
	s_waitcnt vmcnt(10) lgkmcnt(1)
	v_fma_f32 v69, -v68, v140, v69
	s_waitcnt vmcnt(8) lgkmcnt(0)
	v_pk_fma_f32 v[92:93], v[68:69], v[138:139], v[92:93] op_sel_hi:[0,1,1] neg_lo:[1,0,0] neg_hi:[1,0,0]
.LBB67_169:
	s_or_b64 exec, exec, s[2:3]
	v_cmp_ne_u32_e32 vcc, 31, v103
	s_waitcnt lgkmcnt(0)
	s_barrier
	s_and_saveexec_b64 s[2:3], vcc
	s_xor_b64 s[2:3], exec, s[2:3]
	s_andn2_saveexec_b64 s[2:3], s[2:3]
	s_cbranch_execz .LBB67_173
; %bb.170:
	s_waitcnt vmcnt(10)
	ds_write_b32 v105, v69
	s_waitcnt vmcnt(8)
	ds_write_b64 v107, v[92:93] offset:128
	ds_read_b32 v138, v105
	s_waitcnt lgkmcnt(0)
	v_cmp_neq_f32_e32 vcc, 0, v138
	s_and_saveexec_b64 s[4:5], vcc
	s_cbranch_execz .LBB67_172
; %bb.171:
	v_div_scale_f32 v139, s[10:11], v138, v138, 1.0
	v_rcp_f32_e32 v140, v139
	v_div_scale_f32 v141, vcc, 1.0, v138, 1.0
	v_fma_f32 v142, -v139, v140, 1.0
	v_fmac_f32_e32 v140, v142, v140
	v_mul_f32_e32 v142, v141, v140
	v_fma_f32 v143, -v139, v142, v141
	v_fmac_f32_e32 v142, v143, v140
	v_fma_f32 v139, -v139, v142, v141
	v_div_fmas_f32 v139, v139, v140, v142
	v_div_fixup_f32 v138, v139, v138, 1.0
	ds_write_b32 v105, v138
.LBB67_172:
	s_or_b64 exec, exec, s[4:5]
.LBB67_173:
	s_or_b64 exec, exec, s[2:3]
	s_waitcnt lgkmcnt(0)
	s_barrier
	ds_read_b32 v138, v105
	v_cmp_lt_u32_e32 vcc, 31, v103
	s_and_saveexec_b64 s[2:3], vcc
	s_cbranch_execz .LBB67_175
; %bb.174:
	ds_read_b64 v[140:141], v107 offset:128
	s_waitcnt vmcnt(10) lgkmcnt(1)
	v_mul_f32_e32 v142, v138, v69
	v_mov_b32_e32 v69, v142
	s_waitcnt vmcnt(8) lgkmcnt(0)
	v_pk_fma_f32 v[92:93], v[142:143], v[140:141], v[92:93] op_sel_hi:[0,1,1] neg_lo:[1,0,0] neg_hi:[1,0,0]
.LBB67_175:
	s_or_b64 exec, exec, s[2:3]
	v_cmp_eq_u32_e32 vcc, 32, v103
	s_waitcnt lgkmcnt(0)
	s_barrier
	s_and_saveexec_b64 s[2:3], vcc
	s_cbranch_execz .LBB67_178
; %bb.176:
	s_waitcnt vmcnt(9)
	ds_write_b32 v105, v92
	s_waitcnt vmcnt(8)
	ds_write_b32 v107, v93 offset:132
	ds_read_b32 v139, v105
	s_waitcnt lgkmcnt(0)
	v_cmp_neq_f32_e32 vcc, 0, v139
	s_and_b64 exec, exec, vcc
	s_cbranch_execz .LBB67_178
; %bb.177:
	v_div_scale_f32 v140, s[4:5], v139, v139, 1.0
	v_rcp_f32_e32 v141, v140
	v_div_scale_f32 v142, vcc, 1.0, v139, 1.0
	v_fma_f32 v143, -v140, v141, 1.0
	v_fmac_f32_e32 v141, v143, v141
	v_mul_f32_e32 v143, v142, v141
	v_fma_f32 v144, -v140, v143, v142
	v_fmac_f32_e32 v143, v144, v141
	v_fma_f32 v140, -v140, v143, v142
	v_div_fmas_f32 v140, v140, v141, v143
	v_div_fixup_f32 v139, v140, v139, 1.0
	ds_write_b32 v105, v139
.LBB67_178:
	s_or_b64 exec, exec, s[2:3]
	s_waitcnt lgkmcnt(0)
	s_barrier
	ds_read_b32 v139, v105
	v_cmp_lt_u32_e32 vcc, 32, v103
	s_and_saveexec_b64 s[2:3], vcc
	s_cbranch_execz .LBB67_180
; %bb.179:
	ds_read_b32 v107, v107 offset:132
	s_waitcnt vmcnt(9) lgkmcnt(1)
	v_mul_f32_e32 v92, v139, v92
	s_waitcnt vmcnt(8) lgkmcnt(0)
	v_fma_f32 v93, -v92, v107, v93
.LBB67_180:
	s_or_b64 exec, exec, s[2:3]
	v_cmp_ne_u32_e32 vcc, 33, v103
	s_waitcnt lgkmcnt(0)
	s_barrier
	s_and_saveexec_b64 s[2:3], vcc
	s_xor_b64 s[2:3], exec, s[2:3]
	s_andn2_saveexec_b64 s[2:3], s[2:3]
	s_cbranch_execz .LBB67_184
; %bb.181:
	s_waitcnt vmcnt(8)
	v_cmp_neq_f32_e32 vcc, 0, v93
	ds_write_b32 v105, v93
	s_and_saveexec_b64 s[4:5], vcc
	s_cbranch_execz .LBB67_183
; %bb.182:
	v_div_scale_f32 v107, s[10:11], v93, v93, 1.0
	v_rcp_f32_e32 v140, v107
	v_div_scale_f32 v141, vcc, 1.0, v93, 1.0
	v_fma_f32 v142, -v107, v140, 1.0
	v_fmac_f32_e32 v140, v142, v140
	v_mul_f32_e32 v142, v141, v140
	v_fma_f32 v143, -v107, v142, v141
	v_fmac_f32_e32 v142, v143, v140
	v_fma_f32 v107, -v107, v142, v141
	v_div_fmas_f32 v107, v107, v140, v142
	v_div_fixup_f32 v107, v107, v93, 1.0
	ds_write_b32 v105, v107
.LBB67_183:
	s_or_b64 exec, exec, s[4:5]
.LBB67_184:
	s_or_b64 exec, exec, s[2:3]
	s_waitcnt lgkmcnt(0)
	s_barrier
	ds_read_b32 v105, v105
	s_waitcnt lgkmcnt(0)
	s_barrier
	s_and_saveexec_b64 s[2:3], s[0:1]
	s_cbranch_execz .LBB67_187
; %bb.185:
	v_cmp_eq_f32_e32 vcc, 0, v106
	v_cmp_neq_f32_e64 s[0:1], 0, v108
	v_mov_b32_e32 v107, s7
	v_cndmask_b32_e64 v106, 0, 1, vcc
	s_or_b64 vcc, s[0:1], vcc
	v_cndmask_b32_e32 v106, 2, v106, vcc
	v_cmp_eq_f32_e32 vcc, 0, v109
	v_cmp_eq_u32_e64 s[0:1], 0, v106
	s_and_b64 s[0:1], vcc, s[0:1]
	v_cmp_eq_f32_e32 vcc, 0, v110
	v_cndmask_b32_e64 v106, v106, 3, s[0:1]
	v_cmp_eq_u32_e64 s[0:1], 0, v106
	s_and_b64 s[0:1], vcc, s[0:1]
	v_cmp_eq_f32_e32 vcc, 0, v111
	v_cndmask_b32_e64 v106, v106, 4, s[0:1]
	;; [unrolled: 4-line block ×12, first 2 shown]
	v_mov_b32_e32 v106, s6
	v_lshl_add_u64 v[24:25], v[24:25], 2, v[106:107]
	global_load_dword v107, v[24:25], off
	v_cmp_eq_u32_e64 s[0:1], 0, v108
	s_and_b64 s[0:1], vcc, s[0:1]
	v_cmp_eq_f32_e32 vcc, 0, v122
	v_cndmask_b32_e64 v106, v108, 15, s[0:1]
	v_cmp_eq_u32_e64 s[0:1], 0, v106
	s_and_b64 s[0:1], vcc, s[0:1]
	v_cmp_eq_f32_e32 vcc, 0, v123
	v_cndmask_b32_e64 v106, v106, 16, s[0:1]
	;; [unrolled: 4-line block ×19, first 2 shown]
	v_cmp_eq_u32_e64 s[0:1], 0, v106
	s_and_b64 s[0:1], vcc, s[0:1]
	s_waitcnt vmcnt(0)
	v_cmp_eq_u32_e32 vcc, 0, v107
	v_cndmask_b32_e64 v106, v106, 34, s[0:1]
	v_cmp_ne_u32_e64 s[0:1], 0, v106
	s_and_b64 s[0:1], vcc, s[0:1]
	s_and_b64 exec, exec, s[0:1]
	s_cbranch_execz .LBB67_187
; %bb.186:
	v_add_u32_e32 v106, s9, v106
	global_store_dword v[24:25], v106, off
.LBB67_187:
	s_or_b64 exec, exec, s[2:3]
	s_waitcnt vmcnt(8)
	v_mul_f32_e32 v24, v105, v93
	v_cmp_lt_u32_e32 vcc, 33, v103
	s_nop 1
	v_cndmask_b32_e32 v24, v93, v24, vcc
	s_waitcnt vmcnt(1)
	global_store_dword v[0:1], v102, off
	s_waitcnt vmcnt(1)
	global_store_dword v[100:101], v104, off
	global_store_dword v[2:3], v96, off
	;; [unrolled: 1-line block ×33, first 2 shown]
.LBB67_188:
	s_endpgm
	.section	.rodata,"a",@progbits
	.p2align	6, 0x0
	.amdhsa_kernel _ZN9rocsolver6v33100L23getf2_npvt_small_kernelILi34EfiiPfEEvT1_T3_lS3_lPT2_S3_S3_
		.amdhsa_group_segment_fixed_size 0
		.amdhsa_private_segment_fixed_size 0
		.amdhsa_kernarg_size 312
		.amdhsa_user_sgpr_count 2
		.amdhsa_user_sgpr_dispatch_ptr 0
		.amdhsa_user_sgpr_queue_ptr 0
		.amdhsa_user_sgpr_kernarg_segment_ptr 1
		.amdhsa_user_sgpr_dispatch_id 0
		.amdhsa_user_sgpr_kernarg_preload_length 0
		.amdhsa_user_sgpr_kernarg_preload_offset 0
		.amdhsa_user_sgpr_private_segment_size 0
		.amdhsa_uses_dynamic_stack 0
		.amdhsa_enable_private_segment 0
		.amdhsa_system_sgpr_workgroup_id_x 1
		.amdhsa_system_sgpr_workgroup_id_y 1
		.amdhsa_system_sgpr_workgroup_id_z 0
		.amdhsa_system_sgpr_workgroup_info 0
		.amdhsa_system_vgpr_workitem_id 1
		.amdhsa_next_free_vgpr 145
		.amdhsa_next_free_sgpr 16
		.amdhsa_accum_offset 148
		.amdhsa_reserve_vcc 1
		.amdhsa_float_round_mode_32 0
		.amdhsa_float_round_mode_16_64 0
		.amdhsa_float_denorm_mode_32 3
		.amdhsa_float_denorm_mode_16_64 3
		.amdhsa_dx10_clamp 1
		.amdhsa_ieee_mode 1
		.amdhsa_fp16_overflow 0
		.amdhsa_tg_split 0
		.amdhsa_exception_fp_ieee_invalid_op 0
		.amdhsa_exception_fp_denorm_src 0
		.amdhsa_exception_fp_ieee_div_zero 0
		.amdhsa_exception_fp_ieee_overflow 0
		.amdhsa_exception_fp_ieee_underflow 0
		.amdhsa_exception_fp_ieee_inexact 0
		.amdhsa_exception_int_div_zero 0
	.end_amdhsa_kernel
	.section	.text._ZN9rocsolver6v33100L23getf2_npvt_small_kernelILi34EfiiPfEEvT1_T3_lS3_lPT2_S3_S3_,"axG",@progbits,_ZN9rocsolver6v33100L23getf2_npvt_small_kernelILi34EfiiPfEEvT1_T3_lS3_lPT2_S3_S3_,comdat
.Lfunc_end67:
	.size	_ZN9rocsolver6v33100L23getf2_npvt_small_kernelILi34EfiiPfEEvT1_T3_lS3_lPT2_S3_S3_, .Lfunc_end67-_ZN9rocsolver6v33100L23getf2_npvt_small_kernelILi34EfiiPfEEvT1_T3_lS3_lPT2_S3_S3_
                                        ; -- End function
	.set _ZN9rocsolver6v33100L23getf2_npvt_small_kernelILi34EfiiPfEEvT1_T3_lS3_lPT2_S3_S3_.num_vgpr, 145
	.set _ZN9rocsolver6v33100L23getf2_npvt_small_kernelILi34EfiiPfEEvT1_T3_lS3_lPT2_S3_S3_.num_agpr, 0
	.set _ZN9rocsolver6v33100L23getf2_npvt_small_kernelILi34EfiiPfEEvT1_T3_lS3_lPT2_S3_S3_.numbered_sgpr, 16
	.set _ZN9rocsolver6v33100L23getf2_npvt_small_kernelILi34EfiiPfEEvT1_T3_lS3_lPT2_S3_S3_.num_named_barrier, 0
	.set _ZN9rocsolver6v33100L23getf2_npvt_small_kernelILi34EfiiPfEEvT1_T3_lS3_lPT2_S3_S3_.private_seg_size, 0
	.set _ZN9rocsolver6v33100L23getf2_npvt_small_kernelILi34EfiiPfEEvT1_T3_lS3_lPT2_S3_S3_.uses_vcc, 1
	.set _ZN9rocsolver6v33100L23getf2_npvt_small_kernelILi34EfiiPfEEvT1_T3_lS3_lPT2_S3_S3_.uses_flat_scratch, 0
	.set _ZN9rocsolver6v33100L23getf2_npvt_small_kernelILi34EfiiPfEEvT1_T3_lS3_lPT2_S3_S3_.has_dyn_sized_stack, 0
	.set _ZN9rocsolver6v33100L23getf2_npvt_small_kernelILi34EfiiPfEEvT1_T3_lS3_lPT2_S3_S3_.has_recursion, 0
	.set _ZN9rocsolver6v33100L23getf2_npvt_small_kernelILi34EfiiPfEEvT1_T3_lS3_lPT2_S3_S3_.has_indirect_call, 0
	.section	.AMDGPU.csdata,"",@progbits
; Kernel info:
; codeLenInByte = 16884
; TotalNumSgprs: 22
; NumVgprs: 145
; NumAgprs: 0
; TotalNumVgprs: 145
; ScratchSize: 0
; MemoryBound: 0
; FloatMode: 240
; IeeeMode: 1
; LDSByteSize: 0 bytes/workgroup (compile time only)
; SGPRBlocks: 2
; VGPRBlocks: 18
; NumSGPRsForWavesPerEU: 22
; NumVGPRsForWavesPerEU: 145
; AccumOffset: 148
; Occupancy: 3
; WaveLimiterHint : 0
; COMPUTE_PGM_RSRC2:SCRATCH_EN: 0
; COMPUTE_PGM_RSRC2:USER_SGPR: 2
; COMPUTE_PGM_RSRC2:TRAP_HANDLER: 0
; COMPUTE_PGM_RSRC2:TGID_X_EN: 1
; COMPUTE_PGM_RSRC2:TGID_Y_EN: 1
; COMPUTE_PGM_RSRC2:TGID_Z_EN: 0
; COMPUTE_PGM_RSRC2:TIDIG_COMP_CNT: 1
; COMPUTE_PGM_RSRC3_GFX90A:ACCUM_OFFSET: 36
; COMPUTE_PGM_RSRC3_GFX90A:TG_SPLIT: 0
	.section	.text._ZN9rocsolver6v33100L18getf2_small_kernelILi35EfiiPfEEvT1_T3_lS3_lPS3_llPT2_S3_S3_S5_l,"axG",@progbits,_ZN9rocsolver6v33100L18getf2_small_kernelILi35EfiiPfEEvT1_T3_lS3_lPS3_llPT2_S3_S3_S5_l,comdat
	.globl	_ZN9rocsolver6v33100L18getf2_small_kernelILi35EfiiPfEEvT1_T3_lS3_lPS3_llPT2_S3_S3_S5_l ; -- Begin function _ZN9rocsolver6v33100L18getf2_small_kernelILi35EfiiPfEEvT1_T3_lS3_lPS3_llPT2_S3_S3_S5_l
	.p2align	8
	.type	_ZN9rocsolver6v33100L18getf2_small_kernelILi35EfiiPfEEvT1_T3_lS3_lPS3_llPT2_S3_S3_S5_l,@function
_ZN9rocsolver6v33100L18getf2_small_kernelILi35EfiiPfEEvT1_T3_lS3_lPS3_llPT2_S3_S3_S5_l: ; @_ZN9rocsolver6v33100L18getf2_small_kernelILi35EfiiPfEEvT1_T3_lS3_lPS3_llPT2_S3_S3_S5_l
; %bb.0:
	s_load_dword s2, s[0:1], 0x6c
	s_load_dwordx2 s[14:15], s[0:1], 0x48
	v_bfe_u32 v21, v0, 10, 10
	s_waitcnt lgkmcnt(0)
	s_lshr_b32 s2, s2, 16
	s_mul_i32 s3, s3, s2
	v_add_u32_e32 v4, s3, v21
	v_cmp_gt_i32_e32 vcc, s14, v4
	s_and_saveexec_b64 s[2:3], vcc
	s_cbranch_execz .LBB68_592
; %bb.1:
	s_load_dwordx4 s[4:7], s[0:1], 0x50
	v_ashrrev_i32_e32 v5, 31, v4
	v_mov_b64_e32 v[22:23], 0
	s_waitcnt lgkmcnt(0)
	s_cmp_eq_u64 s[4:5], 0
	s_cselect_b64 s[16:17], -1, 0
	s_and_b64 vcc, exec, s[16:17]
	s_cbranch_vccnz .LBB68_3
; %bb.2:
	v_mul_lo_u32 v1, s7, v4
	v_mul_lo_u32 v6, s6, v5
	v_mad_u64_u32 v[2:3], s[2:3], s6, v4, 0
	v_add3_u32 v3, v3, v6, v1
	v_lshl_add_u64 v[22:23], v[2:3], 2, s[4:5]
.LBB68_3:
	s_load_dwordx4 s[20:23], s[0:1], 0x8
	s_load_dwordx8 s[4:11], s[0:1], 0x20
	s_load_dword s12, s[0:1], 0x18
	v_and_b32_e32 v46, 0x3ff, v0
	v_lshlrev_b32_e32 v42, 2, v46
	s_waitcnt lgkmcnt(0)
	v_mov_b32_e32 v2, s20
	v_mul_lo_u32 v1, s5, v4
	v_mul_lo_u32 v8, s4, v5
	v_mad_u64_u32 v[6:7], s[2:3], s4, v4, 0
	v_mov_b32_e32 v3, s21
	v_add3_u32 v7, v7, v8, v1
	s_add_i32 s14, s12, s12
	v_lshl_add_u64 v[2:3], v[6:7], 2, v[2:3]
	v_add_u32_e32 v0, s14, v46
	v_lshl_add_u64 v[2:3], s[22:23], 2, v[2:3]
	v_ashrrev_i32_e32 v1, 31, v0
	v_lshl_add_u64 v[16:17], v[0:1], 2, v[2:3]
	v_add_u32_e32 v0, s12, v0
	v_ashrrev_i32_e32 v1, 31, v0
	v_lshl_add_u64 v[18:19], v[0:1], 2, v[2:3]
	v_add_u32_e32 v0, s12, v0
	;; [unrolled: 3-line block ×4, first 2 shown]
	v_mov_b32_e32 v43, 0
	v_add_u32_e32 v30, s12, v0
	v_lshl_add_u64 v[8:9], v[2:3], 0, v[42:43]
	s_ashr_i32 s13, s12, 31
	v_ashrrev_i32_e32 v1, 31, v0
	v_ashrrev_i32_e32 v31, 31, v30
	v_lshl_add_u64 v[12:13], s[12:13], 2, v[8:9]
	v_lshl_add_u64 v[28:29], v[0:1], 2, v[2:3]
	;; [unrolled: 1-line block ×3, first 2 shown]
	global_load_dword v20, v[8:9], off
	global_load_dword v14, v[12:13], off
	global_load_dword v15, v[16:17], off
	global_load_dword v10, v[18:19], off
	global_load_dword v11, v[24:25], off
	global_load_dword v6, v[26:27], off
	global_load_dword v7, v[28:29], off
	global_load_dword v0, v[32:33], off
	v_add_u32_e32 v8, s12, v30
	v_ashrrev_i32_e32 v9, 31, v8
	v_lshl_add_u64 v[16:17], v[8:9], 2, v[2:3]
	v_add_u32_e32 v8, s12, v8
	v_ashrrev_i32_e32 v9, 31, v8
	v_lshl_add_u64 v[24:25], v[8:9], 2, v[2:3]
	v_add_u32_e32 v8, s12, v8
	v_ashrrev_i32_e32 v9, 31, v8
	v_lshl_add_u64 v[26:27], v[8:9], 2, v[2:3]
	v_add_u32_e32 v8, s12, v8
	v_ashrrev_i32_e32 v9, 31, v8
	v_lshl_add_u64 v[30:31], v[8:9], 2, v[2:3]
	v_add_u32_e32 v8, s12, v8
	v_ashrrev_i32_e32 v9, 31, v8
	v_lshl_add_u64 v[32:33], v[8:9], 2, v[2:3]
	v_add_u32_e32 v8, s12, v8
	v_ashrrev_i32_e32 v9, 31, v8
	v_lshl_add_u64 v[34:35], v[8:9], 2, v[2:3]
	v_add_u32_e32 v8, s12, v8
	v_add_u32_e32 v38, s12, v8
	v_ashrrev_i32_e32 v9, 31, v8
	v_ashrrev_i32_e32 v39, 31, v38
	v_lshl_add_u64 v[36:37], v[8:9], 2, v[2:3]
	v_lshl_add_u64 v[40:41], v[38:39], 2, v[2:3]
	global_load_dword v1, v[16:17], off
	global_load_dword v28, v[24:25], off
	global_load_dword v29, v[26:27], off
	global_load_dword v18, v[30:31], off
	global_load_dword v19, v[32:33], off
	global_load_dword v12, v[34:35], off
	global_load_dword v13, v[36:37], off
	global_load_dword v8, v[40:41], off
	v_add_u32_e32 v16, s12, v38
	v_ashrrev_i32_e32 v17, 31, v16
	v_lshl_add_u64 v[26:27], v[16:17], 2, v[2:3]
	v_add_u32_e32 v16, s12, v16
	v_ashrrev_i32_e32 v17, 31, v16
	v_lshl_add_u64 v[32:33], v[16:17], 2, v[2:3]
	v_add_u32_e32 v16, s12, v16
	v_ashrrev_i32_e32 v17, 31, v16
	v_lshl_add_u64 v[36:37], v[16:17], 2, v[2:3]
	v_add_u32_e32 v16, s12, v16
	v_ashrrev_i32_e32 v17, 31, v16
	v_lshl_add_u64 v[38:39], v[16:17], 2, v[2:3]
	v_add_u32_e32 v16, s12, v16
	v_ashrrev_i32_e32 v17, 31, v16
	v_lshl_add_u64 v[40:41], v[16:17], 2, v[2:3]
	v_add_u32_e32 v16, s12, v16
	v_ashrrev_i32_e32 v17, 31, v16
	v_lshl_add_u64 v[44:45], v[16:17], 2, v[2:3]
	v_add_u32_e32 v16, s12, v16
	v_add_u32_e32 v50, s12, v16
	v_ashrrev_i32_e32 v17, 31, v16
	v_ashrrev_i32_e32 v51, 31, v50
	v_lshl_add_u64 v[48:49], v[16:17], 2, v[2:3]
	v_lshl_add_u64 v[52:53], v[50:51], 2, v[2:3]
	;; [unrolled: 32-line block ×3, first 2 shown]
	global_load_dword v17, v[38:39], off
	global_load_dword v40, v[44:45], off
	;; [unrolled: 1-line block ×8, first 2 shown]
	v_add_u32_e32 v38, s12, v58
	v_ashrrev_i32_e32 v39, 31, v38
	v_lshl_add_u64 v[44:45], v[38:39], 2, v[2:3]
	v_add_u32_e32 v38, s12, v38
	v_ashrrev_i32_e32 v39, 31, v38
	v_lshl_add_u64 v[48:49], v[38:39], 2, v[2:3]
	;; [unrolled: 3-line block ×3, first 2 shown]
	global_load_dword v27, v[44:45], off
	global_load_dword v38, v[48:49], off
	global_load_dword v39, v[50:51], off
	s_load_dword s22, s[0:1], 0x0
	s_load_dwordx2 s[4:5], s[0:1], 0x40
	s_waitcnt lgkmcnt(0)
	s_max_i32 s0, s22, 35
	v_mul_lo_u32 v44, s0, v21
	v_lshl_add_u32 v21, v44, 2, 0
	v_add_u32_e32 v42, v21, v42
	s_waitcnt vmcnt(34)
	ds_write_b32 v42, v20
	s_waitcnt lgkmcnt(0)
	s_barrier
	ds_read_b32 v42, v21
	s_cmp_lt_i32 s22, 2
	v_lshlrev_b32_e32 v44, 2, v44
	s_cbranch_scc1 .LBB68_6
; %bb.4:
	v_add3_u32 v45, v44, 0, 4
	v_mov_b32_e32 v43, 0
	s_mov_b32 s0, 1
.LBB68_5:                               ; =>This Inner Loop Header: Depth=1
	ds_read_b32 v47, v45
	v_mov_b32_e32 v48, s0
	s_add_i32 s0, s0, 1
	v_add_u32_e32 v45, 4, v45
	s_cmp_eq_u32 s22, s0
	s_waitcnt lgkmcnt(0)
	v_cmp_lt_f32_e64 vcc, |v42|, |v47|
	s_nop 1
	v_cndmask_b32_e32 v42, v42, v47, vcc
	v_cndmask_b32_e32 v43, v43, v48, vcc
	s_cbranch_scc0 .LBB68_5
.LBB68_6:
	v_cmp_ne_u32_e32 vcc, v46, v43
                                        ; implicit-def: $vgpr45
	s_and_saveexec_b64 s[0:1], vcc
	s_xor_b64 s[0:1], exec, s[0:1]
	s_cbranch_execz .LBB68_12
; %bb.7:
	v_cmp_eq_u32_e32 vcc, 0, v46
	s_and_saveexec_b64 s[2:3], vcc
	s_cbranch_execz .LBB68_11
; %bb.8:
	v_cmp_ne_u32_e32 vcc, 0, v43
	s_xor_b64 s[18:19], s[16:17], -1
	s_and_b64 s[20:21], s[18:19], vcc
	s_and_saveexec_b64 s[18:19], s[20:21]
	s_cbranch_execz .LBB68_10
; %bb.9:
	v_ashrrev_i32_e32 v47, 31, v43
	v_mov_b32_e32 v46, v43
	v_lshl_add_u64 v[46:47], v[46:47], 2, v[22:23]
	global_load_dword v45, v[46:47], off
	global_load_dword v48, v[22:23], off
	s_waitcnt vmcnt(1)
	global_store_dword v[22:23], v45, off
	s_waitcnt vmcnt(1)
	global_store_dword v[46:47], v48, off
.LBB68_10:
	s_or_b64 exec, exec, s[18:19]
	v_mov_b32_e32 v46, v43
.LBB68_11:
	s_or_b64 exec, exec, s[2:3]
	v_mov_b32_e32 v45, v46
                                        ; implicit-def: $vgpr46
.LBB68_12:
	s_or_saveexec_b64 s[0:1], s[0:1]
	v_mov_b32_e32 v43, v45
	s_xor_b64 exec, exec, s[0:1]
	s_cbranch_execz .LBB68_14
; %bb.13:
	v_mov_b32_e32 v45, 0
	v_mov_b32_e32 v43, v46
	s_waitcnt vmcnt(32)
	ds_write2_b32 v21, v14, v15 offset0:1 offset1:2
	s_waitcnt vmcnt(30)
	ds_write2_b32 v21, v10, v11 offset0:3 offset1:4
	;; [unrolled: 2-line block ×17, first 2 shown]
.LBB68_14:
	s_or_b64 exec, exec, s[0:1]
	s_waitcnt lgkmcnt(0)
	v_cmp_eq_f32_e64 s[0:1], 0, v42
	v_cmp_lt_i32_e32 vcc, 0, v45
	s_barrier
	s_and_saveexec_b64 s[2:3], vcc
	s_cbranch_execz .LBB68_16
; %bb.15:
	v_div_scale_f32 v46, s[18:19], v42, v42, 1.0
	v_rcp_f32_e32 v47, v46
	v_div_scale_f32 v48, vcc, 1.0, v42, 1.0
	v_fma_f32 v49, -v46, v47, 1.0
	v_fmac_f32_e32 v47, v49, v47
	v_mul_f32_e32 v49, v48, v47
	v_fma_f32 v50, -v46, v49, v48
	v_fmac_f32_e32 v49, v50, v47
	v_fma_f32 v46, -v46, v49, v48
	v_div_fmas_f32 v46, v46, v47, v49
	v_div_fixup_f32 v46, v46, v42, 1.0
	v_cndmask_b32_e64 v42, v46, v42, s[0:1]
	ds_read2_b32 v[46:47], v21 offset0:1 offset1:2
	ds_read2_b32 v[48:49], v21 offset0:3 offset1:4
	;; [unrolled: 1-line block ×3, first 2 shown]
	v_mul_f32_e32 v20, v42, v20
	ds_read2_b32 v[52:53], v21 offset0:7 offset1:8
	s_waitcnt vmcnt(32) lgkmcnt(3)
	v_pk_fma_f32 v[14:15], v[20:21], v[46:47], v[14:15] op_sel_hi:[0,1,1] neg_lo:[1,0,0] neg_hi:[1,0,0]
	s_waitcnt vmcnt(30) lgkmcnt(2)
	v_pk_fma_f32 v[10:11], v[20:21], v[48:49], v[10:11] op_sel_hi:[0,1,1] neg_lo:[1,0,0] neg_hi:[1,0,0]
	;; [unrolled: 2-line block ×3, first 2 shown]
	ds_read2_b32 v[46:47], v21 offset0:9 offset1:10
	ds_read2_b32 v[48:49], v21 offset0:11 offset1:12
	;; [unrolled: 1-line block ×3, first 2 shown]
	s_waitcnt vmcnt(26) lgkmcnt(3)
	v_pk_fma_f32 v[0:1], v[20:21], v[52:53], v[0:1] op_sel_hi:[0,1,1] neg_lo:[1,0,0] neg_hi:[1,0,0]
	ds_read2_b32 v[52:53], v21 offset0:15 offset1:16
	s_waitcnt vmcnt(24) lgkmcnt(3)
	v_pk_fma_f32 v[28:29], v[20:21], v[46:47], v[28:29] op_sel_hi:[0,1,1] neg_lo:[1,0,0] neg_hi:[1,0,0]
	s_waitcnt vmcnt(22) lgkmcnt(2)
	v_pk_fma_f32 v[18:19], v[20:21], v[48:49], v[18:19] op_sel_hi:[0,1,1] neg_lo:[1,0,0] neg_hi:[1,0,0]
	;; [unrolled: 2-line block ×3, first 2 shown]
	ds_read2_b32 v[46:47], v21 offset0:17 offset1:18
	ds_read2_b32 v[48:49], v21 offset0:19 offset1:20
	;; [unrolled: 1-line block ×4, first 2 shown]
	s_waitcnt vmcnt(18) lgkmcnt(4)
	v_pk_fma_f32 v[8:9], v[20:21], v[52:53], v[8:9] op_sel_hi:[0,1,1] neg_lo:[1,0,0] neg_hi:[1,0,0]
	s_waitcnt vmcnt(16) lgkmcnt(3)
	v_pk_fma_f32 v[34:35], v[20:21], v[46:47], v[34:35] op_sel_hi:[0,1,1] neg_lo:[1,0,0] neg_hi:[1,0,0]
	;; [unrolled: 2-line block ×5, first 2 shown]
	ds_read2_b32 v[46:47], v21 offset0:25 offset1:26
	ds_read2_b32 v[48:49], v21 offset0:27 offset1:28
	;; [unrolled: 1-line block ×5, first 2 shown]
	s_waitcnt vmcnt(8) lgkmcnt(4)
	v_pk_fma_f32 v[40:41], v[20:21], v[46:47], v[40:41] op_sel_hi:[0,1,1] neg_lo:[1,0,0] neg_hi:[1,0,0]
	s_waitcnt vmcnt(6) lgkmcnt(3)
	v_pk_fma_f32 v[36:37], v[20:21], v[48:49], v[36:37] op_sel_hi:[0,1,1] neg_lo:[1,0,0] neg_hi:[1,0,0]
	;; [unrolled: 2-line block ×5, first 2 shown]
.LBB68_16:
	s_or_b64 exec, exec, s[2:3]
	v_lshl_add_u32 v42, v45, 2, v21
	s_barrier
	s_waitcnt vmcnt(33)
	ds_write_b32 v42, v14
	s_waitcnt lgkmcnt(0)
	s_barrier
	ds_read_b32 v46, v21 offset:4
	s_mov_b32 s2, 2
	s_cmp_lt_i32 s22, 3
	v_mov_b32_e32 v42, 1
	s_cbranch_scc1 .LBB68_19
; %bb.17:
	v_add3_u32 v47, v44, 0, 8
	v_mov_b32_e32 v42, 1
.LBB68_18:                              ; =>This Inner Loop Header: Depth=1
	ds_read_b32 v48, v47
	v_mov_b32_e32 v49, s2
	s_add_i32 s2, s2, 1
	v_add_u32_e32 v47, 4, v47
	s_cmp_lg_u32 s22, s2
	s_waitcnt lgkmcnt(0)
	v_cmp_lt_f32_e64 vcc, |v46|, |v48|
	s_nop 1
	v_cndmask_b32_e32 v46, v46, v48, vcc
	v_cndmask_b32_e32 v42, v42, v49, vcc
	s_cbranch_scc1 .LBB68_18
.LBB68_19:
	v_cmp_ne_u32_e32 vcc, v45, v42
	s_and_saveexec_b64 s[2:3], vcc
	s_xor_b64 s[2:3], exec, s[2:3]
	s_cbranch_execz .LBB68_25
; %bb.20:
	v_cmp_eq_u32_e32 vcc, 1, v45
	s_and_saveexec_b64 s[18:19], vcc
	s_cbranch_execz .LBB68_24
; %bb.21:
	v_cmp_ne_u32_e32 vcc, 1, v42
	s_xor_b64 s[20:21], s[16:17], -1
	s_and_b64 s[24:25], s[20:21], vcc
	s_and_saveexec_b64 s[20:21], s[24:25]
	s_cbranch_execz .LBB68_23
; %bb.22:
	v_ashrrev_i32_e32 v43, 31, v42
	v_lshl_add_u64 v[48:49], v[42:43], 2, v[22:23]
	global_load_dword v43, v[48:49], off
	global_load_dword v45, v[22:23], off offset:4
	s_waitcnt vmcnt(1)
	global_store_dword v[22:23], v43, off offset:4
	s_waitcnt vmcnt(1)
	global_store_dword v[48:49], v45, off
.LBB68_23:
	s_or_b64 exec, exec, s[20:21]
	v_mov_b32_e32 v43, v42
	v_mov_b32_e32 v45, v42
.LBB68_24:
	s_or_b64 exec, exec, s[18:19]
.LBB68_25:
	s_andn2_saveexec_b64 s[2:3], s[2:3]
	s_cbranch_execz .LBB68_27
; %bb.26:
	s_waitcnt vmcnt(30)
	v_pk_mov_b32 v[48:49], v[14:15], v[10:11] op_sel:[1,0]
	ds_write2_b32 v21, v48, v49 offset0:2 offset1:3
	s_waitcnt vmcnt(28)
	v_pk_mov_b32 v[48:49], v[10:11], v[6:7] op_sel:[1,0]
	ds_write2_b32 v21, v48, v49 offset0:4 offset1:5
	;; [unrolled: 3-line block ×15, first 2 shown]
	s_waitcnt vmcnt(0)
	v_pk_mov_b32 v[48:49], v[26:27], v[38:39] op_sel:[1,0]
	v_mov_b32_e32 v45, 1
	ds_write2_b32 v21, v48, v49 offset0:32 offset1:33
	ds_write_b32 v21, v39 offset:136
.LBB68_27:
	s_or_b64 exec, exec, s[2:3]
	s_waitcnt lgkmcnt(0)
	v_cmp_neq_f32_e64 s[2:3], 0, v46
	v_cmp_lt_i32_e32 vcc, 1, v45
	s_barrier
	s_and_saveexec_b64 s[18:19], vcc
	s_cbranch_execz .LBB68_29
; %bb.28:
	v_div_scale_f32 v42, s[20:21], v46, v46, 1.0
	v_rcp_f32_e32 v47, v42
	v_div_scale_f32 v48, vcc, 1.0, v46, 1.0
	v_fma_f32 v49, -v42, v47, 1.0
	v_fmac_f32_e32 v47, v49, v47
	v_mul_f32_e32 v49, v48, v47
	v_fma_f32 v50, -v42, v49, v48
	v_fmac_f32_e32 v49, v50, v47
	v_fma_f32 v42, -v42, v49, v48
	v_div_fmas_f32 v42, v42, v47, v49
	v_div_fixup_f32 v42, v42, v46, 1.0
	v_cndmask_b32_e64 v42, v46, v42, s[2:3]
	ds_read_b32 v52, v21 offset:8
	ds_read2_b32 v[46:47], v21 offset0:3 offset1:4
	ds_read2_b32 v[48:49], v21 offset0:5 offset1:6
	v_mul_f32_e32 v14, v42, v14
	ds_read2_b32 v[50:51], v21 offset0:7 offset1:8
	s_waitcnt vmcnt(32) lgkmcnt(3)
	v_fma_f32 v15, -v14, v52, v15
	s_waitcnt vmcnt(30) lgkmcnt(2)
	v_pk_fma_f32 v[10:11], v[14:15], v[46:47], v[10:11] op_sel_hi:[0,1,1] neg_lo:[1,0,0] neg_hi:[1,0,0]
	s_waitcnt vmcnt(28) lgkmcnt(1)
	v_pk_fma_f32 v[6:7], v[14:15], v[48:49], v[6:7] op_sel_hi:[0,1,1] neg_lo:[1,0,0] neg_hi:[1,0,0]
	ds_read2_b32 v[46:47], v21 offset0:9 offset1:10
	ds_read2_b32 v[48:49], v21 offset0:11 offset1:12
	;; [unrolled: 1-line block ×3, first 2 shown]
	s_waitcnt vmcnt(26) lgkmcnt(3)
	v_pk_fma_f32 v[0:1], v[14:15], v[50:51], v[0:1] op_sel_hi:[0,1,1] neg_lo:[1,0,0] neg_hi:[1,0,0]
	ds_read2_b32 v[50:51], v21 offset0:15 offset1:16
	s_waitcnt vmcnt(24) lgkmcnt(3)
	v_pk_fma_f32 v[28:29], v[14:15], v[46:47], v[28:29] op_sel_hi:[0,1,1] neg_lo:[1,0,0] neg_hi:[1,0,0]
	s_waitcnt vmcnt(22) lgkmcnt(2)
	v_pk_fma_f32 v[18:19], v[14:15], v[48:49], v[18:19] op_sel_hi:[0,1,1] neg_lo:[1,0,0] neg_hi:[1,0,0]
	;; [unrolled: 2-line block ×3, first 2 shown]
	ds_read2_b32 v[46:47], v21 offset0:17 offset1:18
	ds_read2_b32 v[48:49], v21 offset0:19 offset1:20
	;; [unrolled: 1-line block ×4, first 2 shown]
	s_waitcnt vmcnt(18) lgkmcnt(4)
	v_pk_fma_f32 v[8:9], v[14:15], v[50:51], v[8:9] op_sel_hi:[0,1,1] neg_lo:[1,0,0] neg_hi:[1,0,0]
	s_waitcnt vmcnt(16) lgkmcnt(3)
	v_pk_fma_f32 v[34:35], v[14:15], v[46:47], v[34:35] op_sel_hi:[0,1,1] neg_lo:[1,0,0] neg_hi:[1,0,0]
	s_waitcnt vmcnt(14) lgkmcnt(2)
	v_pk_fma_f32 v[30:31], v[14:15], v[48:49], v[30:31] op_sel_hi:[0,1,1] neg_lo:[1,0,0] neg_hi:[1,0,0]
	s_waitcnt vmcnt(12) lgkmcnt(1)
	v_pk_fma_f32 v[24:25], v[14:15], v[52:53], v[24:25] op_sel_hi:[0,1,1] neg_lo:[1,0,0] neg_hi:[1,0,0]
	s_waitcnt vmcnt(10) lgkmcnt(0)
	v_pk_fma_f32 v[16:17], v[14:15], v[54:55], v[16:17] op_sel_hi:[0,1,1] neg_lo:[1,0,0] neg_hi:[1,0,0]
	ds_read2_b32 v[46:47], v21 offset0:25 offset1:26
	ds_read2_b32 v[48:49], v21 offset0:27 offset1:28
	;; [unrolled: 1-line block ×5, first 2 shown]
	s_waitcnt vmcnt(8) lgkmcnt(4)
	v_pk_fma_f32 v[40:41], v[14:15], v[46:47], v[40:41] op_sel_hi:[0,1,1] neg_lo:[1,0,0] neg_hi:[1,0,0]
	s_waitcnt vmcnt(6) lgkmcnt(3)
	v_pk_fma_f32 v[36:37], v[14:15], v[48:49], v[36:37] op_sel_hi:[0,1,1] neg_lo:[1,0,0] neg_hi:[1,0,0]
	;; [unrolled: 2-line block ×5, first 2 shown]
.LBB68_29:
	s_or_b64 exec, exec, s[18:19]
	v_lshl_add_u32 v42, v45, 2, v21
	s_barrier
	s_waitcnt vmcnt(32)
	ds_write_b32 v42, v15
	s_waitcnt lgkmcnt(0)
	s_barrier
	ds_read_b32 v47, v21 offset:8
	s_cmp_lt_i32 s22, 4
	v_mov_b32_e32 v42, 2
	s_cbranch_scc1 .LBB68_32
; %bb.30:
	v_mov_b32_e32 v42, 2
	v_add3_u32 v46, v44, 0, 12
	s_mov_b32 s18, 3
.LBB68_31:                              ; =>This Inner Loop Header: Depth=1
	ds_read_b32 v48, v46
	v_mov_b32_e32 v49, s18
	s_add_i32 s18, s18, 1
	v_add_u32_e32 v46, 4, v46
	s_cmp_lg_u32 s22, s18
	s_waitcnt lgkmcnt(0)
	v_cmp_lt_f32_e64 vcc, |v47|, |v48|
	s_nop 1
	v_cndmask_b32_e32 v47, v47, v48, vcc
	v_cndmask_b32_e32 v42, v42, v49, vcc
	s_cbranch_scc1 .LBB68_31
.LBB68_32:
	v_cndmask_b32_e64 v46, 2, 1, s[0:1]
	v_cndmask_b32_e64 v48, 0, 1, s[0:1]
	;; [unrolled: 1-line block ×3, first 2 shown]
	s_waitcnt lgkmcnt(0)
	v_cmp_eq_f32_e32 vcc, 0, v47
	s_and_saveexec_b64 s[0:1], vcc
	s_xor_b64 s[0:1], exec, s[0:1]
; %bb.33:
	v_cmp_ne_u32_e32 vcc, 0, v46
	s_nop 1
	v_cndmask_b32_e32 v46, 3, v46, vcc
; %bb.34:
	s_andn2_saveexec_b64 s[0:1], s[0:1]
	s_cbranch_execz .LBB68_36
; %bb.35:
	v_div_scale_f32 v48, s[2:3], v47, v47, 1.0
	v_rcp_f32_e32 v49, v48
	v_div_scale_f32 v50, vcc, 1.0, v47, 1.0
	v_fma_f32 v51, -v48, v49, 1.0
	v_fmac_f32_e32 v49, v51, v49
	v_mul_f32_e32 v51, v50, v49
	v_fma_f32 v52, -v48, v51, v50
	v_fmac_f32_e32 v51, v52, v49
	v_fma_f32 v48, -v48, v51, v50
	v_div_fmas_f32 v48, v48, v49, v51
	v_div_fixup_f32 v47, v48, v47, 1.0
.LBB68_36:
	s_or_b64 exec, exec, s[0:1]
	v_cmp_ne_u32_e32 vcc, v45, v42
	s_and_saveexec_b64 s[0:1], vcc
	s_xor_b64 s[0:1], exec, s[0:1]
	s_cbranch_execz .LBB68_42
; %bb.37:
	v_cmp_eq_u32_e32 vcc, 2, v45
	s_and_saveexec_b64 s[2:3], vcc
	s_cbranch_execz .LBB68_41
; %bb.38:
	v_cmp_ne_u32_e32 vcc, 2, v42
	s_xor_b64 s[18:19], s[16:17], -1
	s_and_b64 s[20:21], s[18:19], vcc
	s_and_saveexec_b64 s[18:19], s[20:21]
	s_cbranch_execz .LBB68_40
; %bb.39:
	v_ashrrev_i32_e32 v43, 31, v42
	v_lshl_add_u64 v[48:49], v[42:43], 2, v[22:23]
	global_load_dword v43, v[48:49], off
	global_load_dword v45, v[22:23], off offset:8
	s_waitcnt vmcnt(1)
	global_store_dword v[22:23], v43, off offset:8
	s_waitcnt vmcnt(1)
	global_store_dword v[48:49], v45, off
.LBB68_40:
	s_or_b64 exec, exec, s[18:19]
	v_mov_b32_e32 v43, v42
	v_mov_b32_e32 v45, v42
.LBB68_41:
	s_or_b64 exec, exec, s[2:3]
.LBB68_42:
	s_andn2_saveexec_b64 s[0:1], s[0:1]
	s_cbranch_execz .LBB68_44
; %bb.43:
	v_mov_b32_e32 v45, 2
	s_waitcnt vmcnt(30)
	ds_write2_b32 v21, v10, v11 offset0:3 offset1:4
	s_waitcnt vmcnt(28)
	ds_write2_b32 v21, v6, v7 offset0:5 offset1:6
	;; [unrolled: 2-line block ×16, first 2 shown]
.LBB68_44:
	s_or_b64 exec, exec, s[0:1]
	v_cmp_lt_i32_e32 vcc, 2, v45
	s_waitcnt lgkmcnt(0)
	s_barrier
	s_and_saveexec_b64 s[0:1], vcc
	s_cbranch_execz .LBB68_46
; %bb.45:
	ds_read2_b32 v[48:49], v21 offset0:3 offset1:4
	ds_read2_b32 v[50:51], v21 offset0:5 offset1:6
	;; [unrolled: 1-line block ×3, first 2 shown]
	v_mul_f32_e32 v42, v47, v15
	ds_read2_b32 v[54:55], v21 offset0:9 offset1:10
	s_waitcnt vmcnt(30) lgkmcnt(3)
	v_pk_fma_f32 v[10:11], v[42:43], v[48:49], v[10:11] op_sel_hi:[0,1,1] neg_lo:[1,0,0] neg_hi:[1,0,0]
	s_waitcnt vmcnt(28) lgkmcnt(2)
	v_pk_fma_f32 v[6:7], v[42:43], v[50:51], v[6:7] op_sel_hi:[0,1,1] neg_lo:[1,0,0] neg_hi:[1,0,0]
	;; [unrolled: 2-line block ×3, first 2 shown]
	ds_read2_b32 v[48:49], v21 offset0:11 offset1:12
	ds_read2_b32 v[50:51], v21 offset0:13 offset1:14
	;; [unrolled: 1-line block ×3, first 2 shown]
	s_waitcnt vmcnt(24) lgkmcnt(3)
	v_pk_fma_f32 v[28:29], v[42:43], v[54:55], v[28:29] op_sel_hi:[0,1,1] neg_lo:[1,0,0] neg_hi:[1,0,0]
	ds_read2_b32 v[54:55], v21 offset0:17 offset1:18
	s_waitcnt vmcnt(22) lgkmcnt(3)
	v_pk_fma_f32 v[18:19], v[42:43], v[48:49], v[18:19] op_sel_hi:[0,1,1] neg_lo:[1,0,0] neg_hi:[1,0,0]
	s_waitcnt vmcnt(20) lgkmcnt(2)
	v_pk_fma_f32 v[12:13], v[42:43], v[50:51], v[12:13] op_sel_hi:[0,1,1] neg_lo:[1,0,0] neg_hi:[1,0,0]
	;; [unrolled: 2-line block ×3, first 2 shown]
	ds_read2_b32 v[48:49], v21 offset0:19 offset1:20
	ds_read2_b32 v[50:51], v21 offset0:21 offset1:22
	;; [unrolled: 1-line block ×3, first 2 shown]
	s_waitcnt vmcnt(16) lgkmcnt(3)
	v_pk_fma_f32 v[34:35], v[42:43], v[54:55], v[34:35] op_sel_hi:[0,1,1] neg_lo:[1,0,0] neg_hi:[1,0,0]
	ds_read2_b32 v[54:55], v21 offset0:25 offset1:26
	s_waitcnt vmcnt(14) lgkmcnt(3)
	v_pk_fma_f32 v[30:31], v[42:43], v[48:49], v[30:31] op_sel_hi:[0,1,1] neg_lo:[1,0,0] neg_hi:[1,0,0]
	s_waitcnt vmcnt(12) lgkmcnt(2)
	v_pk_fma_f32 v[24:25], v[42:43], v[50:51], v[24:25] op_sel_hi:[0,1,1] neg_lo:[1,0,0] neg_hi:[1,0,0]
	;; [unrolled: 2-line block ×3, first 2 shown]
	ds_read2_b32 v[48:49], v21 offset0:27 offset1:28
	ds_read2_b32 v[50:51], v21 offset0:29 offset1:30
	;; [unrolled: 1-line block ×4, first 2 shown]
	s_waitcnt vmcnt(8) lgkmcnt(4)
	v_pk_fma_f32 v[40:41], v[42:43], v[54:55], v[40:41] op_sel_hi:[0,1,1] neg_lo:[1,0,0] neg_hi:[1,0,0]
	s_waitcnt vmcnt(6) lgkmcnt(3)
	v_pk_fma_f32 v[36:37], v[42:43], v[48:49], v[36:37] op_sel_hi:[0,1,1] neg_lo:[1,0,0] neg_hi:[1,0,0]
	;; [unrolled: 2-line block ×5, first 2 shown]
	v_mov_b32_e32 v15, v42
.LBB68_46:
	s_or_b64 exec, exec, s[0:1]
	v_lshl_add_u32 v42, v45, 2, v21
	s_barrier
	s_waitcnt vmcnt(31)
	ds_write_b32 v42, v10
	s_waitcnt lgkmcnt(0)
	s_barrier
	ds_read_b32 v47, v21 offset:12
	s_cmp_lt_i32 s22, 5
	v_mov_b32_e32 v42, 3
	s_cbranch_scc1 .LBB68_49
; %bb.47:
	v_add3_u32 v48, v44, 0, 16
	v_mov_b32_e32 v42, 3
	s_mov_b32 s0, 4
.LBB68_48:                              ; =>This Inner Loop Header: Depth=1
	ds_read_b32 v49, v48
	v_mov_b32_e32 v50, s0
	s_add_i32 s0, s0, 1
	v_add_u32_e32 v48, 4, v48
	s_cmp_lg_u32 s22, s0
	s_waitcnt lgkmcnt(0)
	v_cmp_lt_f32_e64 vcc, |v47|, |v49|
	s_nop 1
	v_cndmask_b32_e32 v47, v47, v49, vcc
	v_cndmask_b32_e32 v42, v42, v50, vcc
	s_cbranch_scc1 .LBB68_48
.LBB68_49:
	s_waitcnt lgkmcnt(0)
	v_cmp_eq_f32_e32 vcc, 0, v47
	s_and_saveexec_b64 s[0:1], vcc
	s_xor_b64 s[0:1], exec, s[0:1]
; %bb.50:
	v_cmp_ne_u32_e32 vcc, 0, v46
	s_nop 1
	v_cndmask_b32_e32 v46, 4, v46, vcc
; %bb.51:
	s_andn2_saveexec_b64 s[0:1], s[0:1]
	s_cbranch_execz .LBB68_53
; %bb.52:
	v_div_scale_f32 v48, s[2:3], v47, v47, 1.0
	v_rcp_f32_e32 v49, v48
	v_div_scale_f32 v50, vcc, 1.0, v47, 1.0
	v_fma_f32 v51, -v48, v49, 1.0
	v_fmac_f32_e32 v49, v51, v49
	v_mul_f32_e32 v51, v50, v49
	v_fma_f32 v52, -v48, v51, v50
	v_fmac_f32_e32 v51, v52, v49
	v_fma_f32 v48, -v48, v51, v50
	v_div_fmas_f32 v48, v48, v49, v51
	v_div_fixup_f32 v47, v48, v47, 1.0
.LBB68_53:
	s_or_b64 exec, exec, s[0:1]
	v_cmp_ne_u32_e32 vcc, v45, v42
	s_and_saveexec_b64 s[0:1], vcc
	s_xor_b64 s[0:1], exec, s[0:1]
	s_cbranch_execz .LBB68_59
; %bb.54:
	v_cmp_eq_u32_e32 vcc, 3, v45
	s_and_saveexec_b64 s[2:3], vcc
	s_cbranch_execz .LBB68_58
; %bb.55:
	v_cmp_ne_u32_e32 vcc, 3, v42
	s_xor_b64 s[18:19], s[16:17], -1
	s_and_b64 s[20:21], s[18:19], vcc
	s_and_saveexec_b64 s[18:19], s[20:21]
	s_cbranch_execz .LBB68_57
; %bb.56:
	v_ashrrev_i32_e32 v43, 31, v42
	v_lshl_add_u64 v[48:49], v[42:43], 2, v[22:23]
	global_load_dword v43, v[48:49], off
	global_load_dword v45, v[22:23], off offset:12
	s_waitcnt vmcnt(1)
	global_store_dword v[22:23], v43, off offset:12
	s_waitcnt vmcnt(1)
	global_store_dword v[48:49], v45, off
.LBB68_57:
	s_or_b64 exec, exec, s[18:19]
	v_mov_b32_e32 v43, v42
	v_mov_b32_e32 v45, v42
.LBB68_58:
	s_or_b64 exec, exec, s[2:3]
.LBB68_59:
	s_andn2_saveexec_b64 s[0:1], s[0:1]
	s_cbranch_execz .LBB68_61
; %bb.60:
	s_waitcnt vmcnt(28)
	v_pk_mov_b32 v[48:49], v[10:11], v[6:7] op_sel:[1,0]
	ds_write2_b32 v21, v48, v49 offset0:4 offset1:5
	s_waitcnt vmcnt(26)
	v_pk_mov_b32 v[48:49], v[6:7], v[0:1] op_sel:[1,0]
	ds_write2_b32 v21, v48, v49 offset0:6 offset1:7
	s_waitcnt vmcnt(24)
	v_pk_mov_b32 v[48:49], v[0:1], v[28:29] op_sel:[1,0]
	ds_write2_b32 v21, v48, v49 offset0:8 offset1:9
	s_waitcnt vmcnt(22)
	v_pk_mov_b32 v[48:49], v[28:29], v[18:19] op_sel:[1,0]
	ds_write2_b32 v21, v48, v49 offset0:10 offset1:11
	s_waitcnt vmcnt(20)
	v_pk_mov_b32 v[48:49], v[18:19], v[12:13] op_sel:[1,0]
	ds_write2_b32 v21, v48, v49 offset0:12 offset1:13
	s_waitcnt vmcnt(18)
	v_pk_mov_b32 v[48:49], v[12:13], v[8:9] op_sel:[1,0]
	ds_write2_b32 v21, v48, v49 offset0:14 offset1:15
	s_waitcnt vmcnt(16)
	v_pk_mov_b32 v[48:49], v[8:9], v[34:35] op_sel:[1,0]
	ds_write2_b32 v21, v48, v49 offset0:16 offset1:17
	s_waitcnt vmcnt(14)
	v_pk_mov_b32 v[48:49], v[34:35], v[30:31] op_sel:[1,0]
	ds_write2_b32 v21, v48, v49 offset0:18 offset1:19
	s_waitcnt vmcnt(12)
	v_pk_mov_b32 v[48:49], v[30:31], v[24:25] op_sel:[1,0]
	ds_write2_b32 v21, v48, v49 offset0:20 offset1:21
	s_waitcnt vmcnt(10)
	v_pk_mov_b32 v[48:49], v[24:25], v[16:17] op_sel:[1,0]
	ds_write2_b32 v21, v48, v49 offset0:22 offset1:23
	s_waitcnt vmcnt(8)
	v_pk_mov_b32 v[48:49], v[16:17], v[40:41] op_sel:[1,0]
	ds_write2_b32 v21, v48, v49 offset0:24 offset1:25
	s_waitcnt vmcnt(6)
	v_pk_mov_b32 v[48:49], v[40:41], v[36:37] op_sel:[1,0]
	ds_write2_b32 v21, v48, v49 offset0:26 offset1:27
	s_waitcnt vmcnt(4)
	v_pk_mov_b32 v[48:49], v[36:37], v[32:33] op_sel:[1,0]
	ds_write2_b32 v21, v48, v49 offset0:28 offset1:29
	s_waitcnt vmcnt(2)
	v_pk_mov_b32 v[48:49], v[32:33], v[26:27] op_sel:[1,0]
	ds_write2_b32 v21, v48, v49 offset0:30 offset1:31
	s_waitcnt vmcnt(0)
	v_pk_mov_b32 v[48:49], v[26:27], v[38:39] op_sel:[1,0]
	v_mov_b32_e32 v45, 3
	ds_write2_b32 v21, v48, v49 offset0:32 offset1:33
	ds_write_b32 v21, v39 offset:136
.LBB68_61:
	s_or_b64 exec, exec, s[0:1]
	v_cmp_lt_i32_e32 vcc, 3, v45
	s_waitcnt lgkmcnt(0)
	s_barrier
	s_and_saveexec_b64 s[0:1], vcc
	s_cbranch_execz .LBB68_63
; %bb.62:
	ds_read_b32 v42, v21 offset:16
	ds_read2_b32 v[48:49], v21 offset0:5 offset1:6
	ds_read2_b32 v[50:51], v21 offset0:7 offset1:8
	v_mul_f32_e32 v10, v47, v10
	ds_read2_b32 v[52:53], v21 offset0:9 offset1:10
	s_waitcnt vmcnt(30) lgkmcnt(3)
	v_fma_f32 v11, -v10, v42, v11
	s_waitcnt vmcnt(28) lgkmcnt(2)
	v_pk_fma_f32 v[6:7], v[10:11], v[48:49], v[6:7] op_sel_hi:[0,1,1] neg_lo:[1,0,0] neg_hi:[1,0,0]
	s_waitcnt vmcnt(26) lgkmcnt(1)
	v_pk_fma_f32 v[0:1], v[10:11], v[50:51], v[0:1] op_sel_hi:[0,1,1] neg_lo:[1,0,0] neg_hi:[1,0,0]
	ds_read2_b32 v[48:49], v21 offset0:11 offset1:12
	ds_read2_b32 v[50:51], v21 offset0:13 offset1:14
	;; [unrolled: 1-line block ×3, first 2 shown]
	s_waitcnt vmcnt(24) lgkmcnt(3)
	v_pk_fma_f32 v[28:29], v[10:11], v[52:53], v[28:29] op_sel_hi:[0,1,1] neg_lo:[1,0,0] neg_hi:[1,0,0]
	ds_read2_b32 v[52:53], v21 offset0:17 offset1:18
	s_waitcnt vmcnt(22) lgkmcnt(3)
	v_pk_fma_f32 v[18:19], v[10:11], v[48:49], v[18:19] op_sel_hi:[0,1,1] neg_lo:[1,0,0] neg_hi:[1,0,0]
	s_waitcnt vmcnt(20) lgkmcnt(2)
	v_pk_fma_f32 v[12:13], v[10:11], v[50:51], v[12:13] op_sel_hi:[0,1,1] neg_lo:[1,0,0] neg_hi:[1,0,0]
	;; [unrolled: 2-line block ×3, first 2 shown]
	ds_read2_b32 v[48:49], v21 offset0:19 offset1:20
	ds_read2_b32 v[50:51], v21 offset0:21 offset1:22
	;; [unrolled: 1-line block ×3, first 2 shown]
	s_waitcnt vmcnt(16) lgkmcnt(3)
	v_pk_fma_f32 v[34:35], v[10:11], v[52:53], v[34:35] op_sel_hi:[0,1,1] neg_lo:[1,0,0] neg_hi:[1,0,0]
	ds_read2_b32 v[52:53], v21 offset0:25 offset1:26
	s_waitcnt vmcnt(14) lgkmcnt(3)
	v_pk_fma_f32 v[30:31], v[10:11], v[48:49], v[30:31] op_sel_hi:[0,1,1] neg_lo:[1,0,0] neg_hi:[1,0,0]
	s_waitcnt vmcnt(12) lgkmcnt(2)
	v_pk_fma_f32 v[24:25], v[10:11], v[50:51], v[24:25] op_sel_hi:[0,1,1] neg_lo:[1,0,0] neg_hi:[1,0,0]
	;; [unrolled: 2-line block ×3, first 2 shown]
	ds_read2_b32 v[48:49], v21 offset0:27 offset1:28
	ds_read2_b32 v[50:51], v21 offset0:29 offset1:30
	;; [unrolled: 1-line block ×4, first 2 shown]
	s_waitcnt vmcnt(8) lgkmcnt(4)
	v_pk_fma_f32 v[40:41], v[10:11], v[52:53], v[40:41] op_sel_hi:[0,1,1] neg_lo:[1,0,0] neg_hi:[1,0,0]
	s_waitcnt vmcnt(6) lgkmcnt(3)
	v_pk_fma_f32 v[36:37], v[10:11], v[48:49], v[36:37] op_sel_hi:[0,1,1] neg_lo:[1,0,0] neg_hi:[1,0,0]
	;; [unrolled: 2-line block ×5, first 2 shown]
.LBB68_63:
	s_or_b64 exec, exec, s[0:1]
	v_lshl_add_u32 v42, v45, 2, v21
	s_barrier
	s_waitcnt vmcnt(30)
	ds_write_b32 v42, v11
	s_waitcnt lgkmcnt(0)
	s_barrier
	ds_read_b32 v47, v21 offset:16
	s_cmp_lt_i32 s22, 6
	v_mov_b32_e32 v42, 4
	s_cbranch_scc1 .LBB68_66
; %bb.64:
	v_add3_u32 v48, v44, 0, 20
	v_mov_b32_e32 v42, 4
	s_mov_b32 s0, 5
.LBB68_65:                              ; =>This Inner Loop Header: Depth=1
	ds_read_b32 v49, v48
	v_mov_b32_e32 v50, s0
	s_add_i32 s0, s0, 1
	v_add_u32_e32 v48, 4, v48
	s_cmp_lg_u32 s22, s0
	s_waitcnt lgkmcnt(0)
	v_cmp_lt_f32_e64 vcc, |v47|, |v49|
	s_nop 1
	v_cndmask_b32_e32 v47, v47, v49, vcc
	v_cndmask_b32_e32 v42, v42, v50, vcc
	s_cbranch_scc1 .LBB68_65
.LBB68_66:
	s_waitcnt lgkmcnt(0)
	v_cmp_eq_f32_e32 vcc, 0, v47
	s_and_saveexec_b64 s[0:1], vcc
	s_xor_b64 s[0:1], exec, s[0:1]
; %bb.67:
	v_cmp_ne_u32_e32 vcc, 0, v46
	s_nop 1
	v_cndmask_b32_e32 v46, 5, v46, vcc
; %bb.68:
	s_andn2_saveexec_b64 s[0:1], s[0:1]
	s_cbranch_execz .LBB68_70
; %bb.69:
	v_div_scale_f32 v48, s[2:3], v47, v47, 1.0
	v_rcp_f32_e32 v49, v48
	v_div_scale_f32 v50, vcc, 1.0, v47, 1.0
	v_fma_f32 v51, -v48, v49, 1.0
	v_fmac_f32_e32 v49, v51, v49
	v_mul_f32_e32 v51, v50, v49
	v_fma_f32 v52, -v48, v51, v50
	v_fmac_f32_e32 v51, v52, v49
	v_fma_f32 v48, -v48, v51, v50
	v_div_fmas_f32 v48, v48, v49, v51
	v_div_fixup_f32 v47, v48, v47, 1.0
.LBB68_70:
	s_or_b64 exec, exec, s[0:1]
	v_cmp_ne_u32_e32 vcc, v45, v42
	s_and_saveexec_b64 s[0:1], vcc
	s_xor_b64 s[0:1], exec, s[0:1]
	s_cbranch_execz .LBB68_76
; %bb.71:
	v_cmp_eq_u32_e32 vcc, 4, v45
	s_and_saveexec_b64 s[2:3], vcc
	s_cbranch_execz .LBB68_75
; %bb.72:
	v_cmp_ne_u32_e32 vcc, 4, v42
	s_xor_b64 s[18:19], s[16:17], -1
	s_and_b64 s[20:21], s[18:19], vcc
	s_and_saveexec_b64 s[18:19], s[20:21]
	s_cbranch_execz .LBB68_74
; %bb.73:
	v_ashrrev_i32_e32 v43, 31, v42
	v_lshl_add_u64 v[48:49], v[42:43], 2, v[22:23]
	global_load_dword v43, v[48:49], off
	global_load_dword v45, v[22:23], off offset:16
	s_waitcnt vmcnt(1)
	global_store_dword v[22:23], v43, off offset:16
	s_waitcnt vmcnt(1)
	global_store_dword v[48:49], v45, off
.LBB68_74:
	s_or_b64 exec, exec, s[18:19]
	v_mov_b32_e32 v43, v42
	v_mov_b32_e32 v45, v42
.LBB68_75:
	s_or_b64 exec, exec, s[2:3]
.LBB68_76:
	s_andn2_saveexec_b64 s[0:1], s[0:1]
	s_cbranch_execz .LBB68_78
; %bb.77:
	v_mov_b32_e32 v45, 4
	s_waitcnt vmcnt(28)
	ds_write2_b32 v21, v6, v7 offset0:5 offset1:6
	s_waitcnt vmcnt(26)
	ds_write2_b32 v21, v0, v1 offset0:7 offset1:8
	;; [unrolled: 2-line block ×15, first 2 shown]
.LBB68_78:
	s_or_b64 exec, exec, s[0:1]
	v_cmp_lt_i32_e32 vcc, 4, v45
	s_waitcnt lgkmcnt(0)
	s_barrier
	s_and_saveexec_b64 s[0:1], vcc
	s_cbranch_execz .LBB68_80
; %bb.79:
	ds_read2_b32 v[48:49], v21 offset0:5 offset1:6
	ds_read2_b32 v[50:51], v21 offset0:7 offset1:8
	;; [unrolled: 1-line block ×3, first 2 shown]
	v_mul_f32_e32 v42, v47, v11
	ds_read2_b32 v[54:55], v21 offset0:11 offset1:12
	s_waitcnt vmcnt(28) lgkmcnt(3)
	v_pk_fma_f32 v[6:7], v[42:43], v[48:49], v[6:7] op_sel_hi:[0,1,1] neg_lo:[1,0,0] neg_hi:[1,0,0]
	s_waitcnt vmcnt(26) lgkmcnt(2)
	v_pk_fma_f32 v[0:1], v[42:43], v[50:51], v[0:1] op_sel_hi:[0,1,1] neg_lo:[1,0,0] neg_hi:[1,0,0]
	;; [unrolled: 2-line block ×3, first 2 shown]
	ds_read2_b32 v[48:49], v21 offset0:13 offset1:14
	ds_read2_b32 v[50:51], v21 offset0:15 offset1:16
	ds_read2_b32 v[52:53], v21 offset0:17 offset1:18
	s_waitcnt vmcnt(22) lgkmcnt(3)
	v_pk_fma_f32 v[18:19], v[42:43], v[54:55], v[18:19] op_sel_hi:[0,1,1] neg_lo:[1,0,0] neg_hi:[1,0,0]
	ds_read2_b32 v[54:55], v21 offset0:19 offset1:20
	s_waitcnt vmcnt(20) lgkmcnt(3)
	v_pk_fma_f32 v[12:13], v[42:43], v[48:49], v[12:13] op_sel_hi:[0,1,1] neg_lo:[1,0,0] neg_hi:[1,0,0]
	s_waitcnt vmcnt(18) lgkmcnt(2)
	v_pk_fma_f32 v[8:9], v[42:43], v[50:51], v[8:9] op_sel_hi:[0,1,1] neg_lo:[1,0,0] neg_hi:[1,0,0]
	ds_read2_b32 v[48:49], v21 offset0:21 offset1:22
	ds_read2_b32 v[50:51], v21 offset0:23 offset1:24
	s_waitcnt vmcnt(16) lgkmcnt(3)
	v_pk_fma_f32 v[34:35], v[42:43], v[52:53], v[34:35] op_sel_hi:[0,1,1] neg_lo:[1,0,0] neg_hi:[1,0,0]
	s_waitcnt vmcnt(14) lgkmcnt(2)
	v_pk_fma_f32 v[30:31], v[42:43], v[54:55], v[30:31] op_sel_hi:[0,1,1] neg_lo:[1,0,0] neg_hi:[1,0,0]
	ds_read2_b32 v[52:53], v21 offset0:25 offset1:26
	;; [unrolled: 6-line block ×3, first 2 shown]
	ds_read2_b32 v[50:51], v21 offset0:31 offset1:32
	ds_read2_b32 v[56:57], v21 offset0:33 offset1:34
	s_waitcnt vmcnt(8) lgkmcnt(4)
	v_pk_fma_f32 v[40:41], v[42:43], v[52:53], v[40:41] op_sel_hi:[0,1,1] neg_lo:[1,0,0] neg_hi:[1,0,0]
	s_waitcnt vmcnt(6) lgkmcnt(3)
	v_pk_fma_f32 v[36:37], v[42:43], v[54:55], v[36:37] op_sel_hi:[0,1,1] neg_lo:[1,0,0] neg_hi:[1,0,0]
	;; [unrolled: 2-line block ×5, first 2 shown]
	v_mov_b32_e32 v11, v42
.LBB68_80:
	s_or_b64 exec, exec, s[0:1]
	v_lshl_add_u32 v42, v45, 2, v21
	s_barrier
	s_waitcnt vmcnt(29)
	ds_write_b32 v42, v6
	s_waitcnt lgkmcnt(0)
	s_barrier
	ds_read_b32 v47, v21 offset:20
	s_cmp_lt_i32 s22, 7
	v_mov_b32_e32 v42, 5
	s_cbranch_scc1 .LBB68_83
; %bb.81:
	v_add3_u32 v48, v44, 0, 24
	v_mov_b32_e32 v42, 5
	s_mov_b32 s0, 6
.LBB68_82:                              ; =>This Inner Loop Header: Depth=1
	ds_read_b32 v49, v48
	v_mov_b32_e32 v50, s0
	s_add_i32 s0, s0, 1
	v_add_u32_e32 v48, 4, v48
	s_cmp_lg_u32 s22, s0
	s_waitcnt lgkmcnt(0)
	v_cmp_lt_f32_e64 vcc, |v47|, |v49|
	s_nop 1
	v_cndmask_b32_e32 v47, v47, v49, vcc
	v_cndmask_b32_e32 v42, v42, v50, vcc
	s_cbranch_scc1 .LBB68_82
.LBB68_83:
	s_waitcnt lgkmcnt(0)
	v_cmp_eq_f32_e32 vcc, 0, v47
	s_and_saveexec_b64 s[0:1], vcc
	s_xor_b64 s[0:1], exec, s[0:1]
; %bb.84:
	v_cmp_ne_u32_e32 vcc, 0, v46
	s_nop 1
	v_cndmask_b32_e32 v46, 6, v46, vcc
; %bb.85:
	s_andn2_saveexec_b64 s[0:1], s[0:1]
	s_cbranch_execz .LBB68_87
; %bb.86:
	v_div_scale_f32 v48, s[2:3], v47, v47, 1.0
	v_rcp_f32_e32 v49, v48
	v_div_scale_f32 v50, vcc, 1.0, v47, 1.0
	v_fma_f32 v51, -v48, v49, 1.0
	v_fmac_f32_e32 v49, v51, v49
	v_mul_f32_e32 v51, v50, v49
	v_fma_f32 v52, -v48, v51, v50
	v_fmac_f32_e32 v51, v52, v49
	v_fma_f32 v48, -v48, v51, v50
	v_div_fmas_f32 v48, v48, v49, v51
	v_div_fixup_f32 v47, v48, v47, 1.0
.LBB68_87:
	s_or_b64 exec, exec, s[0:1]
	v_cmp_ne_u32_e32 vcc, v45, v42
	s_and_saveexec_b64 s[0:1], vcc
	s_xor_b64 s[0:1], exec, s[0:1]
	s_cbranch_execz .LBB68_93
; %bb.88:
	v_cmp_eq_u32_e32 vcc, 5, v45
	s_and_saveexec_b64 s[2:3], vcc
	s_cbranch_execz .LBB68_92
; %bb.89:
	v_cmp_ne_u32_e32 vcc, 5, v42
	s_xor_b64 s[18:19], s[16:17], -1
	s_and_b64 s[20:21], s[18:19], vcc
	s_and_saveexec_b64 s[18:19], s[20:21]
	s_cbranch_execz .LBB68_91
; %bb.90:
	v_ashrrev_i32_e32 v43, 31, v42
	v_lshl_add_u64 v[48:49], v[42:43], 2, v[22:23]
	global_load_dword v43, v[48:49], off
	global_load_dword v45, v[22:23], off offset:20
	s_waitcnt vmcnt(1)
	global_store_dword v[22:23], v43, off offset:20
	s_waitcnt vmcnt(1)
	global_store_dword v[48:49], v45, off
.LBB68_91:
	s_or_b64 exec, exec, s[18:19]
	v_mov_b32_e32 v43, v42
	v_mov_b32_e32 v45, v42
.LBB68_92:
	s_or_b64 exec, exec, s[2:3]
.LBB68_93:
	s_andn2_saveexec_b64 s[0:1], s[0:1]
	s_cbranch_execz .LBB68_95
; %bb.94:
	s_waitcnt vmcnt(26)
	v_pk_mov_b32 v[48:49], v[6:7], v[0:1] op_sel:[1,0]
	ds_write2_b32 v21, v48, v49 offset0:6 offset1:7
	s_waitcnt vmcnt(24)
	v_pk_mov_b32 v[48:49], v[0:1], v[28:29] op_sel:[1,0]
	ds_write2_b32 v21, v48, v49 offset0:8 offset1:9
	;; [unrolled: 3-line block ×13, first 2 shown]
	s_waitcnt vmcnt(0)
	v_pk_mov_b32 v[48:49], v[26:27], v[38:39] op_sel:[1,0]
	v_mov_b32_e32 v45, 5
	ds_write2_b32 v21, v48, v49 offset0:32 offset1:33
	ds_write_b32 v21, v39 offset:136
.LBB68_95:
	s_or_b64 exec, exec, s[0:1]
	v_cmp_lt_i32_e32 vcc, 5, v45
	s_waitcnt lgkmcnt(0)
	s_barrier
	s_and_saveexec_b64 s[0:1], vcc
	s_cbranch_execz .LBB68_97
; %bb.96:
	ds_read_b32 v42, v21 offset:24
	ds_read2_b32 v[48:49], v21 offset0:7 offset1:8
	ds_read2_b32 v[50:51], v21 offset0:9 offset1:10
	v_mul_f32_e32 v6, v47, v6
	ds_read2_b32 v[52:53], v21 offset0:11 offset1:12
	s_waitcnt vmcnt(28) lgkmcnt(3)
	v_fma_f32 v7, -v6, v42, v7
	s_waitcnt vmcnt(26) lgkmcnt(2)
	v_pk_fma_f32 v[0:1], v[6:7], v[48:49], v[0:1] op_sel_hi:[0,1,1] neg_lo:[1,0,0] neg_hi:[1,0,0]
	s_waitcnt vmcnt(24) lgkmcnt(1)
	v_pk_fma_f32 v[28:29], v[6:7], v[50:51], v[28:29] op_sel_hi:[0,1,1] neg_lo:[1,0,0] neg_hi:[1,0,0]
	ds_read2_b32 v[48:49], v21 offset0:13 offset1:14
	ds_read2_b32 v[50:51], v21 offset0:15 offset1:16
	;; [unrolled: 1-line block ×3, first 2 shown]
	s_waitcnt vmcnt(22) lgkmcnt(3)
	v_pk_fma_f32 v[18:19], v[6:7], v[52:53], v[18:19] op_sel_hi:[0,1,1] neg_lo:[1,0,0] neg_hi:[1,0,0]
	ds_read2_b32 v[52:53], v21 offset0:19 offset1:20
	s_waitcnt vmcnt(20) lgkmcnt(3)
	v_pk_fma_f32 v[12:13], v[6:7], v[48:49], v[12:13] op_sel_hi:[0,1,1] neg_lo:[1,0,0] neg_hi:[1,0,0]
	s_waitcnt vmcnt(18) lgkmcnt(2)
	v_pk_fma_f32 v[8:9], v[6:7], v[50:51], v[8:9] op_sel_hi:[0,1,1] neg_lo:[1,0,0] neg_hi:[1,0,0]
	ds_read2_b32 v[48:49], v21 offset0:21 offset1:22
	ds_read2_b32 v[50:51], v21 offset0:23 offset1:24
	s_waitcnt vmcnt(16) lgkmcnt(3)
	v_pk_fma_f32 v[34:35], v[6:7], v[54:55], v[34:35] op_sel_hi:[0,1,1] neg_lo:[1,0,0] neg_hi:[1,0,0]
	s_waitcnt vmcnt(14) lgkmcnt(2)
	v_pk_fma_f32 v[30:31], v[6:7], v[52:53], v[30:31] op_sel_hi:[0,1,1] neg_lo:[1,0,0] neg_hi:[1,0,0]
	ds_read2_b32 v[52:53], v21 offset0:25 offset1:26
	;; [unrolled: 6-line block ×3, first 2 shown]
	ds_read2_b32 v[50:51], v21 offset0:31 offset1:32
	ds_read2_b32 v[56:57], v21 offset0:33 offset1:34
	s_waitcnt vmcnt(8) lgkmcnt(4)
	v_pk_fma_f32 v[40:41], v[6:7], v[52:53], v[40:41] op_sel_hi:[0,1,1] neg_lo:[1,0,0] neg_hi:[1,0,0]
	s_waitcnt vmcnt(6) lgkmcnt(3)
	v_pk_fma_f32 v[36:37], v[6:7], v[54:55], v[36:37] op_sel_hi:[0,1,1] neg_lo:[1,0,0] neg_hi:[1,0,0]
	;; [unrolled: 2-line block ×5, first 2 shown]
.LBB68_97:
	s_or_b64 exec, exec, s[0:1]
	v_lshl_add_u32 v42, v45, 2, v21
	s_barrier
	s_waitcnt vmcnt(28)
	ds_write_b32 v42, v7
	s_waitcnt lgkmcnt(0)
	s_barrier
	ds_read_b32 v47, v21 offset:24
	s_cmp_lt_i32 s22, 8
	v_mov_b32_e32 v42, 6
	s_cbranch_scc1 .LBB68_100
; %bb.98:
	v_add3_u32 v48, v44, 0, 28
	v_mov_b32_e32 v42, 6
	s_mov_b32 s0, 7
.LBB68_99:                              ; =>This Inner Loop Header: Depth=1
	ds_read_b32 v49, v48
	v_mov_b32_e32 v50, s0
	s_add_i32 s0, s0, 1
	v_add_u32_e32 v48, 4, v48
	s_cmp_lg_u32 s22, s0
	s_waitcnt lgkmcnt(0)
	v_cmp_lt_f32_e64 vcc, |v47|, |v49|
	s_nop 1
	v_cndmask_b32_e32 v47, v47, v49, vcc
	v_cndmask_b32_e32 v42, v42, v50, vcc
	s_cbranch_scc1 .LBB68_99
.LBB68_100:
	s_waitcnt lgkmcnt(0)
	v_cmp_eq_f32_e32 vcc, 0, v47
	s_and_saveexec_b64 s[0:1], vcc
	s_xor_b64 s[0:1], exec, s[0:1]
; %bb.101:
	v_cmp_ne_u32_e32 vcc, 0, v46
	s_nop 1
	v_cndmask_b32_e32 v46, 7, v46, vcc
; %bb.102:
	s_andn2_saveexec_b64 s[0:1], s[0:1]
	s_cbranch_execz .LBB68_104
; %bb.103:
	v_div_scale_f32 v48, s[2:3], v47, v47, 1.0
	v_rcp_f32_e32 v49, v48
	v_div_scale_f32 v50, vcc, 1.0, v47, 1.0
	v_fma_f32 v51, -v48, v49, 1.0
	v_fmac_f32_e32 v49, v51, v49
	v_mul_f32_e32 v51, v50, v49
	v_fma_f32 v52, -v48, v51, v50
	v_fmac_f32_e32 v51, v52, v49
	v_fma_f32 v48, -v48, v51, v50
	v_div_fmas_f32 v48, v48, v49, v51
	v_div_fixup_f32 v47, v48, v47, 1.0
.LBB68_104:
	s_or_b64 exec, exec, s[0:1]
	v_cmp_ne_u32_e32 vcc, v45, v42
	s_and_saveexec_b64 s[0:1], vcc
	s_xor_b64 s[0:1], exec, s[0:1]
	s_cbranch_execz .LBB68_110
; %bb.105:
	v_cmp_eq_u32_e32 vcc, 6, v45
	s_and_saveexec_b64 s[2:3], vcc
	s_cbranch_execz .LBB68_109
; %bb.106:
	v_cmp_ne_u32_e32 vcc, 6, v42
	s_xor_b64 s[18:19], s[16:17], -1
	s_and_b64 s[20:21], s[18:19], vcc
	s_and_saveexec_b64 s[18:19], s[20:21]
	s_cbranch_execz .LBB68_108
; %bb.107:
	v_ashrrev_i32_e32 v43, 31, v42
	v_lshl_add_u64 v[48:49], v[42:43], 2, v[22:23]
	global_load_dword v43, v[48:49], off
	global_load_dword v45, v[22:23], off offset:24
	s_waitcnt vmcnt(1)
	global_store_dword v[22:23], v43, off offset:24
	s_waitcnt vmcnt(1)
	global_store_dword v[48:49], v45, off
.LBB68_108:
	s_or_b64 exec, exec, s[18:19]
	v_mov_b32_e32 v43, v42
	v_mov_b32_e32 v45, v42
.LBB68_109:
	s_or_b64 exec, exec, s[2:3]
.LBB68_110:
	s_andn2_saveexec_b64 s[0:1], s[0:1]
	s_cbranch_execz .LBB68_112
; %bb.111:
	v_mov_b32_e32 v45, 6
	s_waitcnt vmcnt(26)
	ds_write2_b32 v21, v0, v1 offset0:7 offset1:8
	s_waitcnt vmcnt(24)
	ds_write2_b32 v21, v28, v29 offset0:9 offset1:10
	;; [unrolled: 2-line block ×14, first 2 shown]
.LBB68_112:
	s_or_b64 exec, exec, s[0:1]
	v_cmp_lt_i32_e32 vcc, 6, v45
	s_waitcnt lgkmcnt(0)
	s_barrier
	s_and_saveexec_b64 s[0:1], vcc
	s_cbranch_execz .LBB68_114
; %bb.113:
	ds_read2_b32 v[48:49], v21 offset0:7 offset1:8
	ds_read2_b32 v[50:51], v21 offset0:9 offset1:10
	;; [unrolled: 1-line block ×4, first 2 shown]
	v_mul_f32_e32 v42, v47, v7
	s_waitcnt vmcnt(26) lgkmcnt(3)
	v_pk_fma_f32 v[0:1], v[42:43], v[48:49], v[0:1] op_sel_hi:[0,1,1] neg_lo:[1,0,0] neg_hi:[1,0,0]
	s_waitcnt vmcnt(24) lgkmcnt(2)
	v_pk_fma_f32 v[28:29], v[42:43], v[50:51], v[28:29] op_sel_hi:[0,1,1] neg_lo:[1,0,0] neg_hi:[1,0,0]
	;; [unrolled: 2-line block ×3, first 2 shown]
	ds_read2_b32 v[48:49], v21 offset0:15 offset1:16
	ds_read2_b32 v[50:51], v21 offset0:17 offset1:18
	;; [unrolled: 1-line block ×3, first 2 shown]
	s_waitcnt vmcnt(20) lgkmcnt(3)
	v_pk_fma_f32 v[12:13], v[42:43], v[54:55], v[12:13] op_sel_hi:[0,1,1] neg_lo:[1,0,0] neg_hi:[1,0,0]
	ds_read2_b32 v[54:55], v21 offset0:21 offset1:22
	s_waitcnt vmcnt(18) lgkmcnt(3)
	v_pk_fma_f32 v[8:9], v[42:43], v[48:49], v[8:9] op_sel_hi:[0,1,1] neg_lo:[1,0,0] neg_hi:[1,0,0]
	ds_read2_b32 v[48:49], v21 offset0:23 offset1:24
	s_waitcnt vmcnt(16) lgkmcnt(3)
	v_pk_fma_f32 v[34:35], v[42:43], v[50:51], v[34:35] op_sel_hi:[0,1,1] neg_lo:[1,0,0] neg_hi:[1,0,0]
	s_waitcnt vmcnt(14) lgkmcnt(2)
	v_pk_fma_f32 v[30:31], v[42:43], v[52:53], v[30:31] op_sel_hi:[0,1,1] neg_lo:[1,0,0] neg_hi:[1,0,0]
	;; [unrolled: 2-line block ×3, first 2 shown]
	ds_read2_b32 v[50:51], v21 offset0:25 offset1:26
	ds_read2_b32 v[52:53], v21 offset0:27 offset1:28
	;; [unrolled: 1-line block ×3, first 2 shown]
	s_waitcnt vmcnt(10) lgkmcnt(3)
	v_pk_fma_f32 v[16:17], v[42:43], v[48:49], v[16:17] op_sel_hi:[0,1,1] neg_lo:[1,0,0] neg_hi:[1,0,0]
	ds_read2_b32 v[48:49], v21 offset0:31 offset1:32
	ds_read2_b32 v[56:57], v21 offset0:33 offset1:34
	s_waitcnt vmcnt(8) lgkmcnt(4)
	v_pk_fma_f32 v[40:41], v[42:43], v[50:51], v[40:41] op_sel_hi:[0,1,1] neg_lo:[1,0,0] neg_hi:[1,0,0]
	s_waitcnt vmcnt(6) lgkmcnt(3)
	v_pk_fma_f32 v[36:37], v[42:43], v[52:53], v[36:37] op_sel_hi:[0,1,1] neg_lo:[1,0,0] neg_hi:[1,0,0]
	s_waitcnt vmcnt(4) lgkmcnt(2)
	v_pk_fma_f32 v[32:33], v[42:43], v[54:55], v[32:33] op_sel_hi:[0,1,1] neg_lo:[1,0,0] neg_hi:[1,0,0]
	s_waitcnt vmcnt(2) lgkmcnt(1)
	v_pk_fma_f32 v[26:27], v[42:43], v[48:49], v[26:27] op_sel_hi:[0,1,1] neg_lo:[1,0,0] neg_hi:[1,0,0]
	s_waitcnt vmcnt(0) lgkmcnt(0)
	v_pk_fma_f32 v[38:39], v[42:43], v[56:57], v[38:39] op_sel_hi:[0,1,1] neg_lo:[1,0,0] neg_hi:[1,0,0]
	v_mov_b32_e32 v7, v42
.LBB68_114:
	s_or_b64 exec, exec, s[0:1]
	v_lshl_add_u32 v42, v45, 2, v21
	s_barrier
	s_waitcnt vmcnt(27)
	ds_write_b32 v42, v0
	s_waitcnt lgkmcnt(0)
	s_barrier
	ds_read_b32 v47, v21 offset:28
	s_cmp_lt_i32 s22, 9
	v_mov_b32_e32 v42, 7
	s_cbranch_scc1 .LBB68_117
; %bb.115:
	v_add3_u32 v48, v44, 0, 32
	v_mov_b32_e32 v42, 7
	s_mov_b32 s0, 8
.LBB68_116:                             ; =>This Inner Loop Header: Depth=1
	ds_read_b32 v49, v48
	v_mov_b32_e32 v50, s0
	s_add_i32 s0, s0, 1
	v_add_u32_e32 v48, 4, v48
	s_cmp_lg_u32 s22, s0
	s_waitcnt lgkmcnt(0)
	v_cmp_lt_f32_e64 vcc, |v47|, |v49|
	s_nop 1
	v_cndmask_b32_e32 v47, v47, v49, vcc
	v_cndmask_b32_e32 v42, v42, v50, vcc
	s_cbranch_scc1 .LBB68_116
.LBB68_117:
	s_waitcnt lgkmcnt(0)
	v_cmp_eq_f32_e32 vcc, 0, v47
	s_and_saveexec_b64 s[0:1], vcc
	s_xor_b64 s[0:1], exec, s[0:1]
; %bb.118:
	v_cmp_ne_u32_e32 vcc, 0, v46
	s_nop 1
	v_cndmask_b32_e32 v46, 8, v46, vcc
; %bb.119:
	s_andn2_saveexec_b64 s[0:1], s[0:1]
	s_cbranch_execz .LBB68_121
; %bb.120:
	v_div_scale_f32 v48, s[2:3], v47, v47, 1.0
	v_rcp_f32_e32 v49, v48
	v_div_scale_f32 v50, vcc, 1.0, v47, 1.0
	v_fma_f32 v51, -v48, v49, 1.0
	v_fmac_f32_e32 v49, v51, v49
	v_mul_f32_e32 v51, v50, v49
	v_fma_f32 v52, -v48, v51, v50
	v_fmac_f32_e32 v51, v52, v49
	v_fma_f32 v48, -v48, v51, v50
	v_div_fmas_f32 v48, v48, v49, v51
	v_div_fixup_f32 v47, v48, v47, 1.0
.LBB68_121:
	s_or_b64 exec, exec, s[0:1]
	v_cmp_ne_u32_e32 vcc, v45, v42
	s_and_saveexec_b64 s[0:1], vcc
	s_xor_b64 s[0:1], exec, s[0:1]
	s_cbranch_execz .LBB68_127
; %bb.122:
	v_cmp_eq_u32_e32 vcc, 7, v45
	s_and_saveexec_b64 s[2:3], vcc
	s_cbranch_execz .LBB68_126
; %bb.123:
	v_cmp_ne_u32_e32 vcc, 7, v42
	s_xor_b64 s[18:19], s[16:17], -1
	s_and_b64 s[20:21], s[18:19], vcc
	s_and_saveexec_b64 s[18:19], s[20:21]
	s_cbranch_execz .LBB68_125
; %bb.124:
	v_ashrrev_i32_e32 v43, 31, v42
	v_lshl_add_u64 v[48:49], v[42:43], 2, v[22:23]
	global_load_dword v43, v[48:49], off
	global_load_dword v45, v[22:23], off offset:28
	s_waitcnt vmcnt(1)
	global_store_dword v[22:23], v43, off offset:28
	s_waitcnt vmcnt(1)
	global_store_dword v[48:49], v45, off
.LBB68_125:
	s_or_b64 exec, exec, s[18:19]
	v_mov_b32_e32 v43, v42
	v_mov_b32_e32 v45, v42
.LBB68_126:
	s_or_b64 exec, exec, s[2:3]
.LBB68_127:
	s_andn2_saveexec_b64 s[0:1], s[0:1]
	s_cbranch_execz .LBB68_129
; %bb.128:
	s_waitcnt vmcnt(24)
	v_pk_mov_b32 v[48:49], v[0:1], v[28:29] op_sel:[1,0]
	ds_write2_b32 v21, v48, v49 offset0:8 offset1:9
	s_waitcnt vmcnt(22)
	v_pk_mov_b32 v[48:49], v[28:29], v[18:19] op_sel:[1,0]
	ds_write2_b32 v21, v48, v49 offset0:10 offset1:11
	s_waitcnt vmcnt(20)
	v_pk_mov_b32 v[48:49], v[18:19], v[12:13] op_sel:[1,0]
	ds_write2_b32 v21, v48, v49 offset0:12 offset1:13
	s_waitcnt vmcnt(18)
	v_pk_mov_b32 v[48:49], v[12:13], v[8:9] op_sel:[1,0]
	ds_write2_b32 v21, v48, v49 offset0:14 offset1:15
	s_waitcnt vmcnt(16)
	v_pk_mov_b32 v[48:49], v[8:9], v[34:35] op_sel:[1,0]
	ds_write2_b32 v21, v48, v49 offset0:16 offset1:17
	s_waitcnt vmcnt(14)
	v_pk_mov_b32 v[48:49], v[34:35], v[30:31] op_sel:[1,0]
	ds_write2_b32 v21, v48, v49 offset0:18 offset1:19
	s_waitcnt vmcnt(12)
	v_pk_mov_b32 v[48:49], v[30:31], v[24:25] op_sel:[1,0]
	ds_write2_b32 v21, v48, v49 offset0:20 offset1:21
	s_waitcnt vmcnt(10)
	v_pk_mov_b32 v[48:49], v[24:25], v[16:17] op_sel:[1,0]
	ds_write2_b32 v21, v48, v49 offset0:22 offset1:23
	s_waitcnt vmcnt(8)
	v_pk_mov_b32 v[48:49], v[16:17], v[40:41] op_sel:[1,0]
	ds_write2_b32 v21, v48, v49 offset0:24 offset1:25
	s_waitcnt vmcnt(6)
	v_pk_mov_b32 v[48:49], v[40:41], v[36:37] op_sel:[1,0]
	ds_write2_b32 v21, v48, v49 offset0:26 offset1:27
	s_waitcnt vmcnt(4)
	v_pk_mov_b32 v[48:49], v[36:37], v[32:33] op_sel:[1,0]
	ds_write2_b32 v21, v48, v49 offset0:28 offset1:29
	s_waitcnt vmcnt(2)
	v_pk_mov_b32 v[48:49], v[32:33], v[26:27] op_sel:[1,0]
	ds_write2_b32 v21, v48, v49 offset0:30 offset1:31
	s_waitcnt vmcnt(0)
	v_pk_mov_b32 v[48:49], v[26:27], v[38:39] op_sel:[1,0]
	v_mov_b32_e32 v45, 7
	ds_write2_b32 v21, v48, v49 offset0:32 offset1:33
	ds_write_b32 v21, v39 offset:136
.LBB68_129:
	s_or_b64 exec, exec, s[0:1]
	v_cmp_lt_i32_e32 vcc, 7, v45
	s_waitcnt lgkmcnt(0)
	s_barrier
	s_and_saveexec_b64 s[0:1], vcc
	s_cbranch_execz .LBB68_131
; %bb.130:
	ds_read_b32 v42, v21 offset:32
	ds_read2_b32 v[48:49], v21 offset0:9 offset1:10
	ds_read2_b32 v[50:51], v21 offset0:11 offset1:12
	v_mul_f32_e32 v0, v47, v0
	ds_read2_b32 v[52:53], v21 offset0:13 offset1:14
	s_waitcnt vmcnt(26) lgkmcnt(3)
	v_fma_f32 v1, -v0, v42, v1
	s_waitcnt vmcnt(24) lgkmcnt(2)
	v_pk_fma_f32 v[28:29], v[0:1], v[48:49], v[28:29] op_sel_hi:[0,1,1] neg_lo:[1,0,0] neg_hi:[1,0,0]
	s_waitcnt vmcnt(22) lgkmcnt(1)
	v_pk_fma_f32 v[18:19], v[0:1], v[50:51], v[18:19] op_sel_hi:[0,1,1] neg_lo:[1,0,0] neg_hi:[1,0,0]
	ds_read2_b32 v[48:49], v21 offset0:15 offset1:16
	ds_read2_b32 v[50:51], v21 offset0:17 offset1:18
	;; [unrolled: 1-line block ×3, first 2 shown]
	s_waitcnt vmcnt(20) lgkmcnt(3)
	v_pk_fma_f32 v[12:13], v[0:1], v[52:53], v[12:13] op_sel_hi:[0,1,1] neg_lo:[1,0,0] neg_hi:[1,0,0]
	ds_read2_b32 v[52:53], v21 offset0:21 offset1:22
	s_waitcnt vmcnt(18) lgkmcnt(3)
	v_pk_fma_f32 v[8:9], v[0:1], v[48:49], v[8:9] op_sel_hi:[0,1,1] neg_lo:[1,0,0] neg_hi:[1,0,0]
	ds_read2_b32 v[48:49], v21 offset0:23 offset1:24
	s_waitcnt vmcnt(16) lgkmcnt(3)
	v_pk_fma_f32 v[34:35], v[0:1], v[50:51], v[34:35] op_sel_hi:[0,1,1] neg_lo:[1,0,0] neg_hi:[1,0,0]
	s_waitcnt vmcnt(14) lgkmcnt(2)
	v_pk_fma_f32 v[30:31], v[0:1], v[54:55], v[30:31] op_sel_hi:[0,1,1] neg_lo:[1,0,0] neg_hi:[1,0,0]
	;; [unrolled: 2-line block ×3, first 2 shown]
	ds_read2_b32 v[50:51], v21 offset0:25 offset1:26
	ds_read2_b32 v[52:53], v21 offset0:27 offset1:28
	;; [unrolled: 1-line block ×3, first 2 shown]
	s_waitcnt vmcnt(10) lgkmcnt(3)
	v_pk_fma_f32 v[16:17], v[0:1], v[48:49], v[16:17] op_sel_hi:[0,1,1] neg_lo:[1,0,0] neg_hi:[1,0,0]
	ds_read2_b32 v[48:49], v21 offset0:31 offset1:32
	ds_read2_b32 v[56:57], v21 offset0:33 offset1:34
	s_waitcnt vmcnt(8) lgkmcnt(4)
	v_pk_fma_f32 v[40:41], v[0:1], v[50:51], v[40:41] op_sel_hi:[0,1,1] neg_lo:[1,0,0] neg_hi:[1,0,0]
	s_waitcnt vmcnt(6) lgkmcnt(3)
	v_pk_fma_f32 v[36:37], v[0:1], v[52:53], v[36:37] op_sel_hi:[0,1,1] neg_lo:[1,0,0] neg_hi:[1,0,0]
	;; [unrolled: 2-line block ×5, first 2 shown]
.LBB68_131:
	s_or_b64 exec, exec, s[0:1]
	v_lshl_add_u32 v42, v45, 2, v21
	s_barrier
	s_waitcnt vmcnt(26)
	ds_write_b32 v42, v1
	s_waitcnt lgkmcnt(0)
	s_barrier
	ds_read_b32 v47, v21 offset:32
	s_cmp_lt_i32 s22, 10
	v_mov_b32_e32 v42, 8
	s_cbranch_scc1 .LBB68_134
; %bb.132:
	v_add3_u32 v48, v44, 0, 36
	v_mov_b32_e32 v42, 8
	s_mov_b32 s0, 9
.LBB68_133:                             ; =>This Inner Loop Header: Depth=1
	ds_read_b32 v49, v48
	v_mov_b32_e32 v50, s0
	s_add_i32 s0, s0, 1
	v_add_u32_e32 v48, 4, v48
	s_cmp_lg_u32 s22, s0
	s_waitcnt lgkmcnt(0)
	v_cmp_lt_f32_e64 vcc, |v47|, |v49|
	s_nop 1
	v_cndmask_b32_e32 v47, v47, v49, vcc
	v_cndmask_b32_e32 v42, v42, v50, vcc
	s_cbranch_scc1 .LBB68_133
.LBB68_134:
	s_waitcnt lgkmcnt(0)
	v_cmp_eq_f32_e32 vcc, 0, v47
	s_and_saveexec_b64 s[0:1], vcc
	s_xor_b64 s[0:1], exec, s[0:1]
; %bb.135:
	v_cmp_ne_u32_e32 vcc, 0, v46
	s_nop 1
	v_cndmask_b32_e32 v46, 9, v46, vcc
; %bb.136:
	s_andn2_saveexec_b64 s[0:1], s[0:1]
	s_cbranch_execz .LBB68_138
; %bb.137:
	v_div_scale_f32 v48, s[2:3], v47, v47, 1.0
	v_rcp_f32_e32 v49, v48
	v_div_scale_f32 v50, vcc, 1.0, v47, 1.0
	v_fma_f32 v51, -v48, v49, 1.0
	v_fmac_f32_e32 v49, v51, v49
	v_mul_f32_e32 v51, v50, v49
	v_fma_f32 v52, -v48, v51, v50
	v_fmac_f32_e32 v51, v52, v49
	v_fma_f32 v48, -v48, v51, v50
	v_div_fmas_f32 v48, v48, v49, v51
	v_div_fixup_f32 v47, v48, v47, 1.0
.LBB68_138:
	s_or_b64 exec, exec, s[0:1]
	v_cmp_ne_u32_e32 vcc, v45, v42
	s_and_saveexec_b64 s[0:1], vcc
	s_xor_b64 s[0:1], exec, s[0:1]
	s_cbranch_execz .LBB68_144
; %bb.139:
	v_cmp_eq_u32_e32 vcc, 8, v45
	s_and_saveexec_b64 s[2:3], vcc
	s_cbranch_execz .LBB68_143
; %bb.140:
	v_cmp_ne_u32_e32 vcc, 8, v42
	s_xor_b64 s[18:19], s[16:17], -1
	s_and_b64 s[20:21], s[18:19], vcc
	s_and_saveexec_b64 s[18:19], s[20:21]
	s_cbranch_execz .LBB68_142
; %bb.141:
	v_ashrrev_i32_e32 v43, 31, v42
	v_lshl_add_u64 v[48:49], v[42:43], 2, v[22:23]
	global_load_dword v43, v[48:49], off
	global_load_dword v45, v[22:23], off offset:32
	s_waitcnt vmcnt(1)
	global_store_dword v[22:23], v43, off offset:32
	s_waitcnt vmcnt(1)
	global_store_dword v[48:49], v45, off
.LBB68_142:
	s_or_b64 exec, exec, s[18:19]
	v_mov_b32_e32 v43, v42
	v_mov_b32_e32 v45, v42
.LBB68_143:
	s_or_b64 exec, exec, s[2:3]
.LBB68_144:
	s_andn2_saveexec_b64 s[0:1], s[0:1]
	s_cbranch_execz .LBB68_146
; %bb.145:
	v_mov_b32_e32 v45, 8
	s_waitcnt vmcnt(24)
	ds_write2_b32 v21, v28, v29 offset0:9 offset1:10
	s_waitcnt vmcnt(22)
	ds_write2_b32 v21, v18, v19 offset0:11 offset1:12
	;; [unrolled: 2-line block ×13, first 2 shown]
.LBB68_146:
	s_or_b64 exec, exec, s[0:1]
	v_cmp_lt_i32_e32 vcc, 8, v45
	s_waitcnt lgkmcnt(0)
	s_barrier
	s_and_saveexec_b64 s[0:1], vcc
	s_cbranch_execz .LBB68_148
; %bb.147:
	ds_read2_b32 v[48:49], v21 offset0:9 offset1:10
	ds_read2_b32 v[50:51], v21 offset0:11 offset1:12
	;; [unrolled: 1-line block ×3, first 2 shown]
	v_mul_f32_e32 v42, v47, v1
	ds_read2_b32 v[54:55], v21 offset0:15 offset1:16
	s_waitcnt vmcnt(24) lgkmcnt(3)
	v_pk_fma_f32 v[28:29], v[42:43], v[48:49], v[28:29] op_sel_hi:[0,1,1] neg_lo:[1,0,0] neg_hi:[1,0,0]
	s_waitcnt vmcnt(22) lgkmcnt(2)
	v_pk_fma_f32 v[18:19], v[42:43], v[50:51], v[18:19] op_sel_hi:[0,1,1] neg_lo:[1,0,0] neg_hi:[1,0,0]
	;; [unrolled: 2-line block ×3, first 2 shown]
	ds_read2_b32 v[48:49], v21 offset0:17 offset1:18
	ds_read2_b32 v[50:51], v21 offset0:19 offset1:20
	;; [unrolled: 1-line block ×4, first 2 shown]
	s_waitcnt vmcnt(18) lgkmcnt(4)
	v_pk_fma_f32 v[8:9], v[42:43], v[54:55], v[8:9] op_sel_hi:[0,1,1] neg_lo:[1,0,0] neg_hi:[1,0,0]
	s_waitcnt vmcnt(16) lgkmcnt(3)
	v_pk_fma_f32 v[34:35], v[42:43], v[48:49], v[34:35] op_sel_hi:[0,1,1] neg_lo:[1,0,0] neg_hi:[1,0,0]
	s_waitcnt vmcnt(14) lgkmcnt(2)
	v_pk_fma_f32 v[30:31], v[42:43], v[50:51], v[30:31] op_sel_hi:[0,1,1] neg_lo:[1,0,0] neg_hi:[1,0,0]
	s_waitcnt vmcnt(12) lgkmcnt(1)
	v_pk_fma_f32 v[24:25], v[42:43], v[52:53], v[24:25] op_sel_hi:[0,1,1] neg_lo:[1,0,0] neg_hi:[1,0,0]
	s_waitcnt vmcnt(10) lgkmcnt(0)
	v_pk_fma_f32 v[16:17], v[42:43], v[56:57], v[16:17] op_sel_hi:[0,1,1] neg_lo:[1,0,0] neg_hi:[1,0,0]
	ds_read2_b32 v[48:49], v21 offset0:25 offset1:26
	ds_read2_b32 v[50:51], v21 offset0:27 offset1:28
	;; [unrolled: 1-line block ×5, first 2 shown]
	s_waitcnt vmcnt(8) lgkmcnt(4)
	v_pk_fma_f32 v[40:41], v[42:43], v[48:49], v[40:41] op_sel_hi:[0,1,1] neg_lo:[1,0,0] neg_hi:[1,0,0]
	s_waitcnt vmcnt(6) lgkmcnt(3)
	v_pk_fma_f32 v[36:37], v[42:43], v[50:51], v[36:37] op_sel_hi:[0,1,1] neg_lo:[1,0,0] neg_hi:[1,0,0]
	;; [unrolled: 2-line block ×5, first 2 shown]
	v_mov_b32_e32 v1, v42
.LBB68_148:
	s_or_b64 exec, exec, s[0:1]
	v_lshl_add_u32 v42, v45, 2, v21
	s_barrier
	s_waitcnt vmcnt(25)
	ds_write_b32 v42, v28
	s_waitcnt lgkmcnt(0)
	s_barrier
	ds_read_b32 v47, v21 offset:36
	s_cmp_lt_i32 s22, 11
	v_mov_b32_e32 v42, 9
	s_cbranch_scc1 .LBB68_151
; %bb.149:
	v_add3_u32 v48, v44, 0, 40
	v_mov_b32_e32 v42, 9
	s_mov_b32 s0, 10
.LBB68_150:                             ; =>This Inner Loop Header: Depth=1
	ds_read_b32 v49, v48
	v_mov_b32_e32 v50, s0
	s_add_i32 s0, s0, 1
	v_add_u32_e32 v48, 4, v48
	s_cmp_lg_u32 s22, s0
	s_waitcnt lgkmcnt(0)
	v_cmp_lt_f32_e64 vcc, |v47|, |v49|
	s_nop 1
	v_cndmask_b32_e32 v47, v47, v49, vcc
	v_cndmask_b32_e32 v42, v42, v50, vcc
	s_cbranch_scc1 .LBB68_150
.LBB68_151:
	s_waitcnt lgkmcnt(0)
	v_cmp_eq_f32_e32 vcc, 0, v47
	s_and_saveexec_b64 s[0:1], vcc
	s_xor_b64 s[0:1], exec, s[0:1]
; %bb.152:
	v_cmp_ne_u32_e32 vcc, 0, v46
	s_nop 1
	v_cndmask_b32_e32 v46, 10, v46, vcc
; %bb.153:
	s_andn2_saveexec_b64 s[0:1], s[0:1]
	s_cbranch_execz .LBB68_155
; %bb.154:
	v_div_scale_f32 v48, s[2:3], v47, v47, 1.0
	v_rcp_f32_e32 v49, v48
	v_div_scale_f32 v50, vcc, 1.0, v47, 1.0
	v_fma_f32 v51, -v48, v49, 1.0
	v_fmac_f32_e32 v49, v51, v49
	v_mul_f32_e32 v51, v50, v49
	v_fma_f32 v52, -v48, v51, v50
	v_fmac_f32_e32 v51, v52, v49
	v_fma_f32 v48, -v48, v51, v50
	v_div_fmas_f32 v48, v48, v49, v51
	v_div_fixup_f32 v47, v48, v47, 1.0
.LBB68_155:
	s_or_b64 exec, exec, s[0:1]
	v_cmp_ne_u32_e32 vcc, v45, v42
	s_and_saveexec_b64 s[0:1], vcc
	s_xor_b64 s[0:1], exec, s[0:1]
	s_cbranch_execz .LBB68_161
; %bb.156:
	v_cmp_eq_u32_e32 vcc, 9, v45
	s_and_saveexec_b64 s[2:3], vcc
	s_cbranch_execz .LBB68_160
; %bb.157:
	v_cmp_ne_u32_e32 vcc, 9, v42
	s_xor_b64 s[18:19], s[16:17], -1
	s_and_b64 s[20:21], s[18:19], vcc
	s_and_saveexec_b64 s[18:19], s[20:21]
	s_cbranch_execz .LBB68_159
; %bb.158:
	v_ashrrev_i32_e32 v43, 31, v42
	v_lshl_add_u64 v[48:49], v[42:43], 2, v[22:23]
	global_load_dword v43, v[48:49], off
	global_load_dword v45, v[22:23], off offset:36
	s_waitcnt vmcnt(1)
	global_store_dword v[22:23], v43, off offset:36
	s_waitcnt vmcnt(1)
	global_store_dword v[48:49], v45, off
.LBB68_159:
	s_or_b64 exec, exec, s[18:19]
	v_mov_b32_e32 v43, v42
	v_mov_b32_e32 v45, v42
.LBB68_160:
	s_or_b64 exec, exec, s[2:3]
.LBB68_161:
	s_andn2_saveexec_b64 s[0:1], s[0:1]
	s_cbranch_execz .LBB68_163
; %bb.162:
	s_waitcnt vmcnt(22)
	v_pk_mov_b32 v[48:49], v[28:29], v[18:19] op_sel:[1,0]
	ds_write2_b32 v21, v48, v49 offset0:10 offset1:11
	s_waitcnt vmcnt(20)
	v_pk_mov_b32 v[48:49], v[18:19], v[12:13] op_sel:[1,0]
	ds_write2_b32 v21, v48, v49 offset0:12 offset1:13
	;; [unrolled: 3-line block ×11, first 2 shown]
	s_waitcnt vmcnt(0)
	v_pk_mov_b32 v[48:49], v[26:27], v[38:39] op_sel:[1,0]
	v_mov_b32_e32 v45, 9
	ds_write2_b32 v21, v48, v49 offset0:32 offset1:33
	ds_write_b32 v21, v39 offset:136
.LBB68_163:
	s_or_b64 exec, exec, s[0:1]
	v_cmp_lt_i32_e32 vcc, 9, v45
	s_waitcnt lgkmcnt(0)
	s_barrier
	s_and_saveexec_b64 s[0:1], vcc
	s_cbranch_execz .LBB68_165
; %bb.164:
	ds_read_b32 v42, v21 offset:40
	ds_read2_b32 v[48:49], v21 offset0:11 offset1:12
	ds_read2_b32 v[50:51], v21 offset0:13 offset1:14
	v_mul_f32_e32 v28, v47, v28
	ds_read2_b32 v[52:53], v21 offset0:15 offset1:16
	s_waitcnt vmcnt(24) lgkmcnt(3)
	v_fma_f32 v29, -v28, v42, v29
	s_waitcnt vmcnt(22) lgkmcnt(2)
	v_pk_fma_f32 v[18:19], v[28:29], v[48:49], v[18:19] op_sel_hi:[0,1,1] neg_lo:[1,0,0] neg_hi:[1,0,0]
	s_waitcnt vmcnt(20) lgkmcnt(1)
	v_pk_fma_f32 v[12:13], v[28:29], v[50:51], v[12:13] op_sel_hi:[0,1,1] neg_lo:[1,0,0] neg_hi:[1,0,0]
	ds_read2_b32 v[48:49], v21 offset0:17 offset1:18
	ds_read2_b32 v[50:51], v21 offset0:19 offset1:20
	;; [unrolled: 1-line block ×4, first 2 shown]
	s_waitcnt vmcnt(18) lgkmcnt(4)
	v_pk_fma_f32 v[8:9], v[28:29], v[52:53], v[8:9] op_sel_hi:[0,1,1] neg_lo:[1,0,0] neg_hi:[1,0,0]
	s_waitcnt vmcnt(16) lgkmcnt(3)
	v_pk_fma_f32 v[34:35], v[28:29], v[48:49], v[34:35] op_sel_hi:[0,1,1] neg_lo:[1,0,0] neg_hi:[1,0,0]
	;; [unrolled: 2-line block ×5, first 2 shown]
	ds_read2_b32 v[48:49], v21 offset0:25 offset1:26
	ds_read2_b32 v[50:51], v21 offset0:27 offset1:28
	;; [unrolled: 1-line block ×5, first 2 shown]
	s_waitcnt vmcnt(8) lgkmcnt(4)
	v_pk_fma_f32 v[40:41], v[28:29], v[48:49], v[40:41] op_sel_hi:[0,1,1] neg_lo:[1,0,0] neg_hi:[1,0,0]
	s_waitcnt vmcnt(6) lgkmcnt(3)
	v_pk_fma_f32 v[36:37], v[28:29], v[50:51], v[36:37] op_sel_hi:[0,1,1] neg_lo:[1,0,0] neg_hi:[1,0,0]
	;; [unrolled: 2-line block ×5, first 2 shown]
.LBB68_165:
	s_or_b64 exec, exec, s[0:1]
	v_lshl_add_u32 v42, v45, 2, v21
	s_barrier
	s_waitcnt vmcnt(24)
	ds_write_b32 v42, v29
	s_waitcnt lgkmcnt(0)
	s_barrier
	ds_read_b32 v47, v21 offset:40
	s_cmp_lt_i32 s22, 12
	v_mov_b32_e32 v42, 10
	s_cbranch_scc1 .LBB68_168
; %bb.166:
	v_add3_u32 v48, v44, 0, 44
	v_mov_b32_e32 v42, 10
	s_mov_b32 s0, 11
.LBB68_167:                             ; =>This Inner Loop Header: Depth=1
	ds_read_b32 v49, v48
	v_mov_b32_e32 v50, s0
	s_add_i32 s0, s0, 1
	v_add_u32_e32 v48, 4, v48
	s_cmp_lg_u32 s22, s0
	s_waitcnt lgkmcnt(0)
	v_cmp_lt_f32_e64 vcc, |v47|, |v49|
	s_nop 1
	v_cndmask_b32_e32 v47, v47, v49, vcc
	v_cndmask_b32_e32 v42, v42, v50, vcc
	s_cbranch_scc1 .LBB68_167
.LBB68_168:
	s_waitcnt lgkmcnt(0)
	v_cmp_eq_f32_e32 vcc, 0, v47
	s_and_saveexec_b64 s[0:1], vcc
	s_xor_b64 s[0:1], exec, s[0:1]
; %bb.169:
	v_cmp_ne_u32_e32 vcc, 0, v46
	s_nop 1
	v_cndmask_b32_e32 v46, 11, v46, vcc
; %bb.170:
	s_andn2_saveexec_b64 s[0:1], s[0:1]
	s_cbranch_execz .LBB68_172
; %bb.171:
	v_div_scale_f32 v48, s[2:3], v47, v47, 1.0
	v_rcp_f32_e32 v49, v48
	v_div_scale_f32 v50, vcc, 1.0, v47, 1.0
	v_fma_f32 v51, -v48, v49, 1.0
	v_fmac_f32_e32 v49, v51, v49
	v_mul_f32_e32 v51, v50, v49
	v_fma_f32 v52, -v48, v51, v50
	v_fmac_f32_e32 v51, v52, v49
	v_fma_f32 v48, -v48, v51, v50
	v_div_fmas_f32 v48, v48, v49, v51
	v_div_fixup_f32 v47, v48, v47, 1.0
.LBB68_172:
	s_or_b64 exec, exec, s[0:1]
	v_cmp_ne_u32_e32 vcc, v45, v42
	s_and_saveexec_b64 s[0:1], vcc
	s_xor_b64 s[0:1], exec, s[0:1]
	s_cbranch_execz .LBB68_178
; %bb.173:
	v_cmp_eq_u32_e32 vcc, 10, v45
	s_and_saveexec_b64 s[2:3], vcc
	s_cbranch_execz .LBB68_177
; %bb.174:
	v_cmp_ne_u32_e32 vcc, 10, v42
	s_xor_b64 s[18:19], s[16:17], -1
	s_and_b64 s[20:21], s[18:19], vcc
	s_and_saveexec_b64 s[18:19], s[20:21]
	s_cbranch_execz .LBB68_176
; %bb.175:
	v_ashrrev_i32_e32 v43, 31, v42
	v_lshl_add_u64 v[48:49], v[42:43], 2, v[22:23]
	global_load_dword v43, v[48:49], off
	global_load_dword v45, v[22:23], off offset:40
	s_waitcnt vmcnt(1)
	global_store_dword v[22:23], v43, off offset:40
	s_waitcnt vmcnt(1)
	global_store_dword v[48:49], v45, off
.LBB68_176:
	s_or_b64 exec, exec, s[18:19]
	v_mov_b32_e32 v43, v42
	v_mov_b32_e32 v45, v42
.LBB68_177:
	s_or_b64 exec, exec, s[2:3]
.LBB68_178:
	s_andn2_saveexec_b64 s[0:1], s[0:1]
	s_cbranch_execz .LBB68_180
; %bb.179:
	v_mov_b32_e32 v45, 10
	s_waitcnt vmcnt(22)
	ds_write2_b32 v21, v18, v19 offset0:11 offset1:12
	s_waitcnt vmcnt(20)
	ds_write2_b32 v21, v12, v13 offset0:13 offset1:14
	;; [unrolled: 2-line block ×12, first 2 shown]
.LBB68_180:
	s_or_b64 exec, exec, s[0:1]
	v_cmp_lt_i32_e32 vcc, 10, v45
	s_waitcnt lgkmcnt(0)
	s_barrier
	s_and_saveexec_b64 s[0:1], vcc
	s_cbranch_execz .LBB68_182
; %bb.181:
	ds_read2_b32 v[48:49], v21 offset0:11 offset1:12
	ds_read2_b32 v[50:51], v21 offset0:13 offset1:14
	ds_read2_b32 v[52:53], v21 offset0:15 offset1:16
	v_mul_f32_e32 v42, v47, v29
	ds_read2_b32 v[54:55], v21 offset0:17 offset1:18
	s_waitcnt vmcnt(22) lgkmcnt(3)
	v_pk_fma_f32 v[18:19], v[42:43], v[48:49], v[18:19] op_sel_hi:[0,1,1] neg_lo:[1,0,0] neg_hi:[1,0,0]
	s_waitcnt vmcnt(20) lgkmcnt(2)
	v_pk_fma_f32 v[12:13], v[42:43], v[50:51], v[12:13] op_sel_hi:[0,1,1] neg_lo:[1,0,0] neg_hi:[1,0,0]
	s_waitcnt vmcnt(18) lgkmcnt(1)
	v_pk_fma_f32 v[8:9], v[42:43], v[52:53], v[8:9] op_sel_hi:[0,1,1] neg_lo:[1,0,0] neg_hi:[1,0,0]
	ds_read2_b32 v[48:49], v21 offset0:19 offset1:20
	ds_read2_b32 v[50:51], v21 offset0:21 offset1:22
	;; [unrolled: 1-line block ×3, first 2 shown]
	s_waitcnt vmcnt(16) lgkmcnt(3)
	v_pk_fma_f32 v[34:35], v[42:43], v[54:55], v[34:35] op_sel_hi:[0,1,1] neg_lo:[1,0,0] neg_hi:[1,0,0]
	ds_read2_b32 v[54:55], v21 offset0:25 offset1:26
	s_waitcnt vmcnt(14) lgkmcnt(3)
	v_pk_fma_f32 v[30:31], v[42:43], v[48:49], v[30:31] op_sel_hi:[0,1,1] neg_lo:[1,0,0] neg_hi:[1,0,0]
	s_waitcnt vmcnt(12) lgkmcnt(2)
	v_pk_fma_f32 v[24:25], v[42:43], v[50:51], v[24:25] op_sel_hi:[0,1,1] neg_lo:[1,0,0] neg_hi:[1,0,0]
	s_waitcnt vmcnt(10) lgkmcnt(1)
	v_pk_fma_f32 v[16:17], v[42:43], v[52:53], v[16:17] op_sel_hi:[0,1,1] neg_lo:[1,0,0] neg_hi:[1,0,0]
	ds_read2_b32 v[48:49], v21 offset0:27 offset1:28
	ds_read2_b32 v[50:51], v21 offset0:29 offset1:30
	;; [unrolled: 1-line block ×4, first 2 shown]
	s_waitcnt vmcnt(8) lgkmcnt(4)
	v_pk_fma_f32 v[40:41], v[42:43], v[54:55], v[40:41] op_sel_hi:[0,1,1] neg_lo:[1,0,0] neg_hi:[1,0,0]
	s_waitcnt vmcnt(6) lgkmcnt(3)
	v_pk_fma_f32 v[36:37], v[42:43], v[48:49], v[36:37] op_sel_hi:[0,1,1] neg_lo:[1,0,0] neg_hi:[1,0,0]
	;; [unrolled: 2-line block ×5, first 2 shown]
	v_mov_b32_e32 v29, v42
.LBB68_182:
	s_or_b64 exec, exec, s[0:1]
	v_lshl_add_u32 v42, v45, 2, v21
	s_barrier
	s_waitcnt vmcnt(23)
	ds_write_b32 v42, v18
	s_waitcnt lgkmcnt(0)
	s_barrier
	ds_read_b32 v47, v21 offset:44
	s_cmp_lt_i32 s22, 13
	v_mov_b32_e32 v42, 11
	s_cbranch_scc1 .LBB68_185
; %bb.183:
	v_add3_u32 v48, v44, 0, 48
	v_mov_b32_e32 v42, 11
	s_mov_b32 s0, 12
.LBB68_184:                             ; =>This Inner Loop Header: Depth=1
	ds_read_b32 v49, v48
	v_mov_b32_e32 v50, s0
	s_add_i32 s0, s0, 1
	v_add_u32_e32 v48, 4, v48
	s_cmp_lg_u32 s22, s0
	s_waitcnt lgkmcnt(0)
	v_cmp_lt_f32_e64 vcc, |v47|, |v49|
	s_nop 1
	v_cndmask_b32_e32 v47, v47, v49, vcc
	v_cndmask_b32_e32 v42, v42, v50, vcc
	s_cbranch_scc1 .LBB68_184
.LBB68_185:
	s_waitcnt lgkmcnt(0)
	v_cmp_eq_f32_e32 vcc, 0, v47
	s_and_saveexec_b64 s[0:1], vcc
	s_xor_b64 s[0:1], exec, s[0:1]
; %bb.186:
	v_cmp_ne_u32_e32 vcc, 0, v46
	s_nop 1
	v_cndmask_b32_e32 v46, 12, v46, vcc
; %bb.187:
	s_andn2_saveexec_b64 s[0:1], s[0:1]
	s_cbranch_execz .LBB68_189
; %bb.188:
	v_div_scale_f32 v48, s[2:3], v47, v47, 1.0
	v_rcp_f32_e32 v49, v48
	v_div_scale_f32 v50, vcc, 1.0, v47, 1.0
	v_fma_f32 v51, -v48, v49, 1.0
	v_fmac_f32_e32 v49, v51, v49
	v_mul_f32_e32 v51, v50, v49
	v_fma_f32 v52, -v48, v51, v50
	v_fmac_f32_e32 v51, v52, v49
	v_fma_f32 v48, -v48, v51, v50
	v_div_fmas_f32 v48, v48, v49, v51
	v_div_fixup_f32 v47, v48, v47, 1.0
.LBB68_189:
	s_or_b64 exec, exec, s[0:1]
	v_cmp_ne_u32_e32 vcc, v45, v42
	s_and_saveexec_b64 s[0:1], vcc
	s_xor_b64 s[0:1], exec, s[0:1]
	s_cbranch_execz .LBB68_195
; %bb.190:
	v_cmp_eq_u32_e32 vcc, 11, v45
	s_and_saveexec_b64 s[2:3], vcc
	s_cbranch_execz .LBB68_194
; %bb.191:
	v_cmp_ne_u32_e32 vcc, 11, v42
	s_xor_b64 s[18:19], s[16:17], -1
	s_and_b64 s[20:21], s[18:19], vcc
	s_and_saveexec_b64 s[18:19], s[20:21]
	s_cbranch_execz .LBB68_193
; %bb.192:
	v_ashrrev_i32_e32 v43, 31, v42
	v_lshl_add_u64 v[48:49], v[42:43], 2, v[22:23]
	global_load_dword v43, v[48:49], off
	global_load_dword v45, v[22:23], off offset:44
	s_waitcnt vmcnt(1)
	global_store_dword v[22:23], v43, off offset:44
	s_waitcnt vmcnt(1)
	global_store_dword v[48:49], v45, off
.LBB68_193:
	s_or_b64 exec, exec, s[18:19]
	v_mov_b32_e32 v43, v42
	v_mov_b32_e32 v45, v42
.LBB68_194:
	s_or_b64 exec, exec, s[2:3]
.LBB68_195:
	s_andn2_saveexec_b64 s[0:1], s[0:1]
	s_cbranch_execz .LBB68_197
; %bb.196:
	s_waitcnt vmcnt(20)
	v_pk_mov_b32 v[48:49], v[18:19], v[12:13] op_sel:[1,0]
	ds_write2_b32 v21, v48, v49 offset0:12 offset1:13
	s_waitcnt vmcnt(18)
	v_pk_mov_b32 v[48:49], v[12:13], v[8:9] op_sel:[1,0]
	ds_write2_b32 v21, v48, v49 offset0:14 offset1:15
	;; [unrolled: 3-line block ×10, first 2 shown]
	s_waitcnt vmcnt(0)
	v_pk_mov_b32 v[48:49], v[26:27], v[38:39] op_sel:[1,0]
	v_mov_b32_e32 v45, 11
	ds_write2_b32 v21, v48, v49 offset0:32 offset1:33
	ds_write_b32 v21, v39 offset:136
.LBB68_197:
	s_or_b64 exec, exec, s[0:1]
	v_cmp_lt_i32_e32 vcc, 11, v45
	s_waitcnt lgkmcnt(0)
	s_barrier
	s_and_saveexec_b64 s[0:1], vcc
	s_cbranch_execz .LBB68_199
; %bb.198:
	ds_read_b32 v42, v21 offset:48
	ds_read2_b32 v[48:49], v21 offset0:13 offset1:14
	ds_read2_b32 v[50:51], v21 offset0:15 offset1:16
	v_mul_f32_e32 v18, v47, v18
	ds_read2_b32 v[52:53], v21 offset0:17 offset1:18
	s_waitcnt vmcnt(22) lgkmcnt(3)
	v_fma_f32 v19, -v18, v42, v19
	s_waitcnt vmcnt(20) lgkmcnt(2)
	v_pk_fma_f32 v[12:13], v[18:19], v[48:49], v[12:13] op_sel_hi:[0,1,1] neg_lo:[1,0,0] neg_hi:[1,0,0]
	s_waitcnt vmcnt(18) lgkmcnt(1)
	v_pk_fma_f32 v[8:9], v[18:19], v[50:51], v[8:9] op_sel_hi:[0,1,1] neg_lo:[1,0,0] neg_hi:[1,0,0]
	ds_read2_b32 v[48:49], v21 offset0:19 offset1:20
	ds_read2_b32 v[50:51], v21 offset0:21 offset1:22
	;; [unrolled: 1-line block ×3, first 2 shown]
	s_waitcnt vmcnt(16) lgkmcnt(3)
	v_pk_fma_f32 v[34:35], v[18:19], v[52:53], v[34:35] op_sel_hi:[0,1,1] neg_lo:[1,0,0] neg_hi:[1,0,0]
	ds_read2_b32 v[52:53], v21 offset0:25 offset1:26
	s_waitcnt vmcnt(14) lgkmcnt(3)
	v_pk_fma_f32 v[30:31], v[18:19], v[48:49], v[30:31] op_sel_hi:[0,1,1] neg_lo:[1,0,0] neg_hi:[1,0,0]
	s_waitcnt vmcnt(12) lgkmcnt(2)
	v_pk_fma_f32 v[24:25], v[18:19], v[50:51], v[24:25] op_sel_hi:[0,1,1] neg_lo:[1,0,0] neg_hi:[1,0,0]
	s_waitcnt vmcnt(10) lgkmcnt(1)
	v_pk_fma_f32 v[16:17], v[18:19], v[54:55], v[16:17] op_sel_hi:[0,1,1] neg_lo:[1,0,0] neg_hi:[1,0,0]
	ds_read2_b32 v[48:49], v21 offset0:27 offset1:28
	ds_read2_b32 v[50:51], v21 offset0:29 offset1:30
	;; [unrolled: 1-line block ×4, first 2 shown]
	s_waitcnt vmcnt(8) lgkmcnt(4)
	v_pk_fma_f32 v[40:41], v[18:19], v[52:53], v[40:41] op_sel_hi:[0,1,1] neg_lo:[1,0,0] neg_hi:[1,0,0]
	s_waitcnt vmcnt(6) lgkmcnt(3)
	v_pk_fma_f32 v[36:37], v[18:19], v[48:49], v[36:37] op_sel_hi:[0,1,1] neg_lo:[1,0,0] neg_hi:[1,0,0]
	;; [unrolled: 2-line block ×5, first 2 shown]
.LBB68_199:
	s_or_b64 exec, exec, s[0:1]
	v_lshl_add_u32 v42, v45, 2, v21
	s_barrier
	s_waitcnt vmcnt(22)
	ds_write_b32 v42, v19
	s_waitcnt lgkmcnt(0)
	s_barrier
	ds_read_b32 v47, v21 offset:48
	s_cmp_lt_i32 s22, 14
	v_mov_b32_e32 v42, 12
	s_cbranch_scc1 .LBB68_202
; %bb.200:
	v_add3_u32 v48, v44, 0, 52
	v_mov_b32_e32 v42, 12
	s_mov_b32 s0, 13
.LBB68_201:                             ; =>This Inner Loop Header: Depth=1
	ds_read_b32 v49, v48
	v_mov_b32_e32 v50, s0
	s_add_i32 s0, s0, 1
	v_add_u32_e32 v48, 4, v48
	s_cmp_lg_u32 s22, s0
	s_waitcnt lgkmcnt(0)
	v_cmp_lt_f32_e64 vcc, |v47|, |v49|
	s_nop 1
	v_cndmask_b32_e32 v47, v47, v49, vcc
	v_cndmask_b32_e32 v42, v42, v50, vcc
	s_cbranch_scc1 .LBB68_201
.LBB68_202:
	s_waitcnt lgkmcnt(0)
	v_cmp_eq_f32_e32 vcc, 0, v47
	s_and_saveexec_b64 s[0:1], vcc
	s_xor_b64 s[0:1], exec, s[0:1]
; %bb.203:
	v_cmp_ne_u32_e32 vcc, 0, v46
	s_nop 1
	v_cndmask_b32_e32 v46, 13, v46, vcc
; %bb.204:
	s_andn2_saveexec_b64 s[0:1], s[0:1]
	s_cbranch_execz .LBB68_206
; %bb.205:
	v_div_scale_f32 v48, s[2:3], v47, v47, 1.0
	v_rcp_f32_e32 v49, v48
	v_div_scale_f32 v50, vcc, 1.0, v47, 1.0
	v_fma_f32 v51, -v48, v49, 1.0
	v_fmac_f32_e32 v49, v51, v49
	v_mul_f32_e32 v51, v50, v49
	v_fma_f32 v52, -v48, v51, v50
	v_fmac_f32_e32 v51, v52, v49
	v_fma_f32 v48, -v48, v51, v50
	v_div_fmas_f32 v48, v48, v49, v51
	v_div_fixup_f32 v47, v48, v47, 1.0
.LBB68_206:
	s_or_b64 exec, exec, s[0:1]
	v_cmp_ne_u32_e32 vcc, v45, v42
	s_and_saveexec_b64 s[0:1], vcc
	s_xor_b64 s[0:1], exec, s[0:1]
	s_cbranch_execz .LBB68_212
; %bb.207:
	v_cmp_eq_u32_e32 vcc, 12, v45
	s_and_saveexec_b64 s[2:3], vcc
	s_cbranch_execz .LBB68_211
; %bb.208:
	v_cmp_ne_u32_e32 vcc, 12, v42
	s_xor_b64 s[18:19], s[16:17], -1
	s_and_b64 s[20:21], s[18:19], vcc
	s_and_saveexec_b64 s[18:19], s[20:21]
	s_cbranch_execz .LBB68_210
; %bb.209:
	v_ashrrev_i32_e32 v43, 31, v42
	v_lshl_add_u64 v[48:49], v[42:43], 2, v[22:23]
	global_load_dword v43, v[48:49], off
	global_load_dword v45, v[22:23], off offset:48
	s_waitcnt vmcnt(1)
	global_store_dword v[22:23], v43, off offset:48
	s_waitcnt vmcnt(1)
	global_store_dword v[48:49], v45, off
.LBB68_210:
	s_or_b64 exec, exec, s[18:19]
	v_mov_b32_e32 v43, v42
	v_mov_b32_e32 v45, v42
.LBB68_211:
	s_or_b64 exec, exec, s[2:3]
.LBB68_212:
	s_andn2_saveexec_b64 s[0:1], s[0:1]
	s_cbranch_execz .LBB68_214
; %bb.213:
	v_mov_b32_e32 v45, 12
	s_waitcnt vmcnt(20)
	ds_write2_b32 v21, v12, v13 offset0:13 offset1:14
	s_waitcnt vmcnt(18)
	ds_write2_b32 v21, v8, v9 offset0:15 offset1:16
	;; [unrolled: 2-line block ×11, first 2 shown]
.LBB68_214:
	s_or_b64 exec, exec, s[0:1]
	v_cmp_lt_i32_e32 vcc, 12, v45
	s_waitcnt lgkmcnt(0)
	s_barrier
	s_and_saveexec_b64 s[0:1], vcc
	s_cbranch_execz .LBB68_216
; %bb.215:
	ds_read2_b32 v[48:49], v21 offset0:13 offset1:14
	ds_read2_b32 v[50:51], v21 offset0:15 offset1:16
	;; [unrolled: 1-line block ×3, first 2 shown]
	v_mul_f32_e32 v42, v47, v19
	ds_read2_b32 v[54:55], v21 offset0:19 offset1:20
	s_waitcnt vmcnt(20) lgkmcnt(3)
	v_pk_fma_f32 v[12:13], v[42:43], v[48:49], v[12:13] op_sel_hi:[0,1,1] neg_lo:[1,0,0] neg_hi:[1,0,0]
	s_waitcnt vmcnt(18) lgkmcnt(2)
	v_pk_fma_f32 v[8:9], v[42:43], v[50:51], v[8:9] op_sel_hi:[0,1,1] neg_lo:[1,0,0] neg_hi:[1,0,0]
	ds_read2_b32 v[48:49], v21 offset0:21 offset1:22
	ds_read2_b32 v[50:51], v21 offset0:23 offset1:24
	s_waitcnt vmcnt(16) lgkmcnt(3)
	v_pk_fma_f32 v[34:35], v[42:43], v[52:53], v[34:35] op_sel_hi:[0,1,1] neg_lo:[1,0,0] neg_hi:[1,0,0]
	s_waitcnt vmcnt(14) lgkmcnt(2)
	v_pk_fma_f32 v[30:31], v[42:43], v[54:55], v[30:31] op_sel_hi:[0,1,1] neg_lo:[1,0,0] neg_hi:[1,0,0]
	ds_read2_b32 v[52:53], v21 offset0:25 offset1:26
	;; [unrolled: 6-line block ×3, first 2 shown]
	ds_read2_b32 v[50:51], v21 offset0:31 offset1:32
	ds_read2_b32 v[56:57], v21 offset0:33 offset1:34
	s_waitcnt vmcnt(8) lgkmcnt(4)
	v_pk_fma_f32 v[40:41], v[42:43], v[52:53], v[40:41] op_sel_hi:[0,1,1] neg_lo:[1,0,0] neg_hi:[1,0,0]
	s_waitcnt vmcnt(6) lgkmcnt(3)
	v_pk_fma_f32 v[36:37], v[42:43], v[54:55], v[36:37] op_sel_hi:[0,1,1] neg_lo:[1,0,0] neg_hi:[1,0,0]
	;; [unrolled: 2-line block ×5, first 2 shown]
	v_mov_b32_e32 v19, v42
.LBB68_216:
	s_or_b64 exec, exec, s[0:1]
	v_lshl_add_u32 v42, v45, 2, v21
	s_barrier
	s_waitcnt vmcnt(21)
	ds_write_b32 v42, v12
	s_waitcnt lgkmcnt(0)
	s_barrier
	ds_read_b32 v47, v21 offset:52
	s_cmp_lt_i32 s22, 15
	v_mov_b32_e32 v42, 13
	s_cbranch_scc1 .LBB68_219
; %bb.217:
	v_add3_u32 v48, v44, 0, 56
	v_mov_b32_e32 v42, 13
	s_mov_b32 s0, 14
.LBB68_218:                             ; =>This Inner Loop Header: Depth=1
	ds_read_b32 v49, v48
	v_mov_b32_e32 v50, s0
	s_add_i32 s0, s0, 1
	v_add_u32_e32 v48, 4, v48
	s_cmp_lg_u32 s22, s0
	s_waitcnt lgkmcnt(0)
	v_cmp_lt_f32_e64 vcc, |v47|, |v49|
	s_nop 1
	v_cndmask_b32_e32 v47, v47, v49, vcc
	v_cndmask_b32_e32 v42, v42, v50, vcc
	s_cbranch_scc1 .LBB68_218
.LBB68_219:
	s_waitcnt lgkmcnt(0)
	v_cmp_eq_f32_e32 vcc, 0, v47
	s_and_saveexec_b64 s[0:1], vcc
	s_xor_b64 s[0:1], exec, s[0:1]
; %bb.220:
	v_cmp_ne_u32_e32 vcc, 0, v46
	s_nop 1
	v_cndmask_b32_e32 v46, 14, v46, vcc
; %bb.221:
	s_andn2_saveexec_b64 s[0:1], s[0:1]
	s_cbranch_execz .LBB68_223
; %bb.222:
	v_div_scale_f32 v48, s[2:3], v47, v47, 1.0
	v_rcp_f32_e32 v49, v48
	v_div_scale_f32 v50, vcc, 1.0, v47, 1.0
	v_fma_f32 v51, -v48, v49, 1.0
	v_fmac_f32_e32 v49, v51, v49
	v_mul_f32_e32 v51, v50, v49
	v_fma_f32 v52, -v48, v51, v50
	v_fmac_f32_e32 v51, v52, v49
	v_fma_f32 v48, -v48, v51, v50
	v_div_fmas_f32 v48, v48, v49, v51
	v_div_fixup_f32 v47, v48, v47, 1.0
.LBB68_223:
	s_or_b64 exec, exec, s[0:1]
	v_cmp_ne_u32_e32 vcc, v45, v42
	s_and_saveexec_b64 s[0:1], vcc
	s_xor_b64 s[0:1], exec, s[0:1]
	s_cbranch_execz .LBB68_229
; %bb.224:
	v_cmp_eq_u32_e32 vcc, 13, v45
	s_and_saveexec_b64 s[2:3], vcc
	s_cbranch_execz .LBB68_228
; %bb.225:
	v_cmp_ne_u32_e32 vcc, 13, v42
	s_xor_b64 s[18:19], s[16:17], -1
	s_and_b64 s[20:21], s[18:19], vcc
	s_and_saveexec_b64 s[18:19], s[20:21]
	s_cbranch_execz .LBB68_227
; %bb.226:
	v_ashrrev_i32_e32 v43, 31, v42
	v_lshl_add_u64 v[48:49], v[42:43], 2, v[22:23]
	global_load_dword v43, v[48:49], off
	global_load_dword v45, v[22:23], off offset:52
	s_waitcnt vmcnt(1)
	global_store_dword v[22:23], v43, off offset:52
	s_waitcnt vmcnt(1)
	global_store_dword v[48:49], v45, off
.LBB68_227:
	s_or_b64 exec, exec, s[18:19]
	v_mov_b32_e32 v43, v42
	v_mov_b32_e32 v45, v42
.LBB68_228:
	s_or_b64 exec, exec, s[2:3]
.LBB68_229:
	s_andn2_saveexec_b64 s[0:1], s[0:1]
	s_cbranch_execz .LBB68_231
; %bb.230:
	s_waitcnt vmcnt(18)
	v_pk_mov_b32 v[48:49], v[12:13], v[8:9] op_sel:[1,0]
	ds_write2_b32 v21, v48, v49 offset0:14 offset1:15
	s_waitcnt vmcnt(16)
	v_pk_mov_b32 v[48:49], v[8:9], v[34:35] op_sel:[1,0]
	ds_write2_b32 v21, v48, v49 offset0:16 offset1:17
	;; [unrolled: 3-line block ×9, first 2 shown]
	s_waitcnt vmcnt(0)
	v_pk_mov_b32 v[48:49], v[26:27], v[38:39] op_sel:[1,0]
	v_mov_b32_e32 v45, 13
	ds_write2_b32 v21, v48, v49 offset0:32 offset1:33
	ds_write_b32 v21, v39 offset:136
.LBB68_231:
	s_or_b64 exec, exec, s[0:1]
	v_cmp_lt_i32_e32 vcc, 13, v45
	s_waitcnt lgkmcnt(0)
	s_barrier
	s_and_saveexec_b64 s[0:1], vcc
	s_cbranch_execz .LBB68_233
; %bb.232:
	ds_read_b32 v42, v21 offset:56
	ds_read2_b32 v[48:49], v21 offset0:15 offset1:16
	ds_read2_b32 v[50:51], v21 offset0:17 offset1:18
	v_mul_f32_e32 v12, v47, v12
	ds_read2_b32 v[52:53], v21 offset0:19 offset1:20
	s_waitcnt vmcnt(20) lgkmcnt(3)
	v_fma_f32 v13, -v12, v42, v13
	s_waitcnt vmcnt(18) lgkmcnt(2)
	v_pk_fma_f32 v[8:9], v[12:13], v[48:49], v[8:9] op_sel_hi:[0,1,1] neg_lo:[1,0,0] neg_hi:[1,0,0]
	s_waitcnt vmcnt(16) lgkmcnt(1)
	v_pk_fma_f32 v[34:35], v[12:13], v[50:51], v[34:35] op_sel_hi:[0,1,1] neg_lo:[1,0,0] neg_hi:[1,0,0]
	ds_read2_b32 v[48:49], v21 offset0:21 offset1:22
	ds_read2_b32 v[50:51], v21 offset0:23 offset1:24
	s_waitcnt vmcnt(14) lgkmcnt(2)
	v_pk_fma_f32 v[30:31], v[12:13], v[52:53], v[30:31] op_sel_hi:[0,1,1] neg_lo:[1,0,0] neg_hi:[1,0,0]
	ds_read2_b32 v[52:53], v21 offset0:25 offset1:26
	ds_read2_b32 v[54:55], v21 offset0:27 offset1:28
	s_waitcnt vmcnt(12) lgkmcnt(3)
	v_pk_fma_f32 v[24:25], v[12:13], v[48:49], v[24:25] op_sel_hi:[0,1,1] neg_lo:[1,0,0] neg_hi:[1,0,0]
	s_waitcnt vmcnt(10) lgkmcnt(2)
	v_pk_fma_f32 v[16:17], v[12:13], v[50:51], v[16:17] op_sel_hi:[0,1,1] neg_lo:[1,0,0] neg_hi:[1,0,0]
	ds_read2_b32 v[48:49], v21 offset0:29 offset1:30
	ds_read2_b32 v[50:51], v21 offset0:31 offset1:32
	;; [unrolled: 1-line block ×3, first 2 shown]
	s_waitcnt vmcnt(8) lgkmcnt(4)
	v_pk_fma_f32 v[40:41], v[12:13], v[52:53], v[40:41] op_sel_hi:[0,1,1] neg_lo:[1,0,0] neg_hi:[1,0,0]
	s_waitcnt vmcnt(6) lgkmcnt(3)
	v_pk_fma_f32 v[36:37], v[12:13], v[54:55], v[36:37] op_sel_hi:[0,1,1] neg_lo:[1,0,0] neg_hi:[1,0,0]
	;; [unrolled: 2-line block ×5, first 2 shown]
.LBB68_233:
	s_or_b64 exec, exec, s[0:1]
	v_lshl_add_u32 v42, v45, 2, v21
	s_barrier
	s_waitcnt vmcnt(20)
	ds_write_b32 v42, v13
	s_waitcnt lgkmcnt(0)
	s_barrier
	ds_read_b32 v47, v21 offset:56
	s_cmp_lt_i32 s22, 16
	v_mov_b32_e32 v42, 14
	s_cbranch_scc1 .LBB68_236
; %bb.234:
	v_add3_u32 v48, v44, 0, 60
	v_mov_b32_e32 v42, 14
	s_mov_b32 s0, 15
.LBB68_235:                             ; =>This Inner Loop Header: Depth=1
	ds_read_b32 v49, v48
	v_mov_b32_e32 v50, s0
	s_add_i32 s0, s0, 1
	v_add_u32_e32 v48, 4, v48
	s_cmp_lg_u32 s22, s0
	s_waitcnt lgkmcnt(0)
	v_cmp_lt_f32_e64 vcc, |v47|, |v49|
	s_nop 1
	v_cndmask_b32_e32 v47, v47, v49, vcc
	v_cndmask_b32_e32 v42, v42, v50, vcc
	s_cbranch_scc1 .LBB68_235
.LBB68_236:
	s_waitcnt lgkmcnt(0)
	v_cmp_eq_f32_e32 vcc, 0, v47
	s_and_saveexec_b64 s[0:1], vcc
	s_xor_b64 s[0:1], exec, s[0:1]
; %bb.237:
	v_cmp_ne_u32_e32 vcc, 0, v46
	s_nop 1
	v_cndmask_b32_e32 v46, 15, v46, vcc
; %bb.238:
	s_andn2_saveexec_b64 s[0:1], s[0:1]
	s_cbranch_execz .LBB68_240
; %bb.239:
	v_div_scale_f32 v48, s[2:3], v47, v47, 1.0
	v_rcp_f32_e32 v49, v48
	v_div_scale_f32 v50, vcc, 1.0, v47, 1.0
	v_fma_f32 v51, -v48, v49, 1.0
	v_fmac_f32_e32 v49, v51, v49
	v_mul_f32_e32 v51, v50, v49
	v_fma_f32 v52, -v48, v51, v50
	v_fmac_f32_e32 v51, v52, v49
	v_fma_f32 v48, -v48, v51, v50
	v_div_fmas_f32 v48, v48, v49, v51
	v_div_fixup_f32 v47, v48, v47, 1.0
.LBB68_240:
	s_or_b64 exec, exec, s[0:1]
	v_cmp_ne_u32_e32 vcc, v45, v42
	s_and_saveexec_b64 s[0:1], vcc
	s_xor_b64 s[0:1], exec, s[0:1]
	s_cbranch_execz .LBB68_246
; %bb.241:
	v_cmp_eq_u32_e32 vcc, 14, v45
	s_and_saveexec_b64 s[2:3], vcc
	s_cbranch_execz .LBB68_245
; %bb.242:
	v_cmp_ne_u32_e32 vcc, 14, v42
	s_xor_b64 s[18:19], s[16:17], -1
	s_and_b64 s[20:21], s[18:19], vcc
	s_and_saveexec_b64 s[18:19], s[20:21]
	s_cbranch_execz .LBB68_244
; %bb.243:
	v_ashrrev_i32_e32 v43, 31, v42
	v_lshl_add_u64 v[48:49], v[42:43], 2, v[22:23]
	global_load_dword v43, v[48:49], off
	global_load_dword v45, v[22:23], off offset:56
	s_waitcnt vmcnt(1)
	global_store_dword v[22:23], v43, off offset:56
	s_waitcnt vmcnt(1)
	global_store_dword v[48:49], v45, off
.LBB68_244:
	s_or_b64 exec, exec, s[18:19]
	v_mov_b32_e32 v43, v42
	v_mov_b32_e32 v45, v42
.LBB68_245:
	s_or_b64 exec, exec, s[2:3]
.LBB68_246:
	s_andn2_saveexec_b64 s[0:1], s[0:1]
	s_cbranch_execz .LBB68_248
; %bb.247:
	v_mov_b32_e32 v45, 14
	s_waitcnt vmcnt(18)
	ds_write2_b32 v21, v8, v9 offset0:15 offset1:16
	s_waitcnt vmcnt(16)
	ds_write2_b32 v21, v34, v35 offset0:17 offset1:18
	;; [unrolled: 2-line block ×10, first 2 shown]
.LBB68_248:
	s_or_b64 exec, exec, s[0:1]
	v_cmp_lt_i32_e32 vcc, 14, v45
	s_waitcnt lgkmcnt(0)
	s_barrier
	s_and_saveexec_b64 s[0:1], vcc
	s_cbranch_execz .LBB68_250
; %bb.249:
	ds_read2_b32 v[48:49], v21 offset0:15 offset1:16
	ds_read2_b32 v[50:51], v21 offset0:17 offset1:18
	;; [unrolled: 1-line block ×3, first 2 shown]
	v_mul_f32_e32 v42, v47, v13
	ds_read2_b32 v[54:55], v21 offset0:21 offset1:22
	s_waitcnt vmcnt(18) lgkmcnt(3)
	v_pk_fma_f32 v[8:9], v[42:43], v[48:49], v[8:9] op_sel_hi:[0,1,1] neg_lo:[1,0,0] neg_hi:[1,0,0]
	ds_read2_b32 v[48:49], v21 offset0:23 offset1:24
	s_waitcnt vmcnt(16) lgkmcnt(3)
	v_pk_fma_f32 v[34:35], v[42:43], v[50:51], v[34:35] op_sel_hi:[0,1,1] neg_lo:[1,0,0] neg_hi:[1,0,0]
	s_waitcnt vmcnt(14) lgkmcnt(2)
	v_pk_fma_f32 v[30:31], v[42:43], v[52:53], v[30:31] op_sel_hi:[0,1,1] neg_lo:[1,0,0] neg_hi:[1,0,0]
	;; [unrolled: 2-line block ×3, first 2 shown]
	ds_read2_b32 v[50:51], v21 offset0:25 offset1:26
	ds_read2_b32 v[52:53], v21 offset0:27 offset1:28
	;; [unrolled: 1-line block ×3, first 2 shown]
	s_waitcnt vmcnt(10) lgkmcnt(3)
	v_pk_fma_f32 v[16:17], v[42:43], v[48:49], v[16:17] op_sel_hi:[0,1,1] neg_lo:[1,0,0] neg_hi:[1,0,0]
	ds_read2_b32 v[48:49], v21 offset0:31 offset1:32
	ds_read2_b32 v[56:57], v21 offset0:33 offset1:34
	s_waitcnt vmcnt(8) lgkmcnt(4)
	v_pk_fma_f32 v[40:41], v[42:43], v[50:51], v[40:41] op_sel_hi:[0,1,1] neg_lo:[1,0,0] neg_hi:[1,0,0]
	s_waitcnt vmcnt(6) lgkmcnt(3)
	v_pk_fma_f32 v[36:37], v[42:43], v[52:53], v[36:37] op_sel_hi:[0,1,1] neg_lo:[1,0,0] neg_hi:[1,0,0]
	;; [unrolled: 2-line block ×5, first 2 shown]
	v_mov_b32_e32 v13, v42
.LBB68_250:
	s_or_b64 exec, exec, s[0:1]
	v_lshl_add_u32 v42, v45, 2, v21
	s_barrier
	s_waitcnt vmcnt(19)
	ds_write_b32 v42, v8
	s_waitcnt lgkmcnt(0)
	s_barrier
	ds_read_b32 v47, v21 offset:60
	s_cmp_lt_i32 s22, 17
	v_mov_b32_e32 v42, 15
	s_cbranch_scc1 .LBB68_253
; %bb.251:
	v_add3_u32 v44, v44, 0, 64
	v_mov_b32_e32 v42, 15
	s_mov_b32 s0, 16
.LBB68_252:                             ; =>This Inner Loop Header: Depth=1
	ds_read_b32 v48, v44
	v_mov_b32_e32 v49, s0
	s_add_i32 s0, s0, 1
	v_add_u32_e32 v44, 4, v44
	s_cmp_lg_u32 s22, s0
	s_waitcnt lgkmcnt(0)
	v_cmp_lt_f32_e64 vcc, |v47|, |v48|
	s_nop 1
	v_cndmask_b32_e32 v47, v47, v48, vcc
	v_cndmask_b32_e32 v42, v42, v49, vcc
	s_cbranch_scc1 .LBB68_252
.LBB68_253:
	s_waitcnt lgkmcnt(0)
	v_cmp_eq_f32_e32 vcc, 0, v47
	s_and_saveexec_b64 s[0:1], vcc
	s_xor_b64 s[0:1], exec, s[0:1]
; %bb.254:
	v_cmp_ne_u32_e32 vcc, 0, v46
	s_nop 1
	v_cndmask_b32_e32 v46, 16, v46, vcc
; %bb.255:
	s_andn2_saveexec_b64 s[0:1], s[0:1]
	s_cbranch_execz .LBB68_257
; %bb.256:
	v_div_scale_f32 v44, s[2:3], v47, v47, 1.0
	v_rcp_f32_e32 v48, v44
	v_div_scale_f32 v49, vcc, 1.0, v47, 1.0
	v_fma_f32 v50, -v44, v48, 1.0
	v_fmac_f32_e32 v48, v50, v48
	v_mul_f32_e32 v50, v49, v48
	v_fma_f32 v51, -v44, v50, v49
	v_fmac_f32_e32 v50, v51, v48
	v_fma_f32 v44, -v44, v50, v49
	v_div_fmas_f32 v44, v44, v48, v50
	v_div_fixup_f32 v47, v44, v47, 1.0
.LBB68_257:
	s_or_b64 exec, exec, s[0:1]
	v_cmp_ne_u32_e32 vcc, v45, v42
	s_and_saveexec_b64 s[0:1], vcc
	s_xor_b64 s[0:1], exec, s[0:1]
	s_cbranch_execz .LBB68_263
; %bb.258:
	v_cmp_eq_u32_e32 vcc, 15, v45
	s_and_saveexec_b64 s[2:3], vcc
	s_cbranch_execz .LBB68_262
; %bb.259:
	v_cmp_ne_u32_e32 vcc, 15, v42
	s_xor_b64 s[18:19], s[16:17], -1
	s_and_b64 s[20:21], s[18:19], vcc
	s_and_saveexec_b64 s[18:19], s[20:21]
	s_cbranch_execz .LBB68_261
; %bb.260:
	v_ashrrev_i32_e32 v43, 31, v42
	v_lshl_add_u64 v[44:45], v[42:43], 2, v[22:23]
	global_load_dword v43, v[44:45], off
	global_load_dword v48, v[22:23], off offset:60
	s_waitcnt vmcnt(1)
	global_store_dword v[22:23], v43, off offset:60
	s_waitcnt vmcnt(1)
	global_store_dword v[44:45], v48, off
.LBB68_261:
	s_or_b64 exec, exec, s[18:19]
	v_mov_b32_e32 v43, v42
	v_mov_b32_e32 v45, v42
.LBB68_262:
	s_or_b64 exec, exec, s[2:3]
.LBB68_263:
	s_andn2_saveexec_b64 s[0:1], s[0:1]
	s_cbranch_execz .LBB68_265
; %bb.264:
	s_waitcnt vmcnt(16)
	v_pk_mov_b32 v[44:45], v[8:9], v[34:35] op_sel:[1,0]
	ds_write2_b32 v21, v44, v45 offset0:16 offset1:17
	s_waitcnt vmcnt(14)
	v_pk_mov_b32 v[44:45], v[34:35], v[30:31] op_sel:[1,0]
	ds_write2_b32 v21, v44, v45 offset0:18 offset1:19
	;; [unrolled: 3-line block ×9, first 2 shown]
	ds_write_b32 v21, v39 offset:136
	v_mov_b32_e32 v45, 15
.LBB68_265:
	s_or_b64 exec, exec, s[0:1]
	v_cmp_lt_i32_e32 vcc, 15, v45
	s_waitcnt lgkmcnt(0)
	s_barrier
	s_and_saveexec_b64 s[0:1], vcc
	s_cbranch_execz .LBB68_267
; %bb.266:
	ds_read_b32 v42, v21 offset:64
	ds_read2_b32 v[48:49], v21 offset0:17 offset1:18
	ds_read2_b32 v[50:51], v21 offset0:19 offset1:20
	v_mul_f32_e32 v8, v47, v8
	ds_read2_b32 v[52:53], v21 offset0:21 offset1:22
	s_waitcnt vmcnt(18) lgkmcnt(3)
	v_fma_f32 v9, -v8, v42, v9
	s_waitcnt vmcnt(16) lgkmcnt(2)
	v_pk_fma_f32 v[34:35], v[8:9], v[48:49], v[34:35] op_sel_hi:[0,1,1] neg_lo:[1,0,0] neg_hi:[1,0,0]
	ds_read2_b32 v[48:49], v21 offset0:23 offset1:24
	s_waitcnt vmcnt(14) lgkmcnt(2)
	v_pk_fma_f32 v[30:31], v[8:9], v[50:51], v[30:31] op_sel_hi:[0,1,1] neg_lo:[1,0,0] neg_hi:[1,0,0]
	s_waitcnt vmcnt(12) lgkmcnt(1)
	v_pk_fma_f32 v[24:25], v[8:9], v[52:53], v[24:25] op_sel_hi:[0,1,1] neg_lo:[1,0,0] neg_hi:[1,0,0]
	ds_read2_b32 v[50:51], v21 offset0:25 offset1:26
	ds_read2_b32 v[52:53], v21 offset0:27 offset1:28
	;; [unrolled: 1-line block ×3, first 2 shown]
	s_waitcnt vmcnt(10) lgkmcnt(3)
	v_pk_fma_f32 v[16:17], v[8:9], v[48:49], v[16:17] op_sel_hi:[0,1,1] neg_lo:[1,0,0] neg_hi:[1,0,0]
	ds_read2_b32 v[48:49], v21 offset0:31 offset1:32
	ds_read2_b32 v[56:57], v21 offset0:33 offset1:34
	s_waitcnt vmcnt(8) lgkmcnt(4)
	v_pk_fma_f32 v[40:41], v[8:9], v[50:51], v[40:41] op_sel_hi:[0,1,1] neg_lo:[1,0,0] neg_hi:[1,0,0]
	s_waitcnt vmcnt(6) lgkmcnt(3)
	v_pk_fma_f32 v[36:37], v[8:9], v[52:53], v[36:37] op_sel_hi:[0,1,1] neg_lo:[1,0,0] neg_hi:[1,0,0]
	;; [unrolled: 2-line block ×5, first 2 shown]
.LBB68_267:
	s_or_b64 exec, exec, s[0:1]
	v_lshl_add_u32 v42, v45, 2, v21
	s_barrier
	s_waitcnt vmcnt(18)
	ds_write_b32 v42, v9
	s_waitcnt lgkmcnt(0)
	s_barrier
	ds_read_b32 v44, v21 offset:64
	s_cmp_lt_i32 s22, 18
	v_mov_b32_e32 v42, 16
	s_cbranch_scc1 .LBB68_270
; %bb.268:
	v_add_u32_e32 v47, 0x44, v21
	v_mov_b32_e32 v42, 16
	s_mov_b32 s0, 17
.LBB68_269:                             ; =>This Inner Loop Header: Depth=1
	ds_read_b32 v48, v47
	v_mov_b32_e32 v49, s0
	s_add_i32 s0, s0, 1
	v_add_u32_e32 v47, 4, v47
	s_cmp_lg_u32 s22, s0
	s_waitcnt lgkmcnt(0)
	v_cmp_lt_f32_e64 vcc, |v44|, |v48|
	s_nop 1
	v_cndmask_b32_e32 v44, v44, v48, vcc
	v_cndmask_b32_e32 v42, v42, v49, vcc
	s_cbranch_scc1 .LBB68_269
.LBB68_270:
	s_waitcnt lgkmcnt(0)
	v_cmp_eq_f32_e32 vcc, 0, v44
	s_and_saveexec_b64 s[0:1], vcc
	s_xor_b64 s[0:1], exec, s[0:1]
; %bb.271:
	v_cmp_ne_u32_e32 vcc, 0, v46
	s_nop 1
	v_cndmask_b32_e32 v46, 17, v46, vcc
; %bb.272:
	s_andn2_saveexec_b64 s[0:1], s[0:1]
	s_cbranch_execz .LBB68_274
; %bb.273:
	v_div_scale_f32 v47, s[2:3], v44, v44, 1.0
	v_rcp_f32_e32 v48, v47
	v_div_scale_f32 v49, vcc, 1.0, v44, 1.0
	v_fma_f32 v50, -v47, v48, 1.0
	v_fmac_f32_e32 v48, v50, v48
	v_mul_f32_e32 v50, v49, v48
	v_fma_f32 v51, -v47, v50, v49
	v_fmac_f32_e32 v50, v51, v48
	v_fma_f32 v47, -v47, v50, v49
	v_div_fmas_f32 v47, v47, v48, v50
	v_div_fixup_f32 v44, v47, v44, 1.0
.LBB68_274:
	s_or_b64 exec, exec, s[0:1]
	v_cmp_ne_u32_e32 vcc, v45, v42
	s_and_saveexec_b64 s[0:1], vcc
	s_xor_b64 s[0:1], exec, s[0:1]
	s_cbranch_execz .LBB68_280
; %bb.275:
	v_cmp_eq_u32_e32 vcc, 16, v45
	s_and_saveexec_b64 s[2:3], vcc
	s_cbranch_execz .LBB68_279
; %bb.276:
	v_cmp_ne_u32_e32 vcc, 16, v42
	s_xor_b64 s[18:19], s[16:17], -1
	s_and_b64 s[20:21], s[18:19], vcc
	s_and_saveexec_b64 s[18:19], s[20:21]
	s_cbranch_execz .LBB68_278
; %bb.277:
	v_ashrrev_i32_e32 v43, 31, v42
	v_lshl_add_u64 v[48:49], v[42:43], 2, v[22:23]
	global_load_dword v43, v[48:49], off
	global_load_dword v45, v[22:23], off offset:64
	s_waitcnt vmcnt(1)
	global_store_dword v[22:23], v43, off offset:64
	s_waitcnt vmcnt(1)
	global_store_dword v[48:49], v45, off
.LBB68_278:
	s_or_b64 exec, exec, s[18:19]
	v_mov_b32_e32 v43, v42
	v_mov_b32_e32 v45, v42
.LBB68_279:
	s_or_b64 exec, exec, s[2:3]
.LBB68_280:
	s_andn2_saveexec_b64 s[0:1], s[0:1]
	s_cbranch_execz .LBB68_282
; %bb.281:
	v_mov_b32_e32 v45, 16
	s_waitcnt vmcnt(16)
	ds_write2_b32 v21, v34, v35 offset0:17 offset1:18
	s_waitcnt vmcnt(14)
	ds_write2_b32 v21, v30, v31 offset0:19 offset1:20
	;; [unrolled: 2-line block ×9, first 2 shown]
.LBB68_282:
	s_or_b64 exec, exec, s[0:1]
	v_cmp_lt_i32_e32 vcc, 16, v45
	s_waitcnt lgkmcnt(0)
	s_barrier
	s_and_saveexec_b64 s[0:1], vcc
	s_cbranch_execz .LBB68_284
; %bb.283:
	ds_read2_b32 v[48:49], v21 offset0:17 offset1:18
	ds_read2_b32 v[50:51], v21 offset0:19 offset1:20
	;; [unrolled: 1-line block ×4, first 2 shown]
	v_mul_f32_e32 v42, v44, v9
	s_waitcnt vmcnt(16) lgkmcnt(3)
	v_pk_fma_f32 v[34:35], v[42:43], v[48:49], v[34:35] op_sel_hi:[0,1,1] neg_lo:[1,0,0] neg_hi:[1,0,0]
	s_waitcnt vmcnt(14) lgkmcnt(2)
	v_pk_fma_f32 v[30:31], v[42:43], v[50:51], v[30:31] op_sel_hi:[0,1,1] neg_lo:[1,0,0] neg_hi:[1,0,0]
	;; [unrolled: 2-line block ×4, first 2 shown]
	ds_read2_b32 v[48:49], v21 offset0:25 offset1:26
	ds_read2_b32 v[50:51], v21 offset0:27 offset1:28
	;; [unrolled: 1-line block ×5, first 2 shown]
	s_waitcnt vmcnt(8) lgkmcnt(4)
	v_pk_fma_f32 v[40:41], v[42:43], v[48:49], v[40:41] op_sel_hi:[0,1,1] neg_lo:[1,0,0] neg_hi:[1,0,0]
	s_waitcnt vmcnt(6) lgkmcnt(3)
	v_pk_fma_f32 v[36:37], v[42:43], v[50:51], v[36:37] op_sel_hi:[0,1,1] neg_lo:[1,0,0] neg_hi:[1,0,0]
	;; [unrolled: 2-line block ×5, first 2 shown]
	v_mov_b32_e32 v9, v42
.LBB68_284:
	s_or_b64 exec, exec, s[0:1]
	v_lshl_add_u32 v42, v45, 2, v21
	s_barrier
	s_waitcnt vmcnt(17)
	ds_write_b32 v42, v34
	s_waitcnt lgkmcnt(0)
	s_barrier
	ds_read_b32 v44, v21 offset:68
	s_cmp_lt_i32 s22, 19
	v_mov_b32_e32 v42, 17
	s_cbranch_scc1 .LBB68_287
; %bb.285:
	v_add_u32_e32 v47, 0x48, v21
	v_mov_b32_e32 v42, 17
	s_mov_b32 s0, 18
.LBB68_286:                             ; =>This Inner Loop Header: Depth=1
	ds_read_b32 v48, v47
	v_mov_b32_e32 v49, s0
	s_add_i32 s0, s0, 1
	v_add_u32_e32 v47, 4, v47
	s_cmp_lg_u32 s22, s0
	s_waitcnt lgkmcnt(0)
	v_cmp_lt_f32_e64 vcc, |v44|, |v48|
	s_nop 1
	v_cndmask_b32_e32 v44, v44, v48, vcc
	v_cndmask_b32_e32 v42, v42, v49, vcc
	s_cbranch_scc1 .LBB68_286
.LBB68_287:
	s_waitcnt lgkmcnt(0)
	v_cmp_eq_f32_e32 vcc, 0, v44
	s_and_saveexec_b64 s[0:1], vcc
	s_xor_b64 s[0:1], exec, s[0:1]
; %bb.288:
	v_cmp_ne_u32_e32 vcc, 0, v46
	s_nop 1
	v_cndmask_b32_e32 v46, 18, v46, vcc
; %bb.289:
	s_andn2_saveexec_b64 s[0:1], s[0:1]
	s_cbranch_execz .LBB68_291
; %bb.290:
	v_div_scale_f32 v47, s[2:3], v44, v44, 1.0
	v_rcp_f32_e32 v48, v47
	v_div_scale_f32 v49, vcc, 1.0, v44, 1.0
	v_fma_f32 v50, -v47, v48, 1.0
	v_fmac_f32_e32 v48, v50, v48
	v_mul_f32_e32 v50, v49, v48
	v_fma_f32 v51, -v47, v50, v49
	v_fmac_f32_e32 v50, v51, v48
	v_fma_f32 v47, -v47, v50, v49
	v_div_fmas_f32 v47, v47, v48, v50
	v_div_fixup_f32 v44, v47, v44, 1.0
.LBB68_291:
	s_or_b64 exec, exec, s[0:1]
	v_cmp_ne_u32_e32 vcc, v45, v42
	s_and_saveexec_b64 s[0:1], vcc
	s_xor_b64 s[0:1], exec, s[0:1]
	s_cbranch_execz .LBB68_297
; %bb.292:
	v_cmp_eq_u32_e32 vcc, 17, v45
	s_and_saveexec_b64 s[2:3], vcc
	s_cbranch_execz .LBB68_296
; %bb.293:
	v_cmp_ne_u32_e32 vcc, 17, v42
	s_xor_b64 s[18:19], s[16:17], -1
	s_and_b64 s[20:21], s[18:19], vcc
	s_and_saveexec_b64 s[18:19], s[20:21]
	s_cbranch_execz .LBB68_295
; %bb.294:
	v_ashrrev_i32_e32 v43, 31, v42
	v_lshl_add_u64 v[48:49], v[42:43], 2, v[22:23]
	global_load_dword v43, v[48:49], off
	global_load_dword v45, v[22:23], off offset:68
	s_waitcnt vmcnt(1)
	global_store_dword v[22:23], v43, off offset:68
	s_waitcnt vmcnt(1)
	global_store_dword v[48:49], v45, off
.LBB68_295:
	s_or_b64 exec, exec, s[18:19]
	v_mov_b32_e32 v43, v42
	v_mov_b32_e32 v45, v42
.LBB68_296:
	s_or_b64 exec, exec, s[2:3]
.LBB68_297:
	s_andn2_saveexec_b64 s[0:1], s[0:1]
	s_cbranch_execz .LBB68_299
; %bb.298:
	s_waitcnt vmcnt(14)
	v_pk_mov_b32 v[48:49], v[34:35], v[30:31] op_sel:[1,0]
	ds_write2_b32 v21, v48, v49 offset0:18 offset1:19
	s_waitcnt vmcnt(12)
	v_pk_mov_b32 v[48:49], v[30:31], v[24:25] op_sel:[1,0]
	ds_write2_b32 v21, v48, v49 offset0:20 offset1:21
	;; [unrolled: 3-line block ×7, first 2 shown]
	s_waitcnt vmcnt(0)
	v_pk_mov_b32 v[48:49], v[26:27], v[38:39] op_sel:[1,0]
	v_mov_b32_e32 v45, 17
	ds_write2_b32 v21, v48, v49 offset0:32 offset1:33
	ds_write_b32 v21, v39 offset:136
.LBB68_299:
	s_or_b64 exec, exec, s[0:1]
	v_cmp_lt_i32_e32 vcc, 17, v45
	s_waitcnt lgkmcnt(0)
	s_barrier
	s_and_saveexec_b64 s[0:1], vcc
	s_cbranch_execz .LBB68_301
; %bb.300:
	ds_read_b32 v42, v21 offset:72
	ds_read2_b32 v[48:49], v21 offset0:19 offset1:20
	ds_read2_b32 v[50:51], v21 offset0:21 offset1:22
	;; [unrolled: 1-line block ×3, first 2 shown]
	v_mul_f32_e32 v34, v44, v34
	s_waitcnt vmcnt(16) lgkmcnt(3)
	v_fma_f32 v35, -v34, v42, v35
	s_waitcnt vmcnt(14) lgkmcnt(2)
	v_pk_fma_f32 v[30:31], v[34:35], v[48:49], v[30:31] op_sel_hi:[0,1,1] neg_lo:[1,0,0] neg_hi:[1,0,0]
	s_waitcnt vmcnt(12) lgkmcnt(1)
	v_pk_fma_f32 v[24:25], v[34:35], v[50:51], v[24:25] op_sel_hi:[0,1,1] neg_lo:[1,0,0] neg_hi:[1,0,0]
	;; [unrolled: 2-line block ×3, first 2 shown]
	ds_read2_b32 v[48:49], v21 offset0:25 offset1:26
	ds_read2_b32 v[50:51], v21 offset0:27 offset1:28
	;; [unrolled: 1-line block ×5, first 2 shown]
	s_waitcnt vmcnt(8) lgkmcnt(4)
	v_pk_fma_f32 v[40:41], v[34:35], v[48:49], v[40:41] op_sel_hi:[0,1,1] neg_lo:[1,0,0] neg_hi:[1,0,0]
	s_waitcnt vmcnt(6) lgkmcnt(3)
	v_pk_fma_f32 v[36:37], v[34:35], v[50:51], v[36:37] op_sel_hi:[0,1,1] neg_lo:[1,0,0] neg_hi:[1,0,0]
	;; [unrolled: 2-line block ×5, first 2 shown]
.LBB68_301:
	s_or_b64 exec, exec, s[0:1]
	v_lshl_add_u32 v42, v45, 2, v21
	s_barrier
	s_waitcnt vmcnt(16)
	ds_write_b32 v42, v35
	s_waitcnt lgkmcnt(0)
	s_barrier
	ds_read_b32 v44, v21 offset:72
	s_cmp_lt_i32 s22, 20
	v_mov_b32_e32 v42, 18
	s_cbranch_scc1 .LBB68_304
; %bb.302:
	v_add_u32_e32 v47, 0x4c, v21
	v_mov_b32_e32 v42, 18
	s_mov_b32 s0, 19
.LBB68_303:                             ; =>This Inner Loop Header: Depth=1
	ds_read_b32 v48, v47
	v_mov_b32_e32 v49, s0
	s_add_i32 s0, s0, 1
	v_add_u32_e32 v47, 4, v47
	s_cmp_lg_u32 s22, s0
	s_waitcnt lgkmcnt(0)
	v_cmp_lt_f32_e64 vcc, |v44|, |v48|
	s_nop 1
	v_cndmask_b32_e32 v44, v44, v48, vcc
	v_cndmask_b32_e32 v42, v42, v49, vcc
	s_cbranch_scc1 .LBB68_303
.LBB68_304:
	s_waitcnt lgkmcnt(0)
	v_cmp_eq_f32_e32 vcc, 0, v44
	s_and_saveexec_b64 s[0:1], vcc
	s_xor_b64 s[0:1], exec, s[0:1]
; %bb.305:
	v_cmp_ne_u32_e32 vcc, 0, v46
	s_nop 1
	v_cndmask_b32_e32 v46, 19, v46, vcc
; %bb.306:
	s_andn2_saveexec_b64 s[0:1], s[0:1]
	s_cbranch_execz .LBB68_308
; %bb.307:
	v_div_scale_f32 v47, s[2:3], v44, v44, 1.0
	v_rcp_f32_e32 v48, v47
	v_div_scale_f32 v49, vcc, 1.0, v44, 1.0
	v_fma_f32 v50, -v47, v48, 1.0
	v_fmac_f32_e32 v48, v50, v48
	v_mul_f32_e32 v50, v49, v48
	v_fma_f32 v51, -v47, v50, v49
	v_fmac_f32_e32 v50, v51, v48
	v_fma_f32 v47, -v47, v50, v49
	v_div_fmas_f32 v47, v47, v48, v50
	v_div_fixup_f32 v44, v47, v44, 1.0
.LBB68_308:
	s_or_b64 exec, exec, s[0:1]
	v_cmp_ne_u32_e32 vcc, v45, v42
	s_and_saveexec_b64 s[0:1], vcc
	s_xor_b64 s[0:1], exec, s[0:1]
	s_cbranch_execz .LBB68_314
; %bb.309:
	v_cmp_eq_u32_e32 vcc, 18, v45
	s_and_saveexec_b64 s[2:3], vcc
	s_cbranch_execz .LBB68_313
; %bb.310:
	v_cmp_ne_u32_e32 vcc, 18, v42
	s_xor_b64 s[18:19], s[16:17], -1
	s_and_b64 s[20:21], s[18:19], vcc
	s_and_saveexec_b64 s[18:19], s[20:21]
	s_cbranch_execz .LBB68_312
; %bb.311:
	v_ashrrev_i32_e32 v43, 31, v42
	v_lshl_add_u64 v[48:49], v[42:43], 2, v[22:23]
	global_load_dword v43, v[48:49], off
	global_load_dword v45, v[22:23], off offset:72
	s_waitcnt vmcnt(1)
	global_store_dword v[22:23], v43, off offset:72
	s_waitcnt vmcnt(1)
	global_store_dword v[48:49], v45, off
.LBB68_312:
	s_or_b64 exec, exec, s[18:19]
	v_mov_b32_e32 v43, v42
	v_mov_b32_e32 v45, v42
.LBB68_313:
	s_or_b64 exec, exec, s[2:3]
.LBB68_314:
	s_andn2_saveexec_b64 s[0:1], s[0:1]
	s_cbranch_execz .LBB68_316
; %bb.315:
	v_mov_b32_e32 v45, 18
	s_waitcnt vmcnt(14)
	ds_write2_b32 v21, v30, v31 offset0:19 offset1:20
	s_waitcnt vmcnt(12)
	ds_write2_b32 v21, v24, v25 offset0:21 offset1:22
	;; [unrolled: 2-line block ×8, first 2 shown]
.LBB68_316:
	s_or_b64 exec, exec, s[0:1]
	v_cmp_lt_i32_e32 vcc, 18, v45
	s_waitcnt lgkmcnt(0)
	s_barrier
	s_and_saveexec_b64 s[0:1], vcc
	s_cbranch_execz .LBB68_318
; %bb.317:
	ds_read2_b32 v[48:49], v21 offset0:19 offset1:20
	ds_read2_b32 v[50:51], v21 offset0:21 offset1:22
	;; [unrolled: 1-line block ×3, first 2 shown]
	v_mul_f32_e32 v42, v44, v35
	ds_read2_b32 v[54:55], v21 offset0:25 offset1:26
	s_waitcnt vmcnt(14) lgkmcnt(3)
	v_pk_fma_f32 v[30:31], v[42:43], v[48:49], v[30:31] op_sel_hi:[0,1,1] neg_lo:[1,0,0] neg_hi:[1,0,0]
	s_waitcnt vmcnt(12) lgkmcnt(2)
	v_pk_fma_f32 v[24:25], v[42:43], v[50:51], v[24:25] op_sel_hi:[0,1,1] neg_lo:[1,0,0] neg_hi:[1,0,0]
	;; [unrolled: 2-line block ×3, first 2 shown]
	ds_read2_b32 v[48:49], v21 offset0:27 offset1:28
	ds_read2_b32 v[50:51], v21 offset0:29 offset1:30
	;; [unrolled: 1-line block ×4, first 2 shown]
	s_waitcnt vmcnt(8) lgkmcnt(4)
	v_pk_fma_f32 v[40:41], v[42:43], v[54:55], v[40:41] op_sel_hi:[0,1,1] neg_lo:[1,0,0] neg_hi:[1,0,0]
	s_waitcnt vmcnt(6) lgkmcnt(3)
	v_pk_fma_f32 v[36:37], v[42:43], v[48:49], v[36:37] op_sel_hi:[0,1,1] neg_lo:[1,0,0] neg_hi:[1,0,0]
	;; [unrolled: 2-line block ×5, first 2 shown]
	v_mov_b32_e32 v35, v42
.LBB68_318:
	s_or_b64 exec, exec, s[0:1]
	v_lshl_add_u32 v42, v45, 2, v21
	s_barrier
	s_waitcnt vmcnt(15)
	ds_write_b32 v42, v30
	s_waitcnt lgkmcnt(0)
	s_barrier
	ds_read_b32 v44, v21 offset:76
	s_cmp_lt_i32 s22, 21
	v_mov_b32_e32 v42, 19
	s_cbranch_scc1 .LBB68_321
; %bb.319:
	v_add_u32_e32 v47, 0x50, v21
	v_mov_b32_e32 v42, 19
	s_mov_b32 s0, 20
.LBB68_320:                             ; =>This Inner Loop Header: Depth=1
	ds_read_b32 v48, v47
	v_mov_b32_e32 v49, s0
	s_add_i32 s0, s0, 1
	v_add_u32_e32 v47, 4, v47
	s_cmp_lg_u32 s22, s0
	s_waitcnt lgkmcnt(0)
	v_cmp_lt_f32_e64 vcc, |v44|, |v48|
	s_nop 1
	v_cndmask_b32_e32 v44, v44, v48, vcc
	v_cndmask_b32_e32 v42, v42, v49, vcc
	s_cbranch_scc1 .LBB68_320
.LBB68_321:
	s_waitcnt lgkmcnt(0)
	v_cmp_eq_f32_e32 vcc, 0, v44
	s_and_saveexec_b64 s[0:1], vcc
	s_xor_b64 s[0:1], exec, s[0:1]
; %bb.322:
	v_cmp_ne_u32_e32 vcc, 0, v46
	s_nop 1
	v_cndmask_b32_e32 v46, 20, v46, vcc
; %bb.323:
	s_andn2_saveexec_b64 s[0:1], s[0:1]
	s_cbranch_execz .LBB68_325
; %bb.324:
	v_div_scale_f32 v47, s[2:3], v44, v44, 1.0
	v_rcp_f32_e32 v48, v47
	v_div_scale_f32 v49, vcc, 1.0, v44, 1.0
	v_fma_f32 v50, -v47, v48, 1.0
	v_fmac_f32_e32 v48, v50, v48
	v_mul_f32_e32 v50, v49, v48
	v_fma_f32 v51, -v47, v50, v49
	v_fmac_f32_e32 v50, v51, v48
	v_fma_f32 v47, -v47, v50, v49
	v_div_fmas_f32 v47, v47, v48, v50
	v_div_fixup_f32 v44, v47, v44, 1.0
.LBB68_325:
	s_or_b64 exec, exec, s[0:1]
	v_cmp_ne_u32_e32 vcc, v45, v42
	s_and_saveexec_b64 s[0:1], vcc
	s_xor_b64 s[0:1], exec, s[0:1]
	s_cbranch_execz .LBB68_331
; %bb.326:
	v_cmp_eq_u32_e32 vcc, 19, v45
	s_and_saveexec_b64 s[2:3], vcc
	s_cbranch_execz .LBB68_330
; %bb.327:
	v_cmp_ne_u32_e32 vcc, 19, v42
	s_xor_b64 s[18:19], s[16:17], -1
	s_and_b64 s[20:21], s[18:19], vcc
	s_and_saveexec_b64 s[18:19], s[20:21]
	s_cbranch_execz .LBB68_329
; %bb.328:
	v_ashrrev_i32_e32 v43, 31, v42
	v_lshl_add_u64 v[48:49], v[42:43], 2, v[22:23]
	global_load_dword v43, v[48:49], off
	global_load_dword v45, v[22:23], off offset:76
	s_waitcnt vmcnt(1)
	global_store_dword v[22:23], v43, off offset:76
	s_waitcnt vmcnt(1)
	global_store_dword v[48:49], v45, off
.LBB68_329:
	s_or_b64 exec, exec, s[18:19]
	v_mov_b32_e32 v43, v42
	v_mov_b32_e32 v45, v42
.LBB68_330:
	s_or_b64 exec, exec, s[2:3]
.LBB68_331:
	s_andn2_saveexec_b64 s[0:1], s[0:1]
	s_cbranch_execz .LBB68_333
; %bb.332:
	s_waitcnt vmcnt(12)
	v_pk_mov_b32 v[48:49], v[30:31], v[24:25] op_sel:[1,0]
	ds_write2_b32 v21, v48, v49 offset0:20 offset1:21
	s_waitcnt vmcnt(10)
	v_pk_mov_b32 v[48:49], v[24:25], v[16:17] op_sel:[1,0]
	ds_write2_b32 v21, v48, v49 offset0:22 offset1:23
	s_waitcnt vmcnt(8)
	v_pk_mov_b32 v[48:49], v[16:17], v[40:41] op_sel:[1,0]
	ds_write2_b32 v21, v48, v49 offset0:24 offset1:25
	s_waitcnt vmcnt(6)
	v_pk_mov_b32 v[48:49], v[40:41], v[36:37] op_sel:[1,0]
	ds_write2_b32 v21, v48, v49 offset0:26 offset1:27
	s_waitcnt vmcnt(4)
	v_pk_mov_b32 v[48:49], v[36:37], v[32:33] op_sel:[1,0]
	ds_write2_b32 v21, v48, v49 offset0:28 offset1:29
	s_waitcnt vmcnt(2)
	v_pk_mov_b32 v[48:49], v[32:33], v[26:27] op_sel:[1,0]
	ds_write2_b32 v21, v48, v49 offset0:30 offset1:31
	s_waitcnt vmcnt(0)
	v_pk_mov_b32 v[48:49], v[26:27], v[38:39] op_sel:[1,0]
	v_mov_b32_e32 v45, 19
	ds_write2_b32 v21, v48, v49 offset0:32 offset1:33
	ds_write_b32 v21, v39 offset:136
.LBB68_333:
	s_or_b64 exec, exec, s[0:1]
	v_cmp_lt_i32_e32 vcc, 19, v45
	s_waitcnt lgkmcnt(0)
	s_barrier
	s_and_saveexec_b64 s[0:1], vcc
	s_cbranch_execz .LBB68_335
; %bb.334:
	ds_read_b32 v42, v21 offset:80
	ds_read2_b32 v[48:49], v21 offset0:21 offset1:22
	ds_read2_b32 v[50:51], v21 offset0:23 offset1:24
	v_mul_f32_e32 v30, v44, v30
	ds_read2_b32 v[52:53], v21 offset0:25 offset1:26
	s_waitcnt vmcnt(14) lgkmcnt(3)
	v_fma_f32 v31, -v30, v42, v31
	s_waitcnt vmcnt(12) lgkmcnt(2)
	v_pk_fma_f32 v[24:25], v[30:31], v[48:49], v[24:25] op_sel_hi:[0,1,1] neg_lo:[1,0,0] neg_hi:[1,0,0]
	s_waitcnt vmcnt(10) lgkmcnt(1)
	v_pk_fma_f32 v[16:17], v[30:31], v[50:51], v[16:17] op_sel_hi:[0,1,1] neg_lo:[1,0,0] neg_hi:[1,0,0]
	ds_read2_b32 v[48:49], v21 offset0:27 offset1:28
	ds_read2_b32 v[50:51], v21 offset0:29 offset1:30
	ds_read2_b32 v[54:55], v21 offset0:31 offset1:32
	ds_read2_b32 v[56:57], v21 offset0:33 offset1:34
	s_waitcnt vmcnt(8) lgkmcnt(4)
	v_pk_fma_f32 v[40:41], v[30:31], v[52:53], v[40:41] op_sel_hi:[0,1,1] neg_lo:[1,0,0] neg_hi:[1,0,0]
	s_waitcnt vmcnt(6) lgkmcnt(3)
	v_pk_fma_f32 v[36:37], v[30:31], v[48:49], v[36:37] op_sel_hi:[0,1,1] neg_lo:[1,0,0] neg_hi:[1,0,0]
	;; [unrolled: 2-line block ×5, first 2 shown]
.LBB68_335:
	s_or_b64 exec, exec, s[0:1]
	v_lshl_add_u32 v42, v45, 2, v21
	s_barrier
	s_waitcnt vmcnt(14)
	ds_write_b32 v42, v31
	s_waitcnt lgkmcnt(0)
	s_barrier
	ds_read_b32 v44, v21 offset:80
	s_cmp_lt_i32 s22, 22
	v_mov_b32_e32 v42, 20
	s_cbranch_scc1 .LBB68_338
; %bb.336:
	v_add_u32_e32 v47, 0x54, v21
	v_mov_b32_e32 v42, 20
	s_mov_b32 s0, 21
.LBB68_337:                             ; =>This Inner Loop Header: Depth=1
	ds_read_b32 v48, v47
	v_mov_b32_e32 v49, s0
	s_add_i32 s0, s0, 1
	v_add_u32_e32 v47, 4, v47
	s_cmp_lg_u32 s22, s0
	s_waitcnt lgkmcnt(0)
	v_cmp_lt_f32_e64 vcc, |v44|, |v48|
	s_nop 1
	v_cndmask_b32_e32 v44, v44, v48, vcc
	v_cndmask_b32_e32 v42, v42, v49, vcc
	s_cbranch_scc1 .LBB68_337
.LBB68_338:
	s_waitcnt lgkmcnt(0)
	v_cmp_eq_f32_e32 vcc, 0, v44
	s_and_saveexec_b64 s[0:1], vcc
	s_xor_b64 s[0:1], exec, s[0:1]
; %bb.339:
	v_cmp_ne_u32_e32 vcc, 0, v46
	s_nop 1
	v_cndmask_b32_e32 v46, 21, v46, vcc
; %bb.340:
	s_andn2_saveexec_b64 s[0:1], s[0:1]
	s_cbranch_execz .LBB68_342
; %bb.341:
	v_div_scale_f32 v47, s[2:3], v44, v44, 1.0
	v_rcp_f32_e32 v48, v47
	v_div_scale_f32 v49, vcc, 1.0, v44, 1.0
	v_fma_f32 v50, -v47, v48, 1.0
	v_fmac_f32_e32 v48, v50, v48
	v_mul_f32_e32 v50, v49, v48
	v_fma_f32 v51, -v47, v50, v49
	v_fmac_f32_e32 v50, v51, v48
	v_fma_f32 v47, -v47, v50, v49
	v_div_fmas_f32 v47, v47, v48, v50
	v_div_fixup_f32 v44, v47, v44, 1.0
.LBB68_342:
	s_or_b64 exec, exec, s[0:1]
	v_cmp_ne_u32_e32 vcc, v45, v42
	s_and_saveexec_b64 s[0:1], vcc
	s_xor_b64 s[0:1], exec, s[0:1]
	s_cbranch_execz .LBB68_348
; %bb.343:
	v_cmp_eq_u32_e32 vcc, 20, v45
	s_and_saveexec_b64 s[2:3], vcc
	s_cbranch_execz .LBB68_347
; %bb.344:
	v_cmp_ne_u32_e32 vcc, 20, v42
	s_xor_b64 s[18:19], s[16:17], -1
	s_and_b64 s[20:21], s[18:19], vcc
	s_and_saveexec_b64 s[18:19], s[20:21]
	s_cbranch_execz .LBB68_346
; %bb.345:
	v_ashrrev_i32_e32 v43, 31, v42
	v_lshl_add_u64 v[48:49], v[42:43], 2, v[22:23]
	global_load_dword v43, v[48:49], off
	global_load_dword v45, v[22:23], off offset:80
	s_waitcnt vmcnt(1)
	global_store_dword v[22:23], v43, off offset:80
	s_waitcnt vmcnt(1)
	global_store_dword v[48:49], v45, off
.LBB68_346:
	s_or_b64 exec, exec, s[18:19]
	v_mov_b32_e32 v43, v42
	v_mov_b32_e32 v45, v42
.LBB68_347:
	s_or_b64 exec, exec, s[2:3]
.LBB68_348:
	s_andn2_saveexec_b64 s[0:1], s[0:1]
	s_cbranch_execz .LBB68_350
; %bb.349:
	v_mov_b32_e32 v45, 20
	s_waitcnt vmcnt(12)
	ds_write2_b32 v21, v24, v25 offset0:21 offset1:22
	s_waitcnt vmcnt(10)
	ds_write2_b32 v21, v16, v17 offset0:23 offset1:24
	;; [unrolled: 2-line block ×7, first 2 shown]
.LBB68_350:
	s_or_b64 exec, exec, s[0:1]
	v_cmp_lt_i32_e32 vcc, 20, v45
	s_waitcnt lgkmcnt(0)
	s_barrier
	s_and_saveexec_b64 s[0:1], vcc
	s_cbranch_execz .LBB68_352
; %bb.351:
	ds_read2_b32 v[48:49], v21 offset0:21 offset1:22
	ds_read2_b32 v[50:51], v21 offset0:23 offset1:24
	v_mul_f32_e32 v42, v44, v31
	ds_read2_b32 v[52:53], v21 offset0:25 offset1:26
	ds_read2_b32 v[54:55], v21 offset0:27 offset1:28
	v_mov_b32_e32 v31, v42
	s_waitcnt vmcnt(12) lgkmcnt(3)
	v_pk_fma_f32 v[24:25], v[42:43], v[48:49], v[24:25] op_sel_hi:[0,1,1] neg_lo:[1,0,0] neg_hi:[1,0,0]
	s_waitcnt vmcnt(10) lgkmcnt(2)
	v_pk_fma_f32 v[16:17], v[42:43], v[50:51], v[16:17] op_sel_hi:[0,1,1] neg_lo:[1,0,0] neg_hi:[1,0,0]
	ds_read2_b32 v[48:49], v21 offset0:29 offset1:30
	ds_read2_b32 v[50:51], v21 offset0:31 offset1:32
	ds_read2_b32 v[56:57], v21 offset0:33 offset1:34
	s_waitcnt vmcnt(8) lgkmcnt(4)
	v_pk_fma_f32 v[40:41], v[42:43], v[52:53], v[40:41] op_sel_hi:[0,1,1] neg_lo:[1,0,0] neg_hi:[1,0,0]
	s_waitcnt vmcnt(6) lgkmcnt(3)
	v_pk_fma_f32 v[36:37], v[42:43], v[54:55], v[36:37] op_sel_hi:[0,1,1] neg_lo:[1,0,0] neg_hi:[1,0,0]
	;; [unrolled: 2-line block ×5, first 2 shown]
.LBB68_352:
	s_or_b64 exec, exec, s[0:1]
	v_lshl_add_u32 v42, v45, 2, v21
	s_barrier
	s_waitcnt vmcnt(13)
	ds_write_b32 v42, v24
	s_waitcnt lgkmcnt(0)
	s_barrier
	ds_read_b32 v44, v21 offset:84
	s_cmp_lt_i32 s22, 23
	v_mov_b32_e32 v42, 21
	s_cbranch_scc1 .LBB68_355
; %bb.353:
	v_add_u32_e32 v47, 0x58, v21
	v_mov_b32_e32 v42, 21
	s_mov_b32 s0, 22
.LBB68_354:                             ; =>This Inner Loop Header: Depth=1
	ds_read_b32 v48, v47
	v_mov_b32_e32 v49, s0
	s_add_i32 s0, s0, 1
	v_add_u32_e32 v47, 4, v47
	s_cmp_lg_u32 s22, s0
	s_waitcnt lgkmcnt(0)
	v_cmp_lt_f32_e64 vcc, |v44|, |v48|
	s_nop 1
	v_cndmask_b32_e32 v44, v44, v48, vcc
	v_cndmask_b32_e32 v42, v42, v49, vcc
	s_cbranch_scc1 .LBB68_354
.LBB68_355:
	s_waitcnt lgkmcnt(0)
	v_cmp_eq_f32_e32 vcc, 0, v44
	s_and_saveexec_b64 s[0:1], vcc
	s_xor_b64 s[0:1], exec, s[0:1]
; %bb.356:
	v_cmp_ne_u32_e32 vcc, 0, v46
	s_nop 1
	v_cndmask_b32_e32 v46, 22, v46, vcc
; %bb.357:
	s_andn2_saveexec_b64 s[0:1], s[0:1]
	s_cbranch_execz .LBB68_359
; %bb.358:
	v_div_scale_f32 v47, s[2:3], v44, v44, 1.0
	v_rcp_f32_e32 v48, v47
	v_div_scale_f32 v49, vcc, 1.0, v44, 1.0
	v_fma_f32 v50, -v47, v48, 1.0
	v_fmac_f32_e32 v48, v50, v48
	v_mul_f32_e32 v50, v49, v48
	v_fma_f32 v51, -v47, v50, v49
	v_fmac_f32_e32 v50, v51, v48
	v_fma_f32 v47, -v47, v50, v49
	v_div_fmas_f32 v47, v47, v48, v50
	v_div_fixup_f32 v44, v47, v44, 1.0
.LBB68_359:
	s_or_b64 exec, exec, s[0:1]
	v_cmp_ne_u32_e32 vcc, v45, v42
	s_and_saveexec_b64 s[0:1], vcc
	s_xor_b64 s[0:1], exec, s[0:1]
	s_cbranch_execz .LBB68_365
; %bb.360:
	v_cmp_eq_u32_e32 vcc, 21, v45
	s_and_saveexec_b64 s[2:3], vcc
	s_cbranch_execz .LBB68_364
; %bb.361:
	v_cmp_ne_u32_e32 vcc, 21, v42
	s_xor_b64 s[18:19], s[16:17], -1
	s_and_b64 s[20:21], s[18:19], vcc
	s_and_saveexec_b64 s[18:19], s[20:21]
	s_cbranch_execz .LBB68_363
; %bb.362:
	v_ashrrev_i32_e32 v43, 31, v42
	v_lshl_add_u64 v[48:49], v[42:43], 2, v[22:23]
	global_load_dword v43, v[48:49], off
	global_load_dword v45, v[22:23], off offset:84
	s_waitcnt vmcnt(1)
	global_store_dword v[22:23], v43, off offset:84
	s_waitcnt vmcnt(1)
	global_store_dword v[48:49], v45, off
.LBB68_363:
	s_or_b64 exec, exec, s[18:19]
	v_mov_b32_e32 v43, v42
	v_mov_b32_e32 v45, v42
.LBB68_364:
	s_or_b64 exec, exec, s[2:3]
.LBB68_365:
	s_andn2_saveexec_b64 s[0:1], s[0:1]
	s_cbranch_execz .LBB68_367
; %bb.366:
	s_waitcnt vmcnt(10)
	v_pk_mov_b32 v[48:49], v[24:25], v[16:17] op_sel:[1,0]
	ds_write2_b32 v21, v48, v49 offset0:22 offset1:23
	s_waitcnt vmcnt(8)
	v_pk_mov_b32 v[48:49], v[16:17], v[40:41] op_sel:[1,0]
	ds_write2_b32 v21, v48, v49 offset0:24 offset1:25
	;; [unrolled: 3-line block ×5, first 2 shown]
	s_waitcnt vmcnt(0)
	v_pk_mov_b32 v[48:49], v[26:27], v[38:39] op_sel:[1,0]
	v_mov_b32_e32 v45, 21
	ds_write2_b32 v21, v48, v49 offset0:32 offset1:33
	ds_write_b32 v21, v39 offset:136
.LBB68_367:
	s_or_b64 exec, exec, s[0:1]
	v_cmp_lt_i32_e32 vcc, 21, v45
	s_waitcnt lgkmcnt(0)
	s_barrier
	s_and_saveexec_b64 s[0:1], vcc
	s_cbranch_execz .LBB68_369
; %bb.368:
	ds_read_b32 v42, v21 offset:88
	ds_read2_b32 v[48:49], v21 offset0:23 offset1:24
	v_mul_f32_e32 v24, v44, v24
	ds_read2_b32 v[50:51], v21 offset0:25 offset1:26
	ds_read2_b32 v[52:53], v21 offset0:27 offset1:28
	s_waitcnt vmcnt(12) lgkmcnt(3)
	v_fma_f32 v25, -v24, v42, v25
	s_waitcnt vmcnt(10) lgkmcnt(2)
	v_pk_fma_f32 v[16:17], v[24:25], v[48:49], v[16:17] op_sel_hi:[0,1,1] neg_lo:[1,0,0] neg_hi:[1,0,0]
	ds_read2_b32 v[48:49], v21 offset0:29 offset1:30
	ds_read2_b32 v[54:55], v21 offset0:31 offset1:32
	;; [unrolled: 1-line block ×3, first 2 shown]
	s_waitcnt vmcnt(8) lgkmcnt(4)
	v_pk_fma_f32 v[40:41], v[24:25], v[50:51], v[40:41] op_sel_hi:[0,1,1] neg_lo:[1,0,0] neg_hi:[1,0,0]
	s_waitcnt vmcnt(6) lgkmcnt(3)
	v_pk_fma_f32 v[36:37], v[24:25], v[52:53], v[36:37] op_sel_hi:[0,1,1] neg_lo:[1,0,0] neg_hi:[1,0,0]
	;; [unrolled: 2-line block ×5, first 2 shown]
.LBB68_369:
	s_or_b64 exec, exec, s[0:1]
	v_lshl_add_u32 v42, v45, 2, v21
	s_barrier
	s_waitcnt vmcnt(12)
	ds_write_b32 v42, v25
	s_waitcnt lgkmcnt(0)
	s_barrier
	ds_read_b32 v44, v21 offset:88
	s_cmp_lt_i32 s22, 24
	v_mov_b32_e32 v42, 22
	s_cbranch_scc1 .LBB68_372
; %bb.370:
	v_add_u32_e32 v47, 0x5c, v21
	v_mov_b32_e32 v42, 22
	s_mov_b32 s0, 23
.LBB68_371:                             ; =>This Inner Loop Header: Depth=1
	ds_read_b32 v48, v47
	v_mov_b32_e32 v49, s0
	s_add_i32 s0, s0, 1
	v_add_u32_e32 v47, 4, v47
	s_cmp_lg_u32 s22, s0
	s_waitcnt lgkmcnt(0)
	v_cmp_lt_f32_e64 vcc, |v44|, |v48|
	s_nop 1
	v_cndmask_b32_e32 v44, v44, v48, vcc
	v_cndmask_b32_e32 v42, v42, v49, vcc
	s_cbranch_scc1 .LBB68_371
.LBB68_372:
	s_waitcnt lgkmcnt(0)
	v_cmp_eq_f32_e32 vcc, 0, v44
	s_and_saveexec_b64 s[0:1], vcc
	s_xor_b64 s[0:1], exec, s[0:1]
; %bb.373:
	v_cmp_ne_u32_e32 vcc, 0, v46
	s_nop 1
	v_cndmask_b32_e32 v46, 23, v46, vcc
; %bb.374:
	s_andn2_saveexec_b64 s[0:1], s[0:1]
	s_cbranch_execz .LBB68_376
; %bb.375:
	v_div_scale_f32 v47, s[2:3], v44, v44, 1.0
	v_rcp_f32_e32 v48, v47
	v_div_scale_f32 v49, vcc, 1.0, v44, 1.0
	v_fma_f32 v50, -v47, v48, 1.0
	v_fmac_f32_e32 v48, v50, v48
	v_mul_f32_e32 v50, v49, v48
	v_fma_f32 v51, -v47, v50, v49
	v_fmac_f32_e32 v50, v51, v48
	v_fma_f32 v47, -v47, v50, v49
	v_div_fmas_f32 v47, v47, v48, v50
	v_div_fixup_f32 v44, v47, v44, 1.0
.LBB68_376:
	s_or_b64 exec, exec, s[0:1]
	v_cmp_ne_u32_e32 vcc, v45, v42
	s_and_saveexec_b64 s[0:1], vcc
	s_xor_b64 s[0:1], exec, s[0:1]
	s_cbranch_execz .LBB68_382
; %bb.377:
	v_cmp_eq_u32_e32 vcc, 22, v45
	s_and_saveexec_b64 s[2:3], vcc
	s_cbranch_execz .LBB68_381
; %bb.378:
	v_cmp_ne_u32_e32 vcc, 22, v42
	s_xor_b64 s[18:19], s[16:17], -1
	s_and_b64 s[20:21], s[18:19], vcc
	s_and_saveexec_b64 s[18:19], s[20:21]
	s_cbranch_execz .LBB68_380
; %bb.379:
	v_ashrrev_i32_e32 v43, 31, v42
	v_lshl_add_u64 v[48:49], v[42:43], 2, v[22:23]
	global_load_dword v43, v[48:49], off
	global_load_dword v45, v[22:23], off offset:88
	s_waitcnt vmcnt(1)
	global_store_dword v[22:23], v43, off offset:88
	s_waitcnt vmcnt(1)
	global_store_dword v[48:49], v45, off
.LBB68_380:
	s_or_b64 exec, exec, s[18:19]
	v_mov_b32_e32 v43, v42
	v_mov_b32_e32 v45, v42
.LBB68_381:
	s_or_b64 exec, exec, s[2:3]
.LBB68_382:
	s_andn2_saveexec_b64 s[0:1], s[0:1]
	s_cbranch_execz .LBB68_384
; %bb.383:
	v_mov_b32_e32 v45, 22
	s_waitcnt vmcnt(10)
	ds_write2_b32 v21, v16, v17 offset0:23 offset1:24
	s_waitcnt vmcnt(8)
	ds_write2_b32 v21, v40, v41 offset0:25 offset1:26
	;; [unrolled: 2-line block ×6, first 2 shown]
.LBB68_384:
	s_or_b64 exec, exec, s[0:1]
	v_cmp_lt_i32_e32 vcc, 22, v45
	s_waitcnt lgkmcnt(0)
	s_barrier
	s_and_saveexec_b64 s[0:1], vcc
	s_cbranch_execz .LBB68_386
; %bb.385:
	ds_read2_b32 v[48:49], v21 offset0:23 offset1:24
	v_mul_f32_e32 v42, v44, v25
	ds_read2_b32 v[50:51], v21 offset0:25 offset1:26
	ds_read2_b32 v[52:53], v21 offset0:27 offset1:28
	;; [unrolled: 1-line block ×3, first 2 shown]
	v_mov_b32_e32 v25, v42
	s_waitcnt vmcnt(8) lgkmcnt(2)
	v_pk_fma_f32 v[40:41], v[42:43], v[50:51], v[40:41] op_sel_hi:[0,1,1] neg_lo:[1,0,0] neg_hi:[1,0,0]
	v_pk_fma_f32 v[16:17], v[42:43], v[48:49], v[16:17] op_sel_hi:[0,1,1] neg_lo:[1,0,0] neg_hi:[1,0,0]
	ds_read2_b32 v[48:49], v21 offset0:31 offset1:32
	ds_read2_b32 v[56:57], v21 offset0:33 offset1:34
	s_waitcnt vmcnt(6) lgkmcnt(3)
	v_pk_fma_f32 v[36:37], v[42:43], v[52:53], v[36:37] op_sel_hi:[0,1,1] neg_lo:[1,0,0] neg_hi:[1,0,0]
	s_waitcnt vmcnt(4) lgkmcnt(2)
	v_pk_fma_f32 v[32:33], v[42:43], v[54:55], v[32:33] op_sel_hi:[0,1,1] neg_lo:[1,0,0] neg_hi:[1,0,0]
	;; [unrolled: 2-line block ×4, first 2 shown]
.LBB68_386:
	s_or_b64 exec, exec, s[0:1]
	v_lshl_add_u32 v42, v45, 2, v21
	s_barrier
	s_waitcnt vmcnt(11)
	ds_write_b32 v42, v16
	s_waitcnt lgkmcnt(0)
	s_barrier
	ds_read_b32 v44, v21 offset:92
	s_cmp_lt_i32 s22, 25
	v_mov_b32_e32 v42, 23
	s_cbranch_scc1 .LBB68_389
; %bb.387:
	v_add_u32_e32 v47, 0x60, v21
	v_mov_b32_e32 v42, 23
	s_mov_b32 s0, 24
.LBB68_388:                             ; =>This Inner Loop Header: Depth=1
	ds_read_b32 v48, v47
	v_mov_b32_e32 v49, s0
	s_add_i32 s0, s0, 1
	v_add_u32_e32 v47, 4, v47
	s_cmp_lg_u32 s22, s0
	s_waitcnt lgkmcnt(0)
	v_cmp_lt_f32_e64 vcc, |v44|, |v48|
	s_nop 1
	v_cndmask_b32_e32 v44, v44, v48, vcc
	v_cndmask_b32_e32 v42, v42, v49, vcc
	s_cbranch_scc1 .LBB68_388
.LBB68_389:
	s_waitcnt lgkmcnt(0)
	v_cmp_eq_f32_e32 vcc, 0, v44
	s_and_saveexec_b64 s[0:1], vcc
	s_xor_b64 s[0:1], exec, s[0:1]
; %bb.390:
	v_cmp_ne_u32_e32 vcc, 0, v46
	s_nop 1
	v_cndmask_b32_e32 v46, 24, v46, vcc
; %bb.391:
	s_andn2_saveexec_b64 s[0:1], s[0:1]
	s_cbranch_execz .LBB68_393
; %bb.392:
	v_div_scale_f32 v47, s[2:3], v44, v44, 1.0
	v_rcp_f32_e32 v48, v47
	v_div_scale_f32 v49, vcc, 1.0, v44, 1.0
	v_fma_f32 v50, -v47, v48, 1.0
	v_fmac_f32_e32 v48, v50, v48
	v_mul_f32_e32 v50, v49, v48
	v_fma_f32 v51, -v47, v50, v49
	v_fmac_f32_e32 v50, v51, v48
	v_fma_f32 v47, -v47, v50, v49
	v_div_fmas_f32 v47, v47, v48, v50
	v_div_fixup_f32 v44, v47, v44, 1.0
.LBB68_393:
	s_or_b64 exec, exec, s[0:1]
	v_cmp_ne_u32_e32 vcc, v45, v42
	s_and_saveexec_b64 s[0:1], vcc
	s_xor_b64 s[0:1], exec, s[0:1]
	s_cbranch_execz .LBB68_399
; %bb.394:
	v_cmp_eq_u32_e32 vcc, 23, v45
	s_and_saveexec_b64 s[2:3], vcc
	s_cbranch_execz .LBB68_398
; %bb.395:
	v_cmp_ne_u32_e32 vcc, 23, v42
	s_xor_b64 s[18:19], s[16:17], -1
	s_and_b64 s[20:21], s[18:19], vcc
	s_and_saveexec_b64 s[18:19], s[20:21]
	s_cbranch_execz .LBB68_397
; %bb.396:
	v_ashrrev_i32_e32 v43, 31, v42
	v_lshl_add_u64 v[48:49], v[42:43], 2, v[22:23]
	global_load_dword v43, v[48:49], off
	global_load_dword v45, v[22:23], off offset:92
	s_waitcnt vmcnt(1)
	global_store_dword v[22:23], v43, off offset:92
	s_waitcnt vmcnt(1)
	global_store_dword v[48:49], v45, off
.LBB68_397:
	s_or_b64 exec, exec, s[18:19]
	v_mov_b32_e32 v43, v42
	v_mov_b32_e32 v45, v42
.LBB68_398:
	s_or_b64 exec, exec, s[2:3]
.LBB68_399:
	s_andn2_saveexec_b64 s[0:1], s[0:1]
	s_cbranch_execz .LBB68_401
; %bb.400:
	s_waitcnt vmcnt(8)
	v_pk_mov_b32 v[48:49], v[16:17], v[40:41] op_sel:[1,0]
	ds_write2_b32 v21, v48, v49 offset0:24 offset1:25
	s_waitcnt vmcnt(6)
	v_pk_mov_b32 v[48:49], v[40:41], v[36:37] op_sel:[1,0]
	ds_write2_b32 v21, v48, v49 offset0:26 offset1:27
	;; [unrolled: 3-line block ×4, first 2 shown]
	s_waitcnt vmcnt(0)
	v_pk_mov_b32 v[48:49], v[26:27], v[38:39] op_sel:[1,0]
	v_mov_b32_e32 v45, 23
	ds_write2_b32 v21, v48, v49 offset0:32 offset1:33
	ds_write_b32 v21, v39 offset:136
.LBB68_401:
	s_or_b64 exec, exec, s[0:1]
	v_cmp_lt_i32_e32 vcc, 23, v45
	s_waitcnt lgkmcnt(0)
	s_barrier
	s_and_saveexec_b64 s[0:1], vcc
	s_cbranch_execz .LBB68_403
; %bb.402:
	ds_read_b32 v42, v21 offset:96
	ds_read2_b32 v[48:49], v21 offset0:25 offset1:26
	ds_read2_b32 v[50:51], v21 offset0:27 offset1:28
	;; [unrolled: 1-line block ×5, first 2 shown]
	v_mul_f32_e32 v16, v44, v16
	s_waitcnt vmcnt(10) lgkmcnt(5)
	v_fma_f32 v17, -v16, v42, v17
	s_waitcnt vmcnt(8) lgkmcnt(4)
	v_pk_fma_f32 v[40:41], v[16:17], v[48:49], v[40:41] op_sel_hi:[0,1,1] neg_lo:[1,0,0] neg_hi:[1,0,0]
	s_waitcnt vmcnt(6) lgkmcnt(3)
	v_pk_fma_f32 v[36:37], v[16:17], v[50:51], v[36:37] op_sel_hi:[0,1,1] neg_lo:[1,0,0] neg_hi:[1,0,0]
	;; [unrolled: 2-line block ×5, first 2 shown]
.LBB68_403:
	s_or_b64 exec, exec, s[0:1]
	v_lshl_add_u32 v42, v45, 2, v21
	s_barrier
	s_waitcnt vmcnt(10)
	ds_write_b32 v42, v17
	s_waitcnt lgkmcnt(0)
	s_barrier
	ds_read_b32 v44, v21 offset:96
	s_cmp_lt_i32 s22, 26
	v_mov_b32_e32 v42, 24
	s_cbranch_scc1 .LBB68_406
; %bb.404:
	v_add_u32_e32 v47, 0x64, v21
	v_mov_b32_e32 v42, 24
	s_mov_b32 s0, 25
.LBB68_405:                             ; =>This Inner Loop Header: Depth=1
	ds_read_b32 v48, v47
	v_mov_b32_e32 v49, s0
	s_add_i32 s0, s0, 1
	v_add_u32_e32 v47, 4, v47
	s_cmp_lg_u32 s22, s0
	s_waitcnt lgkmcnt(0)
	v_cmp_lt_f32_e64 vcc, |v44|, |v48|
	s_nop 1
	v_cndmask_b32_e32 v44, v44, v48, vcc
	v_cndmask_b32_e32 v42, v42, v49, vcc
	s_cbranch_scc1 .LBB68_405
.LBB68_406:
	s_waitcnt lgkmcnt(0)
	v_cmp_eq_f32_e32 vcc, 0, v44
	s_and_saveexec_b64 s[0:1], vcc
	s_xor_b64 s[0:1], exec, s[0:1]
; %bb.407:
	v_cmp_ne_u32_e32 vcc, 0, v46
	s_nop 1
	v_cndmask_b32_e32 v46, 25, v46, vcc
; %bb.408:
	s_andn2_saveexec_b64 s[0:1], s[0:1]
	s_cbranch_execz .LBB68_410
; %bb.409:
	v_div_scale_f32 v47, s[2:3], v44, v44, 1.0
	v_rcp_f32_e32 v48, v47
	v_div_scale_f32 v49, vcc, 1.0, v44, 1.0
	v_fma_f32 v50, -v47, v48, 1.0
	v_fmac_f32_e32 v48, v50, v48
	v_mul_f32_e32 v50, v49, v48
	v_fma_f32 v51, -v47, v50, v49
	v_fmac_f32_e32 v50, v51, v48
	v_fma_f32 v47, -v47, v50, v49
	v_div_fmas_f32 v47, v47, v48, v50
	v_div_fixup_f32 v44, v47, v44, 1.0
.LBB68_410:
	s_or_b64 exec, exec, s[0:1]
	v_cmp_ne_u32_e32 vcc, v45, v42
	s_and_saveexec_b64 s[0:1], vcc
	s_xor_b64 s[0:1], exec, s[0:1]
	s_cbranch_execz .LBB68_416
; %bb.411:
	v_cmp_eq_u32_e32 vcc, 24, v45
	s_and_saveexec_b64 s[2:3], vcc
	s_cbranch_execz .LBB68_415
; %bb.412:
	v_cmp_ne_u32_e32 vcc, 24, v42
	s_xor_b64 s[18:19], s[16:17], -1
	s_and_b64 s[20:21], s[18:19], vcc
	s_and_saveexec_b64 s[18:19], s[20:21]
	s_cbranch_execz .LBB68_414
; %bb.413:
	v_ashrrev_i32_e32 v43, 31, v42
	v_lshl_add_u64 v[48:49], v[42:43], 2, v[22:23]
	global_load_dword v43, v[48:49], off
	global_load_dword v45, v[22:23], off offset:96
	s_waitcnt vmcnt(1)
	global_store_dword v[22:23], v43, off offset:96
	s_waitcnt vmcnt(1)
	global_store_dword v[48:49], v45, off
.LBB68_414:
	s_or_b64 exec, exec, s[18:19]
	v_mov_b32_e32 v43, v42
	v_mov_b32_e32 v45, v42
.LBB68_415:
	s_or_b64 exec, exec, s[2:3]
.LBB68_416:
	s_andn2_saveexec_b64 s[0:1], s[0:1]
	s_cbranch_execz .LBB68_418
; %bb.417:
	v_mov_b32_e32 v45, 24
	s_waitcnt vmcnt(8)
	ds_write2_b32 v21, v40, v41 offset0:25 offset1:26
	s_waitcnt vmcnt(6)
	ds_write2_b32 v21, v36, v37 offset0:27 offset1:28
	s_waitcnt vmcnt(4)
	ds_write2_b32 v21, v32, v33 offset0:29 offset1:30
	s_waitcnt vmcnt(2)
	ds_write2_b32 v21, v26, v27 offset0:31 offset1:32
	s_waitcnt vmcnt(0)
	ds_write2_b32 v21, v38, v39 offset0:33 offset1:34
.LBB68_418:
	s_or_b64 exec, exec, s[0:1]
	v_cmp_lt_i32_e32 vcc, 24, v45
	s_waitcnt lgkmcnt(0)
	s_barrier
	s_and_saveexec_b64 s[0:1], vcc
	s_cbranch_execz .LBB68_420
; %bb.419:
	ds_read2_b32 v[48:49], v21 offset0:25 offset1:26
	ds_read2_b32 v[50:51], v21 offset0:27 offset1:28
	;; [unrolled: 1-line block ×5, first 2 shown]
	v_mul_f32_e32 v42, v44, v17
	s_waitcnt vmcnt(8) lgkmcnt(4)
	v_pk_fma_f32 v[40:41], v[42:43], v[48:49], v[40:41] op_sel_hi:[0,1,1] neg_lo:[1,0,0] neg_hi:[1,0,0]
	s_waitcnt vmcnt(6) lgkmcnt(3)
	v_pk_fma_f32 v[36:37], v[42:43], v[50:51], v[36:37] op_sel_hi:[0,1,1] neg_lo:[1,0,0] neg_hi:[1,0,0]
	;; [unrolled: 2-line block ×5, first 2 shown]
	v_mov_b32_e32 v17, v42
.LBB68_420:
	s_or_b64 exec, exec, s[0:1]
	v_lshl_add_u32 v42, v45, 2, v21
	s_barrier
	s_waitcnt vmcnt(9)
	ds_write_b32 v42, v40
	s_waitcnt lgkmcnt(0)
	s_barrier
	ds_read_b32 v44, v21 offset:100
	s_cmp_lt_i32 s22, 27
	v_mov_b32_e32 v42, 25
	s_cbranch_scc1 .LBB68_423
; %bb.421:
	v_add_u32_e32 v47, 0x68, v21
	v_mov_b32_e32 v42, 25
	s_mov_b32 s0, 26
.LBB68_422:                             ; =>This Inner Loop Header: Depth=1
	ds_read_b32 v48, v47
	v_mov_b32_e32 v49, s0
	s_add_i32 s0, s0, 1
	v_add_u32_e32 v47, 4, v47
	s_cmp_lg_u32 s22, s0
	s_waitcnt lgkmcnt(0)
	v_cmp_lt_f32_e64 vcc, |v44|, |v48|
	s_nop 1
	v_cndmask_b32_e32 v44, v44, v48, vcc
	v_cndmask_b32_e32 v42, v42, v49, vcc
	s_cbranch_scc1 .LBB68_422
.LBB68_423:
	s_waitcnt lgkmcnt(0)
	v_cmp_eq_f32_e32 vcc, 0, v44
	s_and_saveexec_b64 s[0:1], vcc
	s_xor_b64 s[0:1], exec, s[0:1]
; %bb.424:
	v_cmp_ne_u32_e32 vcc, 0, v46
	s_nop 1
	v_cndmask_b32_e32 v46, 26, v46, vcc
; %bb.425:
	s_andn2_saveexec_b64 s[0:1], s[0:1]
	s_cbranch_execz .LBB68_427
; %bb.426:
	v_div_scale_f32 v47, s[2:3], v44, v44, 1.0
	v_rcp_f32_e32 v48, v47
	v_div_scale_f32 v49, vcc, 1.0, v44, 1.0
	v_fma_f32 v50, -v47, v48, 1.0
	v_fmac_f32_e32 v48, v50, v48
	v_mul_f32_e32 v50, v49, v48
	v_fma_f32 v51, -v47, v50, v49
	v_fmac_f32_e32 v50, v51, v48
	v_fma_f32 v47, -v47, v50, v49
	v_div_fmas_f32 v47, v47, v48, v50
	v_div_fixup_f32 v44, v47, v44, 1.0
.LBB68_427:
	s_or_b64 exec, exec, s[0:1]
	v_cmp_ne_u32_e32 vcc, v45, v42
	s_and_saveexec_b64 s[0:1], vcc
	s_xor_b64 s[0:1], exec, s[0:1]
	s_cbranch_execz .LBB68_433
; %bb.428:
	v_cmp_eq_u32_e32 vcc, 25, v45
	s_and_saveexec_b64 s[2:3], vcc
	s_cbranch_execz .LBB68_432
; %bb.429:
	v_cmp_ne_u32_e32 vcc, 25, v42
	s_xor_b64 s[18:19], s[16:17], -1
	s_and_b64 s[20:21], s[18:19], vcc
	s_and_saveexec_b64 s[18:19], s[20:21]
	s_cbranch_execz .LBB68_431
; %bb.430:
	v_ashrrev_i32_e32 v43, 31, v42
	v_lshl_add_u64 v[48:49], v[42:43], 2, v[22:23]
	global_load_dword v43, v[48:49], off
	global_load_dword v45, v[22:23], off offset:100
	s_waitcnt vmcnt(1)
	global_store_dword v[22:23], v43, off offset:100
	s_waitcnt vmcnt(1)
	global_store_dword v[48:49], v45, off
.LBB68_431:
	s_or_b64 exec, exec, s[18:19]
	v_mov_b32_e32 v43, v42
	v_mov_b32_e32 v45, v42
.LBB68_432:
	s_or_b64 exec, exec, s[2:3]
.LBB68_433:
	s_andn2_saveexec_b64 s[0:1], s[0:1]
	s_cbranch_execz .LBB68_435
; %bb.434:
	s_waitcnt vmcnt(6)
	v_pk_mov_b32 v[48:49], v[40:41], v[36:37] op_sel:[1,0]
	ds_write2_b32 v21, v48, v49 offset0:26 offset1:27
	s_waitcnt vmcnt(4)
	v_pk_mov_b32 v[48:49], v[36:37], v[32:33] op_sel:[1,0]
	ds_write2_b32 v21, v48, v49 offset0:28 offset1:29
	;; [unrolled: 3-line block ×3, first 2 shown]
	s_waitcnt vmcnt(0)
	v_pk_mov_b32 v[48:49], v[26:27], v[38:39] op_sel:[1,0]
	v_mov_b32_e32 v45, 25
	ds_write2_b32 v21, v48, v49 offset0:32 offset1:33
	ds_write_b32 v21, v39 offset:136
.LBB68_435:
	s_or_b64 exec, exec, s[0:1]
	v_cmp_lt_i32_e32 vcc, 25, v45
	s_waitcnt lgkmcnt(0)
	s_barrier
	s_and_saveexec_b64 s[0:1], vcc
	s_cbranch_execz .LBB68_437
; %bb.436:
	ds_read_b32 v42, v21 offset:104
	ds_read2_b32 v[48:49], v21 offset0:27 offset1:28
	ds_read2_b32 v[50:51], v21 offset0:29 offset1:30
	;; [unrolled: 1-line block ×4, first 2 shown]
	v_mul_f32_e32 v40, v44, v40
	s_waitcnt vmcnt(8) lgkmcnt(4)
	v_fma_f32 v41, -v40, v42, v41
	s_waitcnt vmcnt(6) lgkmcnt(3)
	v_pk_fma_f32 v[36:37], v[40:41], v[48:49], v[36:37] op_sel_hi:[0,1,1] neg_lo:[1,0,0] neg_hi:[1,0,0]
	s_waitcnt vmcnt(4) lgkmcnt(2)
	v_pk_fma_f32 v[32:33], v[40:41], v[50:51], v[32:33] op_sel_hi:[0,1,1] neg_lo:[1,0,0] neg_hi:[1,0,0]
	;; [unrolled: 2-line block ×4, first 2 shown]
.LBB68_437:
	s_or_b64 exec, exec, s[0:1]
	v_lshl_add_u32 v42, v45, 2, v21
	s_barrier
	s_waitcnt vmcnt(8)
	ds_write_b32 v42, v41
	s_waitcnt lgkmcnt(0)
	s_barrier
	ds_read_b32 v44, v21 offset:104
	s_cmp_lt_i32 s22, 28
	v_mov_b32_e32 v42, 26
	s_cbranch_scc1 .LBB68_440
; %bb.438:
	v_add_u32_e32 v47, 0x6c, v21
	v_mov_b32_e32 v42, 26
	s_mov_b32 s0, 27
.LBB68_439:                             ; =>This Inner Loop Header: Depth=1
	ds_read_b32 v48, v47
	v_mov_b32_e32 v49, s0
	s_add_i32 s0, s0, 1
	v_add_u32_e32 v47, 4, v47
	s_cmp_lg_u32 s22, s0
	s_waitcnt lgkmcnt(0)
	v_cmp_lt_f32_e64 vcc, |v44|, |v48|
	s_nop 1
	v_cndmask_b32_e32 v44, v44, v48, vcc
	v_cndmask_b32_e32 v42, v42, v49, vcc
	s_cbranch_scc1 .LBB68_439
.LBB68_440:
	s_waitcnt lgkmcnt(0)
	v_cmp_eq_f32_e32 vcc, 0, v44
	s_and_saveexec_b64 s[0:1], vcc
	s_xor_b64 s[0:1], exec, s[0:1]
; %bb.441:
	v_cmp_ne_u32_e32 vcc, 0, v46
	s_nop 1
	v_cndmask_b32_e32 v46, 27, v46, vcc
; %bb.442:
	s_andn2_saveexec_b64 s[0:1], s[0:1]
	s_cbranch_execz .LBB68_444
; %bb.443:
	v_div_scale_f32 v47, s[2:3], v44, v44, 1.0
	v_rcp_f32_e32 v48, v47
	v_div_scale_f32 v49, vcc, 1.0, v44, 1.0
	v_fma_f32 v50, -v47, v48, 1.0
	v_fmac_f32_e32 v48, v50, v48
	v_mul_f32_e32 v50, v49, v48
	v_fma_f32 v51, -v47, v50, v49
	v_fmac_f32_e32 v50, v51, v48
	v_fma_f32 v47, -v47, v50, v49
	v_div_fmas_f32 v47, v47, v48, v50
	v_div_fixup_f32 v44, v47, v44, 1.0
.LBB68_444:
	s_or_b64 exec, exec, s[0:1]
	v_cmp_ne_u32_e32 vcc, v45, v42
	s_and_saveexec_b64 s[0:1], vcc
	s_xor_b64 s[0:1], exec, s[0:1]
	s_cbranch_execz .LBB68_450
; %bb.445:
	v_cmp_eq_u32_e32 vcc, 26, v45
	s_and_saveexec_b64 s[2:3], vcc
	s_cbranch_execz .LBB68_449
; %bb.446:
	v_cmp_ne_u32_e32 vcc, 26, v42
	s_xor_b64 s[18:19], s[16:17], -1
	s_and_b64 s[20:21], s[18:19], vcc
	s_and_saveexec_b64 s[18:19], s[20:21]
	s_cbranch_execz .LBB68_448
; %bb.447:
	v_ashrrev_i32_e32 v43, 31, v42
	v_lshl_add_u64 v[48:49], v[42:43], 2, v[22:23]
	global_load_dword v43, v[48:49], off
	global_load_dword v45, v[22:23], off offset:104
	s_waitcnt vmcnt(1)
	global_store_dword v[22:23], v43, off offset:104
	s_waitcnt vmcnt(1)
	global_store_dword v[48:49], v45, off
.LBB68_448:
	s_or_b64 exec, exec, s[18:19]
	v_mov_b32_e32 v43, v42
	v_mov_b32_e32 v45, v42
.LBB68_449:
	s_or_b64 exec, exec, s[2:3]
.LBB68_450:
	s_andn2_saveexec_b64 s[0:1], s[0:1]
	s_cbranch_execz .LBB68_452
; %bb.451:
	v_mov_b32_e32 v45, 26
	s_waitcnt vmcnt(6)
	ds_write2_b32 v21, v36, v37 offset0:27 offset1:28
	s_waitcnt vmcnt(4)
	ds_write2_b32 v21, v32, v33 offset0:29 offset1:30
	;; [unrolled: 2-line block ×4, first 2 shown]
.LBB68_452:
	s_or_b64 exec, exec, s[0:1]
	v_cmp_lt_i32_e32 vcc, 26, v45
	s_waitcnt lgkmcnt(0)
	s_barrier
	s_and_saveexec_b64 s[0:1], vcc
	s_cbranch_execz .LBB68_454
; %bb.453:
	ds_read2_b32 v[48:49], v21 offset0:27 offset1:28
	ds_read2_b32 v[50:51], v21 offset0:29 offset1:30
	;; [unrolled: 1-line block ×4, first 2 shown]
	v_mul_f32_e32 v42, v44, v41
	s_waitcnt vmcnt(6) lgkmcnt(3)
	v_pk_fma_f32 v[36:37], v[42:43], v[48:49], v[36:37] op_sel_hi:[0,1,1] neg_lo:[1,0,0] neg_hi:[1,0,0]
	s_waitcnt vmcnt(4) lgkmcnt(2)
	v_pk_fma_f32 v[32:33], v[42:43], v[50:51], v[32:33] op_sel_hi:[0,1,1] neg_lo:[1,0,0] neg_hi:[1,0,0]
	;; [unrolled: 2-line block ×4, first 2 shown]
	v_mov_b32_e32 v41, v42
.LBB68_454:
	s_or_b64 exec, exec, s[0:1]
	v_lshl_add_u32 v42, v45, 2, v21
	s_barrier
	s_waitcnt vmcnt(7)
	ds_write_b32 v42, v36
	s_waitcnt lgkmcnt(0)
	s_barrier
	ds_read_b32 v44, v21 offset:108
	s_cmp_lt_i32 s22, 29
	v_mov_b32_e32 v42, 27
	s_cbranch_scc1 .LBB68_457
; %bb.455:
	v_add_u32_e32 v47, 0x70, v21
	v_mov_b32_e32 v42, 27
	s_mov_b32 s0, 28
.LBB68_456:                             ; =>This Inner Loop Header: Depth=1
	ds_read_b32 v48, v47
	v_mov_b32_e32 v49, s0
	s_add_i32 s0, s0, 1
	v_add_u32_e32 v47, 4, v47
	s_cmp_lg_u32 s22, s0
	s_waitcnt lgkmcnt(0)
	v_cmp_lt_f32_e64 vcc, |v44|, |v48|
	s_nop 1
	v_cndmask_b32_e32 v44, v44, v48, vcc
	v_cndmask_b32_e32 v42, v42, v49, vcc
	s_cbranch_scc1 .LBB68_456
.LBB68_457:
	s_waitcnt lgkmcnt(0)
	v_cmp_eq_f32_e32 vcc, 0, v44
	s_and_saveexec_b64 s[0:1], vcc
	s_xor_b64 s[0:1], exec, s[0:1]
; %bb.458:
	v_cmp_ne_u32_e32 vcc, 0, v46
	s_nop 1
	v_cndmask_b32_e32 v46, 28, v46, vcc
; %bb.459:
	s_andn2_saveexec_b64 s[0:1], s[0:1]
	s_cbranch_execz .LBB68_461
; %bb.460:
	v_div_scale_f32 v47, s[2:3], v44, v44, 1.0
	v_rcp_f32_e32 v48, v47
	v_div_scale_f32 v49, vcc, 1.0, v44, 1.0
	v_fma_f32 v50, -v47, v48, 1.0
	v_fmac_f32_e32 v48, v50, v48
	v_mul_f32_e32 v50, v49, v48
	v_fma_f32 v51, -v47, v50, v49
	v_fmac_f32_e32 v50, v51, v48
	v_fma_f32 v47, -v47, v50, v49
	v_div_fmas_f32 v47, v47, v48, v50
	v_div_fixup_f32 v44, v47, v44, 1.0
.LBB68_461:
	s_or_b64 exec, exec, s[0:1]
	v_cmp_ne_u32_e32 vcc, v45, v42
	s_and_saveexec_b64 s[0:1], vcc
	s_xor_b64 s[0:1], exec, s[0:1]
	s_cbranch_execz .LBB68_467
; %bb.462:
	v_cmp_eq_u32_e32 vcc, 27, v45
	s_and_saveexec_b64 s[2:3], vcc
	s_cbranch_execz .LBB68_466
; %bb.463:
	v_cmp_ne_u32_e32 vcc, 27, v42
	s_xor_b64 s[18:19], s[16:17], -1
	s_and_b64 s[20:21], s[18:19], vcc
	s_and_saveexec_b64 s[18:19], s[20:21]
	s_cbranch_execz .LBB68_465
; %bb.464:
	v_ashrrev_i32_e32 v43, 31, v42
	v_lshl_add_u64 v[48:49], v[42:43], 2, v[22:23]
	global_load_dword v43, v[48:49], off
	global_load_dword v45, v[22:23], off offset:108
	s_waitcnt vmcnt(1)
	global_store_dword v[22:23], v43, off offset:108
	s_waitcnt vmcnt(1)
	global_store_dword v[48:49], v45, off
.LBB68_465:
	s_or_b64 exec, exec, s[18:19]
	v_mov_b32_e32 v43, v42
	v_mov_b32_e32 v45, v42
.LBB68_466:
	s_or_b64 exec, exec, s[2:3]
.LBB68_467:
	s_andn2_saveexec_b64 s[0:1], s[0:1]
	s_cbranch_execz .LBB68_469
; %bb.468:
	s_waitcnt vmcnt(4)
	v_pk_mov_b32 v[48:49], v[36:37], v[32:33] op_sel:[1,0]
	ds_write2_b32 v21, v48, v49 offset0:28 offset1:29
	s_waitcnt vmcnt(2)
	v_pk_mov_b32 v[48:49], v[32:33], v[26:27] op_sel:[1,0]
	ds_write2_b32 v21, v48, v49 offset0:30 offset1:31
	s_waitcnt vmcnt(0)
	v_pk_mov_b32 v[48:49], v[26:27], v[38:39] op_sel:[1,0]
	v_mov_b32_e32 v45, 27
	ds_write2_b32 v21, v48, v49 offset0:32 offset1:33
	ds_write_b32 v21, v39 offset:136
.LBB68_469:
	s_or_b64 exec, exec, s[0:1]
	v_cmp_lt_i32_e32 vcc, 27, v45
	s_waitcnt lgkmcnt(0)
	s_barrier
	s_and_saveexec_b64 s[0:1], vcc
	s_cbranch_execz .LBB68_471
; %bb.470:
	ds_read_b32 v42, v21 offset:112
	ds_read2_b32 v[48:49], v21 offset0:29 offset1:30
	ds_read2_b32 v[50:51], v21 offset0:31 offset1:32
	;; [unrolled: 1-line block ×3, first 2 shown]
	v_mul_f32_e32 v36, v44, v36
	s_waitcnt vmcnt(6) lgkmcnt(3)
	v_fma_f32 v37, -v36, v42, v37
	s_waitcnt vmcnt(4) lgkmcnt(2)
	v_pk_fma_f32 v[32:33], v[36:37], v[48:49], v[32:33] op_sel_hi:[0,1,1] neg_lo:[1,0,0] neg_hi:[1,0,0]
	s_waitcnt vmcnt(2) lgkmcnt(1)
	v_pk_fma_f32 v[26:27], v[36:37], v[50:51], v[26:27] op_sel_hi:[0,1,1] neg_lo:[1,0,0] neg_hi:[1,0,0]
	;; [unrolled: 2-line block ×3, first 2 shown]
.LBB68_471:
	s_or_b64 exec, exec, s[0:1]
	v_lshl_add_u32 v42, v45, 2, v21
	s_barrier
	s_waitcnt vmcnt(6)
	ds_write_b32 v42, v37
	s_waitcnt lgkmcnt(0)
	s_barrier
	ds_read_b32 v44, v21 offset:112
	s_cmp_lt_i32 s22, 30
	v_mov_b32_e32 v42, 28
	s_cbranch_scc1 .LBB68_474
; %bb.472:
	v_add_u32_e32 v47, 0x74, v21
	v_mov_b32_e32 v42, 28
	s_mov_b32 s0, 29
.LBB68_473:                             ; =>This Inner Loop Header: Depth=1
	ds_read_b32 v48, v47
	v_mov_b32_e32 v49, s0
	s_add_i32 s0, s0, 1
	v_add_u32_e32 v47, 4, v47
	s_cmp_lg_u32 s22, s0
	s_waitcnt lgkmcnt(0)
	v_cmp_lt_f32_e64 vcc, |v44|, |v48|
	s_nop 1
	v_cndmask_b32_e32 v44, v44, v48, vcc
	v_cndmask_b32_e32 v42, v42, v49, vcc
	s_cbranch_scc1 .LBB68_473
.LBB68_474:
	s_waitcnt lgkmcnt(0)
	v_cmp_eq_f32_e32 vcc, 0, v44
	s_and_saveexec_b64 s[0:1], vcc
	s_xor_b64 s[0:1], exec, s[0:1]
; %bb.475:
	v_cmp_ne_u32_e32 vcc, 0, v46
	s_nop 1
	v_cndmask_b32_e32 v46, 29, v46, vcc
; %bb.476:
	s_andn2_saveexec_b64 s[0:1], s[0:1]
	s_cbranch_execz .LBB68_478
; %bb.477:
	v_div_scale_f32 v47, s[2:3], v44, v44, 1.0
	v_rcp_f32_e32 v48, v47
	v_div_scale_f32 v49, vcc, 1.0, v44, 1.0
	v_fma_f32 v50, -v47, v48, 1.0
	v_fmac_f32_e32 v48, v50, v48
	v_mul_f32_e32 v50, v49, v48
	v_fma_f32 v51, -v47, v50, v49
	v_fmac_f32_e32 v50, v51, v48
	v_fma_f32 v47, -v47, v50, v49
	v_div_fmas_f32 v47, v47, v48, v50
	v_div_fixup_f32 v44, v47, v44, 1.0
.LBB68_478:
	s_or_b64 exec, exec, s[0:1]
	v_cmp_ne_u32_e32 vcc, v45, v42
	s_and_saveexec_b64 s[0:1], vcc
	s_xor_b64 s[0:1], exec, s[0:1]
	s_cbranch_execz .LBB68_484
; %bb.479:
	v_cmp_eq_u32_e32 vcc, 28, v45
	s_and_saveexec_b64 s[2:3], vcc
	s_cbranch_execz .LBB68_483
; %bb.480:
	v_cmp_ne_u32_e32 vcc, 28, v42
	s_xor_b64 s[18:19], s[16:17], -1
	s_and_b64 s[20:21], s[18:19], vcc
	s_and_saveexec_b64 s[18:19], s[20:21]
	s_cbranch_execz .LBB68_482
; %bb.481:
	v_ashrrev_i32_e32 v43, 31, v42
	v_lshl_add_u64 v[48:49], v[42:43], 2, v[22:23]
	global_load_dword v43, v[48:49], off
	global_load_dword v45, v[22:23], off offset:112
	s_waitcnt vmcnt(1)
	global_store_dword v[22:23], v43, off offset:112
	s_waitcnt vmcnt(1)
	global_store_dword v[48:49], v45, off
.LBB68_482:
	s_or_b64 exec, exec, s[18:19]
	v_mov_b32_e32 v43, v42
	v_mov_b32_e32 v45, v42
.LBB68_483:
	s_or_b64 exec, exec, s[2:3]
.LBB68_484:
	s_andn2_saveexec_b64 s[0:1], s[0:1]
	s_cbranch_execz .LBB68_486
; %bb.485:
	v_mov_b32_e32 v45, 28
	s_waitcnt vmcnt(4)
	ds_write2_b32 v21, v32, v33 offset0:29 offset1:30
	s_waitcnt vmcnt(2)
	ds_write2_b32 v21, v26, v27 offset0:31 offset1:32
	;; [unrolled: 2-line block ×3, first 2 shown]
.LBB68_486:
	s_or_b64 exec, exec, s[0:1]
	v_cmp_lt_i32_e32 vcc, 28, v45
	s_waitcnt lgkmcnt(0)
	s_barrier
	s_and_saveexec_b64 s[0:1], vcc
	s_cbranch_execz .LBB68_488
; %bb.487:
	ds_read2_b32 v[48:49], v21 offset0:29 offset1:30
	ds_read2_b32 v[50:51], v21 offset0:31 offset1:32
	;; [unrolled: 1-line block ×3, first 2 shown]
	v_mul_f32_e32 v42, v44, v37
	v_mov_b32_e32 v37, v42
	s_waitcnt vmcnt(4) lgkmcnt(2)
	v_pk_fma_f32 v[32:33], v[42:43], v[48:49], v[32:33] op_sel_hi:[0,1,1] neg_lo:[1,0,0] neg_hi:[1,0,0]
	s_waitcnt vmcnt(2) lgkmcnt(1)
	v_pk_fma_f32 v[26:27], v[42:43], v[50:51], v[26:27] op_sel_hi:[0,1,1] neg_lo:[1,0,0] neg_hi:[1,0,0]
	;; [unrolled: 2-line block ×3, first 2 shown]
.LBB68_488:
	s_or_b64 exec, exec, s[0:1]
	v_lshl_add_u32 v42, v45, 2, v21
	s_barrier
	s_waitcnt vmcnt(5)
	ds_write_b32 v42, v32
	s_waitcnt lgkmcnt(0)
	s_barrier
	ds_read_b32 v44, v21 offset:116
	s_cmp_lt_i32 s22, 31
	v_mov_b32_e32 v42, 29
	s_cbranch_scc1 .LBB68_491
; %bb.489:
	v_add_u32_e32 v47, 0x78, v21
	v_mov_b32_e32 v42, 29
	s_mov_b32 s0, 30
.LBB68_490:                             ; =>This Inner Loop Header: Depth=1
	ds_read_b32 v48, v47
	v_mov_b32_e32 v49, s0
	s_add_i32 s0, s0, 1
	v_add_u32_e32 v47, 4, v47
	s_cmp_lg_u32 s22, s0
	s_waitcnt lgkmcnt(0)
	v_cmp_lt_f32_e64 vcc, |v44|, |v48|
	s_nop 1
	v_cndmask_b32_e32 v44, v44, v48, vcc
	v_cndmask_b32_e32 v42, v42, v49, vcc
	s_cbranch_scc1 .LBB68_490
.LBB68_491:
	s_waitcnt lgkmcnt(0)
	v_cmp_eq_f32_e32 vcc, 0, v44
	s_and_saveexec_b64 s[0:1], vcc
	s_xor_b64 s[0:1], exec, s[0:1]
; %bb.492:
	v_cmp_ne_u32_e32 vcc, 0, v46
	s_nop 1
	v_cndmask_b32_e32 v46, 30, v46, vcc
; %bb.493:
	s_andn2_saveexec_b64 s[0:1], s[0:1]
	s_cbranch_execz .LBB68_495
; %bb.494:
	v_div_scale_f32 v47, s[2:3], v44, v44, 1.0
	v_rcp_f32_e32 v48, v47
	v_div_scale_f32 v49, vcc, 1.0, v44, 1.0
	v_fma_f32 v50, -v47, v48, 1.0
	v_fmac_f32_e32 v48, v50, v48
	v_mul_f32_e32 v50, v49, v48
	v_fma_f32 v51, -v47, v50, v49
	v_fmac_f32_e32 v50, v51, v48
	v_fma_f32 v47, -v47, v50, v49
	v_div_fmas_f32 v47, v47, v48, v50
	v_div_fixup_f32 v44, v47, v44, 1.0
.LBB68_495:
	s_or_b64 exec, exec, s[0:1]
	v_cmp_ne_u32_e32 vcc, v45, v42
	s_and_saveexec_b64 s[0:1], vcc
	s_xor_b64 s[0:1], exec, s[0:1]
	s_cbranch_execz .LBB68_501
; %bb.496:
	v_cmp_eq_u32_e32 vcc, 29, v45
	s_and_saveexec_b64 s[2:3], vcc
	s_cbranch_execz .LBB68_500
; %bb.497:
	v_cmp_ne_u32_e32 vcc, 29, v42
	s_xor_b64 s[18:19], s[16:17], -1
	s_and_b64 s[20:21], s[18:19], vcc
	s_and_saveexec_b64 s[18:19], s[20:21]
	s_cbranch_execz .LBB68_499
; %bb.498:
	v_ashrrev_i32_e32 v43, 31, v42
	v_lshl_add_u64 v[48:49], v[42:43], 2, v[22:23]
	global_load_dword v43, v[48:49], off
	global_load_dword v45, v[22:23], off offset:116
	s_waitcnt vmcnt(1)
	global_store_dword v[22:23], v43, off offset:116
	s_waitcnt vmcnt(1)
	global_store_dword v[48:49], v45, off
.LBB68_499:
	s_or_b64 exec, exec, s[18:19]
	v_mov_b32_e32 v43, v42
	v_mov_b32_e32 v45, v42
.LBB68_500:
	s_or_b64 exec, exec, s[2:3]
.LBB68_501:
	s_andn2_saveexec_b64 s[0:1], s[0:1]
	s_cbranch_execz .LBB68_503
; %bb.502:
	s_waitcnt vmcnt(2)
	v_pk_mov_b32 v[48:49], v[32:33], v[26:27] op_sel:[1,0]
	ds_write2_b32 v21, v48, v49 offset0:30 offset1:31
	s_waitcnt vmcnt(0)
	v_pk_mov_b32 v[48:49], v[26:27], v[38:39] op_sel:[1,0]
	v_mov_b32_e32 v45, 29
	ds_write2_b32 v21, v48, v49 offset0:32 offset1:33
	ds_write_b32 v21, v39 offset:136
.LBB68_503:
	s_or_b64 exec, exec, s[0:1]
	v_cmp_lt_i32_e32 vcc, 29, v45
	s_waitcnt lgkmcnt(0)
	s_barrier
	s_and_saveexec_b64 s[0:1], vcc
	s_cbranch_execz .LBB68_505
; %bb.504:
	ds_read_b32 v42, v21 offset:120
	ds_read2_b32 v[48:49], v21 offset0:31 offset1:32
	ds_read2_b32 v[50:51], v21 offset0:33 offset1:34
	v_mul_f32_e32 v32, v44, v32
	s_waitcnt vmcnt(4) lgkmcnt(2)
	v_fma_f32 v33, -v32, v42, v33
	s_waitcnt vmcnt(2) lgkmcnt(1)
	v_pk_fma_f32 v[26:27], v[32:33], v[48:49], v[26:27] op_sel_hi:[0,1,1] neg_lo:[1,0,0] neg_hi:[1,0,0]
	s_waitcnt vmcnt(0) lgkmcnt(0)
	v_pk_fma_f32 v[38:39], v[32:33], v[50:51], v[38:39] op_sel_hi:[0,1,1] neg_lo:[1,0,0] neg_hi:[1,0,0]
.LBB68_505:
	s_or_b64 exec, exec, s[0:1]
	v_lshl_add_u32 v42, v45, 2, v21
	s_barrier
	s_waitcnt vmcnt(4)
	ds_write_b32 v42, v33
	s_waitcnt lgkmcnt(0)
	s_barrier
	ds_read_b32 v44, v21 offset:120
	s_cmp_lt_i32 s22, 32
	v_mov_b32_e32 v42, 30
	s_cbranch_scc1 .LBB68_508
; %bb.506:
	v_add_u32_e32 v47, 0x7c, v21
	v_mov_b32_e32 v42, 30
	s_mov_b32 s0, 31
.LBB68_507:                             ; =>This Inner Loop Header: Depth=1
	ds_read_b32 v48, v47
	v_mov_b32_e32 v49, s0
	s_add_i32 s0, s0, 1
	v_add_u32_e32 v47, 4, v47
	s_cmp_lg_u32 s22, s0
	s_waitcnt lgkmcnt(0)
	v_cmp_lt_f32_e64 vcc, |v44|, |v48|
	s_nop 1
	v_cndmask_b32_e32 v44, v44, v48, vcc
	v_cndmask_b32_e32 v42, v42, v49, vcc
	s_cbranch_scc1 .LBB68_507
.LBB68_508:
	s_waitcnt lgkmcnt(0)
	v_cmp_eq_f32_e32 vcc, 0, v44
	s_and_saveexec_b64 s[0:1], vcc
	s_xor_b64 s[0:1], exec, s[0:1]
; %bb.509:
	v_cmp_ne_u32_e32 vcc, 0, v46
	s_nop 1
	v_cndmask_b32_e32 v46, 31, v46, vcc
; %bb.510:
	s_andn2_saveexec_b64 s[0:1], s[0:1]
	s_cbranch_execz .LBB68_512
; %bb.511:
	v_div_scale_f32 v47, s[2:3], v44, v44, 1.0
	v_rcp_f32_e32 v48, v47
	v_div_scale_f32 v49, vcc, 1.0, v44, 1.0
	v_fma_f32 v50, -v47, v48, 1.0
	v_fmac_f32_e32 v48, v50, v48
	v_mul_f32_e32 v50, v49, v48
	v_fma_f32 v51, -v47, v50, v49
	v_fmac_f32_e32 v50, v51, v48
	v_fma_f32 v47, -v47, v50, v49
	v_div_fmas_f32 v47, v47, v48, v50
	v_div_fixup_f32 v44, v47, v44, 1.0
.LBB68_512:
	s_or_b64 exec, exec, s[0:1]
	v_cmp_ne_u32_e32 vcc, v45, v42
	s_and_saveexec_b64 s[0:1], vcc
	s_xor_b64 s[0:1], exec, s[0:1]
	s_cbranch_execz .LBB68_518
; %bb.513:
	v_cmp_eq_u32_e32 vcc, 30, v45
	s_and_saveexec_b64 s[2:3], vcc
	s_cbranch_execz .LBB68_517
; %bb.514:
	v_cmp_ne_u32_e32 vcc, 30, v42
	s_xor_b64 s[18:19], s[16:17], -1
	s_and_b64 s[20:21], s[18:19], vcc
	s_and_saveexec_b64 s[18:19], s[20:21]
	s_cbranch_execz .LBB68_516
; %bb.515:
	v_ashrrev_i32_e32 v43, 31, v42
	v_lshl_add_u64 v[48:49], v[42:43], 2, v[22:23]
	global_load_dword v43, v[48:49], off
	global_load_dword v45, v[22:23], off offset:120
	s_waitcnt vmcnt(1)
	global_store_dword v[22:23], v43, off offset:120
	s_waitcnt vmcnt(1)
	global_store_dword v[48:49], v45, off
.LBB68_516:
	s_or_b64 exec, exec, s[18:19]
	v_mov_b32_e32 v43, v42
	v_mov_b32_e32 v45, v42
.LBB68_517:
	s_or_b64 exec, exec, s[2:3]
.LBB68_518:
	s_andn2_saveexec_b64 s[0:1], s[0:1]
	s_cbranch_execz .LBB68_520
; %bb.519:
	v_mov_b32_e32 v45, 30
	s_waitcnt vmcnt(2)
	ds_write2_b32 v21, v26, v27 offset0:31 offset1:32
	s_waitcnt vmcnt(0)
	ds_write2_b32 v21, v38, v39 offset0:33 offset1:34
.LBB68_520:
	s_or_b64 exec, exec, s[0:1]
	v_cmp_lt_i32_e32 vcc, 30, v45
	s_waitcnt lgkmcnt(0)
	s_barrier
	s_and_saveexec_b64 s[0:1], vcc
	s_cbranch_execz .LBB68_522
; %bb.521:
	ds_read2_b32 v[48:49], v21 offset0:31 offset1:32
	ds_read2_b32 v[50:51], v21 offset0:33 offset1:34
	v_mul_f32_e32 v42, v44, v33
	v_mov_b32_e32 v33, v42
	s_waitcnt vmcnt(2) lgkmcnt(1)
	v_pk_fma_f32 v[26:27], v[42:43], v[48:49], v[26:27] op_sel_hi:[0,1,1] neg_lo:[1,0,0] neg_hi:[1,0,0]
	s_waitcnt vmcnt(0) lgkmcnt(0)
	v_pk_fma_f32 v[38:39], v[42:43], v[50:51], v[38:39] op_sel_hi:[0,1,1] neg_lo:[1,0,0] neg_hi:[1,0,0]
.LBB68_522:
	s_or_b64 exec, exec, s[0:1]
	v_lshl_add_u32 v42, v45, 2, v21
	s_barrier
	s_waitcnt vmcnt(3)
	ds_write_b32 v42, v26
	s_waitcnt lgkmcnt(0)
	s_barrier
	ds_read_b32 v44, v21 offset:124
	s_cmp_lt_i32 s22, 33
	v_mov_b32_e32 v42, 31
	s_cbranch_scc1 .LBB68_525
; %bb.523:
	v_add_u32_e32 v47, 0x80, v21
	v_mov_b32_e32 v42, 31
	s_mov_b32 s0, 32
.LBB68_524:                             ; =>This Inner Loop Header: Depth=1
	ds_read_b32 v48, v47
	v_mov_b32_e32 v49, s0
	s_add_i32 s0, s0, 1
	v_add_u32_e32 v47, 4, v47
	s_cmp_lg_u32 s22, s0
	s_waitcnt lgkmcnt(0)
	v_cmp_lt_f32_e64 vcc, |v44|, |v48|
	s_nop 1
	v_cndmask_b32_e32 v44, v44, v48, vcc
	v_cndmask_b32_e32 v42, v42, v49, vcc
	s_cbranch_scc1 .LBB68_524
.LBB68_525:
	s_waitcnt lgkmcnt(0)
	v_cmp_eq_f32_e32 vcc, 0, v44
	s_and_saveexec_b64 s[0:1], vcc
	s_xor_b64 s[0:1], exec, s[0:1]
; %bb.526:
	v_cmp_ne_u32_e32 vcc, 0, v46
	s_nop 1
	v_cndmask_b32_e32 v46, 32, v46, vcc
; %bb.527:
	s_andn2_saveexec_b64 s[0:1], s[0:1]
	s_cbranch_execz .LBB68_529
; %bb.528:
	v_div_scale_f32 v47, s[2:3], v44, v44, 1.0
	v_rcp_f32_e32 v48, v47
	v_div_scale_f32 v49, vcc, 1.0, v44, 1.0
	v_fma_f32 v50, -v47, v48, 1.0
	v_fmac_f32_e32 v48, v50, v48
	v_mul_f32_e32 v50, v49, v48
	v_fma_f32 v51, -v47, v50, v49
	v_fmac_f32_e32 v50, v51, v48
	v_fma_f32 v47, -v47, v50, v49
	v_div_fmas_f32 v47, v47, v48, v50
	v_div_fixup_f32 v44, v47, v44, 1.0
.LBB68_529:
	s_or_b64 exec, exec, s[0:1]
	v_cmp_ne_u32_e32 vcc, v45, v42
	s_and_saveexec_b64 s[0:1], vcc
	s_xor_b64 s[0:1], exec, s[0:1]
	s_cbranch_execz .LBB68_535
; %bb.530:
	v_cmp_eq_u32_e32 vcc, 31, v45
	s_and_saveexec_b64 s[2:3], vcc
	s_cbranch_execz .LBB68_534
; %bb.531:
	v_cmp_ne_u32_e32 vcc, 31, v42
	s_xor_b64 s[18:19], s[16:17], -1
	s_and_b64 s[20:21], s[18:19], vcc
	s_and_saveexec_b64 s[18:19], s[20:21]
	s_cbranch_execz .LBB68_533
; %bb.532:
	v_ashrrev_i32_e32 v43, 31, v42
	v_lshl_add_u64 v[48:49], v[42:43], 2, v[22:23]
	global_load_dword v43, v[48:49], off
	global_load_dword v45, v[22:23], off offset:124
	s_waitcnt vmcnt(1)
	global_store_dword v[22:23], v43, off offset:124
	s_waitcnt vmcnt(1)
	global_store_dword v[48:49], v45, off
.LBB68_533:
	s_or_b64 exec, exec, s[18:19]
	v_mov_b32_e32 v43, v42
	v_mov_b32_e32 v45, v42
.LBB68_534:
	s_or_b64 exec, exec, s[2:3]
.LBB68_535:
	s_andn2_saveexec_b64 s[0:1], s[0:1]
	s_cbranch_execz .LBB68_537
; %bb.536:
	s_waitcnt vmcnt(0)
	v_pk_mov_b32 v[48:49], v[26:27], v[38:39] op_sel:[1,0]
	v_mov_b32_e32 v45, 31
	ds_write2_b32 v21, v48, v49 offset0:32 offset1:33
	ds_write_b32 v21, v39 offset:136
.LBB68_537:
	s_or_b64 exec, exec, s[0:1]
	v_cmp_lt_i32_e32 vcc, 31, v45
	s_waitcnt lgkmcnt(0)
	s_barrier
	s_and_saveexec_b64 s[0:1], vcc
	s_cbranch_execz .LBB68_539
; %bb.538:
	ds_read_b32 v42, v21 offset:128
	ds_read2_b32 v[48:49], v21 offset0:33 offset1:34
	v_mul_f32_e32 v26, v44, v26
	s_waitcnt vmcnt(2) lgkmcnt(1)
	v_fma_f32 v27, -v26, v42, v27
	s_waitcnt vmcnt(0) lgkmcnt(0)
	v_pk_fma_f32 v[38:39], v[26:27], v[48:49], v[38:39] op_sel_hi:[0,1,1] neg_lo:[1,0,0] neg_hi:[1,0,0]
.LBB68_539:
	s_or_b64 exec, exec, s[0:1]
	v_lshl_add_u32 v42, v45, 2, v21
	s_barrier
	s_waitcnt vmcnt(2)
	ds_write_b32 v42, v27
	s_waitcnt lgkmcnt(0)
	s_barrier
	ds_read_b32 v44, v21 offset:128
	s_cmp_lt_i32 s22, 34
	v_mov_b32_e32 v42, 32
	s_cbranch_scc1 .LBB68_542
; %bb.540:
	v_add_u32_e32 v47, 0x84, v21
	v_mov_b32_e32 v42, 32
	s_mov_b32 s0, 33
.LBB68_541:                             ; =>This Inner Loop Header: Depth=1
	ds_read_b32 v48, v47
	v_mov_b32_e32 v49, s0
	s_add_i32 s0, s0, 1
	v_add_u32_e32 v47, 4, v47
	s_cmp_lg_u32 s22, s0
	s_waitcnt lgkmcnt(0)
	v_cmp_lt_f32_e64 vcc, |v44|, |v48|
	s_nop 1
	v_cndmask_b32_e32 v44, v44, v48, vcc
	v_cndmask_b32_e32 v42, v42, v49, vcc
	s_cbranch_scc1 .LBB68_541
.LBB68_542:
	s_waitcnt lgkmcnt(0)
	v_cmp_eq_f32_e32 vcc, 0, v44
	s_and_saveexec_b64 s[0:1], vcc
	s_xor_b64 s[0:1], exec, s[0:1]
; %bb.543:
	v_cmp_ne_u32_e32 vcc, 0, v46
	s_nop 1
	v_cndmask_b32_e32 v46, 33, v46, vcc
; %bb.544:
	s_andn2_saveexec_b64 s[0:1], s[0:1]
	s_cbranch_execz .LBB68_546
; %bb.545:
	v_div_scale_f32 v47, s[2:3], v44, v44, 1.0
	v_rcp_f32_e32 v48, v47
	v_div_scale_f32 v49, vcc, 1.0, v44, 1.0
	v_fma_f32 v50, -v47, v48, 1.0
	v_fmac_f32_e32 v48, v50, v48
	v_mul_f32_e32 v50, v49, v48
	v_fma_f32 v51, -v47, v50, v49
	v_fmac_f32_e32 v50, v51, v48
	v_fma_f32 v47, -v47, v50, v49
	v_div_fmas_f32 v47, v47, v48, v50
	v_div_fixup_f32 v44, v47, v44, 1.0
.LBB68_546:
	s_or_b64 exec, exec, s[0:1]
	v_cmp_ne_u32_e32 vcc, v45, v42
	s_and_saveexec_b64 s[0:1], vcc
	s_xor_b64 s[0:1], exec, s[0:1]
	s_cbranch_execz .LBB68_552
; %bb.547:
	v_cmp_eq_u32_e32 vcc, 32, v45
	s_and_saveexec_b64 s[2:3], vcc
	s_cbranch_execz .LBB68_551
; %bb.548:
	v_cmp_ne_u32_e32 vcc, 32, v42
	s_xor_b64 s[18:19], s[16:17], -1
	s_and_b64 s[20:21], s[18:19], vcc
	s_and_saveexec_b64 s[18:19], s[20:21]
	s_cbranch_execz .LBB68_550
; %bb.549:
	v_ashrrev_i32_e32 v43, 31, v42
	v_lshl_add_u64 v[48:49], v[42:43], 2, v[22:23]
	global_load_dword v43, v[48:49], off
	global_load_dword v45, v[22:23], off offset:128
	s_waitcnt vmcnt(1)
	global_store_dword v[22:23], v43, off offset:128
	s_waitcnt vmcnt(1)
	global_store_dword v[48:49], v45, off
.LBB68_550:
	s_or_b64 exec, exec, s[18:19]
	v_mov_b32_e32 v43, v42
	v_mov_b32_e32 v45, v42
.LBB68_551:
	s_or_b64 exec, exec, s[2:3]
.LBB68_552:
	s_andn2_saveexec_b64 s[0:1], s[0:1]
	s_cbranch_execz .LBB68_554
; %bb.553:
	v_mov_b32_e32 v45, 32
	s_waitcnt vmcnt(0)
	ds_write2_b32 v21, v38, v39 offset0:33 offset1:34
.LBB68_554:
	s_or_b64 exec, exec, s[0:1]
	v_cmp_lt_i32_e32 vcc, 32, v45
	s_waitcnt lgkmcnt(0)
	s_barrier
	s_and_saveexec_b64 s[0:1], vcc
	s_cbranch_execz .LBB68_556
; %bb.555:
	ds_read2_b32 v[48:49], v21 offset0:33 offset1:34
	v_mul_f32_e32 v42, v44, v27
	v_mov_b32_e32 v27, v42
	s_waitcnt vmcnt(0) lgkmcnt(0)
	v_pk_fma_f32 v[38:39], v[42:43], v[48:49], v[38:39] op_sel_hi:[0,1,1] neg_lo:[1,0,0] neg_hi:[1,0,0]
.LBB68_556:
	s_or_b64 exec, exec, s[0:1]
	v_lshl_add_u32 v42, v45, 2, v21
	s_barrier
	s_waitcnt vmcnt(1)
	ds_write_b32 v42, v38
	s_waitcnt lgkmcnt(0)
	s_barrier
	ds_read_b32 v44, v21 offset:132
	s_cmp_lt_i32 s22, 35
	v_mov_b32_e32 v42, 33
	s_cbranch_scc1 .LBB68_559
; %bb.557:
	v_add_u32_e32 v47, 0x88, v21
	v_mov_b32_e32 v42, 33
	s_mov_b32 s0, 34
.LBB68_558:                             ; =>This Inner Loop Header: Depth=1
	ds_read_b32 v48, v47
	v_mov_b32_e32 v49, s0
	s_add_i32 s0, s0, 1
	v_add_u32_e32 v47, 4, v47
	s_cmp_lg_u32 s22, s0
	s_waitcnt lgkmcnt(0)
	v_cmp_lt_f32_e64 vcc, |v44|, |v48|
	s_nop 1
	v_cndmask_b32_e32 v44, v44, v48, vcc
	v_cndmask_b32_e32 v42, v42, v49, vcc
	s_cbranch_scc1 .LBB68_558
.LBB68_559:
	s_waitcnt lgkmcnt(0)
	v_cmp_eq_f32_e32 vcc, 0, v44
	s_and_saveexec_b64 s[0:1], vcc
	s_xor_b64 s[0:1], exec, s[0:1]
; %bb.560:
	v_cmp_ne_u32_e32 vcc, 0, v46
	s_nop 1
	v_cndmask_b32_e32 v46, 34, v46, vcc
; %bb.561:
	s_andn2_saveexec_b64 s[0:1], s[0:1]
	s_cbranch_execz .LBB68_563
; %bb.562:
	v_div_scale_f32 v47, s[2:3], v44, v44, 1.0
	v_rcp_f32_e32 v48, v47
	v_div_scale_f32 v49, vcc, 1.0, v44, 1.0
	v_fma_f32 v50, -v47, v48, 1.0
	v_fmac_f32_e32 v48, v50, v48
	v_mul_f32_e32 v50, v49, v48
	v_fma_f32 v51, -v47, v50, v49
	v_fmac_f32_e32 v50, v51, v48
	v_fma_f32 v47, -v47, v50, v49
	v_div_fmas_f32 v47, v47, v48, v50
	v_div_fixup_f32 v44, v47, v44, 1.0
.LBB68_563:
	s_or_b64 exec, exec, s[0:1]
	v_cmp_ne_u32_e32 vcc, v45, v42
	s_and_saveexec_b64 s[0:1], vcc
	s_xor_b64 s[0:1], exec, s[0:1]
	s_cbranch_execz .LBB68_569
; %bb.564:
	v_cmp_eq_u32_e32 vcc, 33, v45
	s_and_saveexec_b64 s[2:3], vcc
	s_cbranch_execz .LBB68_568
; %bb.565:
	v_cmp_ne_u32_e32 vcc, 33, v42
	s_xor_b64 s[18:19], s[16:17], -1
	s_and_b64 s[20:21], s[18:19], vcc
	s_and_saveexec_b64 s[18:19], s[20:21]
	s_cbranch_execz .LBB68_567
; %bb.566:
	v_ashrrev_i32_e32 v43, 31, v42
	v_lshl_add_u64 v[48:49], v[42:43], 2, v[22:23]
	global_load_dword v43, v[48:49], off
	global_load_dword v45, v[22:23], off offset:132
	s_waitcnt vmcnt(1)
	global_store_dword v[22:23], v43, off offset:132
	s_waitcnt vmcnt(1)
	global_store_dword v[48:49], v45, off
.LBB68_567:
	s_or_b64 exec, exec, s[18:19]
	v_mov_b32_e32 v43, v42
	v_mov_b32_e32 v45, v42
.LBB68_568:
	s_or_b64 exec, exec, s[2:3]
.LBB68_569:
	s_andn2_saveexec_b64 s[0:1], s[0:1]
	s_cbranch_execz .LBB68_571
; %bb.570:
	v_mov_b32_e32 v45, 33
	s_waitcnt vmcnt(0)
	ds_write_b32 v21, v39 offset:136
.LBB68_571:
	s_or_b64 exec, exec, s[0:1]
	v_cmp_lt_i32_e32 vcc, 33, v45
	s_waitcnt lgkmcnt(0)
	s_barrier
	s_and_saveexec_b64 s[0:1], vcc
	s_cbranch_execz .LBB68_573
; %bb.572:
	ds_read_b32 v42, v21 offset:136
	v_mul_f32_e32 v38, v44, v38
	s_waitcnt vmcnt(0) lgkmcnt(0)
	v_fma_f32 v39, -v38, v42, v39
.LBB68_573:
	s_or_b64 exec, exec, s[0:1]
	v_lshl_add_u32 v42, v45, 2, v21
	s_barrier
	s_waitcnt vmcnt(0)
	ds_write_b32 v42, v39
	s_waitcnt lgkmcnt(0)
	s_barrier
	ds_read_b32 v47, v21 offset:136
	s_cmp_lt_i32 s22, 36
	v_mov_b32_e32 v42, 34
	s_cbranch_scc1 .LBB68_576
; %bb.574:
	v_add_u32_e32 v21, 0x8c, v21
	v_mov_b32_e32 v42, 34
	s_mov_b32 s0, 35
.LBB68_575:                             ; =>This Inner Loop Header: Depth=1
	ds_read_b32 v44, v21
	v_mov_b32_e32 v48, s0
	s_add_i32 s0, s0, 1
	v_add_u32_e32 v21, 4, v21
	s_cmp_lg_u32 s22, s0
	s_waitcnt lgkmcnt(0)
	v_cmp_lt_f32_e64 vcc, |v47|, |v44|
	s_nop 1
	v_cndmask_b32_e32 v47, v47, v44, vcc
	v_cndmask_b32_e32 v42, v42, v48, vcc
	s_cbranch_scc1 .LBB68_575
.LBB68_576:
	s_waitcnt lgkmcnt(0)
	v_cmp_eq_f32_e32 vcc, 0, v47
	s_and_saveexec_b64 s[0:1], vcc
	s_xor_b64 s[0:1], exec, s[0:1]
; %bb.577:
	v_cmp_ne_u32_e32 vcc, 0, v46
	s_nop 1
	v_cndmask_b32_e32 v46, 35, v46, vcc
; %bb.578:
	s_andn2_saveexec_b64 s[0:1], s[0:1]
	s_cbranch_execz .LBB68_580
; %bb.579:
	v_div_scale_f32 v21, s[2:3], v47, v47, 1.0
	v_rcp_f32_e32 v44, v21
	v_div_scale_f32 v48, vcc, 1.0, v47, 1.0
	v_fma_f32 v49, -v21, v44, 1.0
	v_fmac_f32_e32 v44, v49, v44
	v_mul_f32_e32 v49, v48, v44
	v_fma_f32 v50, -v21, v49, v48
	v_fmac_f32_e32 v49, v50, v44
	v_fma_f32 v21, -v21, v49, v48
	v_div_fmas_f32 v21, v21, v44, v49
	v_div_fixup_f32 v47, v21, v47, 1.0
.LBB68_580:
	s_or_b64 exec, exec, s[0:1]
	v_cmp_ne_u32_e32 vcc, v45, v42
	v_mov_b32_e32 v44, 34
	s_and_saveexec_b64 s[0:1], vcc
	s_cbranch_execz .LBB68_586
; %bb.581:
	v_cmp_eq_u32_e32 vcc, 34, v45
	s_and_saveexec_b64 s[2:3], vcc
	s_cbranch_execz .LBB68_585
; %bb.582:
	v_cmp_ne_u32_e32 vcc, 34, v42
	s_xor_b64 s[16:17], s[16:17], -1
	s_and_b64 s[18:19], s[16:17], vcc
	s_and_saveexec_b64 s[16:17], s[18:19]
	s_cbranch_execz .LBB68_584
; %bb.583:
	v_ashrrev_i32_e32 v43, 31, v42
	v_lshl_add_u64 v[44:45], v[42:43], 2, v[22:23]
	global_load_dword v21, v[44:45], off
	global_load_dword v43, v[22:23], off offset:136
	s_waitcnt vmcnt(1)
	global_store_dword v[22:23], v21, off offset:136
	s_waitcnt vmcnt(1)
	global_store_dword v[44:45], v43, off
.LBB68_584:
	s_or_b64 exec, exec, s[16:17]
	v_mov_b32_e32 v43, v42
	v_mov_b32_e32 v45, v42
.LBB68_585:
	s_or_b64 exec, exec, s[2:3]
	v_mov_b32_e32 v44, v45
.LBB68_586:
	s_or_b64 exec, exec, s[0:1]
	v_cmp_gt_i32_e32 vcc, 35, v44
	v_ashrrev_i32_e32 v45, 31, v44
	s_barrier
	s_barrier
	s_and_saveexec_b64 s[0:1], vcc
	s_cbranch_execz .LBB68_588
; %bb.587:
	v_mul_lo_u32 v21, s11, v4
	v_mul_lo_u32 v42, s10, v5
	v_mad_u64_u32 v[48:49], s[2:3], s10, v4, 0
	v_mov_b32_e32 v22, s6
	v_mov_b32_e32 v23, s7
	v_add3_u32 v49, v49, v42, v21
	v_lshl_add_u64 v[22:23], v[48:49], 2, v[22:23]
	v_lshl_add_u64 v[22:23], s[8:9], 2, v[22:23]
	;; [unrolled: 1-line block ×3, first 2 shown]
	v_add3_u32 v21, v43, s15, 1
	global_store_dword v[22:23], v21, off
.LBB68_588:
	s_or_b64 exec, exec, s[0:1]
	v_cmp_eq_u32_e32 vcc, 0, v44
	s_and_saveexec_b64 s[2:3], vcc
	s_cbranch_execz .LBB68_591
; %bb.589:
	v_mov_b32_e32 v22, s4
	v_mov_b32_e32 v23, s5
	v_lshl_add_u64 v[4:5], v[4:5], 2, v[22:23]
	global_load_dword v21, v[4:5], off
	v_cmp_ne_u32_e64 s[0:1], 0, v46
	s_waitcnt vmcnt(0)
	v_cmp_eq_u32_e32 vcc, 0, v21
	s_and_b64 s[0:1], vcc, s[0:1]
	s_and_b64 exec, exec, s[0:1]
	s_cbranch_execz .LBB68_591
; %bb.590:
	v_add_u32_e32 v21, s15, v46
	global_store_dword v[4:5], v21, off
.LBB68_591:
	s_or_b64 exec, exec, s[2:3]
	v_mul_f32_e32 v4, v47, v39
	v_cmp_lt_i32_e32 vcc, 34, v44
	s_nop 1
	v_cndmask_b32_e32 v22, v39, v4, vcc
	v_lshl_add_u64 v[4:5], v[44:45], 2, v[2:3]
	global_store_dword v[4:5], v20, off
	v_lshl_add_u64 v[4:5], s[12:13], 2, v[4:5]
	global_store_dword v[4:5], v14, off
	v_add_u32_e32 v4, s14, v44
	v_ashrrev_i32_e32 v5, 31, v4
	v_lshl_add_u64 v[20:21], v[4:5], 2, v[2:3]
	v_add_u32_e32 v4, s12, v4
	v_ashrrev_i32_e32 v5, 31, v4
	global_store_dword v[20:21], v15, off
	v_lshl_add_u64 v[14:15], v[4:5], 2, v[2:3]
	v_add_u32_e32 v4, s12, v4
	v_ashrrev_i32_e32 v5, 31, v4
	global_store_dword v[14:15], v10, off
	;; [unrolled: 4-line block ×6, first 2 shown]
	v_lshl_add_u64 v[6:7], v[4:5], 2, v[2:3]
	v_add_u32_e32 v0, s12, v4
	global_store_dword v[6:7], v1, off
	v_ashrrev_i32_e32 v1, 31, v0
	v_lshl_add_u64 v[4:5], v[0:1], 2, v[2:3]
	v_add_u32_e32 v0, s12, v0
	v_ashrrev_i32_e32 v1, 31, v0
	global_store_dword v[4:5], v28, off
	v_lshl_add_u64 v[4:5], v[0:1], 2, v[2:3]
	v_add_u32_e32 v0, s12, v0
	v_ashrrev_i32_e32 v1, 31, v0
	global_store_dword v[4:5], v29, off
	;; [unrolled: 4-line block ×24, first 2 shown]
	v_lshl_add_u64 v[4:5], v[0:1], 2, v[2:3]
	v_add_u32_e32 v0, s12, v0
	v_ashrrev_i32_e32 v1, 31, v0
	v_lshl_add_u64 v[0:1], v[0:1], 2, v[2:3]
	global_store_dword v[4:5], v38, off
	global_store_dword v[0:1], v22, off
.LBB68_592:
	s_endpgm
	.section	.rodata,"a",@progbits
	.p2align	6, 0x0
	.amdhsa_kernel _ZN9rocsolver6v33100L18getf2_small_kernelILi35EfiiPfEEvT1_T3_lS3_lPS3_llPT2_S3_S3_S5_l
		.amdhsa_group_segment_fixed_size 0
		.amdhsa_private_segment_fixed_size 0
		.amdhsa_kernarg_size 352
		.amdhsa_user_sgpr_count 2
		.amdhsa_user_sgpr_dispatch_ptr 0
		.amdhsa_user_sgpr_queue_ptr 0
		.amdhsa_user_sgpr_kernarg_segment_ptr 1
		.amdhsa_user_sgpr_dispatch_id 0
		.amdhsa_user_sgpr_kernarg_preload_length 0
		.amdhsa_user_sgpr_kernarg_preload_offset 0
		.amdhsa_user_sgpr_private_segment_size 0
		.amdhsa_uses_dynamic_stack 0
		.amdhsa_enable_private_segment 0
		.amdhsa_system_sgpr_workgroup_id_x 1
		.amdhsa_system_sgpr_workgroup_id_y 1
		.amdhsa_system_sgpr_workgroup_id_z 0
		.amdhsa_system_sgpr_workgroup_info 0
		.amdhsa_system_vgpr_workitem_id 1
		.amdhsa_next_free_vgpr 62
		.amdhsa_next_free_sgpr 26
		.amdhsa_accum_offset 64
		.amdhsa_reserve_vcc 1
		.amdhsa_float_round_mode_32 0
		.amdhsa_float_round_mode_16_64 0
		.amdhsa_float_denorm_mode_32 3
		.amdhsa_float_denorm_mode_16_64 3
		.amdhsa_dx10_clamp 1
		.amdhsa_ieee_mode 1
		.amdhsa_fp16_overflow 0
		.amdhsa_tg_split 0
		.amdhsa_exception_fp_ieee_invalid_op 0
		.amdhsa_exception_fp_denorm_src 0
		.amdhsa_exception_fp_ieee_div_zero 0
		.amdhsa_exception_fp_ieee_overflow 0
		.amdhsa_exception_fp_ieee_underflow 0
		.amdhsa_exception_fp_ieee_inexact 0
		.amdhsa_exception_int_div_zero 0
	.end_amdhsa_kernel
	.section	.text._ZN9rocsolver6v33100L18getf2_small_kernelILi35EfiiPfEEvT1_T3_lS3_lPS3_llPT2_S3_S3_S5_l,"axG",@progbits,_ZN9rocsolver6v33100L18getf2_small_kernelILi35EfiiPfEEvT1_T3_lS3_lPS3_llPT2_S3_S3_S5_l,comdat
.Lfunc_end68:
	.size	_ZN9rocsolver6v33100L18getf2_small_kernelILi35EfiiPfEEvT1_T3_lS3_lPS3_llPT2_S3_S3_S5_l, .Lfunc_end68-_ZN9rocsolver6v33100L18getf2_small_kernelILi35EfiiPfEEvT1_T3_lS3_lPS3_llPT2_S3_S3_S5_l
                                        ; -- End function
	.set _ZN9rocsolver6v33100L18getf2_small_kernelILi35EfiiPfEEvT1_T3_lS3_lPS3_llPT2_S3_S3_S5_l.num_vgpr, 62
	.set _ZN9rocsolver6v33100L18getf2_small_kernelILi35EfiiPfEEvT1_T3_lS3_lPS3_llPT2_S3_S3_S5_l.num_agpr, 0
	.set _ZN9rocsolver6v33100L18getf2_small_kernelILi35EfiiPfEEvT1_T3_lS3_lPS3_llPT2_S3_S3_S5_l.numbered_sgpr, 26
	.set _ZN9rocsolver6v33100L18getf2_small_kernelILi35EfiiPfEEvT1_T3_lS3_lPS3_llPT2_S3_S3_S5_l.num_named_barrier, 0
	.set _ZN9rocsolver6v33100L18getf2_small_kernelILi35EfiiPfEEvT1_T3_lS3_lPS3_llPT2_S3_S3_S5_l.private_seg_size, 0
	.set _ZN9rocsolver6v33100L18getf2_small_kernelILi35EfiiPfEEvT1_T3_lS3_lPS3_llPT2_S3_S3_S5_l.uses_vcc, 1
	.set _ZN9rocsolver6v33100L18getf2_small_kernelILi35EfiiPfEEvT1_T3_lS3_lPS3_llPT2_S3_S3_S5_l.uses_flat_scratch, 0
	.set _ZN9rocsolver6v33100L18getf2_small_kernelILi35EfiiPfEEvT1_T3_lS3_lPS3_llPT2_S3_S3_S5_l.has_dyn_sized_stack, 0
	.set _ZN9rocsolver6v33100L18getf2_small_kernelILi35EfiiPfEEvT1_T3_lS3_lPS3_llPT2_S3_S3_S5_l.has_recursion, 0
	.set _ZN9rocsolver6v33100L18getf2_small_kernelILi35EfiiPfEEvT1_T3_lS3_lPS3_llPT2_S3_S3_S5_l.has_indirect_call, 0
	.section	.AMDGPU.csdata,"",@progbits
; Kernel info:
; codeLenInByte = 26676
; TotalNumSgprs: 32
; NumVgprs: 62
; NumAgprs: 0
; TotalNumVgprs: 62
; ScratchSize: 0
; MemoryBound: 0
; FloatMode: 240
; IeeeMode: 1
; LDSByteSize: 0 bytes/workgroup (compile time only)
; SGPRBlocks: 3
; VGPRBlocks: 7
; NumSGPRsForWavesPerEU: 32
; NumVGPRsForWavesPerEU: 62
; AccumOffset: 64
; Occupancy: 8
; WaveLimiterHint : 0
; COMPUTE_PGM_RSRC2:SCRATCH_EN: 0
; COMPUTE_PGM_RSRC2:USER_SGPR: 2
; COMPUTE_PGM_RSRC2:TRAP_HANDLER: 0
; COMPUTE_PGM_RSRC2:TGID_X_EN: 1
; COMPUTE_PGM_RSRC2:TGID_Y_EN: 1
; COMPUTE_PGM_RSRC2:TGID_Z_EN: 0
; COMPUTE_PGM_RSRC2:TIDIG_COMP_CNT: 1
; COMPUTE_PGM_RSRC3_GFX90A:ACCUM_OFFSET: 15
; COMPUTE_PGM_RSRC3_GFX90A:TG_SPLIT: 0
	.section	.text._ZN9rocsolver6v33100L23getf2_npvt_small_kernelILi35EfiiPfEEvT1_T3_lS3_lPT2_S3_S3_,"axG",@progbits,_ZN9rocsolver6v33100L23getf2_npvt_small_kernelILi35EfiiPfEEvT1_T3_lS3_lPT2_S3_S3_,comdat
	.globl	_ZN9rocsolver6v33100L23getf2_npvt_small_kernelILi35EfiiPfEEvT1_T3_lS3_lPT2_S3_S3_ ; -- Begin function _ZN9rocsolver6v33100L23getf2_npvt_small_kernelILi35EfiiPfEEvT1_T3_lS3_lPT2_S3_S3_
	.p2align	8
	.type	_ZN9rocsolver6v33100L23getf2_npvt_small_kernelILi35EfiiPfEEvT1_T3_lS3_lPT2_S3_S3_,@function
_ZN9rocsolver6v33100L23getf2_npvt_small_kernelILi35EfiiPfEEvT1_T3_lS3_lPT2_S3_S3_: ; @_ZN9rocsolver6v33100L23getf2_npvt_small_kernelILi35EfiiPfEEvT1_T3_lS3_lPT2_S3_S3_
; %bb.0:
	s_load_dword s2, s[0:1], 0x44
	s_load_dwordx2 s[8:9], s[0:1], 0x30
	v_bfe_u32 v108, v0, 10, 10
	s_waitcnt lgkmcnt(0)
	s_lshr_b32 s10, s2, 16
	s_mul_i32 s3, s3, s10
	v_add_u32_e32 v34, s3, v108
	v_cmp_gt_i32_e32 vcc, s8, v34
	s_and_saveexec_b64 s[2:3], vcc
	s_cbranch_execz .LBB69_195
; %bb.1:
	s_load_dwordx4 s[12:15], s[0:1], 0x8
	s_load_dword s2, s[0:1], 0x18
	s_load_dwordx4 s[4:7], s[0:1], 0x20
	v_and_b32_e32 v25, 0x3ff, v0
	v_ashrrev_i32_e32 v35, 31, v34
	s_waitcnt lgkmcnt(0)
	v_mov_b32_e32 v2, s12
	v_mov_b32_e32 v3, s13
	v_mad_u64_u32 v[0:1], s[0:1], s4, v34, 0
	s_add_i32 s0, s2, s2
	s_nop 0
	v_add_u32_e32 v6, s0, v25
	v_add_u32_e32 v8, s2, v6
	;; [unrolled: 1-line block ×26, first 2 shown]
	v_mul_lo_u32 v4, s5, v34
	v_mul_lo_u32 v5, s4, v35
	v_add_u32_e32 v86, s2, v84
	v_add3_u32 v1, v1, v5, v4
	v_add_u32_e32 v88, s2, v86
	v_lshl_add_u64 v[0:1], v[0:1], 2, v[2:3]
	v_add_u32_e32 v90, s2, v88
	v_lshl_add_u64 v[104:105], s[14:15], 2, v[0:1]
	v_lshlrev_b32_e32 v0, 2, v25
	v_mov_b32_e32 v1, 0
	v_ashrrev_i32_e32 v7, 31, v6
	v_ashrrev_i32_e32 v9, 31, v8
	;; [unrolled: 1-line block ×23, first 2 shown]
	v_add_u32_e32 v100, s2, v90
	s_ashr_i32 s3, s2, 31
	v_lshl_add_u64 v[0:1], v[104:105], 0, v[0:1]
	v_lshl_add_u64 v[4:5], v[6:7], 2, v[104:105]
	;; [unrolled: 1-line block ×24, first 2 shown]
	v_ashrrev_i32_e32 v81, 31, v80
	v_ashrrev_i32_e32 v83, 31, v82
	;; [unrolled: 1-line block ×7, first 2 shown]
	v_lshl_add_u64 v[2:3], s[2:3], 2, v[0:1]
	global_load_dword v24, v[0:1], off
	global_load_dword v18, v[2:3], off
	;; [unrolled: 1-line block ×24, first 2 shown]
	v_lshl_add_u64 v[78:79], v[80:81], 2, v[104:105]
	v_lshl_add_u64 v[80:81], v[82:83], 2, v[104:105]
	;; [unrolled: 1-line block ×7, first 2 shown]
	global_load_dword v73, v[76:77], off
	global_load_dword v94, v[78:79], off
	;; [unrolled: 1-line block ×8, first 2 shown]
	v_add_u32_e32 v102, s2, v100
	v_add_u32_e32 v106, s2, v102
	v_ashrrev_i32_e32 v103, 31, v102
	v_ashrrev_i32_e32 v107, 31, v106
	v_lshl_add_u64 v[100:101], v[102:103], 2, v[104:105]
	v_lshl_add_u64 v[102:103], v[106:107], 2, v[104:105]
	v_add_u32_e32 v106, s2, v106
	v_ashrrev_i32_e32 v107, 31, v106
	v_lshl_add_u64 v[104:105], v[106:107], 2, v[104:105]
	global_load_dword v93, v[100:101], off
	global_load_dword v106, v[102:103], off
	;; [unrolled: 1-line block ×3, first 2 shown]
	s_mulk_i32 s10, 0x8c
	v_cmp_eq_u32_e64 s[0:1], 0, v25
	v_cmp_ne_u32_e64 s[2:3], 0, v25
	s_movk_i32 s11, 0x8c
	s_add_i32 s8, s10, 0
	s_and_saveexec_b64 s[4:5], s[2:3]
	s_xor_b64 s[4:5], exec, s[4:5]
	s_or_saveexec_b64 s[4:5], s[4:5]
	v_mad_u32_u24 v109, v108, s11, 0
	v_lshl_add_u32 v108, v108, 2, s8
	s_xor_b64 exec, exec, s[4:5]
	s_cbranch_execz .LBB69_5
; %bb.2:
	s_waitcnt vmcnt(34)
	ds_write_b32 v108, v24
	s_waitcnt vmcnt(32)
	ds_write2_b32 v109, v18, v19 offset0:1 offset1:2
	s_waitcnt vmcnt(30)
	ds_write2_b32 v109, v20, v21 offset0:3 offset1:4
	;; [unrolled: 2-line block ×17, first 2 shown]
	ds_read_b32 v110, v108
	s_waitcnt lgkmcnt(0)
	v_cmp_neq_f32_e32 vcc, 0, v110
	s_and_saveexec_b64 s[10:11], vcc
	s_cbranch_execz .LBB69_4
; %bb.3:
	v_div_scale_f32 v111, s[12:13], v110, v110, 1.0
	v_rcp_f32_e32 v112, v111
	v_div_scale_f32 v113, vcc, 1.0, v110, 1.0
	v_fma_f32 v114, -v111, v112, 1.0
	v_fmac_f32_e32 v112, v114, v112
	v_mul_f32_e32 v114, v113, v112
	v_fma_f32 v115, -v111, v114, v113
	v_fmac_f32_e32 v114, v115, v112
	v_fma_f32 v111, -v111, v114, v113
	v_div_fmas_f32 v111, v111, v112, v114
	v_div_fixup_f32 v110, v111, v110, 1.0
	ds_write_b32 v108, v110
.LBB69_4:
	s_or_b64 exec, exec, s[10:11]
.LBB69_5:
	s_or_b64 exec, exec, s[4:5]
	s_waitcnt lgkmcnt(0)
	s_barrier
	ds_read_b32 v110, v108
	s_and_saveexec_b64 s[4:5], s[2:3]
	s_cbranch_execz .LBB69_7
; %bb.6:
	ds_read2_b32 v[112:113], v109 offset0:1 offset1:2
	ds_read2_b32 v[114:115], v109 offset0:3 offset1:4
	;; [unrolled: 1-line block ×3, first 2 shown]
	s_waitcnt vmcnt(34) lgkmcnt(3)
	v_mul_f32_e32 v24, v110, v24
	ds_read2_b32 v[118:119], v109 offset0:7 offset1:8
	s_waitcnt vmcnt(32) lgkmcnt(3)
	v_pk_fma_f32 v[18:19], v[24:25], v[112:113], v[18:19] op_sel_hi:[0,1,1] neg_lo:[1,0,0] neg_hi:[1,0,0]
	s_waitcnt vmcnt(30) lgkmcnt(2)
	v_pk_fma_f32 v[20:21], v[24:25], v[114:115], v[20:21] op_sel_hi:[0,1,1] neg_lo:[1,0,0] neg_hi:[1,0,0]
	;; [unrolled: 2-line block ×3, first 2 shown]
	ds_read2_b32 v[112:113], v109 offset0:9 offset1:10
	ds_read2_b32 v[114:115], v109 offset0:11 offset1:12
	;; [unrolled: 1-line block ×3, first 2 shown]
	s_waitcnt vmcnt(26) lgkmcnt(3)
	v_pk_fma_f32 v[16:17], v[24:25], v[118:119], v[16:17] op_sel_hi:[0,1,1] neg_lo:[1,0,0] neg_hi:[1,0,0]
	ds_read2_b32 v[118:119], v109 offset0:15 offset1:16
	s_waitcnt vmcnt(24) lgkmcnt(3)
	v_pk_fma_f32 v[46:47], v[24:25], v[112:113], v[46:47] op_sel_hi:[0,1,1] neg_lo:[1,0,0] neg_hi:[1,0,0]
	s_waitcnt vmcnt(22) lgkmcnt(2)
	v_pk_fma_f32 v[50:51], v[24:25], v[114:115], v[50:51] op_sel_hi:[0,1,1] neg_lo:[1,0,0] neg_hi:[1,0,0]
	;; [unrolled: 2-line block ×3, first 2 shown]
	ds_read2_b32 v[112:113], v109 offset0:17 offset1:18
	ds_read2_b32 v[114:115], v109 offset0:19 offset1:20
	ds_read2_b32 v[116:117], v109 offset0:21 offset1:22
	ds_read2_b32 v[120:121], v109 offset0:23 offset1:24
	s_waitcnt vmcnt(18) lgkmcnt(4)
	v_pk_fma_f32 v[48:49], v[24:25], v[118:119], v[48:49] op_sel_hi:[0,1,1] neg_lo:[1,0,0] neg_hi:[1,0,0]
	s_waitcnt vmcnt(16) lgkmcnt(3)
	v_pk_fma_f32 v[74:75], v[24:25], v[112:113], v[74:75] op_sel_hi:[0,1,1] neg_lo:[1,0,0] neg_hi:[1,0,0]
	;; [unrolled: 2-line block ×5, first 2 shown]
	ds_read2_b32 v[112:113], v109 offset0:25 offset1:26
	ds_read2_b32 v[114:115], v109 offset0:27 offset1:28
	;; [unrolled: 1-line block ×5, first 2 shown]
	s_waitcnt vmcnt(8) lgkmcnt(4)
	v_pk_fma_f32 v[94:95], v[24:25], v[112:113], v[94:95] op_sel_hi:[0,1,1] neg_lo:[1,0,0] neg_hi:[1,0,0]
	s_waitcnt vmcnt(6) lgkmcnt(3)
	v_pk_fma_f32 v[96:97], v[24:25], v[114:115], v[96:97] op_sel_hi:[0,1,1] neg_lo:[1,0,0] neg_hi:[1,0,0]
	;; [unrolled: 2-line block ×5, first 2 shown]
.LBB69_7:
	s_or_b64 exec, exec, s[4:5]
	v_cmp_eq_u32_e32 vcc, 1, v25
	s_waitcnt lgkmcnt(0)
	s_barrier
	s_and_saveexec_b64 s[2:3], vcc
	s_cbranch_execz .LBB69_10
; %bb.8:
	s_waitcnt vmcnt(30)
	v_pk_mov_b32 v[112:113], v[18:19], v[20:21] op_sel:[1,0]
	ds_write_b32 v108, v18
	ds_write2_b32 v109, v112, v113 offset0:2 offset1:3
	s_waitcnt vmcnt(28)
	v_pk_mov_b32 v[112:113], v[20:21], v[22:23] op_sel:[1,0]
	ds_write2_b32 v109, v112, v113 offset0:4 offset1:5
	s_waitcnt vmcnt(26)
	v_pk_mov_b32 v[112:113], v[22:23], v[16:17] op_sel:[1,0]
	;; [unrolled: 3-line block ×15, first 2 shown]
	ds_write2_b32 v109, v112, v113 offset0:32 offset1:33
	ds_write_b32 v109, v107 offset:136
	ds_read_b32 v111, v108
	s_waitcnt lgkmcnt(0)
	v_cmp_neq_f32_e32 vcc, 0, v111
	s_and_b64 exec, exec, vcc
	s_cbranch_execz .LBB69_10
; %bb.9:
	v_div_scale_f32 v112, s[4:5], v111, v111, 1.0
	v_rcp_f32_e32 v113, v112
	v_div_scale_f32 v114, vcc, 1.0, v111, 1.0
	v_fma_f32 v115, -v112, v113, 1.0
	v_fmac_f32_e32 v113, v115, v113
	v_mul_f32_e32 v115, v114, v113
	v_fma_f32 v116, -v112, v115, v114
	v_fmac_f32_e32 v115, v116, v113
	v_fma_f32 v112, -v112, v115, v114
	v_div_fmas_f32 v112, v112, v113, v115
	v_div_fixup_f32 v111, v112, v111, 1.0
	ds_write_b32 v108, v111
.LBB69_10:
	s_or_b64 exec, exec, s[2:3]
	s_waitcnt lgkmcnt(0)
	s_barrier
	ds_read_b32 v111, v108
	v_cmp_lt_u32_e32 vcc, 1, v25
	s_and_saveexec_b64 s[2:3], vcc
	s_cbranch_execz .LBB69_12
; %bb.11:
	ds_read_b32 v118, v109 offset:8
	ds_read2_b32 v[112:113], v109 offset0:3 offset1:4
	ds_read2_b32 v[114:115], v109 offset0:5 offset1:6
	s_waitcnt vmcnt(33) lgkmcnt(3)
	v_mul_f32_e32 v18, v111, v18
	ds_read2_b32 v[116:117], v109 offset0:7 offset1:8
	s_waitcnt vmcnt(32) lgkmcnt(3)
	v_fma_f32 v19, -v18, v118, v19
	s_waitcnt vmcnt(30) lgkmcnt(2)
	v_pk_fma_f32 v[20:21], v[18:19], v[112:113], v[20:21] op_sel_hi:[0,1,1] neg_lo:[1,0,0] neg_hi:[1,0,0]
	s_waitcnt vmcnt(28) lgkmcnt(1)
	v_pk_fma_f32 v[22:23], v[18:19], v[114:115], v[22:23] op_sel_hi:[0,1,1] neg_lo:[1,0,0] neg_hi:[1,0,0]
	ds_read2_b32 v[112:113], v109 offset0:9 offset1:10
	ds_read2_b32 v[114:115], v109 offset0:11 offset1:12
	;; [unrolled: 1-line block ×3, first 2 shown]
	s_waitcnt vmcnt(26) lgkmcnt(3)
	v_pk_fma_f32 v[16:17], v[18:19], v[116:117], v[16:17] op_sel_hi:[0,1,1] neg_lo:[1,0,0] neg_hi:[1,0,0]
	ds_read2_b32 v[116:117], v109 offset0:15 offset1:16
	s_waitcnt vmcnt(24) lgkmcnt(3)
	v_pk_fma_f32 v[46:47], v[18:19], v[112:113], v[46:47] op_sel_hi:[0,1,1] neg_lo:[1,0,0] neg_hi:[1,0,0]
	s_waitcnt vmcnt(22) lgkmcnt(2)
	v_pk_fma_f32 v[50:51], v[18:19], v[114:115], v[50:51] op_sel_hi:[0,1,1] neg_lo:[1,0,0] neg_hi:[1,0,0]
	;; [unrolled: 2-line block ×3, first 2 shown]
	ds_read2_b32 v[112:113], v109 offset0:17 offset1:18
	ds_read2_b32 v[114:115], v109 offset0:19 offset1:20
	;; [unrolled: 1-line block ×4, first 2 shown]
	s_waitcnt vmcnt(18) lgkmcnt(4)
	v_pk_fma_f32 v[48:49], v[18:19], v[116:117], v[48:49] op_sel_hi:[0,1,1] neg_lo:[1,0,0] neg_hi:[1,0,0]
	s_waitcnt vmcnt(16) lgkmcnt(3)
	v_pk_fma_f32 v[74:75], v[18:19], v[112:113], v[74:75] op_sel_hi:[0,1,1] neg_lo:[1,0,0] neg_hi:[1,0,0]
	;; [unrolled: 2-line block ×5, first 2 shown]
	ds_read2_b32 v[112:113], v109 offset0:25 offset1:26
	ds_read2_b32 v[114:115], v109 offset0:27 offset1:28
	;; [unrolled: 1-line block ×5, first 2 shown]
	s_waitcnt vmcnt(8) lgkmcnt(4)
	v_pk_fma_f32 v[94:95], v[18:19], v[112:113], v[94:95] op_sel_hi:[0,1,1] neg_lo:[1,0,0] neg_hi:[1,0,0]
	s_waitcnt vmcnt(6) lgkmcnt(3)
	v_pk_fma_f32 v[96:97], v[18:19], v[114:115], v[96:97] op_sel_hi:[0,1,1] neg_lo:[1,0,0] neg_hi:[1,0,0]
	;; [unrolled: 2-line block ×5, first 2 shown]
.LBB69_12:
	s_or_b64 exec, exec, s[2:3]
	v_cmp_eq_u32_e32 vcc, 2, v25
	s_waitcnt lgkmcnt(0)
	s_barrier
	s_and_saveexec_b64 s[2:3], vcc
	s_cbranch_execz .LBB69_15
; %bb.13:
	s_waitcnt vmcnt(32)
	ds_write_b32 v108, v19
	s_waitcnt vmcnt(30)
	ds_write2_b32 v109, v20, v21 offset0:3 offset1:4
	s_waitcnt vmcnt(28)
	ds_write2_b32 v109, v22, v23 offset0:5 offset1:6
	;; [unrolled: 2-line block ×16, first 2 shown]
	ds_read_b32 v112, v108
	s_waitcnt lgkmcnt(0)
	v_cmp_neq_f32_e32 vcc, 0, v112
	s_and_b64 exec, exec, vcc
	s_cbranch_execz .LBB69_15
; %bb.14:
	v_div_scale_f32 v113, s[4:5], v112, v112, 1.0
	v_rcp_f32_e32 v114, v113
	v_div_scale_f32 v115, vcc, 1.0, v112, 1.0
	v_fma_f32 v116, -v113, v114, 1.0
	v_fmac_f32_e32 v114, v116, v114
	v_mul_f32_e32 v116, v115, v114
	v_fma_f32 v117, -v113, v116, v115
	v_fmac_f32_e32 v116, v117, v114
	v_fma_f32 v113, -v113, v116, v115
	v_div_fmas_f32 v113, v113, v114, v116
	v_div_fixup_f32 v112, v113, v112, 1.0
	ds_write_b32 v108, v112
.LBB69_15:
	s_or_b64 exec, exec, s[2:3]
	s_waitcnt lgkmcnt(0)
	s_barrier
	ds_read_b32 v112, v108
	v_cmp_lt_u32_e32 vcc, 2, v25
	s_and_saveexec_b64 s[2:3], vcc
	s_cbranch_execz .LBB69_17
; %bb.16:
	ds_read2_b32 v[114:115], v109 offset0:3 offset1:4
	ds_read2_b32 v[116:117], v109 offset0:5 offset1:6
	;; [unrolled: 1-line block ×3, first 2 shown]
	s_waitcnt vmcnt(32) lgkmcnt(3)
	v_mul_f32_e32 v120, v112, v19
	ds_read2_b32 v[122:123], v109 offset0:9 offset1:10
	s_waitcnt vmcnt(30) lgkmcnt(3)
	v_pk_fma_f32 v[20:21], v[120:121], v[114:115], v[20:21] op_sel_hi:[0,1,1] neg_lo:[1,0,0] neg_hi:[1,0,0]
	s_waitcnt vmcnt(28) lgkmcnt(2)
	v_pk_fma_f32 v[22:23], v[120:121], v[116:117], v[22:23] op_sel_hi:[0,1,1] neg_lo:[1,0,0] neg_hi:[1,0,0]
	;; [unrolled: 2-line block ×3, first 2 shown]
	ds_read2_b32 v[114:115], v109 offset0:11 offset1:12
	ds_read2_b32 v[116:117], v109 offset0:13 offset1:14
	;; [unrolled: 1-line block ×3, first 2 shown]
	s_waitcnt vmcnt(24) lgkmcnt(3)
	v_pk_fma_f32 v[46:47], v[120:121], v[122:123], v[46:47] op_sel_hi:[0,1,1] neg_lo:[1,0,0] neg_hi:[1,0,0]
	ds_read2_b32 v[122:123], v109 offset0:17 offset1:18
	s_waitcnt vmcnt(22) lgkmcnt(3)
	v_pk_fma_f32 v[50:51], v[120:121], v[114:115], v[50:51] op_sel_hi:[0,1,1] neg_lo:[1,0,0] neg_hi:[1,0,0]
	s_waitcnt vmcnt(20) lgkmcnt(2)
	v_pk_fma_f32 v[44:45], v[120:121], v[116:117], v[44:45] op_sel_hi:[0,1,1] neg_lo:[1,0,0] neg_hi:[1,0,0]
	;; [unrolled: 2-line block ×3, first 2 shown]
	ds_read2_b32 v[114:115], v109 offset0:19 offset1:20
	ds_read2_b32 v[116:117], v109 offset0:21 offset1:22
	ds_read2_b32 v[118:119], v109 offset0:23 offset1:24
	s_waitcnt vmcnt(16) lgkmcnt(3)
	v_pk_fma_f32 v[74:75], v[120:121], v[122:123], v[74:75] op_sel_hi:[0,1,1] neg_lo:[1,0,0] neg_hi:[1,0,0]
	ds_read2_b32 v[122:123], v109 offset0:25 offset1:26
	s_waitcnt vmcnt(14) lgkmcnt(3)
	v_pk_fma_f32 v[68:69], v[120:121], v[114:115], v[68:69] op_sel_hi:[0,1,1] neg_lo:[1,0,0] neg_hi:[1,0,0]
	s_waitcnt vmcnt(12) lgkmcnt(2)
	v_pk_fma_f32 v[70:71], v[120:121], v[116:117], v[70:71] op_sel_hi:[0,1,1] neg_lo:[1,0,0] neg_hi:[1,0,0]
	;; [unrolled: 2-line block ×3, first 2 shown]
	ds_read2_b32 v[114:115], v109 offset0:27 offset1:28
	ds_read2_b32 v[116:117], v109 offset0:29 offset1:30
	;; [unrolled: 1-line block ×4, first 2 shown]
	s_waitcnt vmcnt(8) lgkmcnt(4)
	v_pk_fma_f32 v[94:95], v[120:121], v[122:123], v[94:95] op_sel_hi:[0,1,1] neg_lo:[1,0,0] neg_hi:[1,0,0]
	s_waitcnt vmcnt(6) lgkmcnt(3)
	v_pk_fma_f32 v[96:97], v[120:121], v[114:115], v[96:97] op_sel_hi:[0,1,1] neg_lo:[1,0,0] neg_hi:[1,0,0]
	s_waitcnt vmcnt(4) lgkmcnt(2)
	v_pk_fma_f32 v[98:99], v[120:121], v[116:117], v[98:99] op_sel_hi:[0,1,1] neg_lo:[1,0,0] neg_hi:[1,0,0]
	s_waitcnt vmcnt(2) lgkmcnt(1)
	v_pk_fma_f32 v[92:93], v[120:121], v[118:119], v[92:93] op_sel_hi:[0,1,1] neg_lo:[1,0,0] neg_hi:[1,0,0]
	s_waitcnt vmcnt(0) lgkmcnt(0)
	v_pk_fma_f32 v[106:107], v[120:121], v[124:125], v[106:107] op_sel_hi:[0,1,1] neg_lo:[1,0,0] neg_hi:[1,0,0]
	v_mov_b32_e32 v19, v120
.LBB69_17:
	s_or_b64 exec, exec, s[2:3]
	v_cmp_eq_u32_e32 vcc, 3, v25
	s_waitcnt lgkmcnt(0)
	s_barrier
	s_and_saveexec_b64 s[2:3], vcc
	s_cbranch_execz .LBB69_20
; %bb.18:
	s_waitcnt vmcnt(28)
	v_pk_mov_b32 v[114:115], v[20:21], v[22:23] op_sel:[1,0]
	ds_write_b32 v108, v20
	ds_write2_b32 v109, v114, v115 offset0:4 offset1:5
	s_waitcnt vmcnt(26)
	v_pk_mov_b32 v[114:115], v[22:23], v[16:17] op_sel:[1,0]
	ds_write2_b32 v109, v114, v115 offset0:6 offset1:7
	s_waitcnt vmcnt(24)
	v_pk_mov_b32 v[114:115], v[16:17], v[46:47] op_sel:[1,0]
	;; [unrolled: 3-line block ×14, first 2 shown]
	ds_write2_b32 v109, v114, v115 offset0:32 offset1:33
	ds_write_b32 v109, v107 offset:136
	ds_read_b32 v113, v108
	s_waitcnt lgkmcnt(0)
	v_cmp_neq_f32_e32 vcc, 0, v113
	s_and_b64 exec, exec, vcc
	s_cbranch_execz .LBB69_20
; %bb.19:
	v_div_scale_f32 v114, s[4:5], v113, v113, 1.0
	v_rcp_f32_e32 v115, v114
	v_div_scale_f32 v116, vcc, 1.0, v113, 1.0
	v_fma_f32 v117, -v114, v115, 1.0
	v_fmac_f32_e32 v115, v117, v115
	v_mul_f32_e32 v117, v116, v115
	v_fma_f32 v118, -v114, v117, v116
	v_fmac_f32_e32 v117, v118, v115
	v_fma_f32 v114, -v114, v117, v116
	v_div_fmas_f32 v114, v114, v115, v117
	v_div_fixup_f32 v113, v114, v113, 1.0
	ds_write_b32 v108, v113
.LBB69_20:
	s_or_b64 exec, exec, s[2:3]
	s_waitcnt lgkmcnt(0)
	s_barrier
	ds_read_b32 v113, v108
	v_cmp_lt_u32_e32 vcc, 3, v25
	s_and_saveexec_b64 s[2:3], vcc
	s_cbranch_execz .LBB69_22
; %bb.21:
	ds_read_b32 v120, v109 offset:16
	ds_read2_b32 v[114:115], v109 offset0:5 offset1:6
	ds_read2_b32 v[116:117], v109 offset0:7 offset1:8
	s_waitcnt vmcnt(31) lgkmcnt(3)
	v_mul_f32_e32 v20, v113, v20
	ds_read2_b32 v[118:119], v109 offset0:9 offset1:10
	s_waitcnt vmcnt(30) lgkmcnt(3)
	v_fma_f32 v21, -v20, v120, v21
	s_waitcnt vmcnt(28) lgkmcnt(2)
	v_pk_fma_f32 v[22:23], v[20:21], v[114:115], v[22:23] op_sel_hi:[0,1,1] neg_lo:[1,0,0] neg_hi:[1,0,0]
	s_waitcnt vmcnt(26) lgkmcnt(1)
	v_pk_fma_f32 v[16:17], v[20:21], v[116:117], v[16:17] op_sel_hi:[0,1,1] neg_lo:[1,0,0] neg_hi:[1,0,0]
	ds_read2_b32 v[114:115], v109 offset0:11 offset1:12
	ds_read2_b32 v[116:117], v109 offset0:13 offset1:14
	;; [unrolled: 1-line block ×3, first 2 shown]
	s_waitcnt vmcnt(24) lgkmcnt(3)
	v_pk_fma_f32 v[46:47], v[20:21], v[118:119], v[46:47] op_sel_hi:[0,1,1] neg_lo:[1,0,0] neg_hi:[1,0,0]
	ds_read2_b32 v[118:119], v109 offset0:17 offset1:18
	s_waitcnt vmcnt(22) lgkmcnt(3)
	v_pk_fma_f32 v[50:51], v[20:21], v[114:115], v[50:51] op_sel_hi:[0,1,1] neg_lo:[1,0,0] neg_hi:[1,0,0]
	s_waitcnt vmcnt(20) lgkmcnt(2)
	v_pk_fma_f32 v[44:45], v[20:21], v[116:117], v[44:45] op_sel_hi:[0,1,1] neg_lo:[1,0,0] neg_hi:[1,0,0]
	;; [unrolled: 2-line block ×3, first 2 shown]
	ds_read2_b32 v[114:115], v109 offset0:19 offset1:20
	ds_read2_b32 v[116:117], v109 offset0:21 offset1:22
	;; [unrolled: 1-line block ×3, first 2 shown]
	s_waitcnt vmcnt(16) lgkmcnt(3)
	v_pk_fma_f32 v[74:75], v[20:21], v[118:119], v[74:75] op_sel_hi:[0,1,1] neg_lo:[1,0,0] neg_hi:[1,0,0]
	ds_read2_b32 v[118:119], v109 offset0:25 offset1:26
	s_waitcnt vmcnt(14) lgkmcnt(3)
	v_pk_fma_f32 v[68:69], v[20:21], v[114:115], v[68:69] op_sel_hi:[0,1,1] neg_lo:[1,0,0] neg_hi:[1,0,0]
	s_waitcnt vmcnt(12) lgkmcnt(2)
	v_pk_fma_f32 v[70:71], v[20:21], v[116:117], v[70:71] op_sel_hi:[0,1,1] neg_lo:[1,0,0] neg_hi:[1,0,0]
	;; [unrolled: 2-line block ×3, first 2 shown]
	ds_read2_b32 v[114:115], v109 offset0:27 offset1:28
	ds_read2_b32 v[116:117], v109 offset0:29 offset1:30
	;; [unrolled: 1-line block ×4, first 2 shown]
	s_waitcnt vmcnt(8) lgkmcnt(4)
	v_pk_fma_f32 v[94:95], v[20:21], v[118:119], v[94:95] op_sel_hi:[0,1,1] neg_lo:[1,0,0] neg_hi:[1,0,0]
	s_waitcnt vmcnt(6) lgkmcnt(3)
	v_pk_fma_f32 v[96:97], v[20:21], v[114:115], v[96:97] op_sel_hi:[0,1,1] neg_lo:[1,0,0] neg_hi:[1,0,0]
	;; [unrolled: 2-line block ×5, first 2 shown]
.LBB69_22:
	s_or_b64 exec, exec, s[2:3]
	v_cmp_ne_u32_e32 vcc, 4, v25
	s_waitcnt lgkmcnt(0)
	s_barrier
	s_and_saveexec_b64 s[2:3], vcc
	s_xor_b64 s[2:3], exec, s[2:3]
	s_andn2_saveexec_b64 s[2:3], s[2:3]
	s_cbranch_execz .LBB69_26
; %bb.23:
	s_waitcnt vmcnt(30)
	ds_write_b32 v108, v21
	s_waitcnt vmcnt(28)
	ds_write2_b32 v109, v22, v23 offset0:5 offset1:6
	s_waitcnt vmcnt(26)
	ds_write2_b32 v109, v16, v17 offset0:7 offset1:8
	;; [unrolled: 2-line block ×15, first 2 shown]
	ds_read_b32 v114, v108
	s_waitcnt lgkmcnt(0)
	v_cmp_neq_f32_e32 vcc, 0, v114
	s_and_saveexec_b64 s[4:5], vcc
	s_cbranch_execz .LBB69_25
; %bb.24:
	v_div_scale_f32 v115, s[10:11], v114, v114, 1.0
	v_rcp_f32_e32 v116, v115
	v_div_scale_f32 v117, vcc, 1.0, v114, 1.0
	v_fma_f32 v118, -v115, v116, 1.0
	v_fmac_f32_e32 v116, v118, v116
	v_mul_f32_e32 v118, v117, v116
	v_fma_f32 v119, -v115, v118, v117
	v_fmac_f32_e32 v118, v119, v116
	v_fma_f32 v115, -v115, v118, v117
	v_div_fmas_f32 v115, v115, v116, v118
	v_div_fixup_f32 v114, v115, v114, 1.0
	ds_write_b32 v108, v114
.LBB69_25:
	s_or_b64 exec, exec, s[4:5]
.LBB69_26:
	s_or_b64 exec, exec, s[2:3]
	s_waitcnt lgkmcnt(0)
	s_barrier
	ds_read_b32 v114, v108
	v_cmp_lt_u32_e32 vcc, 4, v25
	s_and_saveexec_b64 s[2:3], vcc
	s_cbranch_execz .LBB69_28
; %bb.27:
	ds_read2_b32 v[116:117], v109 offset0:5 offset1:6
	ds_read2_b32 v[118:119], v109 offset0:7 offset1:8
	;; [unrolled: 1-line block ×3, first 2 shown]
	s_waitcnt vmcnt(30) lgkmcnt(3)
	v_mul_f32_e32 v122, v114, v21
	ds_read2_b32 v[124:125], v109 offset0:11 offset1:12
	s_waitcnt vmcnt(28) lgkmcnt(3)
	v_pk_fma_f32 v[22:23], v[122:123], v[116:117], v[22:23] op_sel_hi:[0,1,1] neg_lo:[1,0,0] neg_hi:[1,0,0]
	s_waitcnt vmcnt(26) lgkmcnt(2)
	v_pk_fma_f32 v[16:17], v[122:123], v[118:119], v[16:17] op_sel_hi:[0,1,1] neg_lo:[1,0,0] neg_hi:[1,0,0]
	;; [unrolled: 2-line block ×3, first 2 shown]
	ds_read2_b32 v[116:117], v109 offset0:13 offset1:14
	ds_read2_b32 v[118:119], v109 offset0:15 offset1:16
	;; [unrolled: 1-line block ×3, first 2 shown]
	s_waitcnt vmcnt(22) lgkmcnt(3)
	v_pk_fma_f32 v[50:51], v[122:123], v[124:125], v[50:51] op_sel_hi:[0,1,1] neg_lo:[1,0,0] neg_hi:[1,0,0]
	ds_read2_b32 v[124:125], v109 offset0:19 offset1:20
	s_waitcnt vmcnt(20) lgkmcnt(3)
	v_pk_fma_f32 v[44:45], v[122:123], v[116:117], v[44:45] op_sel_hi:[0,1,1] neg_lo:[1,0,0] neg_hi:[1,0,0]
	s_waitcnt vmcnt(18) lgkmcnt(2)
	v_pk_fma_f32 v[48:49], v[122:123], v[118:119], v[48:49] op_sel_hi:[0,1,1] neg_lo:[1,0,0] neg_hi:[1,0,0]
	ds_read2_b32 v[116:117], v109 offset0:21 offset1:22
	ds_read2_b32 v[118:119], v109 offset0:23 offset1:24
	s_waitcnt vmcnt(16) lgkmcnt(3)
	v_pk_fma_f32 v[74:75], v[122:123], v[120:121], v[74:75] op_sel_hi:[0,1,1] neg_lo:[1,0,0] neg_hi:[1,0,0]
	s_waitcnt vmcnt(14) lgkmcnt(2)
	v_pk_fma_f32 v[68:69], v[122:123], v[124:125], v[68:69] op_sel_hi:[0,1,1] neg_lo:[1,0,0] neg_hi:[1,0,0]
	ds_read2_b32 v[120:121], v109 offset0:25 offset1:26
	;; [unrolled: 6-line block ×3, first 2 shown]
	ds_read2_b32 v[118:119], v109 offset0:31 offset1:32
	ds_read2_b32 v[126:127], v109 offset0:33 offset1:34
	s_waitcnt vmcnt(8) lgkmcnt(4)
	v_pk_fma_f32 v[94:95], v[122:123], v[120:121], v[94:95] op_sel_hi:[0,1,1] neg_lo:[1,0,0] neg_hi:[1,0,0]
	s_waitcnt vmcnt(6) lgkmcnt(3)
	v_pk_fma_f32 v[96:97], v[122:123], v[124:125], v[96:97] op_sel_hi:[0,1,1] neg_lo:[1,0,0] neg_hi:[1,0,0]
	;; [unrolled: 2-line block ×5, first 2 shown]
	v_mov_b32_e32 v21, v122
.LBB69_28:
	s_or_b64 exec, exec, s[2:3]
	v_cmp_eq_u32_e32 vcc, 5, v25
	s_waitcnt lgkmcnt(0)
	s_barrier
	s_and_saveexec_b64 s[2:3], vcc
	s_cbranch_execz .LBB69_31
; %bb.29:
	s_waitcnt vmcnt(26)
	v_pk_mov_b32 v[116:117], v[22:23], v[16:17] op_sel:[1,0]
	ds_write_b32 v108, v22
	ds_write2_b32 v109, v116, v117 offset0:6 offset1:7
	s_waitcnt vmcnt(24)
	v_pk_mov_b32 v[116:117], v[16:17], v[46:47] op_sel:[1,0]
	ds_write2_b32 v109, v116, v117 offset0:8 offset1:9
	s_waitcnt vmcnt(22)
	v_pk_mov_b32 v[116:117], v[46:47], v[50:51] op_sel:[1,0]
	;; [unrolled: 3-line block ×13, first 2 shown]
	ds_write2_b32 v109, v116, v117 offset0:32 offset1:33
	ds_write_b32 v109, v107 offset:136
	ds_read_b32 v115, v108
	s_waitcnt lgkmcnt(0)
	v_cmp_neq_f32_e32 vcc, 0, v115
	s_and_b64 exec, exec, vcc
	s_cbranch_execz .LBB69_31
; %bb.30:
	v_div_scale_f32 v116, s[4:5], v115, v115, 1.0
	v_rcp_f32_e32 v117, v116
	v_div_scale_f32 v118, vcc, 1.0, v115, 1.0
	v_fma_f32 v119, -v116, v117, 1.0
	v_fmac_f32_e32 v117, v119, v117
	v_mul_f32_e32 v119, v118, v117
	v_fma_f32 v120, -v116, v119, v118
	v_fmac_f32_e32 v119, v120, v117
	v_fma_f32 v116, -v116, v119, v118
	v_div_fmas_f32 v116, v116, v117, v119
	v_div_fixup_f32 v115, v116, v115, 1.0
	ds_write_b32 v108, v115
.LBB69_31:
	s_or_b64 exec, exec, s[2:3]
	s_waitcnt lgkmcnt(0)
	s_barrier
	ds_read_b32 v115, v108
	v_cmp_lt_u32_e32 vcc, 5, v25
	s_and_saveexec_b64 s[2:3], vcc
	s_cbranch_execz .LBB69_33
; %bb.32:
	ds_read_b32 v122, v109 offset:24
	ds_read2_b32 v[116:117], v109 offset0:7 offset1:8
	ds_read2_b32 v[118:119], v109 offset0:9 offset1:10
	s_waitcnt vmcnt(29) lgkmcnt(3)
	v_mul_f32_e32 v22, v115, v22
	ds_read2_b32 v[120:121], v109 offset0:11 offset1:12
	s_waitcnt vmcnt(28) lgkmcnt(3)
	v_fma_f32 v23, -v22, v122, v23
	s_waitcnt vmcnt(26) lgkmcnt(2)
	v_pk_fma_f32 v[16:17], v[22:23], v[116:117], v[16:17] op_sel_hi:[0,1,1] neg_lo:[1,0,0] neg_hi:[1,0,0]
	s_waitcnt vmcnt(24) lgkmcnt(1)
	v_pk_fma_f32 v[46:47], v[22:23], v[118:119], v[46:47] op_sel_hi:[0,1,1] neg_lo:[1,0,0] neg_hi:[1,0,0]
	ds_read2_b32 v[116:117], v109 offset0:13 offset1:14
	ds_read2_b32 v[118:119], v109 offset0:15 offset1:16
	;; [unrolled: 1-line block ×3, first 2 shown]
	s_waitcnt vmcnt(22) lgkmcnt(3)
	v_pk_fma_f32 v[50:51], v[22:23], v[120:121], v[50:51] op_sel_hi:[0,1,1] neg_lo:[1,0,0] neg_hi:[1,0,0]
	ds_read2_b32 v[120:121], v109 offset0:19 offset1:20
	s_waitcnt vmcnt(20) lgkmcnt(3)
	v_pk_fma_f32 v[44:45], v[22:23], v[116:117], v[44:45] op_sel_hi:[0,1,1] neg_lo:[1,0,0] neg_hi:[1,0,0]
	s_waitcnt vmcnt(18) lgkmcnt(2)
	v_pk_fma_f32 v[48:49], v[22:23], v[118:119], v[48:49] op_sel_hi:[0,1,1] neg_lo:[1,0,0] neg_hi:[1,0,0]
	ds_read2_b32 v[116:117], v109 offset0:21 offset1:22
	ds_read2_b32 v[118:119], v109 offset0:23 offset1:24
	s_waitcnt vmcnt(16) lgkmcnt(3)
	v_pk_fma_f32 v[74:75], v[22:23], v[122:123], v[74:75] op_sel_hi:[0,1,1] neg_lo:[1,0,0] neg_hi:[1,0,0]
	s_waitcnt vmcnt(14) lgkmcnt(2)
	v_pk_fma_f32 v[68:69], v[22:23], v[120:121], v[68:69] op_sel_hi:[0,1,1] neg_lo:[1,0,0] neg_hi:[1,0,0]
	ds_read2_b32 v[120:121], v109 offset0:25 offset1:26
	;; [unrolled: 6-line block ×3, first 2 shown]
	ds_read2_b32 v[118:119], v109 offset0:31 offset1:32
	ds_read2_b32 v[124:125], v109 offset0:33 offset1:34
	s_waitcnt vmcnt(8) lgkmcnt(4)
	v_pk_fma_f32 v[94:95], v[22:23], v[120:121], v[94:95] op_sel_hi:[0,1,1] neg_lo:[1,0,0] neg_hi:[1,0,0]
	s_waitcnt vmcnt(6) lgkmcnt(3)
	v_pk_fma_f32 v[96:97], v[22:23], v[122:123], v[96:97] op_sel_hi:[0,1,1] neg_lo:[1,0,0] neg_hi:[1,0,0]
	;; [unrolled: 2-line block ×5, first 2 shown]
.LBB69_33:
	s_or_b64 exec, exec, s[2:3]
	v_cmp_ne_u32_e32 vcc, 6, v25
	s_waitcnt lgkmcnt(0)
	s_barrier
	s_and_saveexec_b64 s[2:3], vcc
	s_xor_b64 s[2:3], exec, s[2:3]
	s_andn2_saveexec_b64 s[2:3], s[2:3]
	s_cbranch_execz .LBB69_37
; %bb.34:
	s_waitcnt vmcnt(28)
	ds_write_b32 v108, v23
	s_waitcnt vmcnt(26)
	ds_write2_b32 v109, v16, v17 offset0:7 offset1:8
	s_waitcnt vmcnt(24)
	ds_write2_b32 v109, v46, v47 offset0:9 offset1:10
	;; [unrolled: 2-line block ×14, first 2 shown]
	ds_read_b32 v116, v108
	s_waitcnt lgkmcnt(0)
	v_cmp_neq_f32_e32 vcc, 0, v116
	s_and_saveexec_b64 s[4:5], vcc
	s_cbranch_execz .LBB69_36
; %bb.35:
	v_div_scale_f32 v117, s[10:11], v116, v116, 1.0
	v_rcp_f32_e32 v118, v117
	v_div_scale_f32 v119, vcc, 1.0, v116, 1.0
	v_fma_f32 v120, -v117, v118, 1.0
	v_fmac_f32_e32 v118, v120, v118
	v_mul_f32_e32 v120, v119, v118
	v_fma_f32 v121, -v117, v120, v119
	v_fmac_f32_e32 v120, v121, v118
	v_fma_f32 v117, -v117, v120, v119
	v_div_fmas_f32 v117, v117, v118, v120
	v_div_fixup_f32 v116, v117, v116, 1.0
	ds_write_b32 v108, v116
.LBB69_36:
	s_or_b64 exec, exec, s[4:5]
.LBB69_37:
	s_or_b64 exec, exec, s[2:3]
	s_waitcnt lgkmcnt(0)
	s_barrier
	ds_read_b32 v116, v108
	v_cmp_lt_u32_e32 vcc, 6, v25
	s_and_saveexec_b64 s[2:3], vcc
	s_cbranch_execz .LBB69_39
; %bb.38:
	ds_read2_b32 v[118:119], v109 offset0:7 offset1:8
	ds_read2_b32 v[120:121], v109 offset0:9 offset1:10
	;; [unrolled: 1-line block ×4, first 2 shown]
	s_waitcnt vmcnt(28) lgkmcnt(4)
	v_mul_f32_e32 v124, v116, v23
	s_waitcnt vmcnt(26) lgkmcnt(3)
	v_pk_fma_f32 v[16:17], v[124:125], v[118:119], v[16:17] op_sel_hi:[0,1,1] neg_lo:[1,0,0] neg_hi:[1,0,0]
	s_waitcnt vmcnt(24) lgkmcnt(2)
	v_pk_fma_f32 v[46:47], v[124:125], v[120:121], v[46:47] op_sel_hi:[0,1,1] neg_lo:[1,0,0] neg_hi:[1,0,0]
	;; [unrolled: 2-line block ×3, first 2 shown]
	ds_read2_b32 v[118:119], v109 offset0:15 offset1:16
	ds_read2_b32 v[120:121], v109 offset0:17 offset1:18
	ds_read2_b32 v[122:123], v109 offset0:19 offset1:20
	s_waitcnt vmcnt(20) lgkmcnt(3)
	v_pk_fma_f32 v[44:45], v[124:125], v[126:127], v[44:45] op_sel_hi:[0,1,1] neg_lo:[1,0,0] neg_hi:[1,0,0]
	ds_read2_b32 v[126:127], v109 offset0:21 offset1:22
	s_waitcnt vmcnt(18) lgkmcnt(3)
	v_pk_fma_f32 v[48:49], v[124:125], v[118:119], v[48:49] op_sel_hi:[0,1,1] neg_lo:[1,0,0] neg_hi:[1,0,0]
	ds_read2_b32 v[118:119], v109 offset0:23 offset1:24
	s_waitcnt vmcnt(16) lgkmcnt(3)
	v_pk_fma_f32 v[74:75], v[124:125], v[120:121], v[74:75] op_sel_hi:[0,1,1] neg_lo:[1,0,0] neg_hi:[1,0,0]
	s_waitcnt vmcnt(14) lgkmcnt(2)
	v_pk_fma_f32 v[68:69], v[124:125], v[122:123], v[68:69] op_sel_hi:[0,1,1] neg_lo:[1,0,0] neg_hi:[1,0,0]
	;; [unrolled: 2-line block ×3, first 2 shown]
	ds_read2_b32 v[120:121], v109 offset0:25 offset1:26
	ds_read2_b32 v[122:123], v109 offset0:27 offset1:28
	;; [unrolled: 1-line block ×3, first 2 shown]
	s_waitcnt vmcnt(10) lgkmcnt(3)
	v_pk_fma_f32 v[72:73], v[124:125], v[118:119], v[72:73] op_sel_hi:[0,1,1] neg_lo:[1,0,0] neg_hi:[1,0,0]
	ds_read2_b32 v[118:119], v109 offset0:31 offset1:32
	ds_read2_b32 v[128:129], v109 offset0:33 offset1:34
	s_waitcnt vmcnt(8) lgkmcnt(4)
	v_pk_fma_f32 v[94:95], v[124:125], v[120:121], v[94:95] op_sel_hi:[0,1,1] neg_lo:[1,0,0] neg_hi:[1,0,0]
	s_waitcnt vmcnt(6) lgkmcnt(3)
	v_pk_fma_f32 v[96:97], v[124:125], v[122:123], v[96:97] op_sel_hi:[0,1,1] neg_lo:[1,0,0] neg_hi:[1,0,0]
	;; [unrolled: 2-line block ×5, first 2 shown]
	v_mov_b32_e32 v23, v124
.LBB69_39:
	s_or_b64 exec, exec, s[2:3]
	v_cmp_eq_u32_e32 vcc, 7, v25
	s_waitcnt lgkmcnt(0)
	s_barrier
	s_and_saveexec_b64 s[2:3], vcc
	s_cbranch_execz .LBB69_42
; %bb.40:
	s_waitcnt vmcnt(24)
	v_pk_mov_b32 v[118:119], v[16:17], v[46:47] op_sel:[1,0]
	ds_write_b32 v108, v16
	ds_write2_b32 v109, v118, v119 offset0:8 offset1:9
	s_waitcnt vmcnt(22)
	v_pk_mov_b32 v[118:119], v[46:47], v[50:51] op_sel:[1,0]
	ds_write2_b32 v109, v118, v119 offset0:10 offset1:11
	s_waitcnt vmcnt(20)
	v_pk_mov_b32 v[118:119], v[50:51], v[44:45] op_sel:[1,0]
	;; [unrolled: 3-line block ×12, first 2 shown]
	ds_write2_b32 v109, v118, v119 offset0:32 offset1:33
	ds_write_b32 v109, v107 offset:136
	ds_read_b32 v117, v108
	s_waitcnt lgkmcnt(0)
	v_cmp_neq_f32_e32 vcc, 0, v117
	s_and_b64 exec, exec, vcc
	s_cbranch_execz .LBB69_42
; %bb.41:
	v_div_scale_f32 v118, s[4:5], v117, v117, 1.0
	v_rcp_f32_e32 v119, v118
	v_div_scale_f32 v120, vcc, 1.0, v117, 1.0
	v_fma_f32 v121, -v118, v119, 1.0
	v_fmac_f32_e32 v119, v121, v119
	v_mul_f32_e32 v121, v120, v119
	v_fma_f32 v122, -v118, v121, v120
	v_fmac_f32_e32 v121, v122, v119
	v_fma_f32 v118, -v118, v121, v120
	v_div_fmas_f32 v118, v118, v119, v121
	v_div_fixup_f32 v117, v118, v117, 1.0
	ds_write_b32 v108, v117
.LBB69_42:
	s_or_b64 exec, exec, s[2:3]
	s_waitcnt lgkmcnt(0)
	s_barrier
	ds_read_b32 v117, v108
	v_cmp_lt_u32_e32 vcc, 7, v25
	s_and_saveexec_b64 s[2:3], vcc
	s_cbranch_execz .LBB69_44
; %bb.43:
	ds_read_b32 v124, v109 offset:32
	ds_read2_b32 v[118:119], v109 offset0:9 offset1:10
	ds_read2_b32 v[120:121], v109 offset0:11 offset1:12
	s_waitcnt vmcnt(27) lgkmcnt(3)
	v_mul_f32_e32 v16, v117, v16
	ds_read2_b32 v[122:123], v109 offset0:13 offset1:14
	s_waitcnt vmcnt(26) lgkmcnt(3)
	v_fma_f32 v17, -v16, v124, v17
	s_waitcnt vmcnt(24) lgkmcnt(2)
	v_pk_fma_f32 v[46:47], v[16:17], v[118:119], v[46:47] op_sel_hi:[0,1,1] neg_lo:[1,0,0] neg_hi:[1,0,0]
	s_waitcnt vmcnt(22) lgkmcnt(1)
	v_pk_fma_f32 v[50:51], v[16:17], v[120:121], v[50:51] op_sel_hi:[0,1,1] neg_lo:[1,0,0] neg_hi:[1,0,0]
	ds_read2_b32 v[118:119], v109 offset0:15 offset1:16
	ds_read2_b32 v[120:121], v109 offset0:17 offset1:18
	;; [unrolled: 1-line block ×3, first 2 shown]
	s_waitcnt vmcnt(20) lgkmcnt(3)
	v_pk_fma_f32 v[44:45], v[16:17], v[122:123], v[44:45] op_sel_hi:[0,1,1] neg_lo:[1,0,0] neg_hi:[1,0,0]
	ds_read2_b32 v[122:123], v109 offset0:21 offset1:22
	s_waitcnt vmcnt(18) lgkmcnt(3)
	v_pk_fma_f32 v[48:49], v[16:17], v[118:119], v[48:49] op_sel_hi:[0,1,1] neg_lo:[1,0,0] neg_hi:[1,0,0]
	ds_read2_b32 v[118:119], v109 offset0:23 offset1:24
	s_waitcnt vmcnt(16) lgkmcnt(3)
	v_pk_fma_f32 v[74:75], v[16:17], v[120:121], v[74:75] op_sel_hi:[0,1,1] neg_lo:[1,0,0] neg_hi:[1,0,0]
	s_waitcnt vmcnt(14) lgkmcnt(2)
	v_pk_fma_f32 v[68:69], v[16:17], v[124:125], v[68:69] op_sel_hi:[0,1,1] neg_lo:[1,0,0] neg_hi:[1,0,0]
	s_waitcnt vmcnt(12) lgkmcnt(1)
	v_pk_fma_f32 v[70:71], v[16:17], v[122:123], v[70:71] op_sel_hi:[0,1,1] neg_lo:[1,0,0] neg_hi:[1,0,0]
	ds_read2_b32 v[120:121], v109 offset0:25 offset1:26
	ds_read2_b32 v[122:123], v109 offset0:27 offset1:28
	;; [unrolled: 1-line block ×3, first 2 shown]
	s_waitcnt vmcnt(10) lgkmcnt(3)
	v_pk_fma_f32 v[72:73], v[16:17], v[118:119], v[72:73] op_sel_hi:[0,1,1] neg_lo:[1,0,0] neg_hi:[1,0,0]
	ds_read2_b32 v[118:119], v109 offset0:31 offset1:32
	ds_read2_b32 v[126:127], v109 offset0:33 offset1:34
	s_waitcnt vmcnt(8) lgkmcnt(4)
	v_pk_fma_f32 v[94:95], v[16:17], v[120:121], v[94:95] op_sel_hi:[0,1,1] neg_lo:[1,0,0] neg_hi:[1,0,0]
	s_waitcnt vmcnt(6) lgkmcnt(3)
	v_pk_fma_f32 v[96:97], v[16:17], v[122:123], v[96:97] op_sel_hi:[0,1,1] neg_lo:[1,0,0] neg_hi:[1,0,0]
	;; [unrolled: 2-line block ×5, first 2 shown]
.LBB69_44:
	s_or_b64 exec, exec, s[2:3]
	v_cmp_ne_u32_e32 vcc, 8, v25
	s_waitcnt lgkmcnt(0)
	s_barrier
	s_and_saveexec_b64 s[2:3], vcc
	s_xor_b64 s[2:3], exec, s[2:3]
	s_andn2_saveexec_b64 s[2:3], s[2:3]
	s_cbranch_execz .LBB69_48
; %bb.45:
	s_waitcnt vmcnt(26)
	ds_write_b32 v108, v17
	s_waitcnt vmcnt(24)
	ds_write2_b32 v109, v46, v47 offset0:9 offset1:10
	s_waitcnt vmcnt(22)
	ds_write2_b32 v109, v50, v51 offset0:11 offset1:12
	;; [unrolled: 2-line block ×13, first 2 shown]
	ds_read_b32 v118, v108
	s_waitcnt lgkmcnt(0)
	v_cmp_neq_f32_e32 vcc, 0, v118
	s_and_saveexec_b64 s[4:5], vcc
	s_cbranch_execz .LBB69_47
; %bb.46:
	v_div_scale_f32 v119, s[10:11], v118, v118, 1.0
	v_rcp_f32_e32 v120, v119
	v_div_scale_f32 v121, vcc, 1.0, v118, 1.0
	v_fma_f32 v122, -v119, v120, 1.0
	v_fmac_f32_e32 v120, v122, v120
	v_mul_f32_e32 v122, v121, v120
	v_fma_f32 v123, -v119, v122, v121
	v_fmac_f32_e32 v122, v123, v120
	v_fma_f32 v119, -v119, v122, v121
	v_div_fmas_f32 v119, v119, v120, v122
	v_div_fixup_f32 v118, v119, v118, 1.0
	ds_write_b32 v108, v118
.LBB69_47:
	s_or_b64 exec, exec, s[4:5]
.LBB69_48:
	s_or_b64 exec, exec, s[2:3]
	s_waitcnt lgkmcnt(0)
	s_barrier
	ds_read_b32 v118, v108
	v_cmp_lt_u32_e32 vcc, 8, v25
	s_and_saveexec_b64 s[2:3], vcc
	s_cbranch_execz .LBB69_50
; %bb.49:
	ds_read2_b32 v[122:123], v109 offset0:9 offset1:10
	s_waitcnt vmcnt(26) lgkmcnt(1)
	v_mul_f32_e32 v120, v118, v17
	v_mov_b32_e32 v17, v120
	s_waitcnt vmcnt(24) lgkmcnt(0)
	v_pk_fma_f32 v[46:47], v[120:121], v[122:123], v[46:47] op_sel_hi:[0,1,1] neg_lo:[1,0,0] neg_hi:[1,0,0]
	ds_read2_b32 v[122:123], v109 offset0:11 offset1:12
	s_waitcnt vmcnt(22) lgkmcnt(0)
	v_pk_fma_f32 v[50:51], v[120:121], v[122:123], v[50:51] op_sel_hi:[0,1,1] neg_lo:[1,0,0] neg_hi:[1,0,0]
	ds_read2_b32 v[122:123], v109 offset0:13 offset1:14
	;; [unrolled: 3-line block ×12, first 2 shown]
	s_waitcnt vmcnt(0) lgkmcnt(0)
	v_pk_fma_f32 v[106:107], v[120:121], v[122:123], v[106:107] op_sel_hi:[0,1,1] neg_lo:[1,0,0] neg_hi:[1,0,0]
.LBB69_50:
	s_or_b64 exec, exec, s[2:3]
	v_cmp_eq_u32_e32 vcc, 9, v25
	s_waitcnt lgkmcnt(0)
	s_barrier
	s_and_saveexec_b64 s[2:3], vcc
	s_cbranch_execz .LBB69_53
; %bb.51:
	s_waitcnt vmcnt(22)
	v_pk_mov_b32 v[120:121], v[46:47], v[50:51] op_sel:[1,0]
	ds_write_b32 v108, v46
	ds_write2_b32 v109, v120, v121 offset0:10 offset1:11
	s_waitcnt vmcnt(20)
	v_pk_mov_b32 v[120:121], v[50:51], v[44:45] op_sel:[1,0]
	ds_write2_b32 v109, v120, v121 offset0:12 offset1:13
	s_waitcnt vmcnt(18)
	v_pk_mov_b32 v[120:121], v[44:45], v[48:49] op_sel:[1,0]
	;; [unrolled: 3-line block ×11, first 2 shown]
	ds_write2_b32 v109, v120, v121 offset0:32 offset1:33
	ds_write_b32 v109, v107 offset:136
	ds_read_b32 v119, v108
	s_waitcnt lgkmcnt(0)
	v_cmp_neq_f32_e32 vcc, 0, v119
	s_and_b64 exec, exec, vcc
	s_cbranch_execz .LBB69_53
; %bb.52:
	v_div_scale_f32 v120, s[4:5], v119, v119, 1.0
	v_rcp_f32_e32 v121, v120
	v_div_scale_f32 v122, vcc, 1.0, v119, 1.0
	v_fma_f32 v123, -v120, v121, 1.0
	v_fmac_f32_e32 v121, v123, v121
	v_mul_f32_e32 v123, v122, v121
	v_fma_f32 v124, -v120, v123, v122
	v_fmac_f32_e32 v123, v124, v121
	v_fma_f32 v120, -v120, v123, v122
	v_div_fmas_f32 v120, v120, v121, v123
	v_div_fixup_f32 v119, v120, v119, 1.0
	ds_write_b32 v108, v119
.LBB69_53:
	s_or_b64 exec, exec, s[2:3]
	s_waitcnt lgkmcnt(0)
	s_barrier
	ds_read_b32 v119, v108
	v_cmp_lt_u32_e32 vcc, 9, v25
	s_and_saveexec_b64 s[2:3], vcc
	s_cbranch_execz .LBB69_55
; %bb.54:
	ds_read_b32 v120, v109 offset:40
	s_waitcnt vmcnt(25) lgkmcnt(1)
	v_mul_f32_e32 v46, v119, v46
	s_waitcnt vmcnt(24) lgkmcnt(0)
	v_fma_f32 v47, -v46, v120, v47
	ds_read2_b32 v[120:121], v109 offset0:11 offset1:12
	s_waitcnt vmcnt(22) lgkmcnt(0)
	v_pk_fma_f32 v[50:51], v[46:47], v[120:121], v[50:51] op_sel_hi:[0,1,1] neg_lo:[1,0,0] neg_hi:[1,0,0]
	ds_read2_b32 v[120:121], v109 offset0:13 offset1:14
	s_waitcnt vmcnt(20) lgkmcnt(0)
	v_pk_fma_f32 v[44:45], v[46:47], v[120:121], v[44:45] op_sel_hi:[0,1,1] neg_lo:[1,0,0] neg_hi:[1,0,0]
	;; [unrolled: 3-line block ×12, first 2 shown]
.LBB69_55:
	s_or_b64 exec, exec, s[2:3]
	v_cmp_ne_u32_e32 vcc, 10, v25
	s_waitcnt lgkmcnt(0)
	s_barrier
	s_and_saveexec_b64 s[2:3], vcc
	s_xor_b64 s[2:3], exec, s[2:3]
	s_andn2_saveexec_b64 s[2:3], s[2:3]
	s_cbranch_execz .LBB69_59
; %bb.56:
	s_waitcnt vmcnt(24)
	ds_write_b32 v108, v47
	s_waitcnt vmcnt(22)
	ds_write2_b32 v109, v50, v51 offset0:11 offset1:12
	s_waitcnt vmcnt(20)
	ds_write2_b32 v109, v44, v45 offset0:13 offset1:14
	s_waitcnt vmcnt(18)
	ds_write2_b32 v109, v48, v49 offset0:15 offset1:16
	s_waitcnt vmcnt(16)
	ds_write2_b32 v109, v74, v75 offset0:17 offset1:18
	s_waitcnt vmcnt(14)
	ds_write2_b32 v109, v68, v69 offset0:19 offset1:20
	s_waitcnt vmcnt(12)
	ds_write2_b32 v109, v70, v71 offset0:21 offset1:22
	s_waitcnt vmcnt(10)
	ds_write2_b32 v109, v72, v73 offset0:23 offset1:24
	s_waitcnt vmcnt(8)
	ds_write2_b32 v109, v94, v95 offset0:25 offset1:26
	s_waitcnt vmcnt(6)
	ds_write2_b32 v109, v96, v97 offset0:27 offset1:28
	s_waitcnt vmcnt(4)
	ds_write2_b32 v109, v98, v99 offset0:29 offset1:30
	s_waitcnt vmcnt(2)
	ds_write2_b32 v109, v92, v93 offset0:31 offset1:32
	s_waitcnt vmcnt(0)
	ds_write2_b32 v109, v106, v107 offset0:33 offset1:34
	ds_read_b32 v120, v108
	s_waitcnt lgkmcnt(0)
	v_cmp_neq_f32_e32 vcc, 0, v120
	s_and_saveexec_b64 s[4:5], vcc
	s_cbranch_execz .LBB69_58
; %bb.57:
	v_div_scale_f32 v121, s[10:11], v120, v120, 1.0
	v_rcp_f32_e32 v122, v121
	v_div_scale_f32 v123, vcc, 1.0, v120, 1.0
	v_fma_f32 v124, -v121, v122, 1.0
	v_fmac_f32_e32 v122, v124, v122
	v_mul_f32_e32 v124, v123, v122
	v_fma_f32 v125, -v121, v124, v123
	v_fmac_f32_e32 v124, v125, v122
	v_fma_f32 v121, -v121, v124, v123
	v_div_fmas_f32 v121, v121, v122, v124
	v_div_fixup_f32 v120, v121, v120, 1.0
	ds_write_b32 v108, v120
.LBB69_58:
	s_or_b64 exec, exec, s[4:5]
.LBB69_59:
	s_or_b64 exec, exec, s[2:3]
	s_waitcnt lgkmcnt(0)
	s_barrier
	ds_read_b32 v120, v108
	v_cmp_lt_u32_e32 vcc, 10, v25
	s_and_saveexec_b64 s[2:3], vcc
	s_cbranch_execz .LBB69_61
; %bb.60:
	ds_read2_b32 v[124:125], v109 offset0:11 offset1:12
	s_waitcnt vmcnt(24) lgkmcnt(1)
	v_mul_f32_e32 v122, v120, v47
	v_mov_b32_e32 v47, v122
	s_waitcnt vmcnt(22) lgkmcnt(0)
	v_pk_fma_f32 v[50:51], v[122:123], v[124:125], v[50:51] op_sel_hi:[0,1,1] neg_lo:[1,0,0] neg_hi:[1,0,0]
	ds_read2_b32 v[124:125], v109 offset0:13 offset1:14
	s_waitcnt vmcnt(20) lgkmcnt(0)
	v_pk_fma_f32 v[44:45], v[122:123], v[124:125], v[44:45] op_sel_hi:[0,1,1] neg_lo:[1,0,0] neg_hi:[1,0,0]
	ds_read2_b32 v[124:125], v109 offset0:15 offset1:16
	;; [unrolled: 3-line block ×11, first 2 shown]
	s_waitcnt vmcnt(0) lgkmcnt(0)
	v_pk_fma_f32 v[106:107], v[122:123], v[124:125], v[106:107] op_sel_hi:[0,1,1] neg_lo:[1,0,0] neg_hi:[1,0,0]
.LBB69_61:
	s_or_b64 exec, exec, s[2:3]
	v_cmp_eq_u32_e32 vcc, 11, v25
	s_waitcnt lgkmcnt(0)
	s_barrier
	s_and_saveexec_b64 s[2:3], vcc
	s_cbranch_execz .LBB69_64
; %bb.62:
	s_waitcnt vmcnt(20)
	v_pk_mov_b32 v[122:123], v[50:51], v[44:45] op_sel:[1,0]
	ds_write_b32 v108, v50
	ds_write2_b32 v109, v122, v123 offset0:12 offset1:13
	s_waitcnt vmcnt(18)
	v_pk_mov_b32 v[122:123], v[44:45], v[48:49] op_sel:[1,0]
	ds_write2_b32 v109, v122, v123 offset0:14 offset1:15
	s_waitcnt vmcnt(16)
	v_pk_mov_b32 v[122:123], v[48:49], v[74:75] op_sel:[1,0]
	;; [unrolled: 3-line block ×10, first 2 shown]
	ds_write2_b32 v109, v122, v123 offset0:32 offset1:33
	ds_write_b32 v109, v107 offset:136
	ds_read_b32 v121, v108
	s_waitcnt lgkmcnt(0)
	v_cmp_neq_f32_e32 vcc, 0, v121
	s_and_b64 exec, exec, vcc
	s_cbranch_execz .LBB69_64
; %bb.63:
	v_div_scale_f32 v122, s[4:5], v121, v121, 1.0
	v_rcp_f32_e32 v123, v122
	v_div_scale_f32 v124, vcc, 1.0, v121, 1.0
	v_fma_f32 v125, -v122, v123, 1.0
	v_fmac_f32_e32 v123, v125, v123
	v_mul_f32_e32 v125, v124, v123
	v_fma_f32 v126, -v122, v125, v124
	v_fmac_f32_e32 v125, v126, v123
	v_fma_f32 v122, -v122, v125, v124
	v_div_fmas_f32 v122, v122, v123, v125
	v_div_fixup_f32 v121, v122, v121, 1.0
	ds_write_b32 v108, v121
.LBB69_64:
	s_or_b64 exec, exec, s[2:3]
	s_waitcnt lgkmcnt(0)
	s_barrier
	ds_read_b32 v121, v108
	v_cmp_lt_u32_e32 vcc, 11, v25
	s_and_saveexec_b64 s[2:3], vcc
	s_cbranch_execz .LBB69_66
; %bb.65:
	ds_read_b32 v122, v109 offset:48
	s_waitcnt vmcnt(23) lgkmcnt(1)
	v_mul_f32_e32 v50, v121, v50
	s_waitcnt vmcnt(22) lgkmcnt(0)
	v_fma_f32 v51, -v50, v122, v51
	ds_read2_b32 v[122:123], v109 offset0:13 offset1:14
	s_waitcnt vmcnt(20) lgkmcnt(0)
	v_pk_fma_f32 v[44:45], v[50:51], v[122:123], v[44:45] op_sel_hi:[0,1,1] neg_lo:[1,0,0] neg_hi:[1,0,0]
	ds_read2_b32 v[122:123], v109 offset0:15 offset1:16
	s_waitcnt vmcnt(18) lgkmcnt(0)
	v_pk_fma_f32 v[48:49], v[50:51], v[122:123], v[48:49] op_sel_hi:[0,1,1] neg_lo:[1,0,0] neg_hi:[1,0,0]
	;; [unrolled: 3-line block ×11, first 2 shown]
.LBB69_66:
	s_or_b64 exec, exec, s[2:3]
	v_cmp_ne_u32_e32 vcc, 12, v25
	s_waitcnt lgkmcnt(0)
	s_barrier
	s_and_saveexec_b64 s[2:3], vcc
	s_xor_b64 s[2:3], exec, s[2:3]
	s_andn2_saveexec_b64 s[2:3], s[2:3]
	s_cbranch_execz .LBB69_70
; %bb.67:
	s_waitcnt vmcnt(22)
	ds_write_b32 v108, v51
	s_waitcnt vmcnt(20)
	ds_write2_b32 v109, v44, v45 offset0:13 offset1:14
	s_waitcnt vmcnt(18)
	ds_write2_b32 v109, v48, v49 offset0:15 offset1:16
	;; [unrolled: 2-line block ×11, first 2 shown]
	ds_read_b32 v122, v108
	s_waitcnt lgkmcnt(0)
	v_cmp_neq_f32_e32 vcc, 0, v122
	s_and_saveexec_b64 s[4:5], vcc
	s_cbranch_execz .LBB69_69
; %bb.68:
	v_div_scale_f32 v123, s[10:11], v122, v122, 1.0
	v_rcp_f32_e32 v124, v123
	v_div_scale_f32 v125, vcc, 1.0, v122, 1.0
	v_fma_f32 v126, -v123, v124, 1.0
	v_fmac_f32_e32 v124, v126, v124
	v_mul_f32_e32 v126, v125, v124
	v_fma_f32 v127, -v123, v126, v125
	v_fmac_f32_e32 v126, v127, v124
	v_fma_f32 v123, -v123, v126, v125
	v_div_fmas_f32 v123, v123, v124, v126
	v_div_fixup_f32 v122, v123, v122, 1.0
	ds_write_b32 v108, v122
.LBB69_69:
	s_or_b64 exec, exec, s[4:5]
.LBB69_70:
	s_or_b64 exec, exec, s[2:3]
	s_waitcnt lgkmcnt(0)
	s_barrier
	ds_read_b32 v122, v108
	v_cmp_lt_u32_e32 vcc, 12, v25
	s_and_saveexec_b64 s[2:3], vcc
	s_cbranch_execz .LBB69_72
; %bb.71:
	ds_read2_b32 v[126:127], v109 offset0:13 offset1:14
	s_waitcnt vmcnt(22) lgkmcnt(1)
	v_mul_f32_e32 v124, v122, v51
	v_mov_b32_e32 v51, v124
	s_waitcnt vmcnt(20) lgkmcnt(0)
	v_pk_fma_f32 v[44:45], v[124:125], v[126:127], v[44:45] op_sel_hi:[0,1,1] neg_lo:[1,0,0] neg_hi:[1,0,0]
	ds_read2_b32 v[126:127], v109 offset0:15 offset1:16
	s_waitcnt vmcnt(18) lgkmcnt(0)
	v_pk_fma_f32 v[48:49], v[124:125], v[126:127], v[48:49] op_sel_hi:[0,1,1] neg_lo:[1,0,0] neg_hi:[1,0,0]
	ds_read2_b32 v[126:127], v109 offset0:17 offset1:18
	;; [unrolled: 3-line block ×10, first 2 shown]
	s_waitcnt vmcnt(0) lgkmcnt(0)
	v_pk_fma_f32 v[106:107], v[124:125], v[126:127], v[106:107] op_sel_hi:[0,1,1] neg_lo:[1,0,0] neg_hi:[1,0,0]
.LBB69_72:
	s_or_b64 exec, exec, s[2:3]
	v_cmp_eq_u32_e32 vcc, 13, v25
	s_waitcnt lgkmcnt(0)
	s_barrier
	s_and_saveexec_b64 s[2:3], vcc
	s_cbranch_execz .LBB69_75
; %bb.73:
	s_waitcnt vmcnt(18)
	v_pk_mov_b32 v[124:125], v[44:45], v[48:49] op_sel:[1,0]
	ds_write_b32 v108, v44
	ds_write2_b32 v109, v124, v125 offset0:14 offset1:15
	s_waitcnt vmcnt(16)
	v_pk_mov_b32 v[124:125], v[48:49], v[74:75] op_sel:[1,0]
	ds_write2_b32 v109, v124, v125 offset0:16 offset1:17
	s_waitcnt vmcnt(14)
	v_pk_mov_b32 v[124:125], v[74:75], v[68:69] op_sel:[1,0]
	;; [unrolled: 3-line block ×9, first 2 shown]
	ds_write2_b32 v109, v124, v125 offset0:32 offset1:33
	ds_write_b32 v109, v107 offset:136
	ds_read_b32 v123, v108
	s_waitcnt lgkmcnt(0)
	v_cmp_neq_f32_e32 vcc, 0, v123
	s_and_b64 exec, exec, vcc
	s_cbranch_execz .LBB69_75
; %bb.74:
	v_div_scale_f32 v124, s[4:5], v123, v123, 1.0
	v_rcp_f32_e32 v125, v124
	v_div_scale_f32 v126, vcc, 1.0, v123, 1.0
	v_fma_f32 v127, -v124, v125, 1.0
	v_fmac_f32_e32 v125, v127, v125
	v_mul_f32_e32 v127, v126, v125
	v_fma_f32 v128, -v124, v127, v126
	v_fmac_f32_e32 v127, v128, v125
	v_fma_f32 v124, -v124, v127, v126
	v_div_fmas_f32 v124, v124, v125, v127
	v_div_fixup_f32 v123, v124, v123, 1.0
	ds_write_b32 v108, v123
.LBB69_75:
	s_or_b64 exec, exec, s[2:3]
	s_waitcnt lgkmcnt(0)
	s_barrier
	ds_read_b32 v123, v108
	v_cmp_lt_u32_e32 vcc, 13, v25
	s_and_saveexec_b64 s[2:3], vcc
	s_cbranch_execz .LBB69_77
; %bb.76:
	ds_read_b32 v130, v109 offset:56
	ds_read2_b32 v[124:125], v109 offset0:15 offset1:16
	ds_read2_b32 v[126:127], v109 offset0:17 offset1:18
	s_waitcnt vmcnt(21) lgkmcnt(3)
	v_mul_f32_e32 v44, v123, v44
	ds_read2_b32 v[128:129], v109 offset0:19 offset1:20
	s_waitcnt vmcnt(20) lgkmcnt(3)
	v_fma_f32 v45, -v44, v130, v45
	s_waitcnt vmcnt(18) lgkmcnt(2)
	v_pk_fma_f32 v[48:49], v[44:45], v[124:125], v[48:49] op_sel_hi:[0,1,1] neg_lo:[1,0,0] neg_hi:[1,0,0]
	s_waitcnt vmcnt(16) lgkmcnt(1)
	v_pk_fma_f32 v[74:75], v[44:45], v[126:127], v[74:75] op_sel_hi:[0,1,1] neg_lo:[1,0,0] neg_hi:[1,0,0]
	ds_read2_b32 v[124:125], v109 offset0:21 offset1:22
	ds_read2_b32 v[126:127], v109 offset0:23 offset1:24
	s_waitcnt vmcnt(14) lgkmcnt(2)
	v_pk_fma_f32 v[68:69], v[44:45], v[128:129], v[68:69] op_sel_hi:[0,1,1] neg_lo:[1,0,0] neg_hi:[1,0,0]
	ds_read2_b32 v[128:129], v109 offset0:25 offset1:26
	ds_read2_b32 v[130:131], v109 offset0:27 offset1:28
	s_waitcnt vmcnt(12) lgkmcnt(3)
	v_pk_fma_f32 v[70:71], v[44:45], v[124:125], v[70:71] op_sel_hi:[0,1,1] neg_lo:[1,0,0] neg_hi:[1,0,0]
	s_waitcnt vmcnt(10) lgkmcnt(2)
	v_pk_fma_f32 v[72:73], v[44:45], v[126:127], v[72:73] op_sel_hi:[0,1,1] neg_lo:[1,0,0] neg_hi:[1,0,0]
	ds_read2_b32 v[124:125], v109 offset0:29 offset1:30
	ds_read2_b32 v[126:127], v109 offset0:31 offset1:32
	;; [unrolled: 1-line block ×3, first 2 shown]
	s_waitcnt vmcnt(8) lgkmcnt(4)
	v_pk_fma_f32 v[94:95], v[44:45], v[128:129], v[94:95] op_sel_hi:[0,1,1] neg_lo:[1,0,0] neg_hi:[1,0,0]
	s_waitcnt vmcnt(6) lgkmcnt(3)
	v_pk_fma_f32 v[96:97], v[44:45], v[130:131], v[96:97] op_sel_hi:[0,1,1] neg_lo:[1,0,0] neg_hi:[1,0,0]
	;; [unrolled: 2-line block ×5, first 2 shown]
.LBB69_77:
	s_or_b64 exec, exec, s[2:3]
	v_cmp_ne_u32_e32 vcc, 14, v25
	s_waitcnt lgkmcnt(0)
	s_barrier
	s_and_saveexec_b64 s[2:3], vcc
	s_xor_b64 s[2:3], exec, s[2:3]
	s_andn2_saveexec_b64 s[2:3], s[2:3]
	s_cbranch_execz .LBB69_81
; %bb.78:
	s_waitcnt vmcnt(20)
	ds_write_b32 v108, v45
	s_waitcnt vmcnt(18)
	ds_write2_b32 v109, v48, v49 offset0:15 offset1:16
	s_waitcnt vmcnt(16)
	ds_write2_b32 v109, v74, v75 offset0:17 offset1:18
	;; [unrolled: 2-line block ×10, first 2 shown]
	ds_read_b32 v124, v108
	s_waitcnt lgkmcnt(0)
	v_cmp_neq_f32_e32 vcc, 0, v124
	s_and_saveexec_b64 s[4:5], vcc
	s_cbranch_execz .LBB69_80
; %bb.79:
	v_div_scale_f32 v125, s[10:11], v124, v124, 1.0
	v_rcp_f32_e32 v126, v125
	v_div_scale_f32 v127, vcc, 1.0, v124, 1.0
	v_fma_f32 v128, -v125, v126, 1.0
	v_fmac_f32_e32 v126, v128, v126
	v_mul_f32_e32 v128, v127, v126
	v_fma_f32 v129, -v125, v128, v127
	v_fmac_f32_e32 v128, v129, v126
	v_fma_f32 v125, -v125, v128, v127
	v_div_fmas_f32 v125, v125, v126, v128
	v_div_fixup_f32 v124, v125, v124, 1.0
	ds_write_b32 v108, v124
.LBB69_80:
	s_or_b64 exec, exec, s[4:5]
.LBB69_81:
	s_or_b64 exec, exec, s[2:3]
	s_waitcnt lgkmcnt(0)
	s_barrier
	ds_read_b32 v124, v108
	v_cmp_lt_u32_e32 vcc, 14, v25
	s_and_saveexec_b64 s[2:3], vcc
	s_cbranch_execz .LBB69_83
; %bb.82:
	ds_read2_b32 v[126:127], v109 offset0:15 offset1:16
	ds_read2_b32 v[128:129], v109 offset0:17 offset1:18
	;; [unrolled: 1-line block ×3, first 2 shown]
	s_waitcnt vmcnt(20) lgkmcnt(3)
	v_mul_f32_e32 v132, v124, v45
	ds_read2_b32 v[134:135], v109 offset0:21 offset1:22
	s_waitcnt vmcnt(18) lgkmcnt(3)
	v_pk_fma_f32 v[48:49], v[132:133], v[126:127], v[48:49] op_sel_hi:[0,1,1] neg_lo:[1,0,0] neg_hi:[1,0,0]
	ds_read2_b32 v[126:127], v109 offset0:23 offset1:24
	s_waitcnt vmcnt(16) lgkmcnt(3)
	v_pk_fma_f32 v[74:75], v[132:133], v[128:129], v[74:75] op_sel_hi:[0,1,1] neg_lo:[1,0,0] neg_hi:[1,0,0]
	s_waitcnt vmcnt(14) lgkmcnt(2)
	v_pk_fma_f32 v[68:69], v[132:133], v[130:131], v[68:69] op_sel_hi:[0,1,1] neg_lo:[1,0,0] neg_hi:[1,0,0]
	;; [unrolled: 2-line block ×3, first 2 shown]
	ds_read2_b32 v[128:129], v109 offset0:25 offset1:26
	ds_read2_b32 v[130:131], v109 offset0:27 offset1:28
	;; [unrolled: 1-line block ×3, first 2 shown]
	s_waitcnt vmcnt(10) lgkmcnt(3)
	v_pk_fma_f32 v[72:73], v[132:133], v[126:127], v[72:73] op_sel_hi:[0,1,1] neg_lo:[1,0,0] neg_hi:[1,0,0]
	ds_read2_b32 v[126:127], v109 offset0:31 offset1:32
	ds_read2_b32 v[136:137], v109 offset0:33 offset1:34
	s_waitcnt vmcnt(8) lgkmcnt(4)
	v_pk_fma_f32 v[94:95], v[132:133], v[128:129], v[94:95] op_sel_hi:[0,1,1] neg_lo:[1,0,0] neg_hi:[1,0,0]
	s_waitcnt vmcnt(6) lgkmcnt(3)
	v_pk_fma_f32 v[96:97], v[132:133], v[130:131], v[96:97] op_sel_hi:[0,1,1] neg_lo:[1,0,0] neg_hi:[1,0,0]
	;; [unrolled: 2-line block ×5, first 2 shown]
	v_mov_b32_e32 v45, v132
.LBB69_83:
	s_or_b64 exec, exec, s[2:3]
	v_cmp_eq_u32_e32 vcc, 15, v25
	s_waitcnt lgkmcnt(0)
	s_barrier
	s_and_saveexec_b64 s[2:3], vcc
	s_cbranch_execz .LBB69_86
; %bb.84:
	s_waitcnt vmcnt(16)
	v_pk_mov_b32 v[126:127], v[48:49], v[74:75] op_sel:[1,0]
	ds_write_b32 v108, v48
	ds_write2_b32 v109, v126, v127 offset0:16 offset1:17
	s_waitcnt vmcnt(14)
	v_pk_mov_b32 v[126:127], v[74:75], v[68:69] op_sel:[1,0]
	ds_write2_b32 v109, v126, v127 offset0:18 offset1:19
	s_waitcnt vmcnt(12)
	v_pk_mov_b32 v[126:127], v[68:69], v[70:71] op_sel:[1,0]
	;; [unrolled: 3-line block ×8, first 2 shown]
	ds_write2_b32 v109, v126, v127 offset0:32 offset1:33
	ds_write_b32 v109, v107 offset:136
	ds_read_b32 v125, v108
	s_waitcnt lgkmcnt(0)
	v_cmp_neq_f32_e32 vcc, 0, v125
	s_and_b64 exec, exec, vcc
	s_cbranch_execz .LBB69_86
; %bb.85:
	v_div_scale_f32 v126, s[4:5], v125, v125, 1.0
	v_rcp_f32_e32 v127, v126
	v_div_scale_f32 v128, vcc, 1.0, v125, 1.0
	v_fma_f32 v129, -v126, v127, 1.0
	v_fmac_f32_e32 v127, v129, v127
	v_mul_f32_e32 v129, v128, v127
	v_fma_f32 v130, -v126, v129, v128
	v_fmac_f32_e32 v129, v130, v127
	v_fma_f32 v126, -v126, v129, v128
	v_div_fmas_f32 v126, v126, v127, v129
	v_div_fixup_f32 v125, v126, v125, 1.0
	ds_write_b32 v108, v125
.LBB69_86:
	s_or_b64 exec, exec, s[2:3]
	s_waitcnt lgkmcnt(0)
	s_barrier
	ds_read_b32 v125, v108
	v_cmp_lt_u32_e32 vcc, 15, v25
	s_and_saveexec_b64 s[2:3], vcc
	s_cbranch_execz .LBB69_88
; %bb.87:
	ds_read_b32 v132, v109 offset:64
	ds_read2_b32 v[126:127], v109 offset0:17 offset1:18
	ds_read2_b32 v[128:129], v109 offset0:19 offset1:20
	s_waitcnt vmcnt(19) lgkmcnt(3)
	v_mul_f32_e32 v48, v125, v48
	ds_read2_b32 v[130:131], v109 offset0:21 offset1:22
	s_waitcnt vmcnt(18) lgkmcnt(3)
	v_fma_f32 v49, -v48, v132, v49
	s_waitcnt vmcnt(16) lgkmcnt(2)
	v_pk_fma_f32 v[74:75], v[48:49], v[126:127], v[74:75] op_sel_hi:[0,1,1] neg_lo:[1,0,0] neg_hi:[1,0,0]
	ds_read2_b32 v[126:127], v109 offset0:23 offset1:24
	s_waitcnt vmcnt(14) lgkmcnt(2)
	v_pk_fma_f32 v[68:69], v[48:49], v[128:129], v[68:69] op_sel_hi:[0,1,1] neg_lo:[1,0,0] neg_hi:[1,0,0]
	s_waitcnt vmcnt(12) lgkmcnt(1)
	v_pk_fma_f32 v[70:71], v[48:49], v[130:131], v[70:71] op_sel_hi:[0,1,1] neg_lo:[1,0,0] neg_hi:[1,0,0]
	ds_read2_b32 v[128:129], v109 offset0:25 offset1:26
	ds_read2_b32 v[130:131], v109 offset0:27 offset1:28
	;; [unrolled: 1-line block ×3, first 2 shown]
	s_waitcnt vmcnt(10) lgkmcnt(3)
	v_pk_fma_f32 v[72:73], v[48:49], v[126:127], v[72:73] op_sel_hi:[0,1,1] neg_lo:[1,0,0] neg_hi:[1,0,0]
	ds_read2_b32 v[126:127], v109 offset0:31 offset1:32
	ds_read2_b32 v[134:135], v109 offset0:33 offset1:34
	s_waitcnt vmcnt(8) lgkmcnt(4)
	v_pk_fma_f32 v[94:95], v[48:49], v[128:129], v[94:95] op_sel_hi:[0,1,1] neg_lo:[1,0,0] neg_hi:[1,0,0]
	s_waitcnt vmcnt(6) lgkmcnt(3)
	v_pk_fma_f32 v[96:97], v[48:49], v[130:131], v[96:97] op_sel_hi:[0,1,1] neg_lo:[1,0,0] neg_hi:[1,0,0]
	;; [unrolled: 2-line block ×5, first 2 shown]
.LBB69_88:
	s_or_b64 exec, exec, s[2:3]
	v_cmp_ne_u32_e32 vcc, 16, v25
	s_waitcnt lgkmcnt(0)
	s_barrier
	s_and_saveexec_b64 s[2:3], vcc
	s_xor_b64 s[2:3], exec, s[2:3]
	s_andn2_saveexec_b64 s[2:3], s[2:3]
	s_cbranch_execz .LBB69_92
; %bb.89:
	s_waitcnt vmcnt(18)
	ds_write_b32 v108, v49
	s_waitcnt vmcnt(16)
	ds_write2_b32 v109, v74, v75 offset0:17 offset1:18
	s_waitcnt vmcnt(14)
	ds_write2_b32 v109, v68, v69 offset0:19 offset1:20
	;; [unrolled: 2-line block ×9, first 2 shown]
	ds_read_b32 v126, v108
	s_waitcnt lgkmcnt(0)
	v_cmp_neq_f32_e32 vcc, 0, v126
	s_and_saveexec_b64 s[4:5], vcc
	s_cbranch_execz .LBB69_91
; %bb.90:
	v_div_scale_f32 v127, s[10:11], v126, v126, 1.0
	v_rcp_f32_e32 v128, v127
	v_div_scale_f32 v129, vcc, 1.0, v126, 1.0
	v_fma_f32 v130, -v127, v128, 1.0
	v_fmac_f32_e32 v128, v130, v128
	v_mul_f32_e32 v130, v129, v128
	v_fma_f32 v131, -v127, v130, v129
	v_fmac_f32_e32 v130, v131, v128
	v_fma_f32 v127, -v127, v130, v129
	v_div_fmas_f32 v127, v127, v128, v130
	v_div_fixup_f32 v126, v127, v126, 1.0
	ds_write_b32 v108, v126
.LBB69_91:
	s_or_b64 exec, exec, s[4:5]
.LBB69_92:
	s_or_b64 exec, exec, s[2:3]
	s_waitcnt lgkmcnt(0)
	s_barrier
	ds_read_b32 v126, v108
	v_cmp_lt_u32_e32 vcc, 16, v25
	s_and_saveexec_b64 s[2:3], vcc
	s_cbranch_execz .LBB69_94
; %bb.93:
	ds_read2_b32 v[128:129], v109 offset0:17 offset1:18
	ds_read2_b32 v[130:131], v109 offset0:19 offset1:20
	;; [unrolled: 1-line block ×4, first 2 shown]
	s_waitcnt vmcnt(18) lgkmcnt(4)
	v_mul_f32_e32 v136, v126, v49
	s_waitcnt vmcnt(16) lgkmcnt(3)
	v_pk_fma_f32 v[74:75], v[136:137], v[128:129], v[74:75] op_sel_hi:[0,1,1] neg_lo:[1,0,0] neg_hi:[1,0,0]
	s_waitcnt vmcnt(14) lgkmcnt(2)
	v_pk_fma_f32 v[68:69], v[136:137], v[130:131], v[68:69] op_sel_hi:[0,1,1] neg_lo:[1,0,0] neg_hi:[1,0,0]
	s_waitcnt vmcnt(12) lgkmcnt(1)
	v_pk_fma_f32 v[70:71], v[136:137], v[132:133], v[70:71] op_sel_hi:[0,1,1] neg_lo:[1,0,0] neg_hi:[1,0,0]
	s_waitcnt vmcnt(10) lgkmcnt(0)
	v_pk_fma_f32 v[72:73], v[136:137], v[134:135], v[72:73] op_sel_hi:[0,1,1] neg_lo:[1,0,0] neg_hi:[1,0,0]
	ds_read2_b32 v[128:129], v109 offset0:25 offset1:26
	ds_read2_b32 v[130:131], v109 offset0:27 offset1:28
	ds_read2_b32 v[132:133], v109 offset0:29 offset1:30
	ds_read2_b32 v[134:135], v109 offset0:31 offset1:32
	ds_read2_b32 v[138:139], v109 offset0:33 offset1:34
	s_waitcnt vmcnt(8) lgkmcnt(4)
	v_pk_fma_f32 v[94:95], v[136:137], v[128:129], v[94:95] op_sel_hi:[0,1,1] neg_lo:[1,0,0] neg_hi:[1,0,0]
	s_waitcnt vmcnt(6) lgkmcnt(3)
	v_pk_fma_f32 v[96:97], v[136:137], v[130:131], v[96:97] op_sel_hi:[0,1,1] neg_lo:[1,0,0] neg_hi:[1,0,0]
	;; [unrolled: 2-line block ×5, first 2 shown]
	v_mov_b32_e32 v49, v136
.LBB69_94:
	s_or_b64 exec, exec, s[2:3]
	v_cmp_eq_u32_e32 vcc, 17, v25
	s_waitcnt lgkmcnt(0)
	s_barrier
	s_and_saveexec_b64 s[2:3], vcc
	s_cbranch_execz .LBB69_97
; %bb.95:
	s_waitcnt vmcnt(14)
	v_pk_mov_b32 v[128:129], v[74:75], v[68:69] op_sel:[1,0]
	ds_write_b32 v108, v74
	ds_write2_b32 v109, v128, v129 offset0:18 offset1:19
	s_waitcnt vmcnt(12)
	v_pk_mov_b32 v[128:129], v[68:69], v[70:71] op_sel:[1,0]
	ds_write2_b32 v109, v128, v129 offset0:20 offset1:21
	s_waitcnt vmcnt(10)
	v_pk_mov_b32 v[128:129], v[70:71], v[72:73] op_sel:[1,0]
	;; [unrolled: 3-line block ×7, first 2 shown]
	ds_write2_b32 v109, v128, v129 offset0:32 offset1:33
	ds_write_b32 v109, v107 offset:136
	ds_read_b32 v127, v108
	s_waitcnt lgkmcnt(0)
	v_cmp_neq_f32_e32 vcc, 0, v127
	s_and_b64 exec, exec, vcc
	s_cbranch_execz .LBB69_97
; %bb.96:
	v_div_scale_f32 v128, s[4:5], v127, v127, 1.0
	v_rcp_f32_e32 v129, v128
	v_div_scale_f32 v130, vcc, 1.0, v127, 1.0
	v_fma_f32 v131, -v128, v129, 1.0
	v_fmac_f32_e32 v129, v131, v129
	v_mul_f32_e32 v131, v130, v129
	v_fma_f32 v132, -v128, v131, v130
	v_fmac_f32_e32 v131, v132, v129
	v_fma_f32 v128, -v128, v131, v130
	v_div_fmas_f32 v128, v128, v129, v131
	v_div_fixup_f32 v127, v128, v127, 1.0
	ds_write_b32 v108, v127
.LBB69_97:
	s_or_b64 exec, exec, s[2:3]
	s_waitcnt lgkmcnt(0)
	s_barrier
	ds_read_b32 v127, v108
	v_cmp_lt_u32_e32 vcc, 17, v25
	s_and_saveexec_b64 s[2:3], vcc
	s_cbranch_execz .LBB69_99
; %bb.98:
	ds_read_b32 v134, v109 offset:72
	ds_read2_b32 v[128:129], v109 offset0:19 offset1:20
	ds_read2_b32 v[130:131], v109 offset0:21 offset1:22
	;; [unrolled: 1-line block ×3, first 2 shown]
	s_waitcnt vmcnt(17) lgkmcnt(4)
	v_mul_f32_e32 v74, v127, v74
	s_waitcnt vmcnt(16) lgkmcnt(3)
	v_fma_f32 v75, -v74, v134, v75
	s_waitcnt vmcnt(14) lgkmcnt(2)
	v_pk_fma_f32 v[68:69], v[74:75], v[128:129], v[68:69] op_sel_hi:[0,1,1] neg_lo:[1,0,0] neg_hi:[1,0,0]
	s_waitcnt vmcnt(12) lgkmcnt(1)
	v_pk_fma_f32 v[70:71], v[74:75], v[130:131], v[70:71] op_sel_hi:[0,1,1] neg_lo:[1,0,0] neg_hi:[1,0,0]
	;; [unrolled: 2-line block ×3, first 2 shown]
	ds_read2_b32 v[128:129], v109 offset0:25 offset1:26
	ds_read2_b32 v[130:131], v109 offset0:27 offset1:28
	;; [unrolled: 1-line block ×5, first 2 shown]
	s_waitcnt vmcnt(8) lgkmcnt(4)
	v_pk_fma_f32 v[94:95], v[74:75], v[128:129], v[94:95] op_sel_hi:[0,1,1] neg_lo:[1,0,0] neg_hi:[1,0,0]
	s_waitcnt vmcnt(6) lgkmcnt(3)
	v_pk_fma_f32 v[96:97], v[74:75], v[130:131], v[96:97] op_sel_hi:[0,1,1] neg_lo:[1,0,0] neg_hi:[1,0,0]
	;; [unrolled: 2-line block ×5, first 2 shown]
.LBB69_99:
	s_or_b64 exec, exec, s[2:3]
	v_cmp_ne_u32_e32 vcc, 18, v25
	s_waitcnt lgkmcnt(0)
	s_barrier
	s_and_saveexec_b64 s[2:3], vcc
	s_xor_b64 s[2:3], exec, s[2:3]
	s_andn2_saveexec_b64 s[2:3], s[2:3]
	s_cbranch_execz .LBB69_103
; %bb.100:
	s_waitcnt vmcnt(16)
	ds_write_b32 v108, v75
	s_waitcnt vmcnt(14)
	ds_write2_b32 v109, v68, v69 offset0:19 offset1:20
	s_waitcnt vmcnt(12)
	ds_write2_b32 v109, v70, v71 offset0:21 offset1:22
	;; [unrolled: 2-line block ×8, first 2 shown]
	ds_read_b32 v128, v108
	s_waitcnt lgkmcnt(0)
	v_cmp_neq_f32_e32 vcc, 0, v128
	s_and_saveexec_b64 s[4:5], vcc
	s_cbranch_execz .LBB69_102
; %bb.101:
	v_div_scale_f32 v129, s[10:11], v128, v128, 1.0
	v_rcp_f32_e32 v130, v129
	v_div_scale_f32 v131, vcc, 1.0, v128, 1.0
	v_fma_f32 v132, -v129, v130, 1.0
	v_fmac_f32_e32 v130, v132, v130
	v_mul_f32_e32 v132, v131, v130
	v_fma_f32 v133, -v129, v132, v131
	v_fmac_f32_e32 v132, v133, v130
	v_fma_f32 v129, -v129, v132, v131
	v_div_fmas_f32 v129, v129, v130, v132
	v_div_fixup_f32 v128, v129, v128, 1.0
	ds_write_b32 v108, v128
.LBB69_102:
	s_or_b64 exec, exec, s[4:5]
.LBB69_103:
	s_or_b64 exec, exec, s[2:3]
	s_waitcnt lgkmcnt(0)
	s_barrier
	ds_read_b32 v128, v108
	v_cmp_lt_u32_e32 vcc, 18, v25
	s_and_saveexec_b64 s[2:3], vcc
	s_cbranch_execz .LBB69_105
; %bb.104:
	ds_read2_b32 v[130:131], v109 offset0:19 offset1:20
	ds_read2_b32 v[132:133], v109 offset0:21 offset1:22
	;; [unrolled: 1-line block ×3, first 2 shown]
	s_waitcnt vmcnt(16) lgkmcnt(3)
	v_mul_f32_e32 v136, v128, v75
	ds_read2_b32 v[138:139], v109 offset0:25 offset1:26
	s_waitcnt vmcnt(14) lgkmcnt(3)
	v_pk_fma_f32 v[68:69], v[136:137], v[130:131], v[68:69] op_sel_hi:[0,1,1] neg_lo:[1,0,0] neg_hi:[1,0,0]
	s_waitcnt vmcnt(12) lgkmcnt(2)
	v_pk_fma_f32 v[70:71], v[136:137], v[132:133], v[70:71] op_sel_hi:[0,1,1] neg_lo:[1,0,0] neg_hi:[1,0,0]
	;; [unrolled: 2-line block ×3, first 2 shown]
	ds_read2_b32 v[130:131], v109 offset0:27 offset1:28
	ds_read2_b32 v[132:133], v109 offset0:29 offset1:30
	;; [unrolled: 1-line block ×4, first 2 shown]
	s_waitcnt vmcnt(8) lgkmcnt(4)
	v_pk_fma_f32 v[94:95], v[136:137], v[138:139], v[94:95] op_sel_hi:[0,1,1] neg_lo:[1,0,0] neg_hi:[1,0,0]
	s_waitcnt vmcnt(6) lgkmcnt(3)
	v_pk_fma_f32 v[96:97], v[136:137], v[130:131], v[96:97] op_sel_hi:[0,1,1] neg_lo:[1,0,0] neg_hi:[1,0,0]
	;; [unrolled: 2-line block ×5, first 2 shown]
	v_mov_b32_e32 v75, v136
.LBB69_105:
	s_or_b64 exec, exec, s[2:3]
	v_cmp_eq_u32_e32 vcc, 19, v25
	s_waitcnt lgkmcnt(0)
	s_barrier
	s_and_saveexec_b64 s[2:3], vcc
	s_cbranch_execz .LBB69_108
; %bb.106:
	s_waitcnt vmcnt(12)
	v_pk_mov_b32 v[130:131], v[68:69], v[70:71] op_sel:[1,0]
	ds_write_b32 v108, v68
	ds_write2_b32 v109, v130, v131 offset0:20 offset1:21
	s_waitcnt vmcnt(10)
	v_pk_mov_b32 v[130:131], v[70:71], v[72:73] op_sel:[1,0]
	ds_write2_b32 v109, v130, v131 offset0:22 offset1:23
	s_waitcnt vmcnt(8)
	v_pk_mov_b32 v[130:131], v[72:73], v[94:95] op_sel:[1,0]
	;; [unrolled: 3-line block ×6, first 2 shown]
	ds_write2_b32 v109, v130, v131 offset0:32 offset1:33
	ds_write_b32 v109, v107 offset:136
	ds_read_b32 v129, v108
	s_waitcnt lgkmcnt(0)
	v_cmp_neq_f32_e32 vcc, 0, v129
	s_and_b64 exec, exec, vcc
	s_cbranch_execz .LBB69_108
; %bb.107:
	v_div_scale_f32 v130, s[4:5], v129, v129, 1.0
	v_rcp_f32_e32 v131, v130
	v_div_scale_f32 v132, vcc, 1.0, v129, 1.0
	v_fma_f32 v133, -v130, v131, 1.0
	v_fmac_f32_e32 v131, v133, v131
	v_mul_f32_e32 v133, v132, v131
	v_fma_f32 v134, -v130, v133, v132
	v_fmac_f32_e32 v133, v134, v131
	v_fma_f32 v130, -v130, v133, v132
	v_div_fmas_f32 v130, v130, v131, v133
	v_div_fixup_f32 v129, v130, v129, 1.0
	ds_write_b32 v108, v129
.LBB69_108:
	s_or_b64 exec, exec, s[2:3]
	s_waitcnt lgkmcnt(0)
	s_barrier
	ds_read_b32 v129, v108
	v_cmp_lt_u32_e32 vcc, 19, v25
	s_and_saveexec_b64 s[2:3], vcc
	s_cbranch_execz .LBB69_110
; %bb.109:
	ds_read_b32 v136, v109 offset:80
	ds_read2_b32 v[130:131], v109 offset0:21 offset1:22
	ds_read2_b32 v[132:133], v109 offset0:23 offset1:24
	s_waitcnt vmcnt(15) lgkmcnt(3)
	v_mul_f32_e32 v68, v129, v68
	ds_read2_b32 v[134:135], v109 offset0:25 offset1:26
	s_waitcnt vmcnt(14) lgkmcnt(3)
	v_fma_f32 v69, -v68, v136, v69
	s_waitcnt vmcnt(12) lgkmcnt(2)
	v_pk_fma_f32 v[70:71], v[68:69], v[130:131], v[70:71] op_sel_hi:[0,1,1] neg_lo:[1,0,0] neg_hi:[1,0,0]
	s_waitcnt vmcnt(10) lgkmcnt(1)
	v_pk_fma_f32 v[72:73], v[68:69], v[132:133], v[72:73] op_sel_hi:[0,1,1] neg_lo:[1,0,0] neg_hi:[1,0,0]
	ds_read2_b32 v[130:131], v109 offset0:27 offset1:28
	ds_read2_b32 v[132:133], v109 offset0:29 offset1:30
	;; [unrolled: 1-line block ×4, first 2 shown]
	s_waitcnt vmcnt(8) lgkmcnt(4)
	v_pk_fma_f32 v[94:95], v[68:69], v[134:135], v[94:95] op_sel_hi:[0,1,1] neg_lo:[1,0,0] neg_hi:[1,0,0]
	s_waitcnt vmcnt(6) lgkmcnt(3)
	v_pk_fma_f32 v[96:97], v[68:69], v[130:131], v[96:97] op_sel_hi:[0,1,1] neg_lo:[1,0,0] neg_hi:[1,0,0]
	;; [unrolled: 2-line block ×5, first 2 shown]
.LBB69_110:
	s_or_b64 exec, exec, s[2:3]
	v_cmp_ne_u32_e32 vcc, 20, v25
	s_waitcnt lgkmcnt(0)
	s_barrier
	s_and_saveexec_b64 s[2:3], vcc
	s_xor_b64 s[2:3], exec, s[2:3]
	s_andn2_saveexec_b64 s[2:3], s[2:3]
	s_cbranch_execz .LBB69_114
; %bb.111:
	s_waitcnt vmcnt(14)
	ds_write_b32 v108, v69
	s_waitcnt vmcnt(12)
	ds_write2_b32 v109, v70, v71 offset0:21 offset1:22
	s_waitcnt vmcnt(10)
	ds_write2_b32 v109, v72, v73 offset0:23 offset1:24
	;; [unrolled: 2-line block ×7, first 2 shown]
	ds_read_b32 v130, v108
	s_waitcnt lgkmcnt(0)
	v_cmp_neq_f32_e32 vcc, 0, v130
	s_and_saveexec_b64 s[4:5], vcc
	s_cbranch_execz .LBB69_113
; %bb.112:
	v_div_scale_f32 v131, s[10:11], v130, v130, 1.0
	v_rcp_f32_e32 v132, v131
	v_div_scale_f32 v133, vcc, 1.0, v130, 1.0
	v_fma_f32 v134, -v131, v132, 1.0
	v_fmac_f32_e32 v132, v134, v132
	v_mul_f32_e32 v134, v133, v132
	v_fma_f32 v135, -v131, v134, v133
	v_fmac_f32_e32 v134, v135, v132
	v_fma_f32 v131, -v131, v134, v133
	v_div_fmas_f32 v131, v131, v132, v134
	v_div_fixup_f32 v130, v131, v130, 1.0
	ds_write_b32 v108, v130
.LBB69_113:
	s_or_b64 exec, exec, s[4:5]
.LBB69_114:
	s_or_b64 exec, exec, s[2:3]
	s_waitcnt lgkmcnt(0)
	s_barrier
	ds_read_b32 v130, v108
	v_cmp_lt_u32_e32 vcc, 20, v25
	s_and_saveexec_b64 s[2:3], vcc
	s_cbranch_execz .LBB69_116
; %bb.115:
	ds_read2_b32 v[132:133], v109 offset0:21 offset1:22
	ds_read2_b32 v[134:135], v109 offset0:23 offset1:24
	s_waitcnt vmcnt(14) lgkmcnt(2)
	v_mul_f32_e32 v136, v130, v69
	ds_read2_b32 v[138:139], v109 offset0:25 offset1:26
	ds_read2_b32 v[140:141], v109 offset0:27 offset1:28
	v_mov_b32_e32 v69, v136
	s_waitcnt vmcnt(12) lgkmcnt(3)
	v_pk_fma_f32 v[70:71], v[136:137], v[132:133], v[70:71] op_sel_hi:[0,1,1] neg_lo:[1,0,0] neg_hi:[1,0,0]
	s_waitcnt vmcnt(10) lgkmcnt(2)
	v_pk_fma_f32 v[72:73], v[136:137], v[134:135], v[72:73] op_sel_hi:[0,1,1] neg_lo:[1,0,0] neg_hi:[1,0,0]
	ds_read2_b32 v[132:133], v109 offset0:29 offset1:30
	ds_read2_b32 v[134:135], v109 offset0:31 offset1:32
	;; [unrolled: 1-line block ×3, first 2 shown]
	s_waitcnt vmcnt(8) lgkmcnt(4)
	v_pk_fma_f32 v[94:95], v[136:137], v[138:139], v[94:95] op_sel_hi:[0,1,1] neg_lo:[1,0,0] neg_hi:[1,0,0]
	s_waitcnt vmcnt(6) lgkmcnt(3)
	v_pk_fma_f32 v[96:97], v[136:137], v[140:141], v[96:97] op_sel_hi:[0,1,1] neg_lo:[1,0,0] neg_hi:[1,0,0]
	;; [unrolled: 2-line block ×5, first 2 shown]
.LBB69_116:
	s_or_b64 exec, exec, s[2:3]
	v_cmp_eq_u32_e32 vcc, 21, v25
	s_waitcnt lgkmcnt(0)
	s_barrier
	s_and_saveexec_b64 s[2:3], vcc
	s_cbranch_execz .LBB69_119
; %bb.117:
	s_waitcnt vmcnt(10)
	v_pk_mov_b32 v[132:133], v[70:71], v[72:73] op_sel:[1,0]
	ds_write_b32 v108, v70
	ds_write2_b32 v109, v132, v133 offset0:22 offset1:23
	s_waitcnt vmcnt(8)
	v_pk_mov_b32 v[132:133], v[72:73], v[94:95] op_sel:[1,0]
	ds_write2_b32 v109, v132, v133 offset0:24 offset1:25
	s_waitcnt vmcnt(6)
	v_pk_mov_b32 v[132:133], v[94:95], v[96:97] op_sel:[1,0]
	;; [unrolled: 3-line block ×5, first 2 shown]
	ds_write2_b32 v109, v132, v133 offset0:32 offset1:33
	ds_write_b32 v109, v107 offset:136
	ds_read_b32 v131, v108
	s_waitcnt lgkmcnt(0)
	v_cmp_neq_f32_e32 vcc, 0, v131
	s_and_b64 exec, exec, vcc
	s_cbranch_execz .LBB69_119
; %bb.118:
	v_div_scale_f32 v132, s[4:5], v131, v131, 1.0
	v_rcp_f32_e32 v133, v132
	v_div_scale_f32 v134, vcc, 1.0, v131, 1.0
	v_fma_f32 v135, -v132, v133, 1.0
	v_fmac_f32_e32 v133, v135, v133
	v_mul_f32_e32 v135, v134, v133
	v_fma_f32 v136, -v132, v135, v134
	v_fmac_f32_e32 v135, v136, v133
	v_fma_f32 v132, -v132, v135, v134
	v_div_fmas_f32 v132, v132, v133, v135
	v_div_fixup_f32 v131, v132, v131, 1.0
	ds_write_b32 v108, v131
.LBB69_119:
	s_or_b64 exec, exec, s[2:3]
	s_waitcnt lgkmcnt(0)
	s_barrier
	ds_read_b32 v131, v108
	v_cmp_lt_u32_e32 vcc, 21, v25
	s_and_saveexec_b64 s[2:3], vcc
	s_cbranch_execz .LBB69_121
; %bb.120:
	ds_read_b32 v138, v109 offset:88
	ds_read2_b32 v[132:133], v109 offset0:23 offset1:24
	s_waitcnt vmcnt(13) lgkmcnt(2)
	v_mul_f32_e32 v70, v131, v70
	ds_read2_b32 v[134:135], v109 offset0:25 offset1:26
	ds_read2_b32 v[136:137], v109 offset0:27 offset1:28
	s_waitcnt vmcnt(12) lgkmcnt(3)
	v_fma_f32 v71, -v70, v138, v71
	s_waitcnt vmcnt(10) lgkmcnt(2)
	v_pk_fma_f32 v[72:73], v[70:71], v[132:133], v[72:73] op_sel_hi:[0,1,1] neg_lo:[1,0,0] neg_hi:[1,0,0]
	ds_read2_b32 v[132:133], v109 offset0:29 offset1:30
	ds_read2_b32 v[138:139], v109 offset0:31 offset1:32
	;; [unrolled: 1-line block ×3, first 2 shown]
	s_waitcnt vmcnt(8) lgkmcnt(4)
	v_pk_fma_f32 v[94:95], v[70:71], v[134:135], v[94:95] op_sel_hi:[0,1,1] neg_lo:[1,0,0] neg_hi:[1,0,0]
	s_waitcnt vmcnt(6) lgkmcnt(3)
	v_pk_fma_f32 v[96:97], v[70:71], v[136:137], v[96:97] op_sel_hi:[0,1,1] neg_lo:[1,0,0] neg_hi:[1,0,0]
	;; [unrolled: 2-line block ×5, first 2 shown]
.LBB69_121:
	s_or_b64 exec, exec, s[2:3]
	v_cmp_ne_u32_e32 vcc, 22, v25
	s_waitcnt lgkmcnt(0)
	s_barrier
	s_and_saveexec_b64 s[2:3], vcc
	s_xor_b64 s[2:3], exec, s[2:3]
	s_andn2_saveexec_b64 s[2:3], s[2:3]
	s_cbranch_execz .LBB69_125
; %bb.122:
	s_waitcnt vmcnt(12)
	ds_write_b32 v108, v71
	s_waitcnt vmcnt(10)
	ds_write2_b32 v109, v72, v73 offset0:23 offset1:24
	s_waitcnt vmcnt(8)
	ds_write2_b32 v109, v94, v95 offset0:25 offset1:26
	;; [unrolled: 2-line block ×6, first 2 shown]
	ds_read_b32 v132, v108
	s_waitcnt lgkmcnt(0)
	v_cmp_neq_f32_e32 vcc, 0, v132
	s_and_saveexec_b64 s[4:5], vcc
	s_cbranch_execz .LBB69_124
; %bb.123:
	v_div_scale_f32 v133, s[10:11], v132, v132, 1.0
	v_rcp_f32_e32 v134, v133
	v_div_scale_f32 v135, vcc, 1.0, v132, 1.0
	v_fma_f32 v136, -v133, v134, 1.0
	v_fmac_f32_e32 v134, v136, v134
	v_mul_f32_e32 v136, v135, v134
	v_fma_f32 v137, -v133, v136, v135
	v_fmac_f32_e32 v136, v137, v134
	v_fma_f32 v133, -v133, v136, v135
	v_div_fmas_f32 v133, v133, v134, v136
	v_div_fixup_f32 v132, v133, v132, 1.0
	ds_write_b32 v108, v132
.LBB69_124:
	s_or_b64 exec, exec, s[4:5]
.LBB69_125:
	s_or_b64 exec, exec, s[2:3]
	s_waitcnt lgkmcnt(0)
	s_barrier
	ds_read_b32 v132, v108
	v_cmp_lt_u32_e32 vcc, 22, v25
	s_and_saveexec_b64 s[2:3], vcc
	s_cbranch_execz .LBB69_127
; %bb.126:
	ds_read2_b32 v[134:135], v109 offset0:23 offset1:24
	s_waitcnt vmcnt(12) lgkmcnt(1)
	v_mul_f32_e32 v136, v132, v71
	ds_read2_b32 v[138:139], v109 offset0:25 offset1:26
	ds_read2_b32 v[140:141], v109 offset0:27 offset1:28
	;; [unrolled: 1-line block ×3, first 2 shown]
	v_mov_b32_e32 v71, v136
	s_waitcnt vmcnt(8) lgkmcnt(2)
	v_pk_fma_f32 v[94:95], v[136:137], v[138:139], v[94:95] op_sel_hi:[0,1,1] neg_lo:[1,0,0] neg_hi:[1,0,0]
	v_pk_fma_f32 v[72:73], v[136:137], v[134:135], v[72:73] op_sel_hi:[0,1,1] neg_lo:[1,0,0] neg_hi:[1,0,0]
	ds_read2_b32 v[134:135], v109 offset0:31 offset1:32
	ds_read2_b32 v[144:145], v109 offset0:33 offset1:34
	s_waitcnt vmcnt(6) lgkmcnt(3)
	v_pk_fma_f32 v[96:97], v[136:137], v[140:141], v[96:97] op_sel_hi:[0,1,1] neg_lo:[1,0,0] neg_hi:[1,0,0]
	s_waitcnt vmcnt(4) lgkmcnt(2)
	v_pk_fma_f32 v[98:99], v[136:137], v[142:143], v[98:99] op_sel_hi:[0,1,1] neg_lo:[1,0,0] neg_hi:[1,0,0]
	s_waitcnt vmcnt(2) lgkmcnt(1)
	v_pk_fma_f32 v[92:93], v[136:137], v[134:135], v[92:93] op_sel_hi:[0,1,1] neg_lo:[1,0,0] neg_hi:[1,0,0]
	s_waitcnt vmcnt(0) lgkmcnt(0)
	v_pk_fma_f32 v[106:107], v[136:137], v[144:145], v[106:107] op_sel_hi:[0,1,1] neg_lo:[1,0,0] neg_hi:[1,0,0]
.LBB69_127:
	s_or_b64 exec, exec, s[2:3]
	v_cmp_eq_u32_e32 vcc, 23, v25
	s_waitcnt lgkmcnt(0)
	s_barrier
	s_and_saveexec_b64 s[2:3], vcc
	s_cbranch_execz .LBB69_130
; %bb.128:
	s_waitcnt vmcnt(8)
	v_pk_mov_b32 v[134:135], v[72:73], v[94:95] op_sel:[1,0]
	ds_write_b32 v108, v72
	ds_write2_b32 v109, v134, v135 offset0:24 offset1:25
	s_waitcnt vmcnt(6)
	v_pk_mov_b32 v[134:135], v[94:95], v[96:97] op_sel:[1,0]
	ds_write2_b32 v109, v134, v135 offset0:26 offset1:27
	s_waitcnt vmcnt(4)
	v_pk_mov_b32 v[134:135], v[96:97], v[98:99] op_sel:[1,0]
	;; [unrolled: 3-line block ×4, first 2 shown]
	ds_write2_b32 v109, v134, v135 offset0:32 offset1:33
	ds_write_b32 v109, v107 offset:136
	ds_read_b32 v133, v108
	s_waitcnt lgkmcnt(0)
	v_cmp_neq_f32_e32 vcc, 0, v133
	s_and_b64 exec, exec, vcc
	s_cbranch_execz .LBB69_130
; %bb.129:
	v_div_scale_f32 v134, s[4:5], v133, v133, 1.0
	v_rcp_f32_e32 v135, v134
	v_div_scale_f32 v136, vcc, 1.0, v133, 1.0
	v_fma_f32 v137, -v134, v135, 1.0
	v_fmac_f32_e32 v135, v137, v135
	v_mul_f32_e32 v137, v136, v135
	v_fma_f32 v138, -v134, v137, v136
	v_fmac_f32_e32 v137, v138, v135
	v_fma_f32 v134, -v134, v137, v136
	v_div_fmas_f32 v134, v134, v135, v137
	v_div_fixup_f32 v133, v134, v133, 1.0
	ds_write_b32 v108, v133
.LBB69_130:
	s_or_b64 exec, exec, s[2:3]
	s_waitcnt lgkmcnt(0)
	s_barrier
	ds_read_b32 v133, v108
	v_cmp_lt_u32_e32 vcc, 23, v25
	s_and_saveexec_b64 s[2:3], vcc
	s_cbranch_execz .LBB69_132
; %bb.131:
	ds_read_b32 v140, v109 offset:96
	s_waitcnt vmcnt(11) lgkmcnt(1)
	v_mul_f32_e32 v72, v133, v72
	ds_read2_b32 v[134:135], v109 offset0:25 offset1:26
	ds_read2_b32 v[136:137], v109 offset0:27 offset1:28
	;; [unrolled: 1-line block ×3, first 2 shown]
	s_waitcnt vmcnt(10) lgkmcnt(3)
	v_fma_f32 v73, -v72, v140, v73
	ds_read2_b32 v[140:141], v109 offset0:31 offset1:32
	ds_read2_b32 v[142:143], v109 offset0:33 offset1:34
	s_waitcnt vmcnt(8) lgkmcnt(4)
	v_pk_fma_f32 v[94:95], v[72:73], v[134:135], v[94:95] op_sel_hi:[0,1,1] neg_lo:[1,0,0] neg_hi:[1,0,0]
	s_waitcnt vmcnt(6) lgkmcnt(3)
	v_pk_fma_f32 v[96:97], v[72:73], v[136:137], v[96:97] op_sel_hi:[0,1,1] neg_lo:[1,0,0] neg_hi:[1,0,0]
	;; [unrolled: 2-line block ×5, first 2 shown]
.LBB69_132:
	s_or_b64 exec, exec, s[2:3]
	v_cmp_ne_u32_e32 vcc, 24, v25
	s_waitcnt lgkmcnt(0)
	s_barrier
	s_and_saveexec_b64 s[2:3], vcc
	s_xor_b64 s[2:3], exec, s[2:3]
	s_andn2_saveexec_b64 s[2:3], s[2:3]
	s_cbranch_execz .LBB69_136
; %bb.133:
	s_waitcnt vmcnt(10)
	ds_write_b32 v108, v73
	s_waitcnt vmcnt(8)
	ds_write2_b32 v109, v94, v95 offset0:25 offset1:26
	s_waitcnt vmcnt(6)
	ds_write2_b32 v109, v96, v97 offset0:27 offset1:28
	;; [unrolled: 2-line block ×5, first 2 shown]
	ds_read_b32 v134, v108
	s_waitcnt lgkmcnt(0)
	v_cmp_neq_f32_e32 vcc, 0, v134
	s_and_saveexec_b64 s[4:5], vcc
	s_cbranch_execz .LBB69_135
; %bb.134:
	v_div_scale_f32 v135, s[10:11], v134, v134, 1.0
	v_rcp_f32_e32 v136, v135
	v_div_scale_f32 v137, vcc, 1.0, v134, 1.0
	v_fma_f32 v138, -v135, v136, 1.0
	v_fmac_f32_e32 v136, v138, v136
	v_mul_f32_e32 v138, v137, v136
	v_fma_f32 v139, -v135, v138, v137
	v_fmac_f32_e32 v138, v139, v136
	v_fma_f32 v135, -v135, v138, v137
	v_div_fmas_f32 v135, v135, v136, v138
	v_div_fixup_f32 v134, v135, v134, 1.0
	ds_write_b32 v108, v134
.LBB69_135:
	s_or_b64 exec, exec, s[4:5]
.LBB69_136:
	s_or_b64 exec, exec, s[2:3]
	s_waitcnt lgkmcnt(0)
	s_barrier
	ds_read_b32 v134, v108
	v_cmp_lt_u32_e32 vcc, 24, v25
	s_and_saveexec_b64 s[2:3], vcc
	s_cbranch_execz .LBB69_138
; %bb.137:
	ds_read2_b32 v[138:139], v109 offset0:25 offset1:26
	ds_read2_b32 v[140:141], v109 offset0:27 offset1:28
	;; [unrolled: 1-line block ×5, first 2 shown]
	s_waitcnt vmcnt(10) lgkmcnt(5)
	v_mul_f32_e32 v136, v134, v73
	s_waitcnt vmcnt(8) lgkmcnt(4)
	v_pk_fma_f32 v[94:95], v[136:137], v[138:139], v[94:95] op_sel_hi:[0,1,1] neg_lo:[1,0,0] neg_hi:[1,0,0]
	s_waitcnt vmcnt(6) lgkmcnt(3)
	v_pk_fma_f32 v[96:97], v[136:137], v[140:141], v[96:97] op_sel_hi:[0,1,1] neg_lo:[1,0,0] neg_hi:[1,0,0]
	;; [unrolled: 2-line block ×5, first 2 shown]
	v_mov_b32_e32 v73, v136
.LBB69_138:
	s_or_b64 exec, exec, s[2:3]
	v_cmp_eq_u32_e32 vcc, 25, v25
	s_waitcnt lgkmcnt(0)
	s_barrier
	s_and_saveexec_b64 s[2:3], vcc
	s_cbranch_execz .LBB69_141
; %bb.139:
	s_waitcnt vmcnt(6)
	v_pk_mov_b32 v[136:137], v[94:95], v[96:97] op_sel:[1,0]
	ds_write_b32 v108, v94
	ds_write2_b32 v109, v136, v137 offset0:26 offset1:27
	s_waitcnt vmcnt(4)
	v_pk_mov_b32 v[136:137], v[96:97], v[98:99] op_sel:[1,0]
	ds_write2_b32 v109, v136, v137 offset0:28 offset1:29
	s_waitcnt vmcnt(2)
	v_pk_mov_b32 v[136:137], v[98:99], v[92:93] op_sel:[1,0]
	;; [unrolled: 3-line block ×3, first 2 shown]
	ds_write2_b32 v109, v136, v137 offset0:32 offset1:33
	ds_write_b32 v109, v107 offset:136
	ds_read_b32 v135, v108
	s_waitcnt lgkmcnt(0)
	v_cmp_neq_f32_e32 vcc, 0, v135
	s_and_b64 exec, exec, vcc
	s_cbranch_execz .LBB69_141
; %bb.140:
	v_div_scale_f32 v136, s[4:5], v135, v135, 1.0
	v_rcp_f32_e32 v137, v136
	v_div_scale_f32 v138, vcc, 1.0, v135, 1.0
	v_fma_f32 v139, -v136, v137, 1.0
	v_fmac_f32_e32 v137, v139, v137
	v_mul_f32_e32 v139, v138, v137
	v_fma_f32 v140, -v136, v139, v138
	v_fmac_f32_e32 v139, v140, v137
	v_fma_f32 v136, -v136, v139, v138
	v_div_fmas_f32 v136, v136, v137, v139
	v_div_fixup_f32 v135, v136, v135, 1.0
	ds_write_b32 v108, v135
.LBB69_141:
	s_or_b64 exec, exec, s[2:3]
	s_waitcnt lgkmcnt(0)
	s_barrier
	ds_read_b32 v135, v108
	v_cmp_lt_u32_e32 vcc, 25, v25
	s_and_saveexec_b64 s[2:3], vcc
	s_cbranch_execz .LBB69_143
; %bb.142:
	ds_read_b32 v144, v109 offset:104
	ds_read2_b32 v[136:137], v109 offset0:27 offset1:28
	ds_read2_b32 v[138:139], v109 offset0:29 offset1:30
	ds_read2_b32 v[140:141], v109 offset0:31 offset1:32
	ds_read2_b32 v[142:143], v109 offset0:33 offset1:34
	s_waitcnt vmcnt(9) lgkmcnt(5)
	v_mul_f32_e32 v94, v135, v94
	s_waitcnt vmcnt(8) lgkmcnt(4)
	v_fma_f32 v95, -v94, v144, v95
	s_waitcnt vmcnt(6) lgkmcnt(3)
	v_pk_fma_f32 v[96:97], v[94:95], v[136:137], v[96:97] op_sel_hi:[0,1,1] neg_lo:[1,0,0] neg_hi:[1,0,0]
	s_waitcnt vmcnt(4) lgkmcnt(2)
	v_pk_fma_f32 v[98:99], v[94:95], v[138:139], v[98:99] op_sel_hi:[0,1,1] neg_lo:[1,0,0] neg_hi:[1,0,0]
	;; [unrolled: 2-line block ×4, first 2 shown]
.LBB69_143:
	s_or_b64 exec, exec, s[2:3]
	v_cmp_ne_u32_e32 vcc, 26, v25
	s_waitcnt lgkmcnt(0)
	s_barrier
	s_and_saveexec_b64 s[2:3], vcc
	s_xor_b64 s[2:3], exec, s[2:3]
	s_andn2_saveexec_b64 s[2:3], s[2:3]
	s_cbranch_execz .LBB69_147
; %bb.144:
	s_waitcnt vmcnt(8)
	ds_write_b32 v108, v95
	s_waitcnt vmcnt(6)
	ds_write2_b32 v109, v96, v97 offset0:27 offset1:28
	s_waitcnt vmcnt(4)
	ds_write2_b32 v109, v98, v99 offset0:29 offset1:30
	;; [unrolled: 2-line block ×4, first 2 shown]
	ds_read_b32 v136, v108
	s_waitcnt lgkmcnt(0)
	v_cmp_neq_f32_e32 vcc, 0, v136
	s_and_saveexec_b64 s[4:5], vcc
	s_cbranch_execz .LBB69_146
; %bb.145:
	v_div_scale_f32 v137, s[10:11], v136, v136, 1.0
	v_rcp_f32_e32 v138, v137
	v_div_scale_f32 v139, vcc, 1.0, v136, 1.0
	v_fma_f32 v140, -v137, v138, 1.0
	v_fmac_f32_e32 v138, v140, v138
	v_mul_f32_e32 v140, v139, v138
	v_fma_f32 v141, -v137, v140, v139
	v_fmac_f32_e32 v140, v141, v138
	v_fma_f32 v137, -v137, v140, v139
	v_div_fmas_f32 v137, v137, v138, v140
	v_div_fixup_f32 v136, v137, v136, 1.0
	ds_write_b32 v108, v136
.LBB69_146:
	s_or_b64 exec, exec, s[4:5]
.LBB69_147:
	s_or_b64 exec, exec, s[2:3]
	s_waitcnt lgkmcnt(0)
	s_barrier
	ds_read_b32 v136, v108
	v_cmp_lt_u32_e32 vcc, 26, v25
	s_and_saveexec_b64 s[2:3], vcc
	s_cbranch_execz .LBB69_149
; %bb.148:
	ds_read2_b32 v[138:139], v109 offset0:27 offset1:28
	ds_read2_b32 v[140:141], v109 offset0:29 offset1:30
	;; [unrolled: 1-line block ×4, first 2 shown]
	s_waitcnt vmcnt(8) lgkmcnt(4)
	v_mul_f32_e32 v146, v136, v95
	s_waitcnt vmcnt(6) lgkmcnt(3)
	v_pk_fma_f32 v[96:97], v[146:147], v[138:139], v[96:97] op_sel_hi:[0,1,1] neg_lo:[1,0,0] neg_hi:[1,0,0]
	s_waitcnt vmcnt(4) lgkmcnt(2)
	v_pk_fma_f32 v[98:99], v[146:147], v[140:141], v[98:99] op_sel_hi:[0,1,1] neg_lo:[1,0,0] neg_hi:[1,0,0]
	;; [unrolled: 2-line block ×4, first 2 shown]
	v_mov_b32_e32 v95, v146
.LBB69_149:
	s_or_b64 exec, exec, s[2:3]
	v_cmp_eq_u32_e32 vcc, 27, v25
	s_waitcnt lgkmcnt(0)
	s_barrier
	s_and_saveexec_b64 s[2:3], vcc
	s_cbranch_execz .LBB69_152
; %bb.150:
	s_waitcnt vmcnt(4)
	v_pk_mov_b32 v[138:139], v[96:97], v[98:99] op_sel:[1,0]
	ds_write_b32 v108, v96
	ds_write2_b32 v109, v138, v139 offset0:28 offset1:29
	s_waitcnt vmcnt(2)
	v_pk_mov_b32 v[138:139], v[98:99], v[92:93] op_sel:[1,0]
	ds_write2_b32 v109, v138, v139 offset0:30 offset1:31
	s_waitcnt vmcnt(0)
	v_pk_mov_b32 v[138:139], v[92:93], v[106:107] op_sel:[1,0]
	ds_write2_b32 v109, v138, v139 offset0:32 offset1:33
	ds_write_b32 v109, v107 offset:136
	ds_read_b32 v137, v108
	s_waitcnt lgkmcnt(0)
	v_cmp_neq_f32_e32 vcc, 0, v137
	s_and_b64 exec, exec, vcc
	s_cbranch_execz .LBB69_152
; %bb.151:
	v_div_scale_f32 v138, s[4:5], v137, v137, 1.0
	v_rcp_f32_e32 v139, v138
	v_div_scale_f32 v140, vcc, 1.0, v137, 1.0
	v_fma_f32 v141, -v138, v139, 1.0
	v_fmac_f32_e32 v139, v141, v139
	v_mul_f32_e32 v141, v140, v139
	v_fma_f32 v142, -v138, v141, v140
	v_fmac_f32_e32 v141, v142, v139
	v_fma_f32 v138, -v138, v141, v140
	v_div_fmas_f32 v138, v138, v139, v141
	v_div_fixup_f32 v137, v138, v137, 1.0
	ds_write_b32 v108, v137
.LBB69_152:
	s_or_b64 exec, exec, s[2:3]
	s_waitcnt lgkmcnt(0)
	s_barrier
	ds_read_b32 v137, v108
	v_cmp_lt_u32_e32 vcc, 27, v25
	s_and_saveexec_b64 s[2:3], vcc
	s_cbranch_execz .LBB69_154
; %bb.153:
	ds_read_b32 v144, v109 offset:112
	ds_read2_b32 v[138:139], v109 offset0:29 offset1:30
	ds_read2_b32 v[140:141], v109 offset0:31 offset1:32
	;; [unrolled: 1-line block ×3, first 2 shown]
	s_waitcnt vmcnt(7) lgkmcnt(4)
	v_mul_f32_e32 v96, v137, v96
	s_waitcnt vmcnt(6) lgkmcnt(3)
	v_fma_f32 v97, -v96, v144, v97
	s_waitcnt vmcnt(4) lgkmcnt(2)
	v_pk_fma_f32 v[98:99], v[96:97], v[138:139], v[98:99] op_sel_hi:[0,1,1] neg_lo:[1,0,0] neg_hi:[1,0,0]
	s_waitcnt vmcnt(2) lgkmcnt(1)
	v_pk_fma_f32 v[92:93], v[96:97], v[140:141], v[92:93] op_sel_hi:[0,1,1] neg_lo:[1,0,0] neg_hi:[1,0,0]
	;; [unrolled: 2-line block ×3, first 2 shown]
.LBB69_154:
	s_or_b64 exec, exec, s[2:3]
	v_cmp_ne_u32_e32 vcc, 28, v25
	s_waitcnt lgkmcnt(0)
	s_barrier
	s_and_saveexec_b64 s[2:3], vcc
	s_xor_b64 s[2:3], exec, s[2:3]
	s_andn2_saveexec_b64 s[2:3], s[2:3]
	s_cbranch_execz .LBB69_158
; %bb.155:
	s_waitcnt vmcnt(6)
	ds_write_b32 v108, v97
	s_waitcnt vmcnt(4)
	ds_write2_b32 v109, v98, v99 offset0:29 offset1:30
	s_waitcnt vmcnt(2)
	ds_write2_b32 v109, v92, v93 offset0:31 offset1:32
	;; [unrolled: 2-line block ×3, first 2 shown]
	ds_read_b32 v138, v108
	s_waitcnt lgkmcnt(0)
	v_cmp_neq_f32_e32 vcc, 0, v138
	s_and_saveexec_b64 s[4:5], vcc
	s_cbranch_execz .LBB69_157
; %bb.156:
	v_div_scale_f32 v139, s[10:11], v138, v138, 1.0
	v_rcp_f32_e32 v140, v139
	v_div_scale_f32 v141, vcc, 1.0, v138, 1.0
	v_fma_f32 v142, -v139, v140, 1.0
	v_fmac_f32_e32 v140, v142, v140
	v_mul_f32_e32 v142, v141, v140
	v_fma_f32 v143, -v139, v142, v141
	v_fmac_f32_e32 v142, v143, v140
	v_fma_f32 v139, -v139, v142, v141
	v_div_fmas_f32 v139, v139, v140, v142
	v_div_fixup_f32 v138, v139, v138, 1.0
	ds_write_b32 v108, v138
.LBB69_157:
	s_or_b64 exec, exec, s[4:5]
.LBB69_158:
	s_or_b64 exec, exec, s[2:3]
	s_waitcnt lgkmcnt(0)
	s_barrier
	ds_read_b32 v138, v108
	v_cmp_lt_u32_e32 vcc, 28, v25
	s_and_saveexec_b64 s[2:3], vcc
	s_cbranch_execz .LBB69_160
; %bb.159:
	ds_read2_b32 v[140:141], v109 offset0:29 offset1:30
	ds_read2_b32 v[142:143], v109 offset0:31 offset1:32
	;; [unrolled: 1-line block ×3, first 2 shown]
	s_waitcnt vmcnt(6) lgkmcnt(3)
	v_mul_f32_e32 v146, v138, v97
	v_mov_b32_e32 v97, v146
	s_waitcnt vmcnt(4) lgkmcnt(2)
	v_pk_fma_f32 v[98:99], v[146:147], v[140:141], v[98:99] op_sel_hi:[0,1,1] neg_lo:[1,0,0] neg_hi:[1,0,0]
	s_waitcnt vmcnt(2) lgkmcnt(1)
	v_pk_fma_f32 v[92:93], v[146:147], v[142:143], v[92:93] op_sel_hi:[0,1,1] neg_lo:[1,0,0] neg_hi:[1,0,0]
	;; [unrolled: 2-line block ×3, first 2 shown]
.LBB69_160:
	s_or_b64 exec, exec, s[2:3]
	v_cmp_eq_u32_e32 vcc, 29, v25
	s_waitcnt lgkmcnt(0)
	s_barrier
	s_and_saveexec_b64 s[2:3], vcc
	s_cbranch_execz .LBB69_163
; %bb.161:
	s_waitcnt vmcnt(2)
	v_pk_mov_b32 v[140:141], v[98:99], v[92:93] op_sel:[1,0]
	ds_write_b32 v108, v98
	ds_write2_b32 v109, v140, v141 offset0:30 offset1:31
	s_waitcnt vmcnt(0)
	v_pk_mov_b32 v[140:141], v[92:93], v[106:107] op_sel:[1,0]
	ds_write2_b32 v109, v140, v141 offset0:32 offset1:33
	ds_write_b32 v109, v107 offset:136
	ds_read_b32 v139, v108
	s_waitcnt lgkmcnt(0)
	v_cmp_neq_f32_e32 vcc, 0, v139
	s_and_b64 exec, exec, vcc
	s_cbranch_execz .LBB69_163
; %bb.162:
	v_div_scale_f32 v140, s[4:5], v139, v139, 1.0
	v_rcp_f32_e32 v141, v140
	v_div_scale_f32 v142, vcc, 1.0, v139, 1.0
	v_fma_f32 v143, -v140, v141, 1.0
	v_fmac_f32_e32 v141, v143, v141
	v_mul_f32_e32 v143, v142, v141
	v_fma_f32 v144, -v140, v143, v142
	v_fmac_f32_e32 v143, v144, v141
	v_fma_f32 v140, -v140, v143, v142
	v_div_fmas_f32 v140, v140, v141, v143
	v_div_fixup_f32 v139, v140, v139, 1.0
	ds_write_b32 v108, v139
.LBB69_163:
	s_or_b64 exec, exec, s[2:3]
	s_waitcnt lgkmcnt(0)
	s_barrier
	ds_read_b32 v139, v108
	v_cmp_lt_u32_e32 vcc, 29, v25
	s_and_saveexec_b64 s[2:3], vcc
	s_cbranch_execz .LBB69_165
; %bb.164:
	ds_read_b32 v144, v109 offset:120
	ds_read2_b32 v[140:141], v109 offset0:31 offset1:32
	ds_read2_b32 v[142:143], v109 offset0:33 offset1:34
	s_waitcnt vmcnt(5) lgkmcnt(3)
	v_mul_f32_e32 v98, v139, v98
	s_waitcnt vmcnt(4) lgkmcnt(2)
	v_fma_f32 v99, -v98, v144, v99
	s_waitcnt vmcnt(2) lgkmcnt(1)
	v_pk_fma_f32 v[92:93], v[98:99], v[140:141], v[92:93] op_sel_hi:[0,1,1] neg_lo:[1,0,0] neg_hi:[1,0,0]
	s_waitcnt vmcnt(0) lgkmcnt(0)
	v_pk_fma_f32 v[106:107], v[98:99], v[142:143], v[106:107] op_sel_hi:[0,1,1] neg_lo:[1,0,0] neg_hi:[1,0,0]
.LBB69_165:
	s_or_b64 exec, exec, s[2:3]
	v_cmp_ne_u32_e32 vcc, 30, v25
	s_waitcnt lgkmcnt(0)
	s_barrier
	s_and_saveexec_b64 s[2:3], vcc
	s_xor_b64 s[2:3], exec, s[2:3]
	s_andn2_saveexec_b64 s[2:3], s[2:3]
	s_cbranch_execz .LBB69_169
; %bb.166:
	s_waitcnt vmcnt(4)
	ds_write_b32 v108, v99
	s_waitcnt vmcnt(2)
	ds_write2_b32 v109, v92, v93 offset0:31 offset1:32
	s_waitcnt vmcnt(0)
	ds_write2_b32 v109, v106, v107 offset0:33 offset1:34
	ds_read_b32 v140, v108
	s_waitcnt lgkmcnt(0)
	v_cmp_neq_f32_e32 vcc, 0, v140
	s_and_saveexec_b64 s[4:5], vcc
	s_cbranch_execz .LBB69_168
; %bb.167:
	v_div_scale_f32 v141, s[10:11], v140, v140, 1.0
	v_rcp_f32_e32 v142, v141
	v_div_scale_f32 v143, vcc, 1.0, v140, 1.0
	v_fma_f32 v144, -v141, v142, 1.0
	v_fmac_f32_e32 v142, v144, v142
	v_mul_f32_e32 v144, v143, v142
	v_fma_f32 v145, -v141, v144, v143
	v_fmac_f32_e32 v144, v145, v142
	v_fma_f32 v141, -v141, v144, v143
	v_div_fmas_f32 v141, v141, v142, v144
	v_div_fixup_f32 v140, v141, v140, 1.0
	ds_write_b32 v108, v140
.LBB69_168:
	s_or_b64 exec, exec, s[4:5]
.LBB69_169:
	s_or_b64 exec, exec, s[2:3]
	s_waitcnt lgkmcnt(0)
	s_barrier
	ds_read_b32 v140, v108
	v_cmp_lt_u32_e32 vcc, 30, v25
	s_and_saveexec_b64 s[2:3], vcc
	s_cbranch_execz .LBB69_171
; %bb.170:
	ds_read2_b32 v[142:143], v109 offset0:31 offset1:32
	ds_read2_b32 v[144:145], v109 offset0:33 offset1:34
	s_waitcnt vmcnt(4) lgkmcnt(2)
	v_mul_f32_e32 v146, v140, v99
	v_mov_b32_e32 v99, v146
	s_waitcnt vmcnt(2) lgkmcnt(1)
	v_pk_fma_f32 v[92:93], v[146:147], v[142:143], v[92:93] op_sel_hi:[0,1,1] neg_lo:[1,0,0] neg_hi:[1,0,0]
	s_waitcnt vmcnt(0) lgkmcnt(0)
	v_pk_fma_f32 v[106:107], v[146:147], v[144:145], v[106:107] op_sel_hi:[0,1,1] neg_lo:[1,0,0] neg_hi:[1,0,0]
.LBB69_171:
	s_or_b64 exec, exec, s[2:3]
	v_cmp_eq_u32_e32 vcc, 31, v25
	s_waitcnt lgkmcnt(0)
	s_barrier
	s_and_saveexec_b64 s[2:3], vcc
	s_cbranch_execz .LBB69_174
; %bb.172:
	s_waitcnt vmcnt(0)
	v_pk_mov_b32 v[142:143], v[92:93], v[106:107] op_sel:[1,0]
	ds_write_b32 v108, v92
	ds_write2_b32 v109, v142, v143 offset0:32 offset1:33
	ds_write_b32 v109, v107 offset:136
	ds_read_b32 v141, v108
	s_waitcnt lgkmcnt(0)
	v_cmp_neq_f32_e32 vcc, 0, v141
	s_and_b64 exec, exec, vcc
	s_cbranch_execz .LBB69_174
; %bb.173:
	v_div_scale_f32 v142, s[4:5], v141, v141, 1.0
	v_rcp_f32_e32 v143, v142
	v_div_scale_f32 v144, vcc, 1.0, v141, 1.0
	v_fma_f32 v145, -v142, v143, 1.0
	v_fmac_f32_e32 v143, v145, v143
	v_mul_f32_e32 v145, v144, v143
	v_fma_f32 v146, -v142, v145, v144
	v_fmac_f32_e32 v145, v146, v143
	v_fma_f32 v142, -v142, v145, v144
	v_div_fmas_f32 v142, v142, v143, v145
	v_div_fixup_f32 v141, v142, v141, 1.0
	ds_write_b32 v108, v141
.LBB69_174:
	s_or_b64 exec, exec, s[2:3]
	s_waitcnt lgkmcnt(0)
	s_barrier
	ds_read_b32 v141, v108
	v_cmp_lt_u32_e32 vcc, 31, v25
	s_and_saveexec_b64 s[2:3], vcc
	s_cbranch_execz .LBB69_176
; %bb.175:
	ds_read_b32 v144, v109 offset:128
	ds_read2_b32 v[142:143], v109 offset0:33 offset1:34
	s_waitcnt vmcnt(3) lgkmcnt(2)
	v_mul_f32_e32 v92, v141, v92
	s_waitcnt vmcnt(2) lgkmcnt(1)
	v_fma_f32 v93, -v92, v144, v93
	s_waitcnt vmcnt(0) lgkmcnt(0)
	v_pk_fma_f32 v[106:107], v[92:93], v[142:143], v[106:107] op_sel_hi:[0,1,1] neg_lo:[1,0,0] neg_hi:[1,0,0]
.LBB69_176:
	s_or_b64 exec, exec, s[2:3]
	v_cmp_ne_u32_e32 vcc, 32, v25
	s_waitcnt lgkmcnt(0)
	s_barrier
	s_and_saveexec_b64 s[2:3], vcc
	s_xor_b64 s[2:3], exec, s[2:3]
	s_andn2_saveexec_b64 s[2:3], s[2:3]
	s_cbranch_execz .LBB69_180
; %bb.177:
	s_waitcnt vmcnt(2)
	ds_write_b32 v108, v93
	s_waitcnt vmcnt(0)
	ds_write2_b32 v109, v106, v107 offset0:33 offset1:34
	ds_read_b32 v142, v108
	s_waitcnt lgkmcnt(0)
	v_cmp_neq_f32_e32 vcc, 0, v142
	s_and_saveexec_b64 s[4:5], vcc
	s_cbranch_execz .LBB69_179
; %bb.178:
	v_div_scale_f32 v143, s[10:11], v142, v142, 1.0
	v_rcp_f32_e32 v144, v143
	v_div_scale_f32 v145, vcc, 1.0, v142, 1.0
	v_fma_f32 v146, -v143, v144, 1.0
	v_fmac_f32_e32 v144, v146, v144
	v_mul_f32_e32 v146, v145, v144
	v_fma_f32 v147, -v143, v146, v145
	v_fmac_f32_e32 v146, v147, v144
	v_fma_f32 v143, -v143, v146, v145
	v_div_fmas_f32 v143, v143, v144, v146
	v_div_fixup_f32 v142, v143, v142, 1.0
	ds_write_b32 v108, v142
.LBB69_179:
	s_or_b64 exec, exec, s[4:5]
.LBB69_180:
	s_or_b64 exec, exec, s[2:3]
	s_waitcnt lgkmcnt(0)
	s_barrier
	ds_read_b32 v142, v108
	v_cmp_lt_u32_e32 vcc, 32, v25
	s_and_saveexec_b64 s[2:3], vcc
	s_cbranch_execz .LBB69_182
; %bb.181:
	ds_read2_b32 v[144:145], v109 offset0:33 offset1:34
	s_waitcnt vmcnt(2) lgkmcnt(1)
	v_mul_f32_e32 v146, v142, v93
	v_mov_b32_e32 v93, v146
	s_waitcnt vmcnt(0) lgkmcnt(0)
	v_pk_fma_f32 v[106:107], v[146:147], v[144:145], v[106:107] op_sel_hi:[0,1,1] neg_lo:[1,0,0] neg_hi:[1,0,0]
.LBB69_182:
	s_or_b64 exec, exec, s[2:3]
	v_cmp_eq_u32_e32 vcc, 33, v25
	s_waitcnt lgkmcnt(0)
	s_barrier
	s_and_saveexec_b64 s[2:3], vcc
	s_cbranch_execz .LBB69_185
; %bb.183:
	s_waitcnt vmcnt(1)
	ds_write_b32 v108, v106
	s_waitcnt vmcnt(0)
	ds_write_b32 v109, v107 offset:136
	ds_read_b32 v143, v108
	s_waitcnt lgkmcnt(0)
	v_cmp_neq_f32_e32 vcc, 0, v143
	s_and_b64 exec, exec, vcc
	s_cbranch_execz .LBB69_185
; %bb.184:
	v_div_scale_f32 v144, s[4:5], v143, v143, 1.0
	v_rcp_f32_e32 v145, v144
	v_div_scale_f32 v146, vcc, 1.0, v143, 1.0
	v_fma_f32 v147, -v144, v145, 1.0
	v_fmac_f32_e32 v145, v147, v145
	v_mul_f32_e32 v147, v146, v145
	v_fma_f32 v148, -v144, v147, v146
	v_fmac_f32_e32 v147, v148, v145
	v_fma_f32 v144, -v144, v147, v146
	v_div_fmas_f32 v144, v144, v145, v147
	v_div_fixup_f32 v143, v144, v143, 1.0
	ds_write_b32 v108, v143
.LBB69_185:
	s_or_b64 exec, exec, s[2:3]
	s_waitcnt lgkmcnt(0)
	s_barrier
	ds_read_b32 v143, v108
	v_cmp_lt_u32_e32 vcc, 33, v25
	s_and_saveexec_b64 s[2:3], vcc
	s_cbranch_execz .LBB69_187
; %bb.186:
	ds_read_b32 v109, v109 offset:136
	s_waitcnt vmcnt(1) lgkmcnt(1)
	v_mul_f32_e32 v106, v143, v106
	s_waitcnt vmcnt(0) lgkmcnt(0)
	v_fma_f32 v107, -v106, v109, v107
.LBB69_187:
	s_or_b64 exec, exec, s[2:3]
	v_cmp_ne_u32_e32 vcc, 34, v25
	s_waitcnt lgkmcnt(0)
	s_barrier
	s_and_saveexec_b64 s[2:3], vcc
	s_xor_b64 s[2:3], exec, s[2:3]
	s_andn2_saveexec_b64 s[2:3], s[2:3]
	s_cbranch_execz .LBB69_191
; %bb.188:
	s_waitcnt vmcnt(0)
	v_cmp_neq_f32_e32 vcc, 0, v107
	ds_write_b32 v108, v107
	s_and_saveexec_b64 s[4:5], vcc
	s_cbranch_execz .LBB69_190
; %bb.189:
	v_div_scale_f32 v109, s[10:11], v107, v107, 1.0
	v_rcp_f32_e32 v144, v109
	v_div_scale_f32 v145, vcc, 1.0, v107, 1.0
	v_fma_f32 v146, -v109, v144, 1.0
	v_fmac_f32_e32 v144, v146, v144
	v_mul_f32_e32 v146, v145, v144
	v_fma_f32 v147, -v109, v146, v145
	v_fmac_f32_e32 v146, v147, v144
	v_fma_f32 v109, -v109, v146, v145
	v_div_fmas_f32 v109, v109, v144, v146
	v_div_fixup_f32 v109, v109, v107, 1.0
	ds_write_b32 v108, v109
.LBB69_190:
	s_or_b64 exec, exec, s[4:5]
.LBB69_191:
	s_or_b64 exec, exec, s[2:3]
	s_waitcnt lgkmcnt(0)
	s_barrier
	ds_read_b32 v108, v108
	s_waitcnt lgkmcnt(0)
	s_barrier
	s_and_saveexec_b64 s[2:3], s[0:1]
	s_cbranch_execz .LBB69_194
; %bb.192:
	v_cmp_eq_f32_e32 vcc, 0, v110
	v_cmp_neq_f32_e64 s[0:1], 0, v111
	v_mov_b32_e32 v110, s6
	v_cndmask_b32_e64 v109, 0, 1, vcc
	s_or_b64 vcc, s[0:1], vcc
	v_cndmask_b32_e32 v109, 2, v109, vcc
	v_cmp_eq_f32_e32 vcc, 0, v112
	v_cmp_eq_u32_e64 s[0:1], 0, v109
	s_and_b64 s[0:1], vcc, s[0:1]
	v_cmp_eq_f32_e32 vcc, 0, v113
	v_cndmask_b32_e64 v109, v109, 3, s[0:1]
	v_cmp_eq_u32_e64 s[0:1], 0, v109
	s_and_b64 s[0:1], vcc, s[0:1]
	v_cmp_eq_f32_e32 vcc, 0, v114
	v_cndmask_b32_e64 v109, v109, 4, s[0:1]
	;; [unrolled: 4-line block ×5, first 2 shown]
	v_cmp_eq_u32_e64 s[0:1], 0, v109
	s_and_b64 s[0:1], vcc, s[0:1]
	v_mov_b32_e32 v111, s7
	v_cndmask_b32_e64 v109, v109, 8, s[0:1]
	v_cmp_eq_f32_e32 vcc, 0, v118
	v_cmp_eq_u32_e64 s[0:1], 0, v109
	v_lshl_add_u64 v[34:35], v[34:35], 2, v[110:111]
	s_and_b64 s[0:1], vcc, s[0:1]
	global_load_dword v110, v[34:35], off
	v_cndmask_b32_e64 v109, v109, 9, s[0:1]
	v_cmp_eq_f32_e32 vcc, 0, v119
	v_cmp_eq_u32_e64 s[0:1], 0, v109
	s_and_b64 s[0:1], vcc, s[0:1]
	v_cmp_eq_f32_e32 vcc, 0, v120
	v_cndmask_b32_e64 v109, v109, 10, s[0:1]
	v_cmp_eq_u32_e64 s[0:1], 0, v109
	s_and_b64 s[0:1], vcc, s[0:1]
	v_cmp_eq_f32_e32 vcc, 0, v121
	v_cndmask_b32_e64 v109, v109, 11, s[0:1]
	v_cmp_eq_u32_e64 s[0:1], 0, v109
	s_and_b64 s[0:1], vcc, s[0:1]
	v_cmp_eq_f32_e32 vcc, 0, v122
	v_cndmask_b32_e64 v109, v109, 12, s[0:1]
	v_cmp_eq_u32_e64 s[0:1], 0, v109
	s_and_b64 s[0:1], vcc, s[0:1]
	v_cmp_eq_f32_e32 vcc, 0, v123
	v_cndmask_b32_e64 v109, v109, 13, s[0:1]
	v_cmp_eq_u32_e64 s[0:1], 0, v109
	s_and_b64 s[0:1], vcc, s[0:1]
	v_cmp_eq_f32_e32 vcc, 0, v124
	v_cndmask_b32_e64 v109, v109, 14, s[0:1]
	v_cmp_eq_u32_e64 s[0:1], 0, v109
	s_and_b64 s[0:1], vcc, s[0:1]
	v_cmp_eq_f32_e32 vcc, 0, v125
	v_cndmask_b32_e64 v109, v109, 15, s[0:1]
	v_cmp_eq_u32_e64 s[0:1], 0, v109
	s_and_b64 s[0:1], vcc, s[0:1]
	v_cmp_eq_f32_e32 vcc, 0, v126
	v_cndmask_b32_e64 v109, v109, 16, s[0:1]
	v_cmp_eq_u32_e64 s[0:1], 0, v109
	s_and_b64 s[0:1], vcc, s[0:1]
	v_cmp_eq_f32_e32 vcc, 0, v127
	v_cndmask_b32_e64 v109, v109, 17, s[0:1]
	v_cmp_eq_u32_e64 s[0:1], 0, v109
	s_and_b64 s[0:1], vcc, s[0:1]
	v_cmp_eq_f32_e32 vcc, 0, v128
	v_cndmask_b32_e64 v109, v109, 18, s[0:1]
	v_cmp_eq_u32_e64 s[0:1], 0, v109
	s_and_b64 s[0:1], vcc, s[0:1]
	v_cmp_eq_f32_e32 vcc, 0, v129
	v_cndmask_b32_e64 v109, v109, 19, s[0:1]
	v_cmp_eq_u32_e64 s[0:1], 0, v109
	s_and_b64 s[0:1], vcc, s[0:1]
	v_cmp_eq_f32_e32 vcc, 0, v130
	v_cndmask_b32_e64 v109, v109, 20, s[0:1]
	v_cmp_eq_u32_e64 s[0:1], 0, v109
	s_and_b64 s[0:1], vcc, s[0:1]
	v_cmp_eq_f32_e32 vcc, 0, v131
	v_cndmask_b32_e64 v109, v109, 21, s[0:1]
	v_cmp_eq_u32_e64 s[0:1], 0, v109
	s_and_b64 s[0:1], vcc, s[0:1]
	v_cmp_eq_f32_e32 vcc, 0, v132
	v_cndmask_b32_e64 v109, v109, 22, s[0:1]
	v_cmp_eq_u32_e64 s[0:1], 0, v109
	s_and_b64 s[0:1], vcc, s[0:1]
	v_cmp_eq_f32_e32 vcc, 0, v133
	v_cndmask_b32_e64 v109, v109, 23, s[0:1]
	v_cmp_eq_u32_e64 s[0:1], 0, v109
	s_and_b64 s[0:1], vcc, s[0:1]
	v_cmp_eq_f32_e32 vcc, 0, v134
	v_cndmask_b32_e64 v109, v109, 24, s[0:1]
	v_cmp_eq_u32_e64 s[0:1], 0, v109
	s_and_b64 s[0:1], vcc, s[0:1]
	v_cmp_eq_f32_e32 vcc, 0, v135
	v_cndmask_b32_e64 v109, v109, 25, s[0:1]
	v_cmp_eq_u32_e64 s[0:1], 0, v109
	s_and_b64 s[0:1], vcc, s[0:1]
	v_cmp_eq_f32_e32 vcc, 0, v136
	v_cndmask_b32_e64 v109, v109, 26, s[0:1]
	v_cmp_eq_u32_e64 s[0:1], 0, v109
	s_and_b64 s[0:1], vcc, s[0:1]
	v_cmp_eq_f32_e32 vcc, 0, v137
	v_cndmask_b32_e64 v109, v109, 27, s[0:1]
	v_cmp_eq_u32_e64 s[0:1], 0, v109
	s_and_b64 s[0:1], vcc, s[0:1]
	v_cmp_eq_f32_e32 vcc, 0, v138
	v_cndmask_b32_e64 v109, v109, 28, s[0:1]
	v_cmp_eq_u32_e64 s[0:1], 0, v109
	s_and_b64 s[0:1], vcc, s[0:1]
	v_cmp_eq_f32_e32 vcc, 0, v139
	v_cndmask_b32_e64 v109, v109, 29, s[0:1]
	v_cmp_eq_u32_e64 s[0:1], 0, v109
	s_and_b64 s[0:1], vcc, s[0:1]
	v_cmp_eq_f32_e32 vcc, 0, v140
	v_cndmask_b32_e64 v109, v109, 30, s[0:1]
	v_cmp_eq_u32_e64 s[0:1], 0, v109
	s_and_b64 s[0:1], vcc, s[0:1]
	v_cmp_eq_f32_e32 vcc, 0, v141
	v_cndmask_b32_e64 v109, v109, 31, s[0:1]
	v_cmp_eq_u32_e64 s[0:1], 0, v109
	s_and_b64 s[0:1], vcc, s[0:1]
	v_cmp_eq_f32_e32 vcc, 0, v142
	v_cndmask_b32_e64 v109, v109, 32, s[0:1]
	v_cmp_eq_u32_e64 s[0:1], 0, v109
	s_and_b64 s[0:1], vcc, s[0:1]
	v_cmp_eq_f32_e32 vcc, 0, v143
	v_cndmask_b32_e64 v109, v109, 33, s[0:1]
	v_cmp_eq_u32_e64 s[0:1], 0, v109
	s_and_b64 s[0:1], vcc, s[0:1]
	v_cmp_eq_f32_e32 vcc, 0, v108
	v_cndmask_b32_e64 v109, v109, 34, s[0:1]
	v_cmp_eq_u32_e64 s[0:1], 0, v109
	s_and_b64 s[0:1], vcc, s[0:1]
	s_waitcnt vmcnt(0)
	v_cmp_eq_u32_e32 vcc, 0, v110
	v_cndmask_b32_e64 v109, v109, 35, s[0:1]
	v_cmp_ne_u32_e64 s[0:1], 0, v109
	s_and_b64 s[0:1], vcc, s[0:1]
	s_and_b64 exec, exec, s[0:1]
	s_cbranch_execz .LBB69_194
; %bb.193:
	v_add_u32_e32 v109, s9, v109
	global_store_dword v[34:35], v109, off
.LBB69_194:
	s_or_b64 exec, exec, s[2:3]
	s_waitcnt vmcnt(0)
	v_mul_f32_e32 v34, v108, v107
	v_cmp_lt_u32_e32 vcc, 34, v25
	s_nop 1
	v_cndmask_b32_e32 v25, v107, v34, vcc
	global_store_dword v[0:1], v24, off
	global_store_dword v[2:3], v18, off
	global_store_dword v[4:5], v19, off
	global_store_dword v[6:7], v20, off
	global_store_dword v[8:9], v21, off
	global_store_dword v[10:11], v22, off
	global_store_dword v[12:13], v23, off
	global_store_dword v[14:15], v16, off
	global_store_dword v[26:27], v17, off
	global_store_dword v[28:29], v46, off
	global_store_dword v[30:31], v47, off
	global_store_dword v[32:33], v50, off
	global_store_dword v[36:37], v51, off
	global_store_dword v[38:39], v44, off
	global_store_dword v[40:41], v45, off
	global_store_dword v[42:43], v48, off
	global_store_dword v[52:53], v49, off
	global_store_dword v[54:55], v74, off
	global_store_dword v[56:57], v75, off
	global_store_dword v[58:59], v68, off
	global_store_dword v[60:61], v69, off
	global_store_dword v[62:63], v70, off
	global_store_dword v[64:65], v71, off
	global_store_dword v[66:67], v72, off
	global_store_dword v[76:77], v73, off
	global_store_dword v[78:79], v94, off
	global_store_dword v[80:81], v95, off
	global_store_dword v[82:83], v96, off
	global_store_dword v[84:85], v97, off
	global_store_dword v[86:87], v98, off
	global_store_dword v[88:89], v99, off
	global_store_dword v[90:91], v92, off
	global_store_dword v[100:101], v93, off
	global_store_dword v[102:103], v106, off
	global_store_dword v[104:105], v25, off
.LBB69_195:
	s_endpgm
	.section	.rodata,"a",@progbits
	.p2align	6, 0x0
	.amdhsa_kernel _ZN9rocsolver6v33100L23getf2_npvt_small_kernelILi35EfiiPfEEvT1_T3_lS3_lPT2_S3_S3_
		.amdhsa_group_segment_fixed_size 0
		.amdhsa_private_segment_fixed_size 0
		.amdhsa_kernarg_size 312
		.amdhsa_user_sgpr_count 2
		.amdhsa_user_sgpr_dispatch_ptr 0
		.amdhsa_user_sgpr_queue_ptr 0
		.amdhsa_user_sgpr_kernarg_segment_ptr 1
		.amdhsa_user_sgpr_dispatch_id 0
		.amdhsa_user_sgpr_kernarg_preload_length 0
		.amdhsa_user_sgpr_kernarg_preload_offset 0
		.amdhsa_user_sgpr_private_segment_size 0
		.amdhsa_uses_dynamic_stack 0
		.amdhsa_enable_private_segment 0
		.amdhsa_system_sgpr_workgroup_id_x 1
		.amdhsa_system_sgpr_workgroup_id_y 1
		.amdhsa_system_sgpr_workgroup_id_z 0
		.amdhsa_system_sgpr_workgroup_info 0
		.amdhsa_system_vgpr_workitem_id 1
		.amdhsa_next_free_vgpr 149
		.amdhsa_next_free_sgpr 16
		.amdhsa_accum_offset 152
		.amdhsa_reserve_vcc 1
		.amdhsa_float_round_mode_32 0
		.amdhsa_float_round_mode_16_64 0
		.amdhsa_float_denorm_mode_32 3
		.amdhsa_float_denorm_mode_16_64 3
		.amdhsa_dx10_clamp 1
		.amdhsa_ieee_mode 1
		.amdhsa_fp16_overflow 0
		.amdhsa_tg_split 0
		.amdhsa_exception_fp_ieee_invalid_op 0
		.amdhsa_exception_fp_denorm_src 0
		.amdhsa_exception_fp_ieee_div_zero 0
		.amdhsa_exception_fp_ieee_overflow 0
		.amdhsa_exception_fp_ieee_underflow 0
		.amdhsa_exception_fp_ieee_inexact 0
		.amdhsa_exception_int_div_zero 0
	.end_amdhsa_kernel
	.section	.text._ZN9rocsolver6v33100L23getf2_npvt_small_kernelILi35EfiiPfEEvT1_T3_lS3_lPT2_S3_S3_,"axG",@progbits,_ZN9rocsolver6v33100L23getf2_npvt_small_kernelILi35EfiiPfEEvT1_T3_lS3_lPT2_S3_S3_,comdat
.Lfunc_end69:
	.size	_ZN9rocsolver6v33100L23getf2_npvt_small_kernelILi35EfiiPfEEvT1_T3_lS3_lPT2_S3_S3_, .Lfunc_end69-_ZN9rocsolver6v33100L23getf2_npvt_small_kernelILi35EfiiPfEEvT1_T3_lS3_lPT2_S3_S3_
                                        ; -- End function
	.set _ZN9rocsolver6v33100L23getf2_npvt_small_kernelILi35EfiiPfEEvT1_T3_lS3_lPT2_S3_S3_.num_vgpr, 149
	.set _ZN9rocsolver6v33100L23getf2_npvt_small_kernelILi35EfiiPfEEvT1_T3_lS3_lPT2_S3_S3_.num_agpr, 0
	.set _ZN9rocsolver6v33100L23getf2_npvt_small_kernelILi35EfiiPfEEvT1_T3_lS3_lPT2_S3_S3_.numbered_sgpr, 16
	.set _ZN9rocsolver6v33100L23getf2_npvt_small_kernelILi35EfiiPfEEvT1_T3_lS3_lPT2_S3_S3_.num_named_barrier, 0
	.set _ZN9rocsolver6v33100L23getf2_npvt_small_kernelILi35EfiiPfEEvT1_T3_lS3_lPT2_S3_S3_.private_seg_size, 0
	.set _ZN9rocsolver6v33100L23getf2_npvt_small_kernelILi35EfiiPfEEvT1_T3_lS3_lPT2_S3_S3_.uses_vcc, 1
	.set _ZN9rocsolver6v33100L23getf2_npvt_small_kernelILi35EfiiPfEEvT1_T3_lS3_lPT2_S3_S3_.uses_flat_scratch, 0
	.set _ZN9rocsolver6v33100L23getf2_npvt_small_kernelILi35EfiiPfEEvT1_T3_lS3_lPT2_S3_S3_.has_dyn_sized_stack, 0
	.set _ZN9rocsolver6v33100L23getf2_npvt_small_kernelILi35EfiiPfEEvT1_T3_lS3_lPT2_S3_S3_.has_recursion, 0
	.set _ZN9rocsolver6v33100L23getf2_npvt_small_kernelILi35EfiiPfEEvT1_T3_lS3_lPT2_S3_S3_.has_indirect_call, 0
	.section	.AMDGPU.csdata,"",@progbits
; Kernel info:
; codeLenInByte = 19512
; TotalNumSgprs: 22
; NumVgprs: 149
; NumAgprs: 0
; TotalNumVgprs: 149
; ScratchSize: 0
; MemoryBound: 0
; FloatMode: 240
; IeeeMode: 1
; LDSByteSize: 0 bytes/workgroup (compile time only)
; SGPRBlocks: 2
; VGPRBlocks: 18
; NumSGPRsForWavesPerEU: 22
; NumVGPRsForWavesPerEU: 149
; AccumOffset: 152
; Occupancy: 3
; WaveLimiterHint : 0
; COMPUTE_PGM_RSRC2:SCRATCH_EN: 0
; COMPUTE_PGM_RSRC2:USER_SGPR: 2
; COMPUTE_PGM_RSRC2:TRAP_HANDLER: 0
; COMPUTE_PGM_RSRC2:TGID_X_EN: 1
; COMPUTE_PGM_RSRC2:TGID_Y_EN: 1
; COMPUTE_PGM_RSRC2:TGID_Z_EN: 0
; COMPUTE_PGM_RSRC2:TIDIG_COMP_CNT: 1
; COMPUTE_PGM_RSRC3_GFX90A:ACCUM_OFFSET: 37
; COMPUTE_PGM_RSRC3_GFX90A:TG_SPLIT: 0
	.section	.text._ZN9rocsolver6v33100L18getf2_small_kernelILi36EfiiPfEEvT1_T3_lS3_lPS3_llPT2_S3_S3_S5_l,"axG",@progbits,_ZN9rocsolver6v33100L18getf2_small_kernelILi36EfiiPfEEvT1_T3_lS3_lPS3_llPT2_S3_S3_S5_l,comdat
	.globl	_ZN9rocsolver6v33100L18getf2_small_kernelILi36EfiiPfEEvT1_T3_lS3_lPS3_llPT2_S3_S3_S5_l ; -- Begin function _ZN9rocsolver6v33100L18getf2_small_kernelILi36EfiiPfEEvT1_T3_lS3_lPS3_llPT2_S3_S3_S5_l
	.p2align	8
	.type	_ZN9rocsolver6v33100L18getf2_small_kernelILi36EfiiPfEEvT1_T3_lS3_lPS3_llPT2_S3_S3_S5_l,@function
_ZN9rocsolver6v33100L18getf2_small_kernelILi36EfiiPfEEvT1_T3_lS3_lPS3_llPT2_S3_S3_S5_l: ; @_ZN9rocsolver6v33100L18getf2_small_kernelILi36EfiiPfEEvT1_T3_lS3_lPS3_llPT2_S3_S3_S5_l
; %bb.0:
	s_load_dword s2, s[0:1], 0x6c
	s_load_dwordx2 s[14:15], s[0:1], 0x48
	v_bfe_u32 v17, v0, 10, 10
	s_waitcnt lgkmcnt(0)
	s_lshr_b32 s2, s2, 16
	s_mul_i32 s3, s3, s2
	v_add_u32_e32 v4, s3, v17
	v_cmp_gt_i32_e32 vcc, s14, v4
	s_and_saveexec_b64 s[2:3], vcc
	s_cbranch_execz .LBB70_609
; %bb.1:
	s_load_dwordx4 s[4:7], s[0:1], 0x50
	v_ashrrev_i32_e32 v5, 31, v4
	v_mov_b64_e32 v[20:21], 0
	s_waitcnt lgkmcnt(0)
	s_cmp_eq_u64 s[4:5], 0
	s_cselect_b64 s[16:17], -1, 0
	s_and_b64 vcc, exec, s[16:17]
	s_cbranch_vccnz .LBB70_3
; %bb.2:
	v_mul_lo_u32 v1, s7, v4
	v_mul_lo_u32 v6, s6, v5
	v_mad_u64_u32 v[2:3], s[2:3], s6, v4, 0
	v_add3_u32 v3, v3, v6, v1
	v_lshl_add_u64 v[20:21], v[2:3], 2, s[4:5]
.LBB70_3:
	s_load_dwordx4 s[20:23], s[0:1], 0x8
	s_load_dwordx8 s[4:11], s[0:1], 0x20
	s_load_dword s12, s[0:1], 0x18
	v_and_b32_e32 v19, 0x3ff, v0
	v_lshlrev_b32_e32 v44, 2, v19
	s_waitcnt lgkmcnt(0)
	v_mov_b32_e32 v2, s20
	v_mul_lo_u32 v1, s5, v4
	v_mul_lo_u32 v8, s4, v5
	v_mad_u64_u32 v[6:7], s[2:3], s4, v4, 0
	v_mov_b32_e32 v3, s21
	v_add3_u32 v7, v7, v8, v1
	s_add_i32 s14, s12, s12
	v_lshl_add_u64 v[2:3], v[6:7], 2, v[2:3]
	v_add_u32_e32 v0, s14, v19
	v_lshl_add_u64 v[2:3], s[22:23], 2, v[2:3]
	v_ashrrev_i32_e32 v1, 31, v0
	v_lshl_add_u64 v[14:15], v[0:1], 2, v[2:3]
	v_add_u32_e32 v0, s12, v0
	v_ashrrev_i32_e32 v1, 31, v0
	v_lshl_add_u64 v[22:23], v[0:1], 2, v[2:3]
	v_add_u32_e32 v0, s12, v0
	;; [unrolled: 3-line block ×4, first 2 shown]
	v_mov_b32_e32 v45, 0
	v_add_u32_e32 v30, s12, v0
	v_lshl_add_u64 v[8:9], v[2:3], 0, v[44:45]
	s_ashr_i32 s13, s12, 31
	v_ashrrev_i32_e32 v1, 31, v0
	v_ashrrev_i32_e32 v31, 31, v30
	v_lshl_add_u64 v[12:13], s[12:13], 2, v[8:9]
	v_lshl_add_u64 v[28:29], v[0:1], 2, v[2:3]
	;; [unrolled: 1-line block ×3, first 2 shown]
	global_load_dword v18, v[8:9], off
	global_load_dword v16, v[12:13], off
	global_load_dword v10, v[14:15], off
	global_load_dword v11, v[22:23], off
	global_load_dword v6, v[24:25], off
	global_load_dword v7, v[26:27], off
	global_load_dword v0, v[28:29], off
	global_load_dword v1, v[32:33], off
	v_add_u32_e32 v8, s12, v30
	v_ashrrev_i32_e32 v9, 31, v8
	v_lshl_add_u64 v[14:15], v[8:9], 2, v[2:3]
	v_add_u32_e32 v8, s12, v8
	v_ashrrev_i32_e32 v9, 31, v8
	v_lshl_add_u64 v[24:25], v[8:9], 2, v[2:3]
	v_add_u32_e32 v8, s12, v8
	v_ashrrev_i32_e32 v9, 31, v8
	v_lshl_add_u64 v[26:27], v[8:9], 2, v[2:3]
	v_add_u32_e32 v8, s12, v8
	v_ashrrev_i32_e32 v9, 31, v8
	v_lshl_add_u64 v[30:31], v[8:9], 2, v[2:3]
	v_add_u32_e32 v8, s12, v8
	v_ashrrev_i32_e32 v9, 31, v8
	v_lshl_add_u64 v[32:33], v[8:9], 2, v[2:3]
	v_add_u32_e32 v8, s12, v8
	v_ashrrev_i32_e32 v9, 31, v8
	v_lshl_add_u64 v[34:35], v[8:9], 2, v[2:3]
	v_add_u32_e32 v8, s12, v8
	v_add_u32_e32 v38, s12, v8
	v_ashrrev_i32_e32 v9, 31, v8
	v_ashrrev_i32_e32 v39, 31, v38
	v_lshl_add_u64 v[36:37], v[8:9], 2, v[2:3]
	v_lshl_add_u64 v[40:41], v[38:39], 2, v[2:3]
	global_load_dword v28, v[14:15], off
	global_load_dword v29, v[24:25], off
	global_load_dword v22, v[26:27], off
	global_load_dword v23, v[30:31], off
	global_load_dword v12, v[32:33], off
	global_load_dword v13, v[34:35], off
	global_load_dword v8, v[36:37], off
	global_load_dword v9, v[40:41], off
	v_add_u32_e32 v14, s12, v38
	v_ashrrev_i32_e32 v15, 31, v14
	v_lshl_add_u64 v[26:27], v[14:15], 2, v[2:3]
	v_add_u32_e32 v14, s12, v14
	v_ashrrev_i32_e32 v15, 31, v14
	v_lshl_add_u64 v[32:33], v[14:15], 2, v[2:3]
	v_add_u32_e32 v14, s12, v14
	v_ashrrev_i32_e32 v15, 31, v14
	v_lshl_add_u64 v[36:37], v[14:15], 2, v[2:3]
	v_add_u32_e32 v14, s12, v14
	v_ashrrev_i32_e32 v15, 31, v14
	v_lshl_add_u64 v[38:39], v[14:15], 2, v[2:3]
	v_add_u32_e32 v14, s12, v14
	v_ashrrev_i32_e32 v15, 31, v14
	v_lshl_add_u64 v[40:41], v[14:15], 2, v[2:3]
	v_add_u32_e32 v14, s12, v14
	v_ashrrev_i32_e32 v15, 31, v14
	v_lshl_add_u64 v[42:43], v[14:15], 2, v[2:3]
	v_add_u32_e32 v14, s12, v14
	v_add_u32_e32 v48, s12, v14
	v_ashrrev_i32_e32 v15, 31, v14
	v_ashrrev_i32_e32 v49, 31, v48
	v_lshl_add_u64 v[46:47], v[14:15], 2, v[2:3]
	v_lshl_add_u64 v[50:51], v[48:49], 2, v[2:3]
	;; [unrolled: 32-line block ×3, first 2 shown]
	global_load_dword v42, v[36:37], off
	global_load_dword v43, v[40:41], off
	;; [unrolled: 1-line block ×8, first 2 shown]
	v_add_u32_e32 v36, s12, v56
	v_ashrrev_i32_e32 v37, 31, v36
	v_lshl_add_u64 v[46:47], v[36:37], 2, v[2:3]
	v_add_u32_e32 v36, s12, v36
	v_ashrrev_i32_e32 v37, 31, v36
	v_lshl_add_u64 v[48:49], v[36:37], 2, v[2:3]
	v_add_u32_e32 v36, s12, v36
	v_ashrrev_i32_e32 v37, 31, v36
	v_lshl_add_u64 v[50:51], v[36:37], 2, v[2:3]
	v_add_u32_e32 v36, s12, v36
	v_ashrrev_i32_e32 v37, 31, v36
	v_lshl_add_u64 v[52:53], v[36:37], 2, v[2:3]
	global_load_dword v40, v[46:47], off
	global_load_dword v41, v[48:49], off
	;; [unrolled: 1-line block ×4, first 2 shown]
	s_load_dword s22, s[0:1], 0x0
	s_load_dwordx2 s[4:5], s[0:1], 0x40
	s_waitcnt lgkmcnt(0)
	s_max_i32 s0, s22, 36
	v_mul_lo_u32 v46, s0, v17
	v_lshl_add_u32 v17, v46, 2, 0
	v_add_u32_e32 v44, v17, v44
	s_waitcnt vmcnt(35)
	ds_write_b32 v44, v18
	s_waitcnt lgkmcnt(0)
	s_barrier
	ds_read_b32 v44, v17
	s_cmp_lt_i32 s22, 2
	v_lshlrev_b32_e32 v46, 2, v46
	s_cbranch_scc1 .LBB70_6
; %bb.4:
	v_add3_u32 v47, v46, 0, 4
	v_mov_b32_e32 v45, 0
	s_mov_b32 s0, 1
.LBB70_5:                               ; =>This Inner Loop Header: Depth=1
	ds_read_b32 v48, v47
	v_mov_b32_e32 v49, s0
	s_add_i32 s0, s0, 1
	v_add_u32_e32 v47, 4, v47
	s_cmp_eq_u32 s22, s0
	s_waitcnt lgkmcnt(0)
	v_cmp_lt_f32_e64 vcc, |v44|, |v48|
	s_nop 1
	v_cndmask_b32_e32 v44, v44, v48, vcc
	v_cndmask_b32_e32 v45, v45, v49, vcc
	s_cbranch_scc0 .LBB70_5
.LBB70_6:
	v_cmp_ne_u32_e32 vcc, v19, v45
                                        ; implicit-def: $vgpr47
	s_and_saveexec_b64 s[0:1], vcc
	s_xor_b64 s[0:1], exec, s[0:1]
	s_cbranch_execz .LBB70_12
; %bb.7:
	v_cmp_eq_u32_e32 vcc, 0, v19
	s_and_saveexec_b64 s[2:3], vcc
	s_cbranch_execz .LBB70_11
; %bb.8:
	v_cmp_ne_u32_e32 vcc, 0, v45
	s_xor_b64 s[18:19], s[16:17], -1
	s_and_b64 s[20:21], s[18:19], vcc
	s_and_saveexec_b64 s[18:19], s[20:21]
	s_cbranch_execz .LBB70_10
; %bb.9:
	v_ashrrev_i32_e32 v49, 31, v45
	v_mov_b32_e32 v48, v45
	v_lshl_add_u64 v[48:49], v[48:49], 2, v[20:21]
	global_load_dword v19, v[48:49], off
	global_load_dword v47, v[20:21], off
	s_waitcnt vmcnt(1)
	global_store_dword v[20:21], v19, off
	s_waitcnt vmcnt(1)
	global_store_dword v[48:49], v47, off
.LBB70_10:
	s_or_b64 exec, exec, s[18:19]
	v_mov_b32_e32 v19, v45
.LBB70_11:
	s_or_b64 exec, exec, s[2:3]
	v_mov_b32_e32 v47, v19
                                        ; implicit-def: $vgpr19
.LBB70_12:
	s_or_saveexec_b64 s[0:1], s[0:1]
	v_mov_b32_e32 v45, v47
	s_xor_b64 exec, exec, s[0:1]
	s_cbranch_execz .LBB70_14
; %bb.13:
	v_mov_b32_e32 v47, 0
	v_mov_b32_e32 v45, v19
	s_waitcnt vmcnt(33)
	ds_write2_b32 v17, v16, v10 offset0:1 offset1:2
	s_waitcnt vmcnt(31)
	ds_write2_b32 v17, v11, v6 offset0:3 offset1:4
	;; [unrolled: 2-line block ×17, first 2 shown]
	s_waitcnt vmcnt(0)
	ds_write_b32 v17, v37 offset:140
.LBB70_14:
	s_or_b64 exec, exec, s[0:1]
	s_waitcnt lgkmcnt(0)
	v_cmp_eq_f32_e64 s[0:1], 0, v44
	v_cmp_lt_i32_e32 vcc, 0, v47
	s_barrier
	s_and_saveexec_b64 s[2:3], vcc
	s_cbranch_execz .LBB70_16
; %bb.15:
	v_div_scale_f32 v19, s[18:19], v44, v44, 1.0
	v_rcp_f32_e32 v48, v19
	v_div_scale_f32 v49, vcc, 1.0, v44, 1.0
	v_fma_f32 v50, -v19, v48, 1.0
	v_fmac_f32_e32 v48, v50, v48
	v_mul_f32_e32 v50, v49, v48
	v_fma_f32 v51, -v19, v50, v49
	v_fmac_f32_e32 v50, v51, v48
	v_fma_f32 v19, -v19, v50, v49
	v_div_fmas_f32 v19, v19, v48, v50
	v_div_fixup_f32 v19, v19, v44, 1.0
	v_cndmask_b32_e64 v19, v19, v44, s[0:1]
	ds_read_b32 v44, v17 offset:4
	ds_read2_b32 v[48:49], v17 offset0:2 offset1:3
	ds_read2_b32 v[50:51], v17 offset0:4 offset1:5
	;; [unrolled: 1-line block ×3, first 2 shown]
	v_mul_f32_e32 v18, v19, v18
	s_waitcnt vmcnt(34) lgkmcnt(3)
	v_fma_f32 v16, -v18, v44, v16
	s_waitcnt vmcnt(32) lgkmcnt(2)
	v_pk_fma_f32 v[10:11], v[18:19], v[48:49], v[10:11] op_sel_hi:[0,1,1] neg_lo:[1,0,0] neg_hi:[1,0,0]
	s_waitcnt vmcnt(30) lgkmcnt(1)
	v_pk_fma_f32 v[6:7], v[18:19], v[50:51], v[6:7] op_sel_hi:[0,1,1] neg_lo:[1,0,0] neg_hi:[1,0,0]
	ds_read2_b32 v[48:49], v17 offset0:8 offset1:9
	ds_read2_b32 v[50:51], v17 offset0:10 offset1:11
	;; [unrolled: 1-line block ×3, first 2 shown]
	s_waitcnt vmcnt(28) lgkmcnt(3)
	v_pk_fma_f32 v[0:1], v[18:19], v[52:53], v[0:1] op_sel_hi:[0,1,1] neg_lo:[1,0,0] neg_hi:[1,0,0]
	ds_read2_b32 v[52:53], v17 offset0:14 offset1:15
	s_waitcnt vmcnt(26) lgkmcnt(3)
	v_pk_fma_f32 v[28:29], v[18:19], v[48:49], v[28:29] op_sel_hi:[0,1,1] neg_lo:[1,0,0] neg_hi:[1,0,0]
	s_waitcnt vmcnt(24) lgkmcnt(2)
	v_pk_fma_f32 v[22:23], v[18:19], v[50:51], v[22:23] op_sel_hi:[0,1,1] neg_lo:[1,0,0] neg_hi:[1,0,0]
	;; [unrolled: 2-line block ×3, first 2 shown]
	ds_read2_b32 v[48:49], v17 offset0:16 offset1:17
	ds_read2_b32 v[50:51], v17 offset0:18 offset1:19
	;; [unrolled: 1-line block ×3, first 2 shown]
	s_waitcnt vmcnt(20) lgkmcnt(3)
	v_pk_fma_f32 v[8:9], v[18:19], v[52:53], v[8:9] op_sel_hi:[0,1,1] neg_lo:[1,0,0] neg_hi:[1,0,0]
	ds_read2_b32 v[52:53], v17 offset0:22 offset1:23
	s_waitcnt vmcnt(18) lgkmcnt(3)
	v_pk_fma_f32 v[34:35], v[18:19], v[48:49], v[34:35] op_sel_hi:[0,1,1] neg_lo:[1,0,0] neg_hi:[1,0,0]
	ds_read2_b32 v[48:49], v17 offset0:24 offset1:25
	s_waitcnt vmcnt(16) lgkmcnt(3)
	v_pk_fma_f32 v[30:31], v[18:19], v[50:51], v[30:31] op_sel_hi:[0,1,1] neg_lo:[1,0,0] neg_hi:[1,0,0]
	s_waitcnt vmcnt(14) lgkmcnt(2)
	v_pk_fma_f32 v[24:25], v[18:19], v[54:55], v[24:25] op_sel_hi:[0,1,1] neg_lo:[1,0,0] neg_hi:[1,0,0]
	;; [unrolled: 2-line block ×3, first 2 shown]
	ds_read2_b32 v[50:51], v17 offset0:26 offset1:27
	ds_read2_b32 v[52:53], v17 offset0:28 offset1:29
	;; [unrolled: 1-line block ×3, first 2 shown]
	s_waitcnt vmcnt(10) lgkmcnt(3)
	v_pk_fma_f32 v[42:43], v[18:19], v[48:49], v[42:43] op_sel_hi:[0,1,1] neg_lo:[1,0,0] neg_hi:[1,0,0]
	ds_read2_b32 v[48:49], v17 offset0:32 offset1:33
	ds_read2_b32 v[56:57], v17 offset0:34 offset1:35
	s_waitcnt vmcnt(8) lgkmcnt(4)
	v_pk_fma_f32 v[38:39], v[18:19], v[50:51], v[38:39] op_sel_hi:[0,1,1] neg_lo:[1,0,0] neg_hi:[1,0,0]
	s_waitcnt vmcnt(6) lgkmcnt(3)
	v_pk_fma_f32 v[32:33], v[18:19], v[52:53], v[32:33] op_sel_hi:[0,1,1] neg_lo:[1,0,0] neg_hi:[1,0,0]
	;; [unrolled: 2-line block ×5, first 2 shown]
.LBB70_16:
	s_or_b64 exec, exec, s[2:3]
	v_lshl_add_u32 v19, v47, 2, v17
	s_barrier
	s_waitcnt vmcnt(34)
	ds_write_b32 v19, v16
	s_waitcnt lgkmcnt(0)
	s_barrier
	ds_read_b32 v19, v17 offset:4
	s_mov_b32 s2, 2
	s_cmp_lt_i32 s22, 3
	v_mov_b32_e32 v44, 1
	s_cbranch_scc1 .LBB70_19
; %bb.17:
	v_add3_u32 v48, v46, 0, 8
	v_mov_b32_e32 v44, 1
.LBB70_18:                              ; =>This Inner Loop Header: Depth=1
	ds_read_b32 v49, v48
	v_mov_b32_e32 v50, s2
	s_add_i32 s2, s2, 1
	v_add_u32_e32 v48, 4, v48
	s_cmp_lg_u32 s22, s2
	s_waitcnt lgkmcnt(0)
	v_cmp_lt_f32_e64 vcc, |v19|, |v49|
	s_nop 1
	v_cndmask_b32_e32 v19, v19, v49, vcc
	v_cndmask_b32_e32 v44, v44, v50, vcc
	s_cbranch_scc1 .LBB70_18
.LBB70_19:
	v_cmp_ne_u32_e32 vcc, v47, v44
	s_and_saveexec_b64 s[2:3], vcc
	s_xor_b64 s[2:3], exec, s[2:3]
	s_cbranch_execz .LBB70_25
; %bb.20:
	v_cmp_eq_u32_e32 vcc, 1, v47
	s_and_saveexec_b64 s[18:19], vcc
	s_cbranch_execz .LBB70_24
; %bb.21:
	v_cmp_ne_u32_e32 vcc, 1, v44
	s_xor_b64 s[20:21], s[16:17], -1
	s_and_b64 s[24:25], s[20:21], vcc
	s_and_saveexec_b64 s[20:21], s[24:25]
	s_cbranch_execz .LBB70_23
; %bb.22:
	v_ashrrev_i32_e32 v45, 31, v44
	v_lshl_add_u64 v[48:49], v[44:45], 2, v[20:21]
	global_load_dword v45, v[48:49], off
	global_load_dword v47, v[20:21], off offset:4
	s_waitcnt vmcnt(1)
	global_store_dword v[20:21], v45, off offset:4
	s_waitcnt vmcnt(1)
	global_store_dword v[48:49], v47, off
.LBB70_23:
	s_or_b64 exec, exec, s[20:21]
	v_mov_b32_e32 v45, v44
	v_mov_b32_e32 v47, v44
.LBB70_24:
	s_or_b64 exec, exec, s[18:19]
.LBB70_25:
	s_andn2_saveexec_b64 s[2:3], s[2:3]
	s_cbranch_execz .LBB70_27
; %bb.26:
	v_mov_b32_e32 v47, 1
	s_waitcnt vmcnt(32)
	ds_write2_b32 v17, v10, v11 offset0:2 offset1:3
	s_waitcnt vmcnt(30)
	ds_write2_b32 v17, v6, v7 offset0:4 offset1:5
	;; [unrolled: 2-line block ×17, first 2 shown]
.LBB70_27:
	s_or_b64 exec, exec, s[2:3]
	s_waitcnt lgkmcnt(0)
	v_cmp_neq_f32_e64 s[2:3], 0, v19
	v_cmp_lt_i32_e32 vcc, 1, v47
	s_barrier
	s_and_saveexec_b64 s[18:19], vcc
	s_cbranch_execz .LBB70_29
; %bb.28:
	v_div_scale_f32 v44, s[20:21], v19, v19, 1.0
	v_rcp_f32_e32 v48, v44
	v_div_scale_f32 v49, vcc, 1.0, v19, 1.0
	v_fma_f32 v50, -v44, v48, 1.0
	v_fmac_f32_e32 v48, v50, v48
	v_mul_f32_e32 v50, v49, v48
	v_fma_f32 v51, -v44, v50, v49
	v_fmac_f32_e32 v50, v51, v48
	v_fma_f32 v44, -v44, v50, v49
	v_div_fmas_f32 v44, v44, v48, v50
	ds_read2_b32 v[48:49], v17 offset0:2 offset1:3
	ds_read2_b32 v[50:51], v17 offset0:4 offset1:5
	ds_read2_b32 v[52:53], v17 offset0:6 offset1:7
	v_div_fixup_f32 v44, v44, v19, 1.0
	v_cndmask_b32_e64 v19, v19, v44, s[2:3]
	v_mul_f32_e32 v16, v19, v16
	ds_read2_b32 v[54:55], v17 offset0:8 offset1:9
	s_waitcnt vmcnt(32) lgkmcnt(3)
	v_pk_fma_f32 v[10:11], v[16:17], v[48:49], v[10:11] op_sel_hi:[0,1,1] neg_lo:[1,0,0] neg_hi:[1,0,0]
	s_waitcnt vmcnt(30) lgkmcnt(2)
	v_pk_fma_f32 v[6:7], v[16:17], v[50:51], v[6:7] op_sel_hi:[0,1,1] neg_lo:[1,0,0] neg_hi:[1,0,0]
	;; [unrolled: 2-line block ×3, first 2 shown]
	ds_read2_b32 v[48:49], v17 offset0:10 offset1:11
	ds_read2_b32 v[50:51], v17 offset0:12 offset1:13
	;; [unrolled: 1-line block ×3, first 2 shown]
	s_waitcnt vmcnt(26) lgkmcnt(3)
	v_pk_fma_f32 v[28:29], v[16:17], v[54:55], v[28:29] op_sel_hi:[0,1,1] neg_lo:[1,0,0] neg_hi:[1,0,0]
	ds_read2_b32 v[54:55], v17 offset0:16 offset1:17
	s_waitcnt vmcnt(24) lgkmcnt(3)
	v_pk_fma_f32 v[22:23], v[16:17], v[48:49], v[22:23] op_sel_hi:[0,1,1] neg_lo:[1,0,0] neg_hi:[1,0,0]
	s_waitcnt vmcnt(22) lgkmcnt(2)
	v_pk_fma_f32 v[12:13], v[16:17], v[50:51], v[12:13] op_sel_hi:[0,1,1] neg_lo:[1,0,0] neg_hi:[1,0,0]
	;; [unrolled: 2-line block ×3, first 2 shown]
	ds_read2_b32 v[48:49], v17 offset0:18 offset1:19
	ds_read2_b32 v[50:51], v17 offset0:20 offset1:21
	ds_read2_b32 v[52:53], v17 offset0:22 offset1:23
	ds_read2_b32 v[56:57], v17 offset0:24 offset1:25
	s_waitcnt vmcnt(18) lgkmcnt(4)
	v_pk_fma_f32 v[34:35], v[16:17], v[54:55], v[34:35] op_sel_hi:[0,1,1] neg_lo:[1,0,0] neg_hi:[1,0,0]
	s_waitcnt vmcnt(16) lgkmcnt(3)
	v_pk_fma_f32 v[30:31], v[16:17], v[48:49], v[30:31] op_sel_hi:[0,1,1] neg_lo:[1,0,0] neg_hi:[1,0,0]
	;; [unrolled: 2-line block ×5, first 2 shown]
	ds_read2_b32 v[48:49], v17 offset0:26 offset1:27
	ds_read2_b32 v[50:51], v17 offset0:28 offset1:29
	;; [unrolled: 1-line block ×5, first 2 shown]
	s_waitcnt vmcnt(8) lgkmcnt(4)
	v_pk_fma_f32 v[38:39], v[16:17], v[48:49], v[38:39] op_sel_hi:[0,1,1] neg_lo:[1,0,0] neg_hi:[1,0,0]
	s_waitcnt vmcnt(6) lgkmcnt(3)
	v_pk_fma_f32 v[32:33], v[16:17], v[50:51], v[32:33] op_sel_hi:[0,1,1] neg_lo:[1,0,0] neg_hi:[1,0,0]
	;; [unrolled: 2-line block ×5, first 2 shown]
.LBB70_29:
	s_or_b64 exec, exec, s[18:19]
	v_lshl_add_u32 v19, v47, 2, v17
	s_barrier
	s_waitcnt vmcnt(33)
	ds_write_b32 v19, v10
	s_waitcnt lgkmcnt(0)
	s_barrier
	ds_read_b32 v48, v17 offset:8
	s_cmp_lt_i32 s22, 4
	v_mov_b32_e32 v44, 2
	s_cbranch_scc1 .LBB70_32
; %bb.30:
	v_mov_b32_e32 v44, 2
	v_add3_u32 v19, v46, 0, 12
	s_mov_b32 s18, 3
.LBB70_31:                              ; =>This Inner Loop Header: Depth=1
	ds_read_b32 v49, v19
	v_mov_b32_e32 v50, s18
	s_add_i32 s18, s18, 1
	v_add_u32_e32 v19, 4, v19
	s_cmp_lg_u32 s22, s18
	s_waitcnt lgkmcnt(0)
	v_cmp_lt_f32_e64 vcc, |v48|, |v49|
	s_nop 1
	v_cndmask_b32_e32 v48, v48, v49, vcc
	v_cndmask_b32_e32 v44, v44, v50, vcc
	s_cbranch_scc1 .LBB70_31
.LBB70_32:
	v_cndmask_b32_e64 v19, 2, 1, s[0:1]
	v_cndmask_b32_e64 v49, 0, 1, s[0:1]
	;; [unrolled: 1-line block ×3, first 2 shown]
	s_waitcnt lgkmcnt(0)
	v_cmp_eq_f32_e32 vcc, 0, v48
	s_and_saveexec_b64 s[0:1], vcc
	s_xor_b64 s[0:1], exec, s[0:1]
; %bb.33:
	v_cmp_ne_u32_e32 vcc, 0, v19
	s_nop 1
	v_cndmask_b32_e32 v19, 3, v19, vcc
; %bb.34:
	s_andn2_saveexec_b64 s[0:1], s[0:1]
	s_cbranch_execz .LBB70_36
; %bb.35:
	v_div_scale_f32 v49, s[2:3], v48, v48, 1.0
	v_rcp_f32_e32 v50, v49
	v_div_scale_f32 v51, vcc, 1.0, v48, 1.0
	v_fma_f32 v52, -v49, v50, 1.0
	v_fmac_f32_e32 v50, v52, v50
	v_mul_f32_e32 v52, v51, v50
	v_fma_f32 v53, -v49, v52, v51
	v_fmac_f32_e32 v52, v53, v50
	v_fma_f32 v49, -v49, v52, v51
	v_div_fmas_f32 v49, v49, v50, v52
	v_div_fixup_f32 v48, v49, v48, 1.0
.LBB70_36:
	s_or_b64 exec, exec, s[0:1]
	v_cmp_ne_u32_e32 vcc, v47, v44
	s_and_saveexec_b64 s[0:1], vcc
	s_xor_b64 s[0:1], exec, s[0:1]
	s_cbranch_execz .LBB70_42
; %bb.37:
	v_cmp_eq_u32_e32 vcc, 2, v47
	s_and_saveexec_b64 s[2:3], vcc
	s_cbranch_execz .LBB70_41
; %bb.38:
	v_cmp_ne_u32_e32 vcc, 2, v44
	s_xor_b64 s[18:19], s[16:17], -1
	s_and_b64 s[20:21], s[18:19], vcc
	s_and_saveexec_b64 s[18:19], s[20:21]
	s_cbranch_execz .LBB70_40
; %bb.39:
	v_ashrrev_i32_e32 v45, 31, v44
	v_lshl_add_u64 v[50:51], v[44:45], 2, v[20:21]
	global_load_dword v45, v[50:51], off
	global_load_dword v47, v[20:21], off offset:8
	s_waitcnt vmcnt(1)
	global_store_dword v[20:21], v45, off offset:8
	s_waitcnt vmcnt(1)
	global_store_dword v[50:51], v47, off
.LBB70_40:
	s_or_b64 exec, exec, s[18:19]
	v_mov_b32_e32 v45, v44
	v_mov_b32_e32 v47, v44
.LBB70_41:
	s_or_b64 exec, exec, s[2:3]
.LBB70_42:
	s_andn2_saveexec_b64 s[0:1], s[0:1]
	s_cbranch_execz .LBB70_44
; %bb.43:
	s_waitcnt vmcnt(30)
	v_pk_mov_b32 v[50:51], v[10:11], v[6:7] op_sel:[1,0]
	ds_write2_b32 v17, v50, v51 offset0:3 offset1:4
	s_waitcnt vmcnt(28)
	v_pk_mov_b32 v[50:51], v[6:7], v[0:1] op_sel:[1,0]
	ds_write2_b32 v17, v50, v51 offset0:5 offset1:6
	;; [unrolled: 3-line block ×15, first 2 shown]
	s_waitcnt vmcnt(0)
	v_pk_mov_b32 v[50:51], v[40:41], v[36:37] op_sel:[1,0]
	v_mov_b32_e32 v47, 2
	ds_write2_b32 v17, v50, v51 offset0:33 offset1:34
	ds_write_b32 v17, v37 offset:140
.LBB70_44:
	s_or_b64 exec, exec, s[0:1]
	v_cmp_lt_i32_e32 vcc, 2, v47
	s_waitcnt lgkmcnt(0)
	s_barrier
	s_and_saveexec_b64 s[0:1], vcc
	s_cbranch_execz .LBB70_46
; %bb.45:
	ds_read_b32 v44, v17 offset:12
	ds_read2_b32 v[50:51], v17 offset0:4 offset1:5
	ds_read2_b32 v[52:53], v17 offset0:6 offset1:7
	v_mul_f32_e32 v10, v48, v10
	ds_read2_b32 v[48:49], v17 offset0:8 offset1:9
	s_waitcnt vmcnt(32) lgkmcnt(3)
	v_fma_f32 v11, -v10, v44, v11
	s_waitcnt vmcnt(30) lgkmcnt(2)
	v_pk_fma_f32 v[6:7], v[10:11], v[50:51], v[6:7] op_sel_hi:[0,1,1] neg_lo:[1,0,0] neg_hi:[1,0,0]
	s_waitcnt vmcnt(28) lgkmcnt(1)
	v_pk_fma_f32 v[0:1], v[10:11], v[52:53], v[0:1] op_sel_hi:[0,1,1] neg_lo:[1,0,0] neg_hi:[1,0,0]
	ds_read2_b32 v[50:51], v17 offset0:10 offset1:11
	ds_read2_b32 v[52:53], v17 offset0:12 offset1:13
	;; [unrolled: 1-line block ×3, first 2 shown]
	s_waitcnt vmcnt(26) lgkmcnt(3)
	v_pk_fma_f32 v[28:29], v[10:11], v[48:49], v[28:29] op_sel_hi:[0,1,1] neg_lo:[1,0,0] neg_hi:[1,0,0]
	ds_read2_b32 v[48:49], v17 offset0:16 offset1:17
	s_waitcnt vmcnt(24) lgkmcnt(3)
	v_pk_fma_f32 v[22:23], v[10:11], v[50:51], v[22:23] op_sel_hi:[0,1,1] neg_lo:[1,0,0] neg_hi:[1,0,0]
	s_waitcnt vmcnt(22) lgkmcnt(2)
	v_pk_fma_f32 v[12:13], v[10:11], v[52:53], v[12:13] op_sel_hi:[0,1,1] neg_lo:[1,0,0] neg_hi:[1,0,0]
	;; [unrolled: 2-line block ×3, first 2 shown]
	ds_read2_b32 v[50:51], v17 offset0:18 offset1:19
	ds_read2_b32 v[52:53], v17 offset0:20 offset1:21
	;; [unrolled: 1-line block ×4, first 2 shown]
	s_waitcnt vmcnt(18) lgkmcnt(4)
	v_pk_fma_f32 v[34:35], v[10:11], v[48:49], v[34:35] op_sel_hi:[0,1,1] neg_lo:[1,0,0] neg_hi:[1,0,0]
	s_waitcnt vmcnt(16) lgkmcnt(3)
	v_pk_fma_f32 v[30:31], v[10:11], v[50:51], v[30:31] op_sel_hi:[0,1,1] neg_lo:[1,0,0] neg_hi:[1,0,0]
	;; [unrolled: 2-line block ×5, first 2 shown]
	ds_read2_b32 v[48:49], v17 offset0:26 offset1:27
	ds_read2_b32 v[50:51], v17 offset0:28 offset1:29
	;; [unrolled: 1-line block ×5, first 2 shown]
	s_waitcnt vmcnt(8) lgkmcnt(4)
	v_pk_fma_f32 v[38:39], v[10:11], v[48:49], v[38:39] op_sel_hi:[0,1,1] neg_lo:[1,0,0] neg_hi:[1,0,0]
	s_waitcnt vmcnt(6) lgkmcnt(3)
	v_pk_fma_f32 v[32:33], v[10:11], v[50:51], v[32:33] op_sel_hi:[0,1,1] neg_lo:[1,0,0] neg_hi:[1,0,0]
	;; [unrolled: 2-line block ×5, first 2 shown]
.LBB70_46:
	s_or_b64 exec, exec, s[0:1]
	v_lshl_add_u32 v44, v47, 2, v17
	s_barrier
	s_waitcnt vmcnt(32)
	ds_write_b32 v44, v11
	s_waitcnt lgkmcnt(0)
	s_barrier
	ds_read_b32 v48, v17 offset:12
	s_cmp_lt_i32 s22, 5
	v_mov_b32_e32 v44, 3
	s_cbranch_scc1 .LBB70_49
; %bb.47:
	v_add3_u32 v49, v46, 0, 16
	v_mov_b32_e32 v44, 3
	s_mov_b32 s0, 4
.LBB70_48:                              ; =>This Inner Loop Header: Depth=1
	ds_read_b32 v50, v49
	v_mov_b32_e32 v51, s0
	s_add_i32 s0, s0, 1
	v_add_u32_e32 v49, 4, v49
	s_cmp_lg_u32 s22, s0
	s_waitcnt lgkmcnt(0)
	v_cmp_lt_f32_e64 vcc, |v48|, |v50|
	s_nop 1
	v_cndmask_b32_e32 v48, v48, v50, vcc
	v_cndmask_b32_e32 v44, v44, v51, vcc
	s_cbranch_scc1 .LBB70_48
.LBB70_49:
	s_waitcnt lgkmcnt(0)
	v_cmp_eq_f32_e32 vcc, 0, v48
	s_and_saveexec_b64 s[0:1], vcc
	s_xor_b64 s[0:1], exec, s[0:1]
; %bb.50:
	v_cmp_ne_u32_e32 vcc, 0, v19
	s_nop 1
	v_cndmask_b32_e32 v19, 4, v19, vcc
; %bb.51:
	s_andn2_saveexec_b64 s[0:1], s[0:1]
	s_cbranch_execz .LBB70_53
; %bb.52:
	v_div_scale_f32 v49, s[2:3], v48, v48, 1.0
	v_rcp_f32_e32 v50, v49
	v_div_scale_f32 v51, vcc, 1.0, v48, 1.0
	v_fma_f32 v52, -v49, v50, 1.0
	v_fmac_f32_e32 v50, v52, v50
	v_mul_f32_e32 v52, v51, v50
	v_fma_f32 v53, -v49, v52, v51
	v_fmac_f32_e32 v52, v53, v50
	v_fma_f32 v49, -v49, v52, v51
	v_div_fmas_f32 v49, v49, v50, v52
	v_div_fixup_f32 v48, v49, v48, 1.0
.LBB70_53:
	s_or_b64 exec, exec, s[0:1]
	v_cmp_ne_u32_e32 vcc, v47, v44
	s_and_saveexec_b64 s[0:1], vcc
	s_xor_b64 s[0:1], exec, s[0:1]
	s_cbranch_execz .LBB70_59
; %bb.54:
	v_cmp_eq_u32_e32 vcc, 3, v47
	s_and_saveexec_b64 s[2:3], vcc
	s_cbranch_execz .LBB70_58
; %bb.55:
	v_cmp_ne_u32_e32 vcc, 3, v44
	s_xor_b64 s[18:19], s[16:17], -1
	s_and_b64 s[20:21], s[18:19], vcc
	s_and_saveexec_b64 s[18:19], s[20:21]
	s_cbranch_execz .LBB70_57
; %bb.56:
	v_ashrrev_i32_e32 v45, 31, v44
	v_lshl_add_u64 v[50:51], v[44:45], 2, v[20:21]
	global_load_dword v45, v[50:51], off
	global_load_dword v47, v[20:21], off offset:12
	s_waitcnt vmcnt(1)
	global_store_dword v[20:21], v45, off offset:12
	s_waitcnt vmcnt(1)
	global_store_dword v[50:51], v47, off
.LBB70_57:
	s_or_b64 exec, exec, s[18:19]
	v_mov_b32_e32 v45, v44
	v_mov_b32_e32 v47, v44
.LBB70_58:
	s_or_b64 exec, exec, s[2:3]
.LBB70_59:
	s_andn2_saveexec_b64 s[0:1], s[0:1]
	s_cbranch_execz .LBB70_61
; %bb.60:
	v_mov_b32_e32 v47, 3
	s_waitcnt vmcnt(30)
	ds_write2_b32 v17, v6, v7 offset0:4 offset1:5
	s_waitcnt vmcnt(28)
	ds_write2_b32 v17, v0, v1 offset0:6 offset1:7
	;; [unrolled: 2-line block ×16, first 2 shown]
.LBB70_61:
	s_or_b64 exec, exec, s[0:1]
	v_cmp_lt_i32_e32 vcc, 3, v47
	s_waitcnt lgkmcnt(0)
	s_barrier
	s_and_saveexec_b64 s[0:1], vcc
	s_cbranch_execz .LBB70_63
; %bb.62:
	ds_read2_b32 v[50:51], v17 offset0:4 offset1:5
	ds_read2_b32 v[52:53], v17 offset0:6 offset1:7
	;; [unrolled: 1-line block ×3, first 2 shown]
	v_mul_f32_e32 v44, v48, v11
	ds_read2_b32 v[48:49], v17 offset0:10 offset1:11
	s_waitcnt vmcnt(30) lgkmcnt(3)
	v_pk_fma_f32 v[6:7], v[44:45], v[50:51], v[6:7] op_sel_hi:[0,1,1] neg_lo:[1,0,0] neg_hi:[1,0,0]
	s_waitcnt vmcnt(28) lgkmcnt(2)
	v_pk_fma_f32 v[0:1], v[44:45], v[52:53], v[0:1] op_sel_hi:[0,1,1] neg_lo:[1,0,0] neg_hi:[1,0,0]
	;; [unrolled: 2-line block ×3, first 2 shown]
	ds_read2_b32 v[50:51], v17 offset0:12 offset1:13
	ds_read2_b32 v[52:53], v17 offset0:14 offset1:15
	;; [unrolled: 1-line block ×3, first 2 shown]
	s_waitcnt vmcnt(24) lgkmcnt(3)
	v_pk_fma_f32 v[22:23], v[44:45], v[48:49], v[22:23] op_sel_hi:[0,1,1] neg_lo:[1,0,0] neg_hi:[1,0,0]
	ds_read2_b32 v[48:49], v17 offset0:18 offset1:19
	s_waitcnt vmcnt(22) lgkmcnt(3)
	v_pk_fma_f32 v[12:13], v[44:45], v[50:51], v[12:13] op_sel_hi:[0,1,1] neg_lo:[1,0,0] neg_hi:[1,0,0]
	s_waitcnt vmcnt(20) lgkmcnt(2)
	v_pk_fma_f32 v[8:9], v[44:45], v[52:53], v[8:9] op_sel_hi:[0,1,1] neg_lo:[1,0,0] neg_hi:[1,0,0]
	;; [unrolled: 2-line block ×3, first 2 shown]
	ds_read2_b32 v[50:51], v17 offset0:20 offset1:21
	ds_read2_b32 v[52:53], v17 offset0:22 offset1:23
	;; [unrolled: 1-line block ×3, first 2 shown]
	s_waitcnt vmcnt(16) lgkmcnt(3)
	v_pk_fma_f32 v[30:31], v[44:45], v[48:49], v[30:31] op_sel_hi:[0,1,1] neg_lo:[1,0,0] neg_hi:[1,0,0]
	ds_read2_b32 v[48:49], v17 offset0:26 offset1:27
	s_waitcnt vmcnt(14) lgkmcnt(3)
	v_pk_fma_f32 v[24:25], v[44:45], v[50:51], v[24:25] op_sel_hi:[0,1,1] neg_lo:[1,0,0] neg_hi:[1,0,0]
	s_waitcnt vmcnt(12) lgkmcnt(2)
	v_pk_fma_f32 v[14:15], v[44:45], v[52:53], v[14:15] op_sel_hi:[0,1,1] neg_lo:[1,0,0] neg_hi:[1,0,0]
	;; [unrolled: 2-line block ×3, first 2 shown]
	ds_read2_b32 v[50:51], v17 offset0:28 offset1:29
	ds_read2_b32 v[52:53], v17 offset0:30 offset1:31
	;; [unrolled: 1-line block ×4, first 2 shown]
	s_waitcnt vmcnt(8) lgkmcnt(4)
	v_pk_fma_f32 v[38:39], v[44:45], v[48:49], v[38:39] op_sel_hi:[0,1,1] neg_lo:[1,0,0] neg_hi:[1,0,0]
	s_waitcnt vmcnt(6) lgkmcnt(3)
	v_pk_fma_f32 v[32:33], v[44:45], v[50:51], v[32:33] op_sel_hi:[0,1,1] neg_lo:[1,0,0] neg_hi:[1,0,0]
	;; [unrolled: 2-line block ×5, first 2 shown]
	v_mov_b32_e32 v11, v44
.LBB70_63:
	s_or_b64 exec, exec, s[0:1]
	v_lshl_add_u32 v44, v47, 2, v17
	s_barrier
	s_waitcnt vmcnt(31)
	ds_write_b32 v44, v6
	s_waitcnt lgkmcnt(0)
	s_barrier
	ds_read_b32 v48, v17 offset:16
	s_cmp_lt_i32 s22, 6
	v_mov_b32_e32 v44, 4
	s_cbranch_scc1 .LBB70_66
; %bb.64:
	v_add3_u32 v49, v46, 0, 20
	v_mov_b32_e32 v44, 4
	s_mov_b32 s0, 5
.LBB70_65:                              ; =>This Inner Loop Header: Depth=1
	ds_read_b32 v50, v49
	v_mov_b32_e32 v51, s0
	s_add_i32 s0, s0, 1
	v_add_u32_e32 v49, 4, v49
	s_cmp_lg_u32 s22, s0
	s_waitcnt lgkmcnt(0)
	v_cmp_lt_f32_e64 vcc, |v48|, |v50|
	s_nop 1
	v_cndmask_b32_e32 v48, v48, v50, vcc
	v_cndmask_b32_e32 v44, v44, v51, vcc
	s_cbranch_scc1 .LBB70_65
.LBB70_66:
	s_waitcnt lgkmcnt(0)
	v_cmp_eq_f32_e32 vcc, 0, v48
	s_and_saveexec_b64 s[0:1], vcc
	s_xor_b64 s[0:1], exec, s[0:1]
; %bb.67:
	v_cmp_ne_u32_e32 vcc, 0, v19
	s_nop 1
	v_cndmask_b32_e32 v19, 5, v19, vcc
; %bb.68:
	s_andn2_saveexec_b64 s[0:1], s[0:1]
	s_cbranch_execz .LBB70_70
; %bb.69:
	v_div_scale_f32 v49, s[2:3], v48, v48, 1.0
	v_rcp_f32_e32 v50, v49
	v_div_scale_f32 v51, vcc, 1.0, v48, 1.0
	v_fma_f32 v52, -v49, v50, 1.0
	v_fmac_f32_e32 v50, v52, v50
	v_mul_f32_e32 v52, v51, v50
	v_fma_f32 v53, -v49, v52, v51
	v_fmac_f32_e32 v52, v53, v50
	v_fma_f32 v49, -v49, v52, v51
	v_div_fmas_f32 v49, v49, v50, v52
	v_div_fixup_f32 v48, v49, v48, 1.0
.LBB70_70:
	s_or_b64 exec, exec, s[0:1]
	v_cmp_ne_u32_e32 vcc, v47, v44
	s_and_saveexec_b64 s[0:1], vcc
	s_xor_b64 s[0:1], exec, s[0:1]
	s_cbranch_execz .LBB70_76
; %bb.71:
	v_cmp_eq_u32_e32 vcc, 4, v47
	s_and_saveexec_b64 s[2:3], vcc
	s_cbranch_execz .LBB70_75
; %bb.72:
	v_cmp_ne_u32_e32 vcc, 4, v44
	s_xor_b64 s[18:19], s[16:17], -1
	s_and_b64 s[20:21], s[18:19], vcc
	s_and_saveexec_b64 s[18:19], s[20:21]
	s_cbranch_execz .LBB70_74
; %bb.73:
	v_ashrrev_i32_e32 v45, 31, v44
	v_lshl_add_u64 v[50:51], v[44:45], 2, v[20:21]
	global_load_dword v45, v[50:51], off
	global_load_dword v47, v[20:21], off offset:16
	s_waitcnt vmcnt(1)
	global_store_dword v[20:21], v45, off offset:16
	s_waitcnt vmcnt(1)
	global_store_dword v[50:51], v47, off
.LBB70_74:
	s_or_b64 exec, exec, s[18:19]
	v_mov_b32_e32 v45, v44
	v_mov_b32_e32 v47, v44
.LBB70_75:
	s_or_b64 exec, exec, s[2:3]
.LBB70_76:
	s_andn2_saveexec_b64 s[0:1], s[0:1]
	s_cbranch_execz .LBB70_78
; %bb.77:
	s_waitcnt vmcnt(28)
	v_pk_mov_b32 v[50:51], v[6:7], v[0:1] op_sel:[1,0]
	ds_write2_b32 v17, v50, v51 offset0:5 offset1:6
	s_waitcnt vmcnt(26)
	v_pk_mov_b32 v[50:51], v[0:1], v[28:29] op_sel:[1,0]
	ds_write2_b32 v17, v50, v51 offset0:7 offset1:8
	;; [unrolled: 3-line block ×14, first 2 shown]
	s_waitcnt vmcnt(0)
	v_pk_mov_b32 v[50:51], v[40:41], v[36:37] op_sel:[1,0]
	v_mov_b32_e32 v47, 4
	ds_write2_b32 v17, v50, v51 offset0:33 offset1:34
	ds_write_b32 v17, v37 offset:140
.LBB70_78:
	s_or_b64 exec, exec, s[0:1]
	v_cmp_lt_i32_e32 vcc, 4, v47
	s_waitcnt lgkmcnt(0)
	s_barrier
	s_and_saveexec_b64 s[0:1], vcc
	s_cbranch_execz .LBB70_80
; %bb.79:
	ds_read_b32 v44, v17 offset:20
	ds_read2_b32 v[50:51], v17 offset0:6 offset1:7
	ds_read2_b32 v[52:53], v17 offset0:8 offset1:9
	v_mul_f32_e32 v6, v48, v6
	ds_read2_b32 v[48:49], v17 offset0:10 offset1:11
	s_waitcnt vmcnt(30) lgkmcnt(3)
	v_fma_f32 v7, -v6, v44, v7
	s_waitcnt vmcnt(28) lgkmcnt(2)
	v_pk_fma_f32 v[0:1], v[6:7], v[50:51], v[0:1] op_sel_hi:[0,1,1] neg_lo:[1,0,0] neg_hi:[1,0,0]
	s_waitcnt vmcnt(26) lgkmcnt(1)
	v_pk_fma_f32 v[28:29], v[6:7], v[52:53], v[28:29] op_sel_hi:[0,1,1] neg_lo:[1,0,0] neg_hi:[1,0,0]
	ds_read2_b32 v[50:51], v17 offset0:12 offset1:13
	ds_read2_b32 v[52:53], v17 offset0:14 offset1:15
	;; [unrolled: 1-line block ×3, first 2 shown]
	s_waitcnt vmcnt(24) lgkmcnt(3)
	v_pk_fma_f32 v[22:23], v[6:7], v[48:49], v[22:23] op_sel_hi:[0,1,1] neg_lo:[1,0,0] neg_hi:[1,0,0]
	ds_read2_b32 v[48:49], v17 offset0:18 offset1:19
	s_waitcnt vmcnt(22) lgkmcnt(3)
	v_pk_fma_f32 v[12:13], v[6:7], v[50:51], v[12:13] op_sel_hi:[0,1,1] neg_lo:[1,0,0] neg_hi:[1,0,0]
	s_waitcnt vmcnt(20) lgkmcnt(2)
	v_pk_fma_f32 v[8:9], v[6:7], v[52:53], v[8:9] op_sel_hi:[0,1,1] neg_lo:[1,0,0] neg_hi:[1,0,0]
	;; [unrolled: 2-line block ×3, first 2 shown]
	ds_read2_b32 v[50:51], v17 offset0:20 offset1:21
	ds_read2_b32 v[52:53], v17 offset0:22 offset1:23
	;; [unrolled: 1-line block ×3, first 2 shown]
	s_waitcnt vmcnt(16) lgkmcnt(3)
	v_pk_fma_f32 v[30:31], v[6:7], v[48:49], v[30:31] op_sel_hi:[0,1,1] neg_lo:[1,0,0] neg_hi:[1,0,0]
	ds_read2_b32 v[48:49], v17 offset0:26 offset1:27
	s_waitcnt vmcnt(14) lgkmcnt(3)
	v_pk_fma_f32 v[24:25], v[6:7], v[50:51], v[24:25] op_sel_hi:[0,1,1] neg_lo:[1,0,0] neg_hi:[1,0,0]
	s_waitcnt vmcnt(12) lgkmcnt(2)
	v_pk_fma_f32 v[14:15], v[6:7], v[52:53], v[14:15] op_sel_hi:[0,1,1] neg_lo:[1,0,0] neg_hi:[1,0,0]
	;; [unrolled: 2-line block ×3, first 2 shown]
	ds_read2_b32 v[50:51], v17 offset0:28 offset1:29
	ds_read2_b32 v[52:53], v17 offset0:30 offset1:31
	;; [unrolled: 1-line block ×4, first 2 shown]
	s_waitcnt vmcnt(8) lgkmcnt(4)
	v_pk_fma_f32 v[38:39], v[6:7], v[48:49], v[38:39] op_sel_hi:[0,1,1] neg_lo:[1,0,0] neg_hi:[1,0,0]
	s_waitcnt vmcnt(6) lgkmcnt(3)
	v_pk_fma_f32 v[32:33], v[6:7], v[50:51], v[32:33] op_sel_hi:[0,1,1] neg_lo:[1,0,0] neg_hi:[1,0,0]
	s_waitcnt vmcnt(4) lgkmcnt(2)
	v_pk_fma_f32 v[26:27], v[6:7], v[52:53], v[26:27] op_sel_hi:[0,1,1] neg_lo:[1,0,0] neg_hi:[1,0,0]
	s_waitcnt vmcnt(2) lgkmcnt(1)
	v_pk_fma_f32 v[40:41], v[6:7], v[54:55], v[40:41] op_sel_hi:[0,1,1] neg_lo:[1,0,0] neg_hi:[1,0,0]
	s_waitcnt vmcnt(0) lgkmcnt(0)
	v_pk_fma_f32 v[36:37], v[6:7], v[56:57], v[36:37] op_sel_hi:[0,1,1] neg_lo:[1,0,0] neg_hi:[1,0,0]
.LBB70_80:
	s_or_b64 exec, exec, s[0:1]
	v_lshl_add_u32 v44, v47, 2, v17
	s_barrier
	s_waitcnt vmcnt(30)
	ds_write_b32 v44, v7
	s_waitcnt lgkmcnt(0)
	s_barrier
	ds_read_b32 v48, v17 offset:20
	s_cmp_lt_i32 s22, 7
	v_mov_b32_e32 v44, 5
	s_cbranch_scc1 .LBB70_83
; %bb.81:
	v_add3_u32 v49, v46, 0, 24
	v_mov_b32_e32 v44, 5
	s_mov_b32 s0, 6
.LBB70_82:                              ; =>This Inner Loop Header: Depth=1
	ds_read_b32 v50, v49
	v_mov_b32_e32 v51, s0
	s_add_i32 s0, s0, 1
	v_add_u32_e32 v49, 4, v49
	s_cmp_lg_u32 s22, s0
	s_waitcnt lgkmcnt(0)
	v_cmp_lt_f32_e64 vcc, |v48|, |v50|
	s_nop 1
	v_cndmask_b32_e32 v48, v48, v50, vcc
	v_cndmask_b32_e32 v44, v44, v51, vcc
	s_cbranch_scc1 .LBB70_82
.LBB70_83:
	s_waitcnt lgkmcnt(0)
	v_cmp_eq_f32_e32 vcc, 0, v48
	s_and_saveexec_b64 s[0:1], vcc
	s_xor_b64 s[0:1], exec, s[0:1]
; %bb.84:
	v_cmp_ne_u32_e32 vcc, 0, v19
	s_nop 1
	v_cndmask_b32_e32 v19, 6, v19, vcc
; %bb.85:
	s_andn2_saveexec_b64 s[0:1], s[0:1]
	s_cbranch_execz .LBB70_87
; %bb.86:
	v_div_scale_f32 v49, s[2:3], v48, v48, 1.0
	v_rcp_f32_e32 v50, v49
	v_div_scale_f32 v51, vcc, 1.0, v48, 1.0
	v_fma_f32 v52, -v49, v50, 1.0
	v_fmac_f32_e32 v50, v52, v50
	v_mul_f32_e32 v52, v51, v50
	v_fma_f32 v53, -v49, v52, v51
	v_fmac_f32_e32 v52, v53, v50
	v_fma_f32 v49, -v49, v52, v51
	v_div_fmas_f32 v49, v49, v50, v52
	v_div_fixup_f32 v48, v49, v48, 1.0
.LBB70_87:
	s_or_b64 exec, exec, s[0:1]
	v_cmp_ne_u32_e32 vcc, v47, v44
	s_and_saveexec_b64 s[0:1], vcc
	s_xor_b64 s[0:1], exec, s[0:1]
	s_cbranch_execz .LBB70_93
; %bb.88:
	v_cmp_eq_u32_e32 vcc, 5, v47
	s_and_saveexec_b64 s[2:3], vcc
	s_cbranch_execz .LBB70_92
; %bb.89:
	v_cmp_ne_u32_e32 vcc, 5, v44
	s_xor_b64 s[18:19], s[16:17], -1
	s_and_b64 s[20:21], s[18:19], vcc
	s_and_saveexec_b64 s[18:19], s[20:21]
	s_cbranch_execz .LBB70_91
; %bb.90:
	v_ashrrev_i32_e32 v45, 31, v44
	v_lshl_add_u64 v[50:51], v[44:45], 2, v[20:21]
	global_load_dword v45, v[50:51], off
	global_load_dword v47, v[20:21], off offset:20
	s_waitcnt vmcnt(1)
	global_store_dword v[20:21], v45, off offset:20
	s_waitcnt vmcnt(1)
	global_store_dword v[50:51], v47, off
.LBB70_91:
	s_or_b64 exec, exec, s[18:19]
	v_mov_b32_e32 v45, v44
	v_mov_b32_e32 v47, v44
.LBB70_92:
	s_or_b64 exec, exec, s[2:3]
.LBB70_93:
	s_andn2_saveexec_b64 s[0:1], s[0:1]
	s_cbranch_execz .LBB70_95
; %bb.94:
	v_mov_b32_e32 v47, 5
	s_waitcnt vmcnt(28)
	ds_write2_b32 v17, v0, v1 offset0:6 offset1:7
	s_waitcnt vmcnt(26)
	ds_write2_b32 v17, v28, v29 offset0:8 offset1:9
	;; [unrolled: 2-line block ×15, first 2 shown]
.LBB70_95:
	s_or_b64 exec, exec, s[0:1]
	v_cmp_lt_i32_e32 vcc, 5, v47
	s_waitcnt lgkmcnt(0)
	s_barrier
	s_and_saveexec_b64 s[0:1], vcc
	s_cbranch_execz .LBB70_97
; %bb.96:
	ds_read2_b32 v[50:51], v17 offset0:6 offset1:7
	ds_read2_b32 v[52:53], v17 offset0:8 offset1:9
	;; [unrolled: 1-line block ×3, first 2 shown]
	v_mul_f32_e32 v44, v48, v7
	ds_read2_b32 v[48:49], v17 offset0:12 offset1:13
	s_waitcnt vmcnt(28) lgkmcnt(3)
	v_pk_fma_f32 v[0:1], v[44:45], v[50:51], v[0:1] op_sel_hi:[0,1,1] neg_lo:[1,0,0] neg_hi:[1,0,0]
	s_waitcnt vmcnt(26) lgkmcnt(2)
	v_pk_fma_f32 v[28:29], v[44:45], v[52:53], v[28:29] op_sel_hi:[0,1,1] neg_lo:[1,0,0] neg_hi:[1,0,0]
	;; [unrolled: 2-line block ×3, first 2 shown]
	ds_read2_b32 v[50:51], v17 offset0:14 offset1:15
	ds_read2_b32 v[52:53], v17 offset0:16 offset1:17
	;; [unrolled: 1-line block ×3, first 2 shown]
	s_waitcnt vmcnt(22) lgkmcnt(3)
	v_pk_fma_f32 v[12:13], v[44:45], v[48:49], v[12:13] op_sel_hi:[0,1,1] neg_lo:[1,0,0] neg_hi:[1,0,0]
	ds_read2_b32 v[48:49], v17 offset0:20 offset1:21
	s_waitcnt vmcnt(20) lgkmcnt(3)
	v_pk_fma_f32 v[8:9], v[44:45], v[50:51], v[8:9] op_sel_hi:[0,1,1] neg_lo:[1,0,0] neg_hi:[1,0,0]
	s_waitcnt vmcnt(18) lgkmcnt(2)
	v_pk_fma_f32 v[34:35], v[44:45], v[52:53], v[34:35] op_sel_hi:[0,1,1] neg_lo:[1,0,0] neg_hi:[1,0,0]
	ds_read2_b32 v[50:51], v17 offset0:22 offset1:23
	ds_read2_b32 v[52:53], v17 offset0:24 offset1:25
	s_waitcnt vmcnt(16) lgkmcnt(3)
	v_pk_fma_f32 v[30:31], v[44:45], v[54:55], v[30:31] op_sel_hi:[0,1,1] neg_lo:[1,0,0] neg_hi:[1,0,0]
	s_waitcnt vmcnt(14) lgkmcnt(2)
	v_pk_fma_f32 v[24:25], v[44:45], v[48:49], v[24:25] op_sel_hi:[0,1,1] neg_lo:[1,0,0] neg_hi:[1,0,0]
	ds_read2_b32 v[48:49], v17 offset0:26 offset1:27
	;; [unrolled: 6-line block ×3, first 2 shown]
	ds_read2_b32 v[52:53], v17 offset0:32 offset1:33
	ds_read2_b32 v[56:57], v17 offset0:34 offset1:35
	s_waitcnt vmcnt(8) lgkmcnt(4)
	v_pk_fma_f32 v[38:39], v[44:45], v[48:49], v[38:39] op_sel_hi:[0,1,1] neg_lo:[1,0,0] neg_hi:[1,0,0]
	s_waitcnt vmcnt(6) lgkmcnt(3)
	v_pk_fma_f32 v[32:33], v[44:45], v[54:55], v[32:33] op_sel_hi:[0,1,1] neg_lo:[1,0,0] neg_hi:[1,0,0]
	;; [unrolled: 2-line block ×5, first 2 shown]
	v_mov_b32_e32 v7, v44
.LBB70_97:
	s_or_b64 exec, exec, s[0:1]
	v_lshl_add_u32 v44, v47, 2, v17
	s_barrier
	s_waitcnt vmcnt(29)
	ds_write_b32 v44, v0
	s_waitcnt lgkmcnt(0)
	s_barrier
	ds_read_b32 v48, v17 offset:24
	s_cmp_lt_i32 s22, 8
	v_mov_b32_e32 v44, 6
	s_cbranch_scc1 .LBB70_100
; %bb.98:
	v_add3_u32 v49, v46, 0, 28
	v_mov_b32_e32 v44, 6
	s_mov_b32 s0, 7
.LBB70_99:                              ; =>This Inner Loop Header: Depth=1
	ds_read_b32 v50, v49
	v_mov_b32_e32 v51, s0
	s_add_i32 s0, s0, 1
	v_add_u32_e32 v49, 4, v49
	s_cmp_lg_u32 s22, s0
	s_waitcnt lgkmcnt(0)
	v_cmp_lt_f32_e64 vcc, |v48|, |v50|
	s_nop 1
	v_cndmask_b32_e32 v48, v48, v50, vcc
	v_cndmask_b32_e32 v44, v44, v51, vcc
	s_cbranch_scc1 .LBB70_99
.LBB70_100:
	s_waitcnt lgkmcnt(0)
	v_cmp_eq_f32_e32 vcc, 0, v48
	s_and_saveexec_b64 s[0:1], vcc
	s_xor_b64 s[0:1], exec, s[0:1]
; %bb.101:
	v_cmp_ne_u32_e32 vcc, 0, v19
	s_nop 1
	v_cndmask_b32_e32 v19, 7, v19, vcc
; %bb.102:
	s_andn2_saveexec_b64 s[0:1], s[0:1]
	s_cbranch_execz .LBB70_104
; %bb.103:
	v_div_scale_f32 v49, s[2:3], v48, v48, 1.0
	v_rcp_f32_e32 v50, v49
	v_div_scale_f32 v51, vcc, 1.0, v48, 1.0
	v_fma_f32 v52, -v49, v50, 1.0
	v_fmac_f32_e32 v50, v52, v50
	v_mul_f32_e32 v52, v51, v50
	v_fma_f32 v53, -v49, v52, v51
	v_fmac_f32_e32 v52, v53, v50
	v_fma_f32 v49, -v49, v52, v51
	v_div_fmas_f32 v49, v49, v50, v52
	v_div_fixup_f32 v48, v49, v48, 1.0
.LBB70_104:
	s_or_b64 exec, exec, s[0:1]
	v_cmp_ne_u32_e32 vcc, v47, v44
	s_and_saveexec_b64 s[0:1], vcc
	s_xor_b64 s[0:1], exec, s[0:1]
	s_cbranch_execz .LBB70_110
; %bb.105:
	v_cmp_eq_u32_e32 vcc, 6, v47
	s_and_saveexec_b64 s[2:3], vcc
	s_cbranch_execz .LBB70_109
; %bb.106:
	v_cmp_ne_u32_e32 vcc, 6, v44
	s_xor_b64 s[18:19], s[16:17], -1
	s_and_b64 s[20:21], s[18:19], vcc
	s_and_saveexec_b64 s[18:19], s[20:21]
	s_cbranch_execz .LBB70_108
; %bb.107:
	v_ashrrev_i32_e32 v45, 31, v44
	v_lshl_add_u64 v[50:51], v[44:45], 2, v[20:21]
	global_load_dword v45, v[50:51], off
	global_load_dword v47, v[20:21], off offset:24
	s_waitcnt vmcnt(1)
	global_store_dword v[20:21], v45, off offset:24
	s_waitcnt vmcnt(1)
	global_store_dword v[50:51], v47, off
.LBB70_108:
	s_or_b64 exec, exec, s[18:19]
	v_mov_b32_e32 v45, v44
	v_mov_b32_e32 v47, v44
.LBB70_109:
	s_or_b64 exec, exec, s[2:3]
.LBB70_110:
	s_andn2_saveexec_b64 s[0:1], s[0:1]
	s_cbranch_execz .LBB70_112
; %bb.111:
	s_waitcnt vmcnt(26)
	v_pk_mov_b32 v[50:51], v[0:1], v[28:29] op_sel:[1,0]
	ds_write2_b32 v17, v50, v51 offset0:7 offset1:8
	s_waitcnt vmcnt(24)
	v_pk_mov_b32 v[50:51], v[28:29], v[22:23] op_sel:[1,0]
	ds_write2_b32 v17, v50, v51 offset0:9 offset1:10
	;; [unrolled: 3-line block ×13, first 2 shown]
	s_waitcnt vmcnt(0)
	v_pk_mov_b32 v[50:51], v[40:41], v[36:37] op_sel:[1,0]
	v_mov_b32_e32 v47, 6
	ds_write2_b32 v17, v50, v51 offset0:33 offset1:34
	ds_write_b32 v17, v37 offset:140
.LBB70_112:
	s_or_b64 exec, exec, s[0:1]
	v_cmp_lt_i32_e32 vcc, 6, v47
	s_waitcnt lgkmcnt(0)
	s_barrier
	s_and_saveexec_b64 s[0:1], vcc
	s_cbranch_execz .LBB70_114
; %bb.113:
	ds_read_b32 v44, v17 offset:28
	ds_read2_b32 v[50:51], v17 offset0:8 offset1:9
	ds_read2_b32 v[52:53], v17 offset0:10 offset1:11
	v_mul_f32_e32 v0, v48, v0
	ds_read2_b32 v[48:49], v17 offset0:12 offset1:13
	s_waitcnt vmcnt(28) lgkmcnt(3)
	v_fma_f32 v1, -v0, v44, v1
	s_waitcnt vmcnt(26) lgkmcnt(2)
	v_pk_fma_f32 v[28:29], v[0:1], v[50:51], v[28:29] op_sel_hi:[0,1,1] neg_lo:[1,0,0] neg_hi:[1,0,0]
	s_waitcnt vmcnt(24) lgkmcnt(1)
	v_pk_fma_f32 v[22:23], v[0:1], v[52:53], v[22:23] op_sel_hi:[0,1,1] neg_lo:[1,0,0] neg_hi:[1,0,0]
	ds_read2_b32 v[50:51], v17 offset0:14 offset1:15
	ds_read2_b32 v[52:53], v17 offset0:16 offset1:17
	;; [unrolled: 1-line block ×3, first 2 shown]
	s_waitcnt vmcnt(22) lgkmcnt(3)
	v_pk_fma_f32 v[12:13], v[0:1], v[48:49], v[12:13] op_sel_hi:[0,1,1] neg_lo:[1,0,0] neg_hi:[1,0,0]
	ds_read2_b32 v[48:49], v17 offset0:20 offset1:21
	s_waitcnt vmcnt(20) lgkmcnt(3)
	v_pk_fma_f32 v[8:9], v[0:1], v[50:51], v[8:9] op_sel_hi:[0,1,1] neg_lo:[1,0,0] neg_hi:[1,0,0]
	s_waitcnt vmcnt(18) lgkmcnt(2)
	v_pk_fma_f32 v[34:35], v[0:1], v[52:53], v[34:35] op_sel_hi:[0,1,1] neg_lo:[1,0,0] neg_hi:[1,0,0]
	ds_read2_b32 v[50:51], v17 offset0:22 offset1:23
	ds_read2_b32 v[52:53], v17 offset0:24 offset1:25
	s_waitcnt vmcnt(16) lgkmcnt(3)
	v_pk_fma_f32 v[30:31], v[0:1], v[54:55], v[30:31] op_sel_hi:[0,1,1] neg_lo:[1,0,0] neg_hi:[1,0,0]
	s_waitcnt vmcnt(14) lgkmcnt(2)
	v_pk_fma_f32 v[24:25], v[0:1], v[48:49], v[24:25] op_sel_hi:[0,1,1] neg_lo:[1,0,0] neg_hi:[1,0,0]
	ds_read2_b32 v[48:49], v17 offset0:26 offset1:27
	;; [unrolled: 6-line block ×3, first 2 shown]
	ds_read2_b32 v[52:53], v17 offset0:32 offset1:33
	ds_read2_b32 v[56:57], v17 offset0:34 offset1:35
	s_waitcnt vmcnt(8) lgkmcnt(4)
	v_pk_fma_f32 v[38:39], v[0:1], v[48:49], v[38:39] op_sel_hi:[0,1,1] neg_lo:[1,0,0] neg_hi:[1,0,0]
	s_waitcnt vmcnt(6) lgkmcnt(3)
	v_pk_fma_f32 v[32:33], v[0:1], v[54:55], v[32:33] op_sel_hi:[0,1,1] neg_lo:[1,0,0] neg_hi:[1,0,0]
	;; [unrolled: 2-line block ×5, first 2 shown]
.LBB70_114:
	s_or_b64 exec, exec, s[0:1]
	v_lshl_add_u32 v44, v47, 2, v17
	s_barrier
	s_waitcnt vmcnt(28)
	ds_write_b32 v44, v1
	s_waitcnt lgkmcnt(0)
	s_barrier
	ds_read_b32 v48, v17 offset:28
	s_cmp_lt_i32 s22, 9
	v_mov_b32_e32 v44, 7
	s_cbranch_scc1 .LBB70_117
; %bb.115:
	v_add3_u32 v49, v46, 0, 32
	v_mov_b32_e32 v44, 7
	s_mov_b32 s0, 8
.LBB70_116:                             ; =>This Inner Loop Header: Depth=1
	ds_read_b32 v50, v49
	v_mov_b32_e32 v51, s0
	s_add_i32 s0, s0, 1
	v_add_u32_e32 v49, 4, v49
	s_cmp_lg_u32 s22, s0
	s_waitcnt lgkmcnt(0)
	v_cmp_lt_f32_e64 vcc, |v48|, |v50|
	s_nop 1
	v_cndmask_b32_e32 v48, v48, v50, vcc
	v_cndmask_b32_e32 v44, v44, v51, vcc
	s_cbranch_scc1 .LBB70_116
.LBB70_117:
	s_waitcnt lgkmcnt(0)
	v_cmp_eq_f32_e32 vcc, 0, v48
	s_and_saveexec_b64 s[0:1], vcc
	s_xor_b64 s[0:1], exec, s[0:1]
; %bb.118:
	v_cmp_ne_u32_e32 vcc, 0, v19
	s_nop 1
	v_cndmask_b32_e32 v19, 8, v19, vcc
; %bb.119:
	s_andn2_saveexec_b64 s[0:1], s[0:1]
	s_cbranch_execz .LBB70_121
; %bb.120:
	v_div_scale_f32 v49, s[2:3], v48, v48, 1.0
	v_rcp_f32_e32 v50, v49
	v_div_scale_f32 v51, vcc, 1.0, v48, 1.0
	v_fma_f32 v52, -v49, v50, 1.0
	v_fmac_f32_e32 v50, v52, v50
	v_mul_f32_e32 v52, v51, v50
	v_fma_f32 v53, -v49, v52, v51
	v_fmac_f32_e32 v52, v53, v50
	v_fma_f32 v49, -v49, v52, v51
	v_div_fmas_f32 v49, v49, v50, v52
	v_div_fixup_f32 v48, v49, v48, 1.0
.LBB70_121:
	s_or_b64 exec, exec, s[0:1]
	v_cmp_ne_u32_e32 vcc, v47, v44
	s_and_saveexec_b64 s[0:1], vcc
	s_xor_b64 s[0:1], exec, s[0:1]
	s_cbranch_execz .LBB70_127
; %bb.122:
	v_cmp_eq_u32_e32 vcc, 7, v47
	s_and_saveexec_b64 s[2:3], vcc
	s_cbranch_execz .LBB70_126
; %bb.123:
	v_cmp_ne_u32_e32 vcc, 7, v44
	s_xor_b64 s[18:19], s[16:17], -1
	s_and_b64 s[20:21], s[18:19], vcc
	s_and_saveexec_b64 s[18:19], s[20:21]
	s_cbranch_execz .LBB70_125
; %bb.124:
	v_ashrrev_i32_e32 v45, 31, v44
	v_lshl_add_u64 v[50:51], v[44:45], 2, v[20:21]
	global_load_dword v45, v[50:51], off
	global_load_dword v47, v[20:21], off offset:28
	s_waitcnt vmcnt(1)
	global_store_dword v[20:21], v45, off offset:28
	s_waitcnt vmcnt(1)
	global_store_dword v[50:51], v47, off
.LBB70_125:
	s_or_b64 exec, exec, s[18:19]
	v_mov_b32_e32 v45, v44
	v_mov_b32_e32 v47, v44
.LBB70_126:
	s_or_b64 exec, exec, s[2:3]
.LBB70_127:
	s_andn2_saveexec_b64 s[0:1], s[0:1]
	s_cbranch_execz .LBB70_129
; %bb.128:
	v_mov_b32_e32 v47, 7
	s_waitcnt vmcnt(26)
	ds_write2_b32 v17, v28, v29 offset0:8 offset1:9
	s_waitcnt vmcnt(24)
	ds_write2_b32 v17, v22, v23 offset0:10 offset1:11
	s_waitcnt vmcnt(22)
	ds_write2_b32 v17, v12, v13 offset0:12 offset1:13
	s_waitcnt vmcnt(20)
	ds_write2_b32 v17, v8, v9 offset0:14 offset1:15
	s_waitcnt vmcnt(18)
	ds_write2_b32 v17, v34, v35 offset0:16 offset1:17
	s_waitcnt vmcnt(16)
	ds_write2_b32 v17, v30, v31 offset0:18 offset1:19
	s_waitcnt vmcnt(14)
	ds_write2_b32 v17, v24, v25 offset0:20 offset1:21
	s_waitcnt vmcnt(12)
	ds_write2_b32 v17, v14, v15 offset0:22 offset1:23
	s_waitcnt vmcnt(10)
	ds_write2_b32 v17, v42, v43 offset0:24 offset1:25
	s_waitcnt vmcnt(8)
	ds_write2_b32 v17, v38, v39 offset0:26 offset1:27
	s_waitcnt vmcnt(6)
	ds_write2_b32 v17, v32, v33 offset0:28 offset1:29
	s_waitcnt vmcnt(4)
	ds_write2_b32 v17, v26, v27 offset0:30 offset1:31
	s_waitcnt vmcnt(2)
	ds_write2_b32 v17, v40, v41 offset0:32 offset1:33
	s_waitcnt vmcnt(0)
	ds_write2_b32 v17, v36, v37 offset0:34 offset1:35
.LBB70_129:
	s_or_b64 exec, exec, s[0:1]
	v_cmp_lt_i32_e32 vcc, 7, v47
	s_waitcnt lgkmcnt(0)
	s_barrier
	s_and_saveexec_b64 s[0:1], vcc
	s_cbranch_execz .LBB70_131
; %bb.130:
	ds_read2_b32 v[50:51], v17 offset0:8 offset1:9
	ds_read2_b32 v[52:53], v17 offset0:10 offset1:11
	;; [unrolled: 1-line block ×3, first 2 shown]
	v_mul_f32_e32 v44, v48, v1
	ds_read2_b32 v[48:49], v17 offset0:14 offset1:15
	s_waitcnt vmcnt(26) lgkmcnt(3)
	v_pk_fma_f32 v[28:29], v[44:45], v[50:51], v[28:29] op_sel_hi:[0,1,1] neg_lo:[1,0,0] neg_hi:[1,0,0]
	s_waitcnt vmcnt(24) lgkmcnt(2)
	v_pk_fma_f32 v[22:23], v[44:45], v[52:53], v[22:23] op_sel_hi:[0,1,1] neg_lo:[1,0,0] neg_hi:[1,0,0]
	;; [unrolled: 2-line block ×3, first 2 shown]
	ds_read2_b32 v[50:51], v17 offset0:16 offset1:17
	ds_read2_b32 v[52:53], v17 offset0:18 offset1:19
	;; [unrolled: 1-line block ×3, first 2 shown]
	s_waitcnt vmcnt(20) lgkmcnt(3)
	v_pk_fma_f32 v[8:9], v[44:45], v[48:49], v[8:9] op_sel_hi:[0,1,1] neg_lo:[1,0,0] neg_hi:[1,0,0]
	ds_read2_b32 v[48:49], v17 offset0:22 offset1:23
	s_waitcnt vmcnt(18) lgkmcnt(3)
	v_pk_fma_f32 v[34:35], v[44:45], v[50:51], v[34:35] op_sel_hi:[0,1,1] neg_lo:[1,0,0] neg_hi:[1,0,0]
	ds_read2_b32 v[50:51], v17 offset0:24 offset1:25
	s_waitcnt vmcnt(16) lgkmcnt(3)
	v_pk_fma_f32 v[30:31], v[44:45], v[52:53], v[30:31] op_sel_hi:[0,1,1] neg_lo:[1,0,0] neg_hi:[1,0,0]
	s_waitcnt vmcnt(14) lgkmcnt(2)
	v_pk_fma_f32 v[24:25], v[44:45], v[54:55], v[24:25] op_sel_hi:[0,1,1] neg_lo:[1,0,0] neg_hi:[1,0,0]
	;; [unrolled: 2-line block ×3, first 2 shown]
	ds_read2_b32 v[48:49], v17 offset0:26 offset1:27
	ds_read2_b32 v[52:53], v17 offset0:28 offset1:29
	;; [unrolled: 1-line block ×3, first 2 shown]
	s_waitcnt vmcnt(10) lgkmcnt(3)
	v_pk_fma_f32 v[42:43], v[44:45], v[50:51], v[42:43] op_sel_hi:[0,1,1] neg_lo:[1,0,0] neg_hi:[1,0,0]
	ds_read2_b32 v[50:51], v17 offset0:32 offset1:33
	ds_read2_b32 v[56:57], v17 offset0:34 offset1:35
	s_waitcnt vmcnt(8) lgkmcnt(4)
	v_pk_fma_f32 v[38:39], v[44:45], v[48:49], v[38:39] op_sel_hi:[0,1,1] neg_lo:[1,0,0] neg_hi:[1,0,0]
	s_waitcnt vmcnt(6) lgkmcnt(3)
	v_pk_fma_f32 v[32:33], v[44:45], v[52:53], v[32:33] op_sel_hi:[0,1,1] neg_lo:[1,0,0] neg_hi:[1,0,0]
	;; [unrolled: 2-line block ×5, first 2 shown]
	v_mov_b32_e32 v1, v44
.LBB70_131:
	s_or_b64 exec, exec, s[0:1]
	v_lshl_add_u32 v44, v47, 2, v17
	s_barrier
	s_waitcnt vmcnt(27)
	ds_write_b32 v44, v28
	s_waitcnt lgkmcnt(0)
	s_barrier
	ds_read_b32 v48, v17 offset:32
	s_cmp_lt_i32 s22, 10
	v_mov_b32_e32 v44, 8
	s_cbranch_scc1 .LBB70_134
; %bb.132:
	v_add3_u32 v49, v46, 0, 36
	v_mov_b32_e32 v44, 8
	s_mov_b32 s0, 9
.LBB70_133:                             ; =>This Inner Loop Header: Depth=1
	ds_read_b32 v50, v49
	v_mov_b32_e32 v51, s0
	s_add_i32 s0, s0, 1
	v_add_u32_e32 v49, 4, v49
	s_cmp_lg_u32 s22, s0
	s_waitcnt lgkmcnt(0)
	v_cmp_lt_f32_e64 vcc, |v48|, |v50|
	s_nop 1
	v_cndmask_b32_e32 v48, v48, v50, vcc
	v_cndmask_b32_e32 v44, v44, v51, vcc
	s_cbranch_scc1 .LBB70_133
.LBB70_134:
	s_waitcnt lgkmcnt(0)
	v_cmp_eq_f32_e32 vcc, 0, v48
	s_and_saveexec_b64 s[0:1], vcc
	s_xor_b64 s[0:1], exec, s[0:1]
; %bb.135:
	v_cmp_ne_u32_e32 vcc, 0, v19
	s_nop 1
	v_cndmask_b32_e32 v19, 9, v19, vcc
; %bb.136:
	s_andn2_saveexec_b64 s[0:1], s[0:1]
	s_cbranch_execz .LBB70_138
; %bb.137:
	v_div_scale_f32 v49, s[2:3], v48, v48, 1.0
	v_rcp_f32_e32 v50, v49
	v_div_scale_f32 v51, vcc, 1.0, v48, 1.0
	v_fma_f32 v52, -v49, v50, 1.0
	v_fmac_f32_e32 v50, v52, v50
	v_mul_f32_e32 v52, v51, v50
	v_fma_f32 v53, -v49, v52, v51
	v_fmac_f32_e32 v52, v53, v50
	v_fma_f32 v49, -v49, v52, v51
	v_div_fmas_f32 v49, v49, v50, v52
	v_div_fixup_f32 v48, v49, v48, 1.0
.LBB70_138:
	s_or_b64 exec, exec, s[0:1]
	v_cmp_ne_u32_e32 vcc, v47, v44
	s_and_saveexec_b64 s[0:1], vcc
	s_xor_b64 s[0:1], exec, s[0:1]
	s_cbranch_execz .LBB70_144
; %bb.139:
	v_cmp_eq_u32_e32 vcc, 8, v47
	s_and_saveexec_b64 s[2:3], vcc
	s_cbranch_execz .LBB70_143
; %bb.140:
	v_cmp_ne_u32_e32 vcc, 8, v44
	s_xor_b64 s[18:19], s[16:17], -1
	s_and_b64 s[20:21], s[18:19], vcc
	s_and_saveexec_b64 s[18:19], s[20:21]
	s_cbranch_execz .LBB70_142
; %bb.141:
	v_ashrrev_i32_e32 v45, 31, v44
	v_lshl_add_u64 v[50:51], v[44:45], 2, v[20:21]
	global_load_dword v45, v[50:51], off
	global_load_dword v47, v[20:21], off offset:32
	s_waitcnt vmcnt(1)
	global_store_dword v[20:21], v45, off offset:32
	s_waitcnt vmcnt(1)
	global_store_dword v[50:51], v47, off
.LBB70_142:
	s_or_b64 exec, exec, s[18:19]
	v_mov_b32_e32 v45, v44
	v_mov_b32_e32 v47, v44
.LBB70_143:
	s_or_b64 exec, exec, s[2:3]
.LBB70_144:
	s_andn2_saveexec_b64 s[0:1], s[0:1]
	s_cbranch_execz .LBB70_146
; %bb.145:
	s_waitcnt vmcnt(24)
	v_pk_mov_b32 v[50:51], v[28:29], v[22:23] op_sel:[1,0]
	ds_write2_b32 v17, v50, v51 offset0:9 offset1:10
	s_waitcnt vmcnt(22)
	v_pk_mov_b32 v[50:51], v[22:23], v[12:13] op_sel:[1,0]
	ds_write2_b32 v17, v50, v51 offset0:11 offset1:12
	;; [unrolled: 3-line block ×12, first 2 shown]
	s_waitcnt vmcnt(0)
	v_pk_mov_b32 v[50:51], v[40:41], v[36:37] op_sel:[1,0]
	v_mov_b32_e32 v47, 8
	ds_write2_b32 v17, v50, v51 offset0:33 offset1:34
	ds_write_b32 v17, v37 offset:140
.LBB70_146:
	s_or_b64 exec, exec, s[0:1]
	v_cmp_lt_i32_e32 vcc, 8, v47
	s_waitcnt lgkmcnt(0)
	s_barrier
	s_and_saveexec_b64 s[0:1], vcc
	s_cbranch_execz .LBB70_148
; %bb.147:
	ds_read_b32 v44, v17 offset:36
	ds_read2_b32 v[50:51], v17 offset0:10 offset1:11
	ds_read2_b32 v[52:53], v17 offset0:12 offset1:13
	v_mul_f32_e32 v28, v48, v28
	ds_read2_b32 v[48:49], v17 offset0:14 offset1:15
	s_waitcnt vmcnt(26) lgkmcnt(3)
	v_fma_f32 v29, -v28, v44, v29
	s_waitcnt vmcnt(24) lgkmcnt(2)
	v_pk_fma_f32 v[22:23], v[28:29], v[50:51], v[22:23] op_sel_hi:[0,1,1] neg_lo:[1,0,0] neg_hi:[1,0,0]
	s_waitcnt vmcnt(22) lgkmcnt(1)
	v_pk_fma_f32 v[12:13], v[28:29], v[52:53], v[12:13] op_sel_hi:[0,1,1] neg_lo:[1,0,0] neg_hi:[1,0,0]
	ds_read2_b32 v[50:51], v17 offset0:16 offset1:17
	ds_read2_b32 v[52:53], v17 offset0:18 offset1:19
	;; [unrolled: 1-line block ×3, first 2 shown]
	s_waitcnt vmcnt(20) lgkmcnt(3)
	v_pk_fma_f32 v[8:9], v[28:29], v[48:49], v[8:9] op_sel_hi:[0,1,1] neg_lo:[1,0,0] neg_hi:[1,0,0]
	ds_read2_b32 v[48:49], v17 offset0:22 offset1:23
	s_waitcnt vmcnt(18) lgkmcnt(3)
	v_pk_fma_f32 v[34:35], v[28:29], v[50:51], v[34:35] op_sel_hi:[0,1,1] neg_lo:[1,0,0] neg_hi:[1,0,0]
	ds_read2_b32 v[50:51], v17 offset0:24 offset1:25
	s_waitcnt vmcnt(16) lgkmcnt(3)
	v_pk_fma_f32 v[30:31], v[28:29], v[52:53], v[30:31] op_sel_hi:[0,1,1] neg_lo:[1,0,0] neg_hi:[1,0,0]
	s_waitcnt vmcnt(14) lgkmcnt(2)
	v_pk_fma_f32 v[24:25], v[28:29], v[54:55], v[24:25] op_sel_hi:[0,1,1] neg_lo:[1,0,0] neg_hi:[1,0,0]
	;; [unrolled: 2-line block ×3, first 2 shown]
	ds_read2_b32 v[48:49], v17 offset0:26 offset1:27
	ds_read2_b32 v[52:53], v17 offset0:28 offset1:29
	;; [unrolled: 1-line block ×3, first 2 shown]
	s_waitcnt vmcnt(10) lgkmcnt(3)
	v_pk_fma_f32 v[42:43], v[28:29], v[50:51], v[42:43] op_sel_hi:[0,1,1] neg_lo:[1,0,0] neg_hi:[1,0,0]
	ds_read2_b32 v[50:51], v17 offset0:32 offset1:33
	ds_read2_b32 v[56:57], v17 offset0:34 offset1:35
	s_waitcnt vmcnt(8) lgkmcnt(4)
	v_pk_fma_f32 v[38:39], v[28:29], v[48:49], v[38:39] op_sel_hi:[0,1,1] neg_lo:[1,0,0] neg_hi:[1,0,0]
	s_waitcnt vmcnt(6) lgkmcnt(3)
	v_pk_fma_f32 v[32:33], v[28:29], v[52:53], v[32:33] op_sel_hi:[0,1,1] neg_lo:[1,0,0] neg_hi:[1,0,0]
	s_waitcnt vmcnt(4) lgkmcnt(2)
	v_pk_fma_f32 v[26:27], v[28:29], v[54:55], v[26:27] op_sel_hi:[0,1,1] neg_lo:[1,0,0] neg_hi:[1,0,0]
	s_waitcnt vmcnt(2) lgkmcnt(1)
	v_pk_fma_f32 v[40:41], v[28:29], v[50:51], v[40:41] op_sel_hi:[0,1,1] neg_lo:[1,0,0] neg_hi:[1,0,0]
	s_waitcnt vmcnt(0) lgkmcnt(0)
	v_pk_fma_f32 v[36:37], v[28:29], v[56:57], v[36:37] op_sel_hi:[0,1,1] neg_lo:[1,0,0] neg_hi:[1,0,0]
.LBB70_148:
	s_or_b64 exec, exec, s[0:1]
	v_lshl_add_u32 v44, v47, 2, v17
	s_barrier
	s_waitcnt vmcnt(26)
	ds_write_b32 v44, v29
	s_waitcnt lgkmcnt(0)
	s_barrier
	ds_read_b32 v48, v17 offset:36
	s_cmp_lt_i32 s22, 11
	v_mov_b32_e32 v44, 9
	s_cbranch_scc1 .LBB70_151
; %bb.149:
	v_add3_u32 v49, v46, 0, 40
	v_mov_b32_e32 v44, 9
	s_mov_b32 s0, 10
.LBB70_150:                             ; =>This Inner Loop Header: Depth=1
	ds_read_b32 v50, v49
	v_mov_b32_e32 v51, s0
	s_add_i32 s0, s0, 1
	v_add_u32_e32 v49, 4, v49
	s_cmp_lg_u32 s22, s0
	s_waitcnt lgkmcnt(0)
	v_cmp_lt_f32_e64 vcc, |v48|, |v50|
	s_nop 1
	v_cndmask_b32_e32 v48, v48, v50, vcc
	v_cndmask_b32_e32 v44, v44, v51, vcc
	s_cbranch_scc1 .LBB70_150
.LBB70_151:
	s_waitcnt lgkmcnt(0)
	v_cmp_eq_f32_e32 vcc, 0, v48
	s_and_saveexec_b64 s[0:1], vcc
	s_xor_b64 s[0:1], exec, s[0:1]
; %bb.152:
	v_cmp_ne_u32_e32 vcc, 0, v19
	s_nop 1
	v_cndmask_b32_e32 v19, 10, v19, vcc
; %bb.153:
	s_andn2_saveexec_b64 s[0:1], s[0:1]
	s_cbranch_execz .LBB70_155
; %bb.154:
	v_div_scale_f32 v49, s[2:3], v48, v48, 1.0
	v_rcp_f32_e32 v50, v49
	v_div_scale_f32 v51, vcc, 1.0, v48, 1.0
	v_fma_f32 v52, -v49, v50, 1.0
	v_fmac_f32_e32 v50, v52, v50
	v_mul_f32_e32 v52, v51, v50
	v_fma_f32 v53, -v49, v52, v51
	v_fmac_f32_e32 v52, v53, v50
	v_fma_f32 v49, -v49, v52, v51
	v_div_fmas_f32 v49, v49, v50, v52
	v_div_fixup_f32 v48, v49, v48, 1.0
.LBB70_155:
	s_or_b64 exec, exec, s[0:1]
	v_cmp_ne_u32_e32 vcc, v47, v44
	s_and_saveexec_b64 s[0:1], vcc
	s_xor_b64 s[0:1], exec, s[0:1]
	s_cbranch_execz .LBB70_161
; %bb.156:
	v_cmp_eq_u32_e32 vcc, 9, v47
	s_and_saveexec_b64 s[2:3], vcc
	s_cbranch_execz .LBB70_160
; %bb.157:
	v_cmp_ne_u32_e32 vcc, 9, v44
	s_xor_b64 s[18:19], s[16:17], -1
	s_and_b64 s[20:21], s[18:19], vcc
	s_and_saveexec_b64 s[18:19], s[20:21]
	s_cbranch_execz .LBB70_159
; %bb.158:
	v_ashrrev_i32_e32 v45, 31, v44
	v_lshl_add_u64 v[50:51], v[44:45], 2, v[20:21]
	global_load_dword v45, v[50:51], off
	global_load_dword v47, v[20:21], off offset:36
	s_waitcnt vmcnt(1)
	global_store_dword v[20:21], v45, off offset:36
	s_waitcnt vmcnt(1)
	global_store_dword v[50:51], v47, off
.LBB70_159:
	s_or_b64 exec, exec, s[18:19]
	v_mov_b32_e32 v45, v44
	v_mov_b32_e32 v47, v44
.LBB70_160:
	s_or_b64 exec, exec, s[2:3]
.LBB70_161:
	s_andn2_saveexec_b64 s[0:1], s[0:1]
	s_cbranch_execz .LBB70_163
; %bb.162:
	v_mov_b32_e32 v47, 9
	s_waitcnt vmcnt(24)
	ds_write2_b32 v17, v22, v23 offset0:10 offset1:11
	s_waitcnt vmcnt(22)
	ds_write2_b32 v17, v12, v13 offset0:12 offset1:13
	;; [unrolled: 2-line block ×13, first 2 shown]
.LBB70_163:
	s_or_b64 exec, exec, s[0:1]
	v_cmp_lt_i32_e32 vcc, 9, v47
	s_waitcnt lgkmcnt(0)
	s_barrier
	s_and_saveexec_b64 s[0:1], vcc
	s_cbranch_execz .LBB70_165
; %bb.164:
	ds_read2_b32 v[50:51], v17 offset0:10 offset1:11
	ds_read2_b32 v[52:53], v17 offset0:12 offset1:13
	;; [unrolled: 1-line block ×3, first 2 shown]
	v_mul_f32_e32 v44, v48, v29
	ds_read2_b32 v[48:49], v17 offset0:16 offset1:17
	s_waitcnt vmcnt(24) lgkmcnt(3)
	v_pk_fma_f32 v[22:23], v[44:45], v[50:51], v[22:23] op_sel_hi:[0,1,1] neg_lo:[1,0,0] neg_hi:[1,0,0]
	s_waitcnt vmcnt(22) lgkmcnt(2)
	v_pk_fma_f32 v[12:13], v[44:45], v[52:53], v[12:13] op_sel_hi:[0,1,1] neg_lo:[1,0,0] neg_hi:[1,0,0]
	;; [unrolled: 2-line block ×3, first 2 shown]
	ds_read2_b32 v[50:51], v17 offset0:18 offset1:19
	ds_read2_b32 v[52:53], v17 offset0:20 offset1:21
	ds_read2_b32 v[54:55], v17 offset0:22 offset1:23
	ds_read2_b32 v[56:57], v17 offset0:24 offset1:25
	s_waitcnt vmcnt(18) lgkmcnt(4)
	v_pk_fma_f32 v[34:35], v[44:45], v[48:49], v[34:35] op_sel_hi:[0,1,1] neg_lo:[1,0,0] neg_hi:[1,0,0]
	s_waitcnt vmcnt(16) lgkmcnt(3)
	v_pk_fma_f32 v[30:31], v[44:45], v[50:51], v[30:31] op_sel_hi:[0,1,1] neg_lo:[1,0,0] neg_hi:[1,0,0]
	;; [unrolled: 2-line block ×5, first 2 shown]
	ds_read2_b32 v[48:49], v17 offset0:26 offset1:27
	ds_read2_b32 v[50:51], v17 offset0:28 offset1:29
	;; [unrolled: 1-line block ×5, first 2 shown]
	s_waitcnt vmcnt(8) lgkmcnt(4)
	v_pk_fma_f32 v[38:39], v[44:45], v[48:49], v[38:39] op_sel_hi:[0,1,1] neg_lo:[1,0,0] neg_hi:[1,0,0]
	s_waitcnt vmcnt(6) lgkmcnt(3)
	v_pk_fma_f32 v[32:33], v[44:45], v[50:51], v[32:33] op_sel_hi:[0,1,1] neg_lo:[1,0,0] neg_hi:[1,0,0]
	;; [unrolled: 2-line block ×5, first 2 shown]
	v_mov_b32_e32 v29, v44
.LBB70_165:
	s_or_b64 exec, exec, s[0:1]
	v_lshl_add_u32 v44, v47, 2, v17
	s_barrier
	s_waitcnt vmcnt(25)
	ds_write_b32 v44, v22
	s_waitcnt lgkmcnt(0)
	s_barrier
	ds_read_b32 v48, v17 offset:40
	s_cmp_lt_i32 s22, 12
	v_mov_b32_e32 v44, 10
	s_cbranch_scc1 .LBB70_168
; %bb.166:
	v_add3_u32 v49, v46, 0, 44
	v_mov_b32_e32 v44, 10
	s_mov_b32 s0, 11
.LBB70_167:                             ; =>This Inner Loop Header: Depth=1
	ds_read_b32 v50, v49
	v_mov_b32_e32 v51, s0
	s_add_i32 s0, s0, 1
	v_add_u32_e32 v49, 4, v49
	s_cmp_lg_u32 s22, s0
	s_waitcnt lgkmcnt(0)
	v_cmp_lt_f32_e64 vcc, |v48|, |v50|
	s_nop 1
	v_cndmask_b32_e32 v48, v48, v50, vcc
	v_cndmask_b32_e32 v44, v44, v51, vcc
	s_cbranch_scc1 .LBB70_167
.LBB70_168:
	s_waitcnt lgkmcnt(0)
	v_cmp_eq_f32_e32 vcc, 0, v48
	s_and_saveexec_b64 s[0:1], vcc
	s_xor_b64 s[0:1], exec, s[0:1]
; %bb.169:
	v_cmp_ne_u32_e32 vcc, 0, v19
	s_nop 1
	v_cndmask_b32_e32 v19, 11, v19, vcc
; %bb.170:
	s_andn2_saveexec_b64 s[0:1], s[0:1]
	s_cbranch_execz .LBB70_172
; %bb.171:
	v_div_scale_f32 v49, s[2:3], v48, v48, 1.0
	v_rcp_f32_e32 v50, v49
	v_div_scale_f32 v51, vcc, 1.0, v48, 1.0
	v_fma_f32 v52, -v49, v50, 1.0
	v_fmac_f32_e32 v50, v52, v50
	v_mul_f32_e32 v52, v51, v50
	v_fma_f32 v53, -v49, v52, v51
	v_fmac_f32_e32 v52, v53, v50
	v_fma_f32 v49, -v49, v52, v51
	v_div_fmas_f32 v49, v49, v50, v52
	v_div_fixup_f32 v48, v49, v48, 1.0
.LBB70_172:
	s_or_b64 exec, exec, s[0:1]
	v_cmp_ne_u32_e32 vcc, v47, v44
	s_and_saveexec_b64 s[0:1], vcc
	s_xor_b64 s[0:1], exec, s[0:1]
	s_cbranch_execz .LBB70_178
; %bb.173:
	v_cmp_eq_u32_e32 vcc, 10, v47
	s_and_saveexec_b64 s[2:3], vcc
	s_cbranch_execz .LBB70_177
; %bb.174:
	v_cmp_ne_u32_e32 vcc, 10, v44
	s_xor_b64 s[18:19], s[16:17], -1
	s_and_b64 s[20:21], s[18:19], vcc
	s_and_saveexec_b64 s[18:19], s[20:21]
	s_cbranch_execz .LBB70_176
; %bb.175:
	v_ashrrev_i32_e32 v45, 31, v44
	v_lshl_add_u64 v[50:51], v[44:45], 2, v[20:21]
	global_load_dword v45, v[50:51], off
	global_load_dword v47, v[20:21], off offset:40
	s_waitcnt vmcnt(1)
	global_store_dword v[20:21], v45, off offset:40
	s_waitcnt vmcnt(1)
	global_store_dword v[50:51], v47, off
.LBB70_176:
	s_or_b64 exec, exec, s[18:19]
	v_mov_b32_e32 v45, v44
	v_mov_b32_e32 v47, v44
.LBB70_177:
	s_or_b64 exec, exec, s[2:3]
.LBB70_178:
	s_andn2_saveexec_b64 s[0:1], s[0:1]
	s_cbranch_execz .LBB70_180
; %bb.179:
	s_waitcnt vmcnt(22)
	v_pk_mov_b32 v[50:51], v[22:23], v[12:13] op_sel:[1,0]
	ds_write2_b32 v17, v50, v51 offset0:11 offset1:12
	s_waitcnt vmcnt(20)
	v_pk_mov_b32 v[50:51], v[12:13], v[8:9] op_sel:[1,0]
	ds_write2_b32 v17, v50, v51 offset0:13 offset1:14
	;; [unrolled: 3-line block ×11, first 2 shown]
	s_waitcnt vmcnt(0)
	v_pk_mov_b32 v[50:51], v[40:41], v[36:37] op_sel:[1,0]
	v_mov_b32_e32 v47, 10
	ds_write2_b32 v17, v50, v51 offset0:33 offset1:34
	ds_write_b32 v17, v37 offset:140
.LBB70_180:
	s_or_b64 exec, exec, s[0:1]
	v_cmp_lt_i32_e32 vcc, 10, v47
	s_waitcnt lgkmcnt(0)
	s_barrier
	s_and_saveexec_b64 s[0:1], vcc
	s_cbranch_execz .LBB70_182
; %bb.181:
	ds_read_b32 v44, v17 offset:44
	ds_read2_b32 v[50:51], v17 offset0:12 offset1:13
	ds_read2_b32 v[52:53], v17 offset0:14 offset1:15
	v_mul_f32_e32 v22, v48, v22
	ds_read2_b32 v[48:49], v17 offset0:16 offset1:17
	s_waitcnt vmcnt(24) lgkmcnt(3)
	v_fma_f32 v23, -v22, v44, v23
	s_waitcnt vmcnt(22) lgkmcnt(2)
	v_pk_fma_f32 v[12:13], v[22:23], v[50:51], v[12:13] op_sel_hi:[0,1,1] neg_lo:[1,0,0] neg_hi:[1,0,0]
	s_waitcnt vmcnt(20) lgkmcnt(1)
	v_pk_fma_f32 v[8:9], v[22:23], v[52:53], v[8:9] op_sel_hi:[0,1,1] neg_lo:[1,0,0] neg_hi:[1,0,0]
	ds_read2_b32 v[50:51], v17 offset0:18 offset1:19
	ds_read2_b32 v[52:53], v17 offset0:20 offset1:21
	;; [unrolled: 1-line block ×4, first 2 shown]
	s_waitcnt vmcnt(18) lgkmcnt(4)
	v_pk_fma_f32 v[34:35], v[22:23], v[48:49], v[34:35] op_sel_hi:[0,1,1] neg_lo:[1,0,0] neg_hi:[1,0,0]
	s_waitcnt vmcnt(16) lgkmcnt(3)
	v_pk_fma_f32 v[30:31], v[22:23], v[50:51], v[30:31] op_sel_hi:[0,1,1] neg_lo:[1,0,0] neg_hi:[1,0,0]
	;; [unrolled: 2-line block ×5, first 2 shown]
	ds_read2_b32 v[48:49], v17 offset0:26 offset1:27
	ds_read2_b32 v[50:51], v17 offset0:28 offset1:29
	;; [unrolled: 1-line block ×5, first 2 shown]
	s_waitcnt vmcnt(8) lgkmcnt(4)
	v_pk_fma_f32 v[38:39], v[22:23], v[48:49], v[38:39] op_sel_hi:[0,1,1] neg_lo:[1,0,0] neg_hi:[1,0,0]
	s_waitcnt vmcnt(6) lgkmcnt(3)
	v_pk_fma_f32 v[32:33], v[22:23], v[50:51], v[32:33] op_sel_hi:[0,1,1] neg_lo:[1,0,0] neg_hi:[1,0,0]
	;; [unrolled: 2-line block ×5, first 2 shown]
.LBB70_182:
	s_or_b64 exec, exec, s[0:1]
	v_lshl_add_u32 v44, v47, 2, v17
	s_barrier
	s_waitcnt vmcnt(24)
	ds_write_b32 v44, v23
	s_waitcnt lgkmcnt(0)
	s_barrier
	ds_read_b32 v48, v17 offset:44
	s_cmp_lt_i32 s22, 13
	v_mov_b32_e32 v44, 11
	s_cbranch_scc1 .LBB70_185
; %bb.183:
	v_add3_u32 v49, v46, 0, 48
	v_mov_b32_e32 v44, 11
	s_mov_b32 s0, 12
.LBB70_184:                             ; =>This Inner Loop Header: Depth=1
	ds_read_b32 v50, v49
	v_mov_b32_e32 v51, s0
	s_add_i32 s0, s0, 1
	v_add_u32_e32 v49, 4, v49
	s_cmp_lg_u32 s22, s0
	s_waitcnt lgkmcnt(0)
	v_cmp_lt_f32_e64 vcc, |v48|, |v50|
	s_nop 1
	v_cndmask_b32_e32 v48, v48, v50, vcc
	v_cndmask_b32_e32 v44, v44, v51, vcc
	s_cbranch_scc1 .LBB70_184
.LBB70_185:
	s_waitcnt lgkmcnt(0)
	v_cmp_eq_f32_e32 vcc, 0, v48
	s_and_saveexec_b64 s[0:1], vcc
	s_xor_b64 s[0:1], exec, s[0:1]
; %bb.186:
	v_cmp_ne_u32_e32 vcc, 0, v19
	s_nop 1
	v_cndmask_b32_e32 v19, 12, v19, vcc
; %bb.187:
	s_andn2_saveexec_b64 s[0:1], s[0:1]
	s_cbranch_execz .LBB70_189
; %bb.188:
	v_div_scale_f32 v49, s[2:3], v48, v48, 1.0
	v_rcp_f32_e32 v50, v49
	v_div_scale_f32 v51, vcc, 1.0, v48, 1.0
	v_fma_f32 v52, -v49, v50, 1.0
	v_fmac_f32_e32 v50, v52, v50
	v_mul_f32_e32 v52, v51, v50
	v_fma_f32 v53, -v49, v52, v51
	v_fmac_f32_e32 v52, v53, v50
	v_fma_f32 v49, -v49, v52, v51
	v_div_fmas_f32 v49, v49, v50, v52
	v_div_fixup_f32 v48, v49, v48, 1.0
.LBB70_189:
	s_or_b64 exec, exec, s[0:1]
	v_cmp_ne_u32_e32 vcc, v47, v44
	s_and_saveexec_b64 s[0:1], vcc
	s_xor_b64 s[0:1], exec, s[0:1]
	s_cbranch_execz .LBB70_195
; %bb.190:
	v_cmp_eq_u32_e32 vcc, 11, v47
	s_and_saveexec_b64 s[2:3], vcc
	s_cbranch_execz .LBB70_194
; %bb.191:
	v_cmp_ne_u32_e32 vcc, 11, v44
	s_xor_b64 s[18:19], s[16:17], -1
	s_and_b64 s[20:21], s[18:19], vcc
	s_and_saveexec_b64 s[18:19], s[20:21]
	s_cbranch_execz .LBB70_193
; %bb.192:
	v_ashrrev_i32_e32 v45, 31, v44
	v_lshl_add_u64 v[50:51], v[44:45], 2, v[20:21]
	global_load_dword v45, v[50:51], off
	global_load_dword v47, v[20:21], off offset:44
	s_waitcnt vmcnt(1)
	global_store_dword v[20:21], v45, off offset:44
	s_waitcnt vmcnt(1)
	global_store_dword v[50:51], v47, off
.LBB70_193:
	s_or_b64 exec, exec, s[18:19]
	v_mov_b32_e32 v45, v44
	v_mov_b32_e32 v47, v44
.LBB70_194:
	s_or_b64 exec, exec, s[2:3]
.LBB70_195:
	s_andn2_saveexec_b64 s[0:1], s[0:1]
	s_cbranch_execz .LBB70_197
; %bb.196:
	v_mov_b32_e32 v47, 11
	s_waitcnt vmcnt(22)
	ds_write2_b32 v17, v12, v13 offset0:12 offset1:13
	s_waitcnt vmcnt(20)
	ds_write2_b32 v17, v8, v9 offset0:14 offset1:15
	;; [unrolled: 2-line block ×12, first 2 shown]
.LBB70_197:
	s_or_b64 exec, exec, s[0:1]
	v_cmp_lt_i32_e32 vcc, 11, v47
	s_waitcnt lgkmcnt(0)
	s_barrier
	s_and_saveexec_b64 s[0:1], vcc
	s_cbranch_execz .LBB70_199
; %bb.198:
	ds_read2_b32 v[50:51], v17 offset0:12 offset1:13
	ds_read2_b32 v[52:53], v17 offset0:14 offset1:15
	;; [unrolled: 1-line block ×3, first 2 shown]
	v_mul_f32_e32 v44, v48, v23
	ds_read2_b32 v[48:49], v17 offset0:18 offset1:19
	s_waitcnt vmcnt(22) lgkmcnt(3)
	v_pk_fma_f32 v[12:13], v[44:45], v[50:51], v[12:13] op_sel_hi:[0,1,1] neg_lo:[1,0,0] neg_hi:[1,0,0]
	s_waitcnt vmcnt(20) lgkmcnt(2)
	v_pk_fma_f32 v[8:9], v[44:45], v[52:53], v[8:9] op_sel_hi:[0,1,1] neg_lo:[1,0,0] neg_hi:[1,0,0]
	;; [unrolled: 2-line block ×3, first 2 shown]
	ds_read2_b32 v[50:51], v17 offset0:20 offset1:21
	ds_read2_b32 v[52:53], v17 offset0:22 offset1:23
	;; [unrolled: 1-line block ×3, first 2 shown]
	s_waitcnt vmcnt(16) lgkmcnt(3)
	v_pk_fma_f32 v[30:31], v[44:45], v[48:49], v[30:31] op_sel_hi:[0,1,1] neg_lo:[1,0,0] neg_hi:[1,0,0]
	ds_read2_b32 v[48:49], v17 offset0:26 offset1:27
	s_waitcnt vmcnt(14) lgkmcnt(3)
	v_pk_fma_f32 v[24:25], v[44:45], v[50:51], v[24:25] op_sel_hi:[0,1,1] neg_lo:[1,0,0] neg_hi:[1,0,0]
	s_waitcnt vmcnt(12) lgkmcnt(2)
	v_pk_fma_f32 v[14:15], v[44:45], v[52:53], v[14:15] op_sel_hi:[0,1,1] neg_lo:[1,0,0] neg_hi:[1,0,0]
	;; [unrolled: 2-line block ×3, first 2 shown]
	ds_read2_b32 v[50:51], v17 offset0:28 offset1:29
	ds_read2_b32 v[52:53], v17 offset0:30 offset1:31
	;; [unrolled: 1-line block ×4, first 2 shown]
	s_waitcnt vmcnt(8) lgkmcnt(4)
	v_pk_fma_f32 v[38:39], v[44:45], v[48:49], v[38:39] op_sel_hi:[0,1,1] neg_lo:[1,0,0] neg_hi:[1,0,0]
	s_waitcnt vmcnt(6) lgkmcnt(3)
	v_pk_fma_f32 v[32:33], v[44:45], v[50:51], v[32:33] op_sel_hi:[0,1,1] neg_lo:[1,0,0] neg_hi:[1,0,0]
	;; [unrolled: 2-line block ×5, first 2 shown]
	v_mov_b32_e32 v23, v44
.LBB70_199:
	s_or_b64 exec, exec, s[0:1]
	v_lshl_add_u32 v44, v47, 2, v17
	s_barrier
	s_waitcnt vmcnt(23)
	ds_write_b32 v44, v12
	s_waitcnt lgkmcnt(0)
	s_barrier
	ds_read_b32 v48, v17 offset:48
	s_cmp_lt_i32 s22, 14
	v_mov_b32_e32 v44, 12
	s_cbranch_scc1 .LBB70_202
; %bb.200:
	v_add3_u32 v49, v46, 0, 52
	v_mov_b32_e32 v44, 12
	s_mov_b32 s0, 13
.LBB70_201:                             ; =>This Inner Loop Header: Depth=1
	ds_read_b32 v50, v49
	v_mov_b32_e32 v51, s0
	s_add_i32 s0, s0, 1
	v_add_u32_e32 v49, 4, v49
	s_cmp_lg_u32 s22, s0
	s_waitcnt lgkmcnt(0)
	v_cmp_lt_f32_e64 vcc, |v48|, |v50|
	s_nop 1
	v_cndmask_b32_e32 v48, v48, v50, vcc
	v_cndmask_b32_e32 v44, v44, v51, vcc
	s_cbranch_scc1 .LBB70_201
.LBB70_202:
	s_waitcnt lgkmcnt(0)
	v_cmp_eq_f32_e32 vcc, 0, v48
	s_and_saveexec_b64 s[0:1], vcc
	s_xor_b64 s[0:1], exec, s[0:1]
; %bb.203:
	v_cmp_ne_u32_e32 vcc, 0, v19
	s_nop 1
	v_cndmask_b32_e32 v19, 13, v19, vcc
; %bb.204:
	s_andn2_saveexec_b64 s[0:1], s[0:1]
	s_cbranch_execz .LBB70_206
; %bb.205:
	v_div_scale_f32 v49, s[2:3], v48, v48, 1.0
	v_rcp_f32_e32 v50, v49
	v_div_scale_f32 v51, vcc, 1.0, v48, 1.0
	v_fma_f32 v52, -v49, v50, 1.0
	v_fmac_f32_e32 v50, v52, v50
	v_mul_f32_e32 v52, v51, v50
	v_fma_f32 v53, -v49, v52, v51
	v_fmac_f32_e32 v52, v53, v50
	v_fma_f32 v49, -v49, v52, v51
	v_div_fmas_f32 v49, v49, v50, v52
	v_div_fixup_f32 v48, v49, v48, 1.0
.LBB70_206:
	s_or_b64 exec, exec, s[0:1]
	v_cmp_ne_u32_e32 vcc, v47, v44
	s_and_saveexec_b64 s[0:1], vcc
	s_xor_b64 s[0:1], exec, s[0:1]
	s_cbranch_execz .LBB70_212
; %bb.207:
	v_cmp_eq_u32_e32 vcc, 12, v47
	s_and_saveexec_b64 s[2:3], vcc
	s_cbranch_execz .LBB70_211
; %bb.208:
	v_cmp_ne_u32_e32 vcc, 12, v44
	s_xor_b64 s[18:19], s[16:17], -1
	s_and_b64 s[20:21], s[18:19], vcc
	s_and_saveexec_b64 s[18:19], s[20:21]
	s_cbranch_execz .LBB70_210
; %bb.209:
	v_ashrrev_i32_e32 v45, 31, v44
	v_lshl_add_u64 v[50:51], v[44:45], 2, v[20:21]
	global_load_dword v45, v[50:51], off
	global_load_dword v47, v[20:21], off offset:48
	s_waitcnt vmcnt(1)
	global_store_dword v[20:21], v45, off offset:48
	s_waitcnt vmcnt(1)
	global_store_dword v[50:51], v47, off
.LBB70_210:
	s_or_b64 exec, exec, s[18:19]
	v_mov_b32_e32 v45, v44
	v_mov_b32_e32 v47, v44
.LBB70_211:
	s_or_b64 exec, exec, s[2:3]
.LBB70_212:
	s_andn2_saveexec_b64 s[0:1], s[0:1]
	s_cbranch_execz .LBB70_214
; %bb.213:
	s_waitcnt vmcnt(20)
	v_pk_mov_b32 v[50:51], v[12:13], v[8:9] op_sel:[1,0]
	ds_write2_b32 v17, v50, v51 offset0:13 offset1:14
	s_waitcnt vmcnt(18)
	v_pk_mov_b32 v[50:51], v[8:9], v[34:35] op_sel:[1,0]
	ds_write2_b32 v17, v50, v51 offset0:15 offset1:16
	;; [unrolled: 3-line block ×10, first 2 shown]
	s_waitcnt vmcnt(0)
	v_pk_mov_b32 v[50:51], v[40:41], v[36:37] op_sel:[1,0]
	v_mov_b32_e32 v47, 12
	ds_write2_b32 v17, v50, v51 offset0:33 offset1:34
	ds_write_b32 v17, v37 offset:140
.LBB70_214:
	s_or_b64 exec, exec, s[0:1]
	v_cmp_lt_i32_e32 vcc, 12, v47
	s_waitcnt lgkmcnt(0)
	s_barrier
	s_and_saveexec_b64 s[0:1], vcc
	s_cbranch_execz .LBB70_216
; %bb.215:
	ds_read_b32 v44, v17 offset:52
	ds_read2_b32 v[50:51], v17 offset0:14 offset1:15
	ds_read2_b32 v[52:53], v17 offset0:16 offset1:17
	v_mul_f32_e32 v12, v48, v12
	ds_read2_b32 v[48:49], v17 offset0:18 offset1:19
	s_waitcnt vmcnt(22) lgkmcnt(3)
	v_fma_f32 v13, -v12, v44, v13
	s_waitcnt vmcnt(20) lgkmcnt(2)
	v_pk_fma_f32 v[8:9], v[12:13], v[50:51], v[8:9] op_sel_hi:[0,1,1] neg_lo:[1,0,0] neg_hi:[1,0,0]
	s_waitcnt vmcnt(18) lgkmcnt(1)
	v_pk_fma_f32 v[34:35], v[12:13], v[52:53], v[34:35] op_sel_hi:[0,1,1] neg_lo:[1,0,0] neg_hi:[1,0,0]
	ds_read2_b32 v[50:51], v17 offset0:20 offset1:21
	ds_read2_b32 v[52:53], v17 offset0:22 offset1:23
	ds_read2_b32 v[54:55], v17 offset0:24 offset1:25
	s_waitcnt vmcnt(16) lgkmcnt(3)
	v_pk_fma_f32 v[30:31], v[12:13], v[48:49], v[30:31] op_sel_hi:[0,1,1] neg_lo:[1,0,0] neg_hi:[1,0,0]
	ds_read2_b32 v[48:49], v17 offset0:26 offset1:27
	s_waitcnt vmcnt(14) lgkmcnt(3)
	v_pk_fma_f32 v[24:25], v[12:13], v[50:51], v[24:25] op_sel_hi:[0,1,1] neg_lo:[1,0,0] neg_hi:[1,0,0]
	s_waitcnt vmcnt(12) lgkmcnt(2)
	v_pk_fma_f32 v[14:15], v[12:13], v[52:53], v[14:15] op_sel_hi:[0,1,1] neg_lo:[1,0,0] neg_hi:[1,0,0]
	;; [unrolled: 2-line block ×3, first 2 shown]
	ds_read2_b32 v[50:51], v17 offset0:28 offset1:29
	ds_read2_b32 v[52:53], v17 offset0:30 offset1:31
	;; [unrolled: 1-line block ×4, first 2 shown]
	s_waitcnt vmcnt(8) lgkmcnt(4)
	v_pk_fma_f32 v[38:39], v[12:13], v[48:49], v[38:39] op_sel_hi:[0,1,1] neg_lo:[1,0,0] neg_hi:[1,0,0]
	s_waitcnt vmcnt(6) lgkmcnt(3)
	v_pk_fma_f32 v[32:33], v[12:13], v[50:51], v[32:33] op_sel_hi:[0,1,1] neg_lo:[1,0,0] neg_hi:[1,0,0]
	s_waitcnt vmcnt(4) lgkmcnt(2)
	v_pk_fma_f32 v[26:27], v[12:13], v[52:53], v[26:27] op_sel_hi:[0,1,1] neg_lo:[1,0,0] neg_hi:[1,0,0]
	s_waitcnt vmcnt(2) lgkmcnt(1)
	v_pk_fma_f32 v[40:41], v[12:13], v[54:55], v[40:41] op_sel_hi:[0,1,1] neg_lo:[1,0,0] neg_hi:[1,0,0]
	s_waitcnt vmcnt(0) lgkmcnt(0)
	v_pk_fma_f32 v[36:37], v[12:13], v[56:57], v[36:37] op_sel_hi:[0,1,1] neg_lo:[1,0,0] neg_hi:[1,0,0]
.LBB70_216:
	s_or_b64 exec, exec, s[0:1]
	v_lshl_add_u32 v44, v47, 2, v17
	s_barrier
	s_waitcnt vmcnt(22)
	ds_write_b32 v44, v13
	s_waitcnt lgkmcnt(0)
	s_barrier
	ds_read_b32 v48, v17 offset:52
	s_cmp_lt_i32 s22, 15
	v_mov_b32_e32 v44, 13
	s_cbranch_scc1 .LBB70_219
; %bb.217:
	v_add3_u32 v49, v46, 0, 56
	v_mov_b32_e32 v44, 13
	s_mov_b32 s0, 14
.LBB70_218:                             ; =>This Inner Loop Header: Depth=1
	ds_read_b32 v50, v49
	v_mov_b32_e32 v51, s0
	s_add_i32 s0, s0, 1
	v_add_u32_e32 v49, 4, v49
	s_cmp_lg_u32 s22, s0
	s_waitcnt lgkmcnt(0)
	v_cmp_lt_f32_e64 vcc, |v48|, |v50|
	s_nop 1
	v_cndmask_b32_e32 v48, v48, v50, vcc
	v_cndmask_b32_e32 v44, v44, v51, vcc
	s_cbranch_scc1 .LBB70_218
.LBB70_219:
	s_waitcnt lgkmcnt(0)
	v_cmp_eq_f32_e32 vcc, 0, v48
	s_and_saveexec_b64 s[0:1], vcc
	s_xor_b64 s[0:1], exec, s[0:1]
; %bb.220:
	v_cmp_ne_u32_e32 vcc, 0, v19
	s_nop 1
	v_cndmask_b32_e32 v19, 14, v19, vcc
; %bb.221:
	s_andn2_saveexec_b64 s[0:1], s[0:1]
	s_cbranch_execz .LBB70_223
; %bb.222:
	v_div_scale_f32 v49, s[2:3], v48, v48, 1.0
	v_rcp_f32_e32 v50, v49
	v_div_scale_f32 v51, vcc, 1.0, v48, 1.0
	v_fma_f32 v52, -v49, v50, 1.0
	v_fmac_f32_e32 v50, v52, v50
	v_mul_f32_e32 v52, v51, v50
	v_fma_f32 v53, -v49, v52, v51
	v_fmac_f32_e32 v52, v53, v50
	v_fma_f32 v49, -v49, v52, v51
	v_div_fmas_f32 v49, v49, v50, v52
	v_div_fixup_f32 v48, v49, v48, 1.0
.LBB70_223:
	s_or_b64 exec, exec, s[0:1]
	v_cmp_ne_u32_e32 vcc, v47, v44
	s_and_saveexec_b64 s[0:1], vcc
	s_xor_b64 s[0:1], exec, s[0:1]
	s_cbranch_execz .LBB70_229
; %bb.224:
	v_cmp_eq_u32_e32 vcc, 13, v47
	s_and_saveexec_b64 s[2:3], vcc
	s_cbranch_execz .LBB70_228
; %bb.225:
	v_cmp_ne_u32_e32 vcc, 13, v44
	s_xor_b64 s[18:19], s[16:17], -1
	s_and_b64 s[20:21], s[18:19], vcc
	s_and_saveexec_b64 s[18:19], s[20:21]
	s_cbranch_execz .LBB70_227
; %bb.226:
	v_ashrrev_i32_e32 v45, 31, v44
	v_lshl_add_u64 v[50:51], v[44:45], 2, v[20:21]
	global_load_dword v45, v[50:51], off
	global_load_dword v47, v[20:21], off offset:52
	s_waitcnt vmcnt(1)
	global_store_dword v[20:21], v45, off offset:52
	s_waitcnt vmcnt(1)
	global_store_dword v[50:51], v47, off
.LBB70_227:
	s_or_b64 exec, exec, s[18:19]
	v_mov_b32_e32 v45, v44
	v_mov_b32_e32 v47, v44
.LBB70_228:
	s_or_b64 exec, exec, s[2:3]
.LBB70_229:
	s_andn2_saveexec_b64 s[0:1], s[0:1]
	s_cbranch_execz .LBB70_231
; %bb.230:
	v_mov_b32_e32 v47, 13
	s_waitcnt vmcnt(20)
	ds_write2_b32 v17, v8, v9 offset0:14 offset1:15
	s_waitcnt vmcnt(18)
	ds_write2_b32 v17, v34, v35 offset0:16 offset1:17
	;; [unrolled: 2-line block ×11, first 2 shown]
.LBB70_231:
	s_or_b64 exec, exec, s[0:1]
	v_cmp_lt_i32_e32 vcc, 13, v47
	s_waitcnt lgkmcnt(0)
	s_barrier
	s_and_saveexec_b64 s[0:1], vcc
	s_cbranch_execz .LBB70_233
; %bb.232:
	ds_read2_b32 v[50:51], v17 offset0:14 offset1:15
	ds_read2_b32 v[52:53], v17 offset0:16 offset1:17
	;; [unrolled: 1-line block ×3, first 2 shown]
	v_mul_f32_e32 v44, v48, v13
	ds_read2_b32 v[48:49], v17 offset0:20 offset1:21
	s_waitcnt vmcnt(20) lgkmcnt(3)
	v_pk_fma_f32 v[8:9], v[44:45], v[50:51], v[8:9] op_sel_hi:[0,1,1] neg_lo:[1,0,0] neg_hi:[1,0,0]
	s_waitcnt vmcnt(18) lgkmcnt(2)
	v_pk_fma_f32 v[34:35], v[44:45], v[52:53], v[34:35] op_sel_hi:[0,1,1] neg_lo:[1,0,0] neg_hi:[1,0,0]
	ds_read2_b32 v[50:51], v17 offset0:22 offset1:23
	ds_read2_b32 v[52:53], v17 offset0:24 offset1:25
	s_waitcnt vmcnt(16) lgkmcnt(3)
	v_pk_fma_f32 v[30:31], v[44:45], v[54:55], v[30:31] op_sel_hi:[0,1,1] neg_lo:[1,0,0] neg_hi:[1,0,0]
	s_waitcnt vmcnt(14) lgkmcnt(2)
	v_pk_fma_f32 v[24:25], v[44:45], v[48:49], v[24:25] op_sel_hi:[0,1,1] neg_lo:[1,0,0] neg_hi:[1,0,0]
	ds_read2_b32 v[48:49], v17 offset0:26 offset1:27
	;; [unrolled: 6-line block ×3, first 2 shown]
	ds_read2_b32 v[52:53], v17 offset0:32 offset1:33
	ds_read2_b32 v[56:57], v17 offset0:34 offset1:35
	s_waitcnt vmcnt(8) lgkmcnt(4)
	v_pk_fma_f32 v[38:39], v[44:45], v[48:49], v[38:39] op_sel_hi:[0,1,1] neg_lo:[1,0,0] neg_hi:[1,0,0]
	s_waitcnt vmcnt(6) lgkmcnt(3)
	v_pk_fma_f32 v[32:33], v[44:45], v[54:55], v[32:33] op_sel_hi:[0,1,1] neg_lo:[1,0,0] neg_hi:[1,0,0]
	;; [unrolled: 2-line block ×5, first 2 shown]
	v_mov_b32_e32 v13, v44
.LBB70_233:
	s_or_b64 exec, exec, s[0:1]
	v_lshl_add_u32 v44, v47, 2, v17
	s_barrier
	s_waitcnt vmcnt(21)
	ds_write_b32 v44, v8
	s_waitcnt lgkmcnt(0)
	s_barrier
	ds_read_b32 v48, v17 offset:56
	s_cmp_lt_i32 s22, 16
	v_mov_b32_e32 v44, 14
	s_cbranch_scc1 .LBB70_236
; %bb.234:
	v_add3_u32 v49, v46, 0, 60
	v_mov_b32_e32 v44, 14
	s_mov_b32 s0, 15
.LBB70_235:                             ; =>This Inner Loop Header: Depth=1
	ds_read_b32 v50, v49
	v_mov_b32_e32 v51, s0
	s_add_i32 s0, s0, 1
	v_add_u32_e32 v49, 4, v49
	s_cmp_lg_u32 s22, s0
	s_waitcnt lgkmcnt(0)
	v_cmp_lt_f32_e64 vcc, |v48|, |v50|
	s_nop 1
	v_cndmask_b32_e32 v48, v48, v50, vcc
	v_cndmask_b32_e32 v44, v44, v51, vcc
	s_cbranch_scc1 .LBB70_235
.LBB70_236:
	s_waitcnt lgkmcnt(0)
	v_cmp_eq_f32_e32 vcc, 0, v48
	s_and_saveexec_b64 s[0:1], vcc
	s_xor_b64 s[0:1], exec, s[0:1]
; %bb.237:
	v_cmp_ne_u32_e32 vcc, 0, v19
	s_nop 1
	v_cndmask_b32_e32 v19, 15, v19, vcc
; %bb.238:
	s_andn2_saveexec_b64 s[0:1], s[0:1]
	s_cbranch_execz .LBB70_240
; %bb.239:
	v_div_scale_f32 v49, s[2:3], v48, v48, 1.0
	v_rcp_f32_e32 v50, v49
	v_div_scale_f32 v51, vcc, 1.0, v48, 1.0
	v_fma_f32 v52, -v49, v50, 1.0
	v_fmac_f32_e32 v50, v52, v50
	v_mul_f32_e32 v52, v51, v50
	v_fma_f32 v53, -v49, v52, v51
	v_fmac_f32_e32 v52, v53, v50
	v_fma_f32 v49, -v49, v52, v51
	v_div_fmas_f32 v49, v49, v50, v52
	v_div_fixup_f32 v48, v49, v48, 1.0
.LBB70_240:
	s_or_b64 exec, exec, s[0:1]
	v_cmp_ne_u32_e32 vcc, v47, v44
	s_and_saveexec_b64 s[0:1], vcc
	s_xor_b64 s[0:1], exec, s[0:1]
	s_cbranch_execz .LBB70_246
; %bb.241:
	v_cmp_eq_u32_e32 vcc, 14, v47
	s_and_saveexec_b64 s[2:3], vcc
	s_cbranch_execz .LBB70_245
; %bb.242:
	v_cmp_ne_u32_e32 vcc, 14, v44
	s_xor_b64 s[18:19], s[16:17], -1
	s_and_b64 s[20:21], s[18:19], vcc
	s_and_saveexec_b64 s[18:19], s[20:21]
	s_cbranch_execz .LBB70_244
; %bb.243:
	v_ashrrev_i32_e32 v45, 31, v44
	v_lshl_add_u64 v[50:51], v[44:45], 2, v[20:21]
	global_load_dword v45, v[50:51], off
	global_load_dword v47, v[20:21], off offset:56
	s_waitcnt vmcnt(1)
	global_store_dword v[20:21], v45, off offset:56
	s_waitcnt vmcnt(1)
	global_store_dword v[50:51], v47, off
.LBB70_244:
	s_or_b64 exec, exec, s[18:19]
	v_mov_b32_e32 v45, v44
	v_mov_b32_e32 v47, v44
.LBB70_245:
	s_or_b64 exec, exec, s[2:3]
.LBB70_246:
	s_andn2_saveexec_b64 s[0:1], s[0:1]
	s_cbranch_execz .LBB70_248
; %bb.247:
	s_waitcnt vmcnt(18)
	v_pk_mov_b32 v[50:51], v[8:9], v[34:35] op_sel:[1,0]
	ds_write2_b32 v17, v50, v51 offset0:15 offset1:16
	s_waitcnt vmcnt(16)
	v_pk_mov_b32 v[50:51], v[34:35], v[30:31] op_sel:[1,0]
	ds_write2_b32 v17, v50, v51 offset0:17 offset1:18
	;; [unrolled: 3-line block ×9, first 2 shown]
	s_waitcnt vmcnt(0)
	v_pk_mov_b32 v[50:51], v[40:41], v[36:37] op_sel:[1,0]
	v_mov_b32_e32 v47, 14
	ds_write2_b32 v17, v50, v51 offset0:33 offset1:34
	ds_write_b32 v17, v37 offset:140
.LBB70_248:
	s_or_b64 exec, exec, s[0:1]
	v_cmp_lt_i32_e32 vcc, 14, v47
	s_waitcnt lgkmcnt(0)
	s_barrier
	s_and_saveexec_b64 s[0:1], vcc
	s_cbranch_execz .LBB70_250
; %bb.249:
	ds_read_b32 v44, v17 offset:60
	ds_read2_b32 v[50:51], v17 offset0:16 offset1:17
	ds_read2_b32 v[52:53], v17 offset0:18 offset1:19
	v_mul_f32_e32 v8, v48, v8
	ds_read2_b32 v[48:49], v17 offset0:20 offset1:21
	s_waitcnt vmcnt(20) lgkmcnt(3)
	v_fma_f32 v9, -v8, v44, v9
	s_waitcnt vmcnt(18) lgkmcnt(2)
	v_pk_fma_f32 v[34:35], v[8:9], v[50:51], v[34:35] op_sel_hi:[0,1,1] neg_lo:[1,0,0] neg_hi:[1,0,0]
	s_waitcnt vmcnt(16) lgkmcnt(1)
	v_pk_fma_f32 v[30:31], v[8:9], v[52:53], v[30:31] op_sel_hi:[0,1,1] neg_lo:[1,0,0] neg_hi:[1,0,0]
	ds_read2_b32 v[50:51], v17 offset0:22 offset1:23
	ds_read2_b32 v[52:53], v17 offset0:24 offset1:25
	s_waitcnt vmcnt(14) lgkmcnt(2)
	v_pk_fma_f32 v[24:25], v[8:9], v[48:49], v[24:25] op_sel_hi:[0,1,1] neg_lo:[1,0,0] neg_hi:[1,0,0]
	ds_read2_b32 v[48:49], v17 offset0:26 offset1:27
	ds_read2_b32 v[54:55], v17 offset0:28 offset1:29
	s_waitcnt vmcnt(12) lgkmcnt(3)
	v_pk_fma_f32 v[14:15], v[8:9], v[50:51], v[14:15] op_sel_hi:[0,1,1] neg_lo:[1,0,0] neg_hi:[1,0,0]
	s_waitcnt vmcnt(10) lgkmcnt(2)
	v_pk_fma_f32 v[42:43], v[8:9], v[52:53], v[42:43] op_sel_hi:[0,1,1] neg_lo:[1,0,0] neg_hi:[1,0,0]
	ds_read2_b32 v[50:51], v17 offset0:30 offset1:31
	ds_read2_b32 v[52:53], v17 offset0:32 offset1:33
	;; [unrolled: 1-line block ×3, first 2 shown]
	s_waitcnt vmcnt(8) lgkmcnt(4)
	v_pk_fma_f32 v[38:39], v[8:9], v[48:49], v[38:39] op_sel_hi:[0,1,1] neg_lo:[1,0,0] neg_hi:[1,0,0]
	s_waitcnt vmcnt(6) lgkmcnt(3)
	v_pk_fma_f32 v[32:33], v[8:9], v[54:55], v[32:33] op_sel_hi:[0,1,1] neg_lo:[1,0,0] neg_hi:[1,0,0]
	;; [unrolled: 2-line block ×5, first 2 shown]
.LBB70_250:
	s_or_b64 exec, exec, s[0:1]
	v_lshl_add_u32 v44, v47, 2, v17
	s_barrier
	s_waitcnt vmcnt(20)
	ds_write_b32 v44, v9
	s_waitcnt lgkmcnt(0)
	s_barrier
	ds_read_b32 v48, v17 offset:60
	s_cmp_lt_i32 s22, 17
	v_mov_b32_e32 v44, 15
	s_cbranch_scc1 .LBB70_253
; %bb.251:
	v_add3_u32 v46, v46, 0, 64
	v_mov_b32_e32 v44, 15
	s_mov_b32 s0, 16
.LBB70_252:                             ; =>This Inner Loop Header: Depth=1
	ds_read_b32 v49, v46
	v_mov_b32_e32 v50, s0
	s_add_i32 s0, s0, 1
	v_add_u32_e32 v46, 4, v46
	s_cmp_lg_u32 s22, s0
	s_waitcnt lgkmcnt(0)
	v_cmp_lt_f32_e64 vcc, |v48|, |v49|
	s_nop 1
	v_cndmask_b32_e32 v48, v48, v49, vcc
	v_cndmask_b32_e32 v44, v44, v50, vcc
	s_cbranch_scc1 .LBB70_252
.LBB70_253:
	s_waitcnt lgkmcnt(0)
	v_cmp_eq_f32_e32 vcc, 0, v48
	s_and_saveexec_b64 s[0:1], vcc
	s_xor_b64 s[0:1], exec, s[0:1]
; %bb.254:
	v_cmp_ne_u32_e32 vcc, 0, v19
	s_nop 1
	v_cndmask_b32_e32 v19, 16, v19, vcc
; %bb.255:
	s_andn2_saveexec_b64 s[0:1], s[0:1]
	s_cbranch_execz .LBB70_257
; %bb.256:
	v_div_scale_f32 v46, s[2:3], v48, v48, 1.0
	v_rcp_f32_e32 v49, v46
	v_div_scale_f32 v50, vcc, 1.0, v48, 1.0
	v_fma_f32 v51, -v46, v49, 1.0
	v_fmac_f32_e32 v49, v51, v49
	v_mul_f32_e32 v51, v50, v49
	v_fma_f32 v52, -v46, v51, v50
	v_fmac_f32_e32 v51, v52, v49
	v_fma_f32 v46, -v46, v51, v50
	v_div_fmas_f32 v46, v46, v49, v51
	v_div_fixup_f32 v48, v46, v48, 1.0
.LBB70_257:
	s_or_b64 exec, exec, s[0:1]
	v_cmp_ne_u32_e32 vcc, v47, v44
	s_and_saveexec_b64 s[0:1], vcc
	s_xor_b64 s[0:1], exec, s[0:1]
	s_cbranch_execz .LBB70_263
; %bb.258:
	v_cmp_eq_u32_e32 vcc, 15, v47
	s_and_saveexec_b64 s[2:3], vcc
	s_cbranch_execz .LBB70_262
; %bb.259:
	v_cmp_ne_u32_e32 vcc, 15, v44
	s_xor_b64 s[18:19], s[16:17], -1
	s_and_b64 s[20:21], s[18:19], vcc
	s_and_saveexec_b64 s[18:19], s[20:21]
	s_cbranch_execz .LBB70_261
; %bb.260:
	v_ashrrev_i32_e32 v45, 31, v44
	v_lshl_add_u64 v[46:47], v[44:45], 2, v[20:21]
	global_load_dword v45, v[46:47], off
	global_load_dword v49, v[20:21], off offset:60
	s_waitcnt vmcnt(1)
	global_store_dword v[20:21], v45, off offset:60
	s_waitcnt vmcnt(1)
	global_store_dword v[46:47], v49, off
.LBB70_261:
	s_or_b64 exec, exec, s[18:19]
	v_mov_b32_e32 v45, v44
	v_mov_b32_e32 v47, v44
.LBB70_262:
	s_or_b64 exec, exec, s[2:3]
.LBB70_263:
	s_andn2_saveexec_b64 s[0:1], s[0:1]
	s_cbranch_execz .LBB70_265
; %bb.264:
	v_mov_b32_e32 v47, 15
	s_waitcnt vmcnt(18)
	ds_write2_b32 v17, v34, v35 offset0:16 offset1:17
	s_waitcnt vmcnt(16)
	ds_write2_b32 v17, v30, v31 offset0:18 offset1:19
	;; [unrolled: 2-line block ×10, first 2 shown]
.LBB70_265:
	s_or_b64 exec, exec, s[0:1]
	v_cmp_lt_i32_e32 vcc, 15, v47
	s_waitcnt lgkmcnt(0)
	s_barrier
	s_and_saveexec_b64 s[0:1], vcc
	s_cbranch_execz .LBB70_267
; %bb.266:
	ds_read2_b32 v[50:51], v17 offset0:16 offset1:17
	ds_read2_b32 v[52:53], v17 offset0:18 offset1:19
	;; [unrolled: 1-line block ×3, first 2 shown]
	v_mul_f32_e32 v44, v48, v9
	ds_read2_b32 v[48:49], v17 offset0:22 offset1:23
	s_waitcnt vmcnt(18) lgkmcnt(3)
	v_pk_fma_f32 v[34:35], v[44:45], v[50:51], v[34:35] op_sel_hi:[0,1,1] neg_lo:[1,0,0] neg_hi:[1,0,0]
	ds_read2_b32 v[50:51], v17 offset0:24 offset1:25
	s_waitcnt vmcnt(16) lgkmcnt(3)
	v_pk_fma_f32 v[30:31], v[44:45], v[52:53], v[30:31] op_sel_hi:[0,1,1] neg_lo:[1,0,0] neg_hi:[1,0,0]
	s_waitcnt vmcnt(14) lgkmcnt(2)
	v_pk_fma_f32 v[24:25], v[44:45], v[54:55], v[24:25] op_sel_hi:[0,1,1] neg_lo:[1,0,0] neg_hi:[1,0,0]
	;; [unrolled: 2-line block ×3, first 2 shown]
	ds_read2_b32 v[48:49], v17 offset0:26 offset1:27
	ds_read2_b32 v[52:53], v17 offset0:28 offset1:29
	;; [unrolled: 1-line block ×3, first 2 shown]
	s_waitcnt vmcnt(10) lgkmcnt(3)
	v_pk_fma_f32 v[42:43], v[44:45], v[50:51], v[42:43] op_sel_hi:[0,1,1] neg_lo:[1,0,0] neg_hi:[1,0,0]
	ds_read2_b32 v[50:51], v17 offset0:32 offset1:33
	ds_read2_b32 v[56:57], v17 offset0:34 offset1:35
	s_waitcnt vmcnt(8) lgkmcnt(4)
	v_pk_fma_f32 v[38:39], v[44:45], v[48:49], v[38:39] op_sel_hi:[0,1,1] neg_lo:[1,0,0] neg_hi:[1,0,0]
	s_waitcnt vmcnt(6) lgkmcnt(3)
	v_pk_fma_f32 v[32:33], v[44:45], v[52:53], v[32:33] op_sel_hi:[0,1,1] neg_lo:[1,0,0] neg_hi:[1,0,0]
	;; [unrolled: 2-line block ×5, first 2 shown]
	v_mov_b32_e32 v9, v44
.LBB70_267:
	s_or_b64 exec, exec, s[0:1]
	v_lshl_add_u32 v44, v47, 2, v17
	s_barrier
	s_waitcnt vmcnt(19)
	ds_write_b32 v44, v34
	s_waitcnt lgkmcnt(0)
	s_barrier
	ds_read_b32 v46, v17 offset:64
	s_cmp_lt_i32 s22, 18
	v_mov_b32_e32 v44, 16
	s_cbranch_scc1 .LBB70_270
; %bb.268:
	v_add_u32_e32 v48, 0x44, v17
	v_mov_b32_e32 v44, 16
	s_mov_b32 s0, 17
.LBB70_269:                             ; =>This Inner Loop Header: Depth=1
	ds_read_b32 v49, v48
	v_mov_b32_e32 v50, s0
	s_add_i32 s0, s0, 1
	v_add_u32_e32 v48, 4, v48
	s_cmp_lg_u32 s22, s0
	s_waitcnt lgkmcnt(0)
	v_cmp_lt_f32_e64 vcc, |v46|, |v49|
	s_nop 1
	v_cndmask_b32_e32 v46, v46, v49, vcc
	v_cndmask_b32_e32 v44, v44, v50, vcc
	s_cbranch_scc1 .LBB70_269
.LBB70_270:
	s_waitcnt lgkmcnt(0)
	v_cmp_eq_f32_e32 vcc, 0, v46
	s_and_saveexec_b64 s[0:1], vcc
	s_xor_b64 s[0:1], exec, s[0:1]
; %bb.271:
	v_cmp_ne_u32_e32 vcc, 0, v19
	s_nop 1
	v_cndmask_b32_e32 v19, 17, v19, vcc
; %bb.272:
	s_andn2_saveexec_b64 s[0:1], s[0:1]
	s_cbranch_execz .LBB70_274
; %bb.273:
	v_div_scale_f32 v48, s[2:3], v46, v46, 1.0
	v_rcp_f32_e32 v49, v48
	v_div_scale_f32 v50, vcc, 1.0, v46, 1.0
	v_fma_f32 v51, -v48, v49, 1.0
	v_fmac_f32_e32 v49, v51, v49
	v_mul_f32_e32 v51, v50, v49
	v_fma_f32 v52, -v48, v51, v50
	v_fmac_f32_e32 v51, v52, v49
	v_fma_f32 v48, -v48, v51, v50
	v_div_fmas_f32 v48, v48, v49, v51
	v_div_fixup_f32 v46, v48, v46, 1.0
.LBB70_274:
	s_or_b64 exec, exec, s[0:1]
	v_cmp_ne_u32_e32 vcc, v47, v44
	s_and_saveexec_b64 s[0:1], vcc
	s_xor_b64 s[0:1], exec, s[0:1]
	s_cbranch_execz .LBB70_280
; %bb.275:
	v_cmp_eq_u32_e32 vcc, 16, v47
	s_and_saveexec_b64 s[2:3], vcc
	s_cbranch_execz .LBB70_279
; %bb.276:
	v_cmp_ne_u32_e32 vcc, 16, v44
	s_xor_b64 s[18:19], s[16:17], -1
	s_and_b64 s[20:21], s[18:19], vcc
	s_and_saveexec_b64 s[18:19], s[20:21]
	s_cbranch_execz .LBB70_278
; %bb.277:
	v_ashrrev_i32_e32 v45, 31, v44
	v_lshl_add_u64 v[48:49], v[44:45], 2, v[20:21]
	global_load_dword v45, v[48:49], off
	global_load_dword v47, v[20:21], off offset:64
	s_waitcnt vmcnt(1)
	global_store_dword v[20:21], v45, off offset:64
	s_waitcnt vmcnt(1)
	global_store_dword v[48:49], v47, off
.LBB70_278:
	s_or_b64 exec, exec, s[18:19]
	v_mov_b32_e32 v45, v44
	v_mov_b32_e32 v47, v44
.LBB70_279:
	s_or_b64 exec, exec, s[2:3]
.LBB70_280:
	s_andn2_saveexec_b64 s[0:1], s[0:1]
	s_cbranch_execz .LBB70_282
; %bb.281:
	s_waitcnt vmcnt(16)
	v_pk_mov_b32 v[48:49], v[34:35], v[30:31] op_sel:[1,0]
	ds_write2_b32 v17, v48, v49 offset0:17 offset1:18
	s_waitcnt vmcnt(14)
	v_pk_mov_b32 v[48:49], v[30:31], v[24:25] op_sel:[1,0]
	ds_write2_b32 v17, v48, v49 offset0:19 offset1:20
	;; [unrolled: 3-line block ×8, first 2 shown]
	s_waitcnt vmcnt(0)
	v_pk_mov_b32 v[48:49], v[40:41], v[36:37] op_sel:[1,0]
	v_mov_b32_e32 v47, 16
	ds_write2_b32 v17, v48, v49 offset0:33 offset1:34
	ds_write_b32 v17, v37 offset:140
.LBB70_282:
	s_or_b64 exec, exec, s[0:1]
	v_cmp_lt_i32_e32 vcc, 16, v47
	s_waitcnt lgkmcnt(0)
	s_barrier
	s_and_saveexec_b64 s[0:1], vcc
	s_cbranch_execz .LBB70_284
; %bb.283:
	ds_read_b32 v44, v17 offset:68
	ds_read2_b32 v[48:49], v17 offset0:18 offset1:19
	ds_read2_b32 v[50:51], v17 offset0:20 offset1:21
	v_mul_f32_e32 v34, v46, v34
	ds_read2_b32 v[52:53], v17 offset0:22 offset1:23
	s_waitcnt vmcnt(18) lgkmcnt(3)
	v_fma_f32 v35, -v34, v44, v35
	s_waitcnt vmcnt(16) lgkmcnt(2)
	v_pk_fma_f32 v[30:31], v[34:35], v[48:49], v[30:31] op_sel_hi:[0,1,1] neg_lo:[1,0,0] neg_hi:[1,0,0]
	ds_read2_b32 v[48:49], v17 offset0:24 offset1:25
	s_waitcnt vmcnt(14) lgkmcnt(2)
	v_pk_fma_f32 v[24:25], v[34:35], v[50:51], v[24:25] op_sel_hi:[0,1,1] neg_lo:[1,0,0] neg_hi:[1,0,0]
	s_waitcnt vmcnt(12) lgkmcnt(1)
	v_pk_fma_f32 v[14:15], v[34:35], v[52:53], v[14:15] op_sel_hi:[0,1,1] neg_lo:[1,0,0] neg_hi:[1,0,0]
	ds_read2_b32 v[50:51], v17 offset0:26 offset1:27
	ds_read2_b32 v[52:53], v17 offset0:28 offset1:29
	;; [unrolled: 1-line block ×3, first 2 shown]
	s_waitcnt vmcnt(10) lgkmcnt(3)
	v_pk_fma_f32 v[42:43], v[34:35], v[48:49], v[42:43] op_sel_hi:[0,1,1] neg_lo:[1,0,0] neg_hi:[1,0,0]
	ds_read2_b32 v[48:49], v17 offset0:32 offset1:33
	ds_read2_b32 v[56:57], v17 offset0:34 offset1:35
	s_waitcnt vmcnt(8) lgkmcnt(4)
	v_pk_fma_f32 v[38:39], v[34:35], v[50:51], v[38:39] op_sel_hi:[0,1,1] neg_lo:[1,0,0] neg_hi:[1,0,0]
	s_waitcnt vmcnt(6) lgkmcnt(3)
	v_pk_fma_f32 v[32:33], v[34:35], v[52:53], v[32:33] op_sel_hi:[0,1,1] neg_lo:[1,0,0] neg_hi:[1,0,0]
	;; [unrolled: 2-line block ×5, first 2 shown]
.LBB70_284:
	s_or_b64 exec, exec, s[0:1]
	v_lshl_add_u32 v44, v47, 2, v17
	s_barrier
	s_waitcnt vmcnt(18)
	ds_write_b32 v44, v35
	s_waitcnt lgkmcnt(0)
	s_barrier
	ds_read_b32 v46, v17 offset:68
	s_cmp_lt_i32 s22, 19
	v_mov_b32_e32 v44, 17
	s_cbranch_scc1 .LBB70_287
; %bb.285:
	v_add_u32_e32 v48, 0x48, v17
	v_mov_b32_e32 v44, 17
	s_mov_b32 s0, 18
.LBB70_286:                             ; =>This Inner Loop Header: Depth=1
	ds_read_b32 v49, v48
	v_mov_b32_e32 v50, s0
	s_add_i32 s0, s0, 1
	v_add_u32_e32 v48, 4, v48
	s_cmp_lg_u32 s22, s0
	s_waitcnt lgkmcnt(0)
	v_cmp_lt_f32_e64 vcc, |v46|, |v49|
	s_nop 1
	v_cndmask_b32_e32 v46, v46, v49, vcc
	v_cndmask_b32_e32 v44, v44, v50, vcc
	s_cbranch_scc1 .LBB70_286
.LBB70_287:
	s_waitcnt lgkmcnt(0)
	v_cmp_eq_f32_e32 vcc, 0, v46
	s_and_saveexec_b64 s[0:1], vcc
	s_xor_b64 s[0:1], exec, s[0:1]
; %bb.288:
	v_cmp_ne_u32_e32 vcc, 0, v19
	s_nop 1
	v_cndmask_b32_e32 v19, 18, v19, vcc
; %bb.289:
	s_andn2_saveexec_b64 s[0:1], s[0:1]
	s_cbranch_execz .LBB70_291
; %bb.290:
	v_div_scale_f32 v48, s[2:3], v46, v46, 1.0
	v_rcp_f32_e32 v49, v48
	v_div_scale_f32 v50, vcc, 1.0, v46, 1.0
	v_fma_f32 v51, -v48, v49, 1.0
	v_fmac_f32_e32 v49, v51, v49
	v_mul_f32_e32 v51, v50, v49
	v_fma_f32 v52, -v48, v51, v50
	v_fmac_f32_e32 v51, v52, v49
	v_fma_f32 v48, -v48, v51, v50
	v_div_fmas_f32 v48, v48, v49, v51
	v_div_fixup_f32 v46, v48, v46, 1.0
.LBB70_291:
	s_or_b64 exec, exec, s[0:1]
	v_cmp_ne_u32_e32 vcc, v47, v44
	s_and_saveexec_b64 s[0:1], vcc
	s_xor_b64 s[0:1], exec, s[0:1]
	s_cbranch_execz .LBB70_297
; %bb.292:
	v_cmp_eq_u32_e32 vcc, 17, v47
	s_and_saveexec_b64 s[2:3], vcc
	s_cbranch_execz .LBB70_296
; %bb.293:
	v_cmp_ne_u32_e32 vcc, 17, v44
	s_xor_b64 s[18:19], s[16:17], -1
	s_and_b64 s[20:21], s[18:19], vcc
	s_and_saveexec_b64 s[18:19], s[20:21]
	s_cbranch_execz .LBB70_295
; %bb.294:
	v_ashrrev_i32_e32 v45, 31, v44
	v_lshl_add_u64 v[48:49], v[44:45], 2, v[20:21]
	global_load_dword v45, v[48:49], off
	global_load_dword v47, v[20:21], off offset:68
	s_waitcnt vmcnt(1)
	global_store_dword v[20:21], v45, off offset:68
	s_waitcnt vmcnt(1)
	global_store_dword v[48:49], v47, off
.LBB70_295:
	s_or_b64 exec, exec, s[18:19]
	v_mov_b32_e32 v45, v44
	v_mov_b32_e32 v47, v44
.LBB70_296:
	s_or_b64 exec, exec, s[2:3]
.LBB70_297:
	s_andn2_saveexec_b64 s[0:1], s[0:1]
	s_cbranch_execz .LBB70_299
; %bb.298:
	v_mov_b32_e32 v47, 17
	s_waitcnt vmcnt(16)
	ds_write2_b32 v17, v30, v31 offset0:18 offset1:19
	s_waitcnt vmcnt(14)
	ds_write2_b32 v17, v24, v25 offset0:20 offset1:21
	;; [unrolled: 2-line block ×9, first 2 shown]
.LBB70_299:
	s_or_b64 exec, exec, s[0:1]
	v_cmp_lt_i32_e32 vcc, 17, v47
	s_waitcnt lgkmcnt(0)
	s_barrier
	s_and_saveexec_b64 s[0:1], vcc
	s_cbranch_execz .LBB70_301
; %bb.300:
	ds_read2_b32 v[48:49], v17 offset0:18 offset1:19
	ds_read2_b32 v[50:51], v17 offset0:20 offset1:21
	;; [unrolled: 1-line block ×4, first 2 shown]
	v_mul_f32_e32 v44, v46, v35
	s_waitcnt vmcnt(16) lgkmcnt(3)
	v_pk_fma_f32 v[30:31], v[44:45], v[48:49], v[30:31] op_sel_hi:[0,1,1] neg_lo:[1,0,0] neg_hi:[1,0,0]
	s_waitcnt vmcnt(14) lgkmcnt(2)
	v_pk_fma_f32 v[24:25], v[44:45], v[50:51], v[24:25] op_sel_hi:[0,1,1] neg_lo:[1,0,0] neg_hi:[1,0,0]
	;; [unrolled: 2-line block ×4, first 2 shown]
	ds_read2_b32 v[48:49], v17 offset0:26 offset1:27
	ds_read2_b32 v[50:51], v17 offset0:28 offset1:29
	;; [unrolled: 1-line block ×5, first 2 shown]
	s_waitcnt vmcnt(8) lgkmcnt(4)
	v_pk_fma_f32 v[38:39], v[44:45], v[48:49], v[38:39] op_sel_hi:[0,1,1] neg_lo:[1,0,0] neg_hi:[1,0,0]
	s_waitcnt vmcnt(6) lgkmcnt(3)
	v_pk_fma_f32 v[32:33], v[44:45], v[50:51], v[32:33] op_sel_hi:[0,1,1] neg_lo:[1,0,0] neg_hi:[1,0,0]
	s_waitcnt vmcnt(4) lgkmcnt(2)
	v_pk_fma_f32 v[26:27], v[44:45], v[52:53], v[26:27] op_sel_hi:[0,1,1] neg_lo:[1,0,0] neg_hi:[1,0,0]
	s_waitcnt vmcnt(2) lgkmcnt(1)
	v_pk_fma_f32 v[40:41], v[44:45], v[54:55], v[40:41] op_sel_hi:[0,1,1] neg_lo:[1,0,0] neg_hi:[1,0,0]
	s_waitcnt vmcnt(0) lgkmcnt(0)
	v_pk_fma_f32 v[36:37], v[44:45], v[56:57], v[36:37] op_sel_hi:[0,1,1] neg_lo:[1,0,0] neg_hi:[1,0,0]
	v_mov_b32_e32 v35, v44
.LBB70_301:
	s_or_b64 exec, exec, s[0:1]
	v_lshl_add_u32 v44, v47, 2, v17
	s_barrier
	s_waitcnt vmcnt(17)
	ds_write_b32 v44, v30
	s_waitcnt lgkmcnt(0)
	s_barrier
	ds_read_b32 v46, v17 offset:72
	s_cmp_lt_i32 s22, 20
	v_mov_b32_e32 v44, 18
	s_cbranch_scc1 .LBB70_304
; %bb.302:
	v_add_u32_e32 v48, 0x4c, v17
	v_mov_b32_e32 v44, 18
	s_mov_b32 s0, 19
.LBB70_303:                             ; =>This Inner Loop Header: Depth=1
	ds_read_b32 v49, v48
	v_mov_b32_e32 v50, s0
	s_add_i32 s0, s0, 1
	v_add_u32_e32 v48, 4, v48
	s_cmp_lg_u32 s22, s0
	s_waitcnt lgkmcnt(0)
	v_cmp_lt_f32_e64 vcc, |v46|, |v49|
	s_nop 1
	v_cndmask_b32_e32 v46, v46, v49, vcc
	v_cndmask_b32_e32 v44, v44, v50, vcc
	s_cbranch_scc1 .LBB70_303
.LBB70_304:
	s_waitcnt lgkmcnt(0)
	v_cmp_eq_f32_e32 vcc, 0, v46
	s_and_saveexec_b64 s[0:1], vcc
	s_xor_b64 s[0:1], exec, s[0:1]
; %bb.305:
	v_cmp_ne_u32_e32 vcc, 0, v19
	s_nop 1
	v_cndmask_b32_e32 v19, 19, v19, vcc
; %bb.306:
	s_andn2_saveexec_b64 s[0:1], s[0:1]
	s_cbranch_execz .LBB70_308
; %bb.307:
	v_div_scale_f32 v48, s[2:3], v46, v46, 1.0
	v_rcp_f32_e32 v49, v48
	v_div_scale_f32 v50, vcc, 1.0, v46, 1.0
	v_fma_f32 v51, -v48, v49, 1.0
	v_fmac_f32_e32 v49, v51, v49
	v_mul_f32_e32 v51, v50, v49
	v_fma_f32 v52, -v48, v51, v50
	v_fmac_f32_e32 v51, v52, v49
	v_fma_f32 v48, -v48, v51, v50
	v_div_fmas_f32 v48, v48, v49, v51
	v_div_fixup_f32 v46, v48, v46, 1.0
.LBB70_308:
	s_or_b64 exec, exec, s[0:1]
	v_cmp_ne_u32_e32 vcc, v47, v44
	s_and_saveexec_b64 s[0:1], vcc
	s_xor_b64 s[0:1], exec, s[0:1]
	s_cbranch_execz .LBB70_314
; %bb.309:
	v_cmp_eq_u32_e32 vcc, 18, v47
	s_and_saveexec_b64 s[2:3], vcc
	s_cbranch_execz .LBB70_313
; %bb.310:
	v_cmp_ne_u32_e32 vcc, 18, v44
	s_xor_b64 s[18:19], s[16:17], -1
	s_and_b64 s[20:21], s[18:19], vcc
	s_and_saveexec_b64 s[18:19], s[20:21]
	s_cbranch_execz .LBB70_312
; %bb.311:
	v_ashrrev_i32_e32 v45, 31, v44
	v_lshl_add_u64 v[48:49], v[44:45], 2, v[20:21]
	global_load_dword v45, v[48:49], off
	global_load_dword v47, v[20:21], off offset:72
	s_waitcnt vmcnt(1)
	global_store_dword v[20:21], v45, off offset:72
	s_waitcnt vmcnt(1)
	global_store_dword v[48:49], v47, off
.LBB70_312:
	s_or_b64 exec, exec, s[18:19]
	v_mov_b32_e32 v45, v44
	v_mov_b32_e32 v47, v44
.LBB70_313:
	s_or_b64 exec, exec, s[2:3]
.LBB70_314:
	s_andn2_saveexec_b64 s[0:1], s[0:1]
	s_cbranch_execz .LBB70_316
; %bb.315:
	s_waitcnt vmcnt(14)
	v_pk_mov_b32 v[48:49], v[30:31], v[24:25] op_sel:[1,0]
	ds_write2_b32 v17, v48, v49 offset0:19 offset1:20
	s_waitcnt vmcnt(12)
	v_pk_mov_b32 v[48:49], v[24:25], v[14:15] op_sel:[1,0]
	ds_write2_b32 v17, v48, v49 offset0:21 offset1:22
	;; [unrolled: 3-line block ×7, first 2 shown]
	s_waitcnt vmcnt(0)
	v_pk_mov_b32 v[48:49], v[40:41], v[36:37] op_sel:[1,0]
	v_mov_b32_e32 v47, 18
	ds_write2_b32 v17, v48, v49 offset0:33 offset1:34
	ds_write_b32 v17, v37 offset:140
.LBB70_316:
	s_or_b64 exec, exec, s[0:1]
	v_cmp_lt_i32_e32 vcc, 18, v47
	s_waitcnt lgkmcnt(0)
	s_barrier
	s_and_saveexec_b64 s[0:1], vcc
	s_cbranch_execz .LBB70_318
; %bb.317:
	ds_read_b32 v44, v17 offset:76
	ds_read2_b32 v[48:49], v17 offset0:20 offset1:21
	ds_read2_b32 v[50:51], v17 offset0:22 offset1:23
	;; [unrolled: 1-line block ×3, first 2 shown]
	v_mul_f32_e32 v30, v46, v30
	s_waitcnt vmcnt(16) lgkmcnt(3)
	v_fma_f32 v31, -v30, v44, v31
	s_waitcnt vmcnt(14) lgkmcnt(2)
	v_pk_fma_f32 v[24:25], v[30:31], v[48:49], v[24:25] op_sel_hi:[0,1,1] neg_lo:[1,0,0] neg_hi:[1,0,0]
	s_waitcnt vmcnt(12) lgkmcnt(1)
	v_pk_fma_f32 v[14:15], v[30:31], v[50:51], v[14:15] op_sel_hi:[0,1,1] neg_lo:[1,0,0] neg_hi:[1,0,0]
	s_waitcnt vmcnt(10) lgkmcnt(0)
	v_pk_fma_f32 v[42:43], v[30:31], v[52:53], v[42:43] op_sel_hi:[0,1,1] neg_lo:[1,0,0] neg_hi:[1,0,0]
	ds_read2_b32 v[48:49], v17 offset0:26 offset1:27
	ds_read2_b32 v[50:51], v17 offset0:28 offset1:29
	;; [unrolled: 1-line block ×5, first 2 shown]
	s_waitcnt vmcnt(8) lgkmcnt(4)
	v_pk_fma_f32 v[38:39], v[30:31], v[48:49], v[38:39] op_sel_hi:[0,1,1] neg_lo:[1,0,0] neg_hi:[1,0,0]
	s_waitcnt vmcnt(6) lgkmcnt(3)
	v_pk_fma_f32 v[32:33], v[30:31], v[50:51], v[32:33] op_sel_hi:[0,1,1] neg_lo:[1,0,0] neg_hi:[1,0,0]
	;; [unrolled: 2-line block ×5, first 2 shown]
.LBB70_318:
	s_or_b64 exec, exec, s[0:1]
	v_lshl_add_u32 v44, v47, 2, v17
	s_barrier
	s_waitcnt vmcnt(16)
	ds_write_b32 v44, v31
	s_waitcnt lgkmcnt(0)
	s_barrier
	ds_read_b32 v46, v17 offset:76
	s_cmp_lt_i32 s22, 21
	v_mov_b32_e32 v44, 19
	s_cbranch_scc1 .LBB70_321
; %bb.319:
	v_add_u32_e32 v48, 0x50, v17
	v_mov_b32_e32 v44, 19
	s_mov_b32 s0, 20
.LBB70_320:                             ; =>This Inner Loop Header: Depth=1
	ds_read_b32 v49, v48
	v_mov_b32_e32 v50, s0
	s_add_i32 s0, s0, 1
	v_add_u32_e32 v48, 4, v48
	s_cmp_lg_u32 s22, s0
	s_waitcnt lgkmcnt(0)
	v_cmp_lt_f32_e64 vcc, |v46|, |v49|
	s_nop 1
	v_cndmask_b32_e32 v46, v46, v49, vcc
	v_cndmask_b32_e32 v44, v44, v50, vcc
	s_cbranch_scc1 .LBB70_320
.LBB70_321:
	s_waitcnt lgkmcnt(0)
	v_cmp_eq_f32_e32 vcc, 0, v46
	s_and_saveexec_b64 s[0:1], vcc
	s_xor_b64 s[0:1], exec, s[0:1]
; %bb.322:
	v_cmp_ne_u32_e32 vcc, 0, v19
	s_nop 1
	v_cndmask_b32_e32 v19, 20, v19, vcc
; %bb.323:
	s_andn2_saveexec_b64 s[0:1], s[0:1]
	s_cbranch_execz .LBB70_325
; %bb.324:
	v_div_scale_f32 v48, s[2:3], v46, v46, 1.0
	v_rcp_f32_e32 v49, v48
	v_div_scale_f32 v50, vcc, 1.0, v46, 1.0
	v_fma_f32 v51, -v48, v49, 1.0
	v_fmac_f32_e32 v49, v51, v49
	v_mul_f32_e32 v51, v50, v49
	v_fma_f32 v52, -v48, v51, v50
	v_fmac_f32_e32 v51, v52, v49
	v_fma_f32 v48, -v48, v51, v50
	v_div_fmas_f32 v48, v48, v49, v51
	v_div_fixup_f32 v46, v48, v46, 1.0
.LBB70_325:
	s_or_b64 exec, exec, s[0:1]
	v_cmp_ne_u32_e32 vcc, v47, v44
	s_and_saveexec_b64 s[0:1], vcc
	s_xor_b64 s[0:1], exec, s[0:1]
	s_cbranch_execz .LBB70_331
; %bb.326:
	v_cmp_eq_u32_e32 vcc, 19, v47
	s_and_saveexec_b64 s[2:3], vcc
	s_cbranch_execz .LBB70_330
; %bb.327:
	v_cmp_ne_u32_e32 vcc, 19, v44
	s_xor_b64 s[18:19], s[16:17], -1
	s_and_b64 s[20:21], s[18:19], vcc
	s_and_saveexec_b64 s[18:19], s[20:21]
	s_cbranch_execz .LBB70_329
; %bb.328:
	v_ashrrev_i32_e32 v45, 31, v44
	v_lshl_add_u64 v[48:49], v[44:45], 2, v[20:21]
	global_load_dword v45, v[48:49], off
	global_load_dword v47, v[20:21], off offset:76
	s_waitcnt vmcnt(1)
	global_store_dword v[20:21], v45, off offset:76
	s_waitcnt vmcnt(1)
	global_store_dword v[48:49], v47, off
.LBB70_329:
	s_or_b64 exec, exec, s[18:19]
	v_mov_b32_e32 v45, v44
	v_mov_b32_e32 v47, v44
.LBB70_330:
	s_or_b64 exec, exec, s[2:3]
.LBB70_331:
	s_andn2_saveexec_b64 s[0:1], s[0:1]
	s_cbranch_execz .LBB70_333
; %bb.332:
	v_mov_b32_e32 v47, 19
	s_waitcnt vmcnt(14)
	ds_write2_b32 v17, v24, v25 offset0:20 offset1:21
	s_waitcnt vmcnt(12)
	ds_write2_b32 v17, v14, v15 offset0:22 offset1:23
	;; [unrolled: 2-line block ×8, first 2 shown]
.LBB70_333:
	s_or_b64 exec, exec, s[0:1]
	v_cmp_lt_i32_e32 vcc, 19, v47
	s_waitcnt lgkmcnt(0)
	s_barrier
	s_and_saveexec_b64 s[0:1], vcc
	s_cbranch_execz .LBB70_335
; %bb.334:
	ds_read2_b32 v[48:49], v17 offset0:20 offset1:21
	ds_read2_b32 v[50:51], v17 offset0:22 offset1:23
	;; [unrolled: 1-line block ×3, first 2 shown]
	v_mul_f32_e32 v44, v46, v31
	ds_read2_b32 v[54:55], v17 offset0:26 offset1:27
	s_waitcnt vmcnt(14) lgkmcnt(3)
	v_pk_fma_f32 v[24:25], v[44:45], v[48:49], v[24:25] op_sel_hi:[0,1,1] neg_lo:[1,0,0] neg_hi:[1,0,0]
	s_waitcnt vmcnt(12) lgkmcnt(2)
	v_pk_fma_f32 v[14:15], v[44:45], v[50:51], v[14:15] op_sel_hi:[0,1,1] neg_lo:[1,0,0] neg_hi:[1,0,0]
	;; [unrolled: 2-line block ×3, first 2 shown]
	ds_read2_b32 v[48:49], v17 offset0:28 offset1:29
	ds_read2_b32 v[50:51], v17 offset0:30 offset1:31
	ds_read2_b32 v[52:53], v17 offset0:32 offset1:33
	ds_read2_b32 v[56:57], v17 offset0:34 offset1:35
	s_waitcnt vmcnt(8) lgkmcnt(4)
	v_pk_fma_f32 v[38:39], v[44:45], v[54:55], v[38:39] op_sel_hi:[0,1,1] neg_lo:[1,0,0] neg_hi:[1,0,0]
	s_waitcnt vmcnt(6) lgkmcnt(3)
	v_pk_fma_f32 v[32:33], v[44:45], v[48:49], v[32:33] op_sel_hi:[0,1,1] neg_lo:[1,0,0] neg_hi:[1,0,0]
	;; [unrolled: 2-line block ×5, first 2 shown]
	v_mov_b32_e32 v31, v44
.LBB70_335:
	s_or_b64 exec, exec, s[0:1]
	v_lshl_add_u32 v44, v47, 2, v17
	s_barrier
	s_waitcnt vmcnt(15)
	ds_write_b32 v44, v24
	s_waitcnt lgkmcnt(0)
	s_barrier
	ds_read_b32 v46, v17 offset:80
	s_cmp_lt_i32 s22, 22
	v_mov_b32_e32 v44, 20
	s_cbranch_scc1 .LBB70_338
; %bb.336:
	v_add_u32_e32 v48, 0x54, v17
	v_mov_b32_e32 v44, 20
	s_mov_b32 s0, 21
.LBB70_337:                             ; =>This Inner Loop Header: Depth=1
	ds_read_b32 v49, v48
	v_mov_b32_e32 v50, s0
	s_add_i32 s0, s0, 1
	v_add_u32_e32 v48, 4, v48
	s_cmp_lg_u32 s22, s0
	s_waitcnt lgkmcnt(0)
	v_cmp_lt_f32_e64 vcc, |v46|, |v49|
	s_nop 1
	v_cndmask_b32_e32 v46, v46, v49, vcc
	v_cndmask_b32_e32 v44, v44, v50, vcc
	s_cbranch_scc1 .LBB70_337
.LBB70_338:
	s_waitcnt lgkmcnt(0)
	v_cmp_eq_f32_e32 vcc, 0, v46
	s_and_saveexec_b64 s[0:1], vcc
	s_xor_b64 s[0:1], exec, s[0:1]
; %bb.339:
	v_cmp_ne_u32_e32 vcc, 0, v19
	s_nop 1
	v_cndmask_b32_e32 v19, 21, v19, vcc
; %bb.340:
	s_andn2_saveexec_b64 s[0:1], s[0:1]
	s_cbranch_execz .LBB70_342
; %bb.341:
	v_div_scale_f32 v48, s[2:3], v46, v46, 1.0
	v_rcp_f32_e32 v49, v48
	v_div_scale_f32 v50, vcc, 1.0, v46, 1.0
	v_fma_f32 v51, -v48, v49, 1.0
	v_fmac_f32_e32 v49, v51, v49
	v_mul_f32_e32 v51, v50, v49
	v_fma_f32 v52, -v48, v51, v50
	v_fmac_f32_e32 v51, v52, v49
	v_fma_f32 v48, -v48, v51, v50
	v_div_fmas_f32 v48, v48, v49, v51
	v_div_fixup_f32 v46, v48, v46, 1.0
.LBB70_342:
	s_or_b64 exec, exec, s[0:1]
	v_cmp_ne_u32_e32 vcc, v47, v44
	s_and_saveexec_b64 s[0:1], vcc
	s_xor_b64 s[0:1], exec, s[0:1]
	s_cbranch_execz .LBB70_348
; %bb.343:
	v_cmp_eq_u32_e32 vcc, 20, v47
	s_and_saveexec_b64 s[2:3], vcc
	s_cbranch_execz .LBB70_347
; %bb.344:
	v_cmp_ne_u32_e32 vcc, 20, v44
	s_xor_b64 s[18:19], s[16:17], -1
	s_and_b64 s[20:21], s[18:19], vcc
	s_and_saveexec_b64 s[18:19], s[20:21]
	s_cbranch_execz .LBB70_346
; %bb.345:
	v_ashrrev_i32_e32 v45, 31, v44
	v_lshl_add_u64 v[48:49], v[44:45], 2, v[20:21]
	global_load_dword v45, v[48:49], off
	global_load_dword v47, v[20:21], off offset:80
	s_waitcnt vmcnt(1)
	global_store_dword v[20:21], v45, off offset:80
	s_waitcnt vmcnt(1)
	global_store_dword v[48:49], v47, off
.LBB70_346:
	s_or_b64 exec, exec, s[18:19]
	v_mov_b32_e32 v45, v44
	v_mov_b32_e32 v47, v44
.LBB70_347:
	s_or_b64 exec, exec, s[2:3]
.LBB70_348:
	s_andn2_saveexec_b64 s[0:1], s[0:1]
	s_cbranch_execz .LBB70_350
; %bb.349:
	s_waitcnt vmcnt(12)
	v_pk_mov_b32 v[48:49], v[24:25], v[14:15] op_sel:[1,0]
	ds_write2_b32 v17, v48, v49 offset0:21 offset1:22
	s_waitcnt vmcnt(10)
	v_pk_mov_b32 v[48:49], v[14:15], v[42:43] op_sel:[1,0]
	ds_write2_b32 v17, v48, v49 offset0:23 offset1:24
	;; [unrolled: 3-line block ×6, first 2 shown]
	s_waitcnt vmcnt(0)
	v_pk_mov_b32 v[48:49], v[40:41], v[36:37] op_sel:[1,0]
	v_mov_b32_e32 v47, 20
	ds_write2_b32 v17, v48, v49 offset0:33 offset1:34
	ds_write_b32 v17, v37 offset:140
.LBB70_350:
	s_or_b64 exec, exec, s[0:1]
	v_cmp_lt_i32_e32 vcc, 20, v47
	s_waitcnt lgkmcnt(0)
	s_barrier
	s_and_saveexec_b64 s[0:1], vcc
	s_cbranch_execz .LBB70_352
; %bb.351:
	ds_read_b32 v44, v17 offset:84
	ds_read2_b32 v[48:49], v17 offset0:22 offset1:23
	ds_read2_b32 v[50:51], v17 offset0:24 offset1:25
	v_mul_f32_e32 v24, v46, v24
	ds_read2_b32 v[52:53], v17 offset0:26 offset1:27
	s_waitcnt vmcnt(14) lgkmcnt(3)
	v_fma_f32 v25, -v24, v44, v25
	s_waitcnt vmcnt(12) lgkmcnt(2)
	v_pk_fma_f32 v[14:15], v[24:25], v[48:49], v[14:15] op_sel_hi:[0,1,1] neg_lo:[1,0,0] neg_hi:[1,0,0]
	s_waitcnt vmcnt(10) lgkmcnt(1)
	v_pk_fma_f32 v[42:43], v[24:25], v[50:51], v[42:43] op_sel_hi:[0,1,1] neg_lo:[1,0,0] neg_hi:[1,0,0]
	ds_read2_b32 v[48:49], v17 offset0:28 offset1:29
	ds_read2_b32 v[50:51], v17 offset0:30 offset1:31
	;; [unrolled: 1-line block ×4, first 2 shown]
	s_waitcnt vmcnt(8) lgkmcnt(4)
	v_pk_fma_f32 v[38:39], v[24:25], v[52:53], v[38:39] op_sel_hi:[0,1,1] neg_lo:[1,0,0] neg_hi:[1,0,0]
	s_waitcnt vmcnt(6) lgkmcnt(3)
	v_pk_fma_f32 v[32:33], v[24:25], v[48:49], v[32:33] op_sel_hi:[0,1,1] neg_lo:[1,0,0] neg_hi:[1,0,0]
	;; [unrolled: 2-line block ×5, first 2 shown]
.LBB70_352:
	s_or_b64 exec, exec, s[0:1]
	v_lshl_add_u32 v44, v47, 2, v17
	s_barrier
	s_waitcnt vmcnt(14)
	ds_write_b32 v44, v25
	s_waitcnt lgkmcnt(0)
	s_barrier
	ds_read_b32 v46, v17 offset:84
	s_cmp_lt_i32 s22, 23
	v_mov_b32_e32 v44, 21
	s_cbranch_scc1 .LBB70_355
; %bb.353:
	v_add_u32_e32 v48, 0x58, v17
	v_mov_b32_e32 v44, 21
	s_mov_b32 s0, 22
.LBB70_354:                             ; =>This Inner Loop Header: Depth=1
	ds_read_b32 v49, v48
	v_mov_b32_e32 v50, s0
	s_add_i32 s0, s0, 1
	v_add_u32_e32 v48, 4, v48
	s_cmp_lg_u32 s22, s0
	s_waitcnt lgkmcnt(0)
	v_cmp_lt_f32_e64 vcc, |v46|, |v49|
	s_nop 1
	v_cndmask_b32_e32 v46, v46, v49, vcc
	v_cndmask_b32_e32 v44, v44, v50, vcc
	s_cbranch_scc1 .LBB70_354
.LBB70_355:
	s_waitcnt lgkmcnt(0)
	v_cmp_eq_f32_e32 vcc, 0, v46
	s_and_saveexec_b64 s[0:1], vcc
	s_xor_b64 s[0:1], exec, s[0:1]
; %bb.356:
	v_cmp_ne_u32_e32 vcc, 0, v19
	s_nop 1
	v_cndmask_b32_e32 v19, 22, v19, vcc
; %bb.357:
	s_andn2_saveexec_b64 s[0:1], s[0:1]
	s_cbranch_execz .LBB70_359
; %bb.358:
	v_div_scale_f32 v48, s[2:3], v46, v46, 1.0
	v_rcp_f32_e32 v49, v48
	v_div_scale_f32 v50, vcc, 1.0, v46, 1.0
	v_fma_f32 v51, -v48, v49, 1.0
	v_fmac_f32_e32 v49, v51, v49
	v_mul_f32_e32 v51, v50, v49
	v_fma_f32 v52, -v48, v51, v50
	v_fmac_f32_e32 v51, v52, v49
	v_fma_f32 v48, -v48, v51, v50
	v_div_fmas_f32 v48, v48, v49, v51
	v_div_fixup_f32 v46, v48, v46, 1.0
.LBB70_359:
	s_or_b64 exec, exec, s[0:1]
	v_cmp_ne_u32_e32 vcc, v47, v44
	s_and_saveexec_b64 s[0:1], vcc
	s_xor_b64 s[0:1], exec, s[0:1]
	s_cbranch_execz .LBB70_365
; %bb.360:
	v_cmp_eq_u32_e32 vcc, 21, v47
	s_and_saveexec_b64 s[2:3], vcc
	s_cbranch_execz .LBB70_364
; %bb.361:
	v_cmp_ne_u32_e32 vcc, 21, v44
	s_xor_b64 s[18:19], s[16:17], -1
	s_and_b64 s[20:21], s[18:19], vcc
	s_and_saveexec_b64 s[18:19], s[20:21]
	s_cbranch_execz .LBB70_363
; %bb.362:
	v_ashrrev_i32_e32 v45, 31, v44
	v_lshl_add_u64 v[48:49], v[44:45], 2, v[20:21]
	global_load_dword v45, v[48:49], off
	global_load_dword v47, v[20:21], off offset:84
	s_waitcnt vmcnt(1)
	global_store_dword v[20:21], v45, off offset:84
	s_waitcnt vmcnt(1)
	global_store_dword v[48:49], v47, off
.LBB70_363:
	s_or_b64 exec, exec, s[18:19]
	v_mov_b32_e32 v45, v44
	v_mov_b32_e32 v47, v44
.LBB70_364:
	s_or_b64 exec, exec, s[2:3]
.LBB70_365:
	s_andn2_saveexec_b64 s[0:1], s[0:1]
	s_cbranch_execz .LBB70_367
; %bb.366:
	v_mov_b32_e32 v47, 21
	s_waitcnt vmcnt(12)
	ds_write2_b32 v17, v14, v15 offset0:22 offset1:23
	s_waitcnt vmcnt(10)
	ds_write2_b32 v17, v42, v43 offset0:24 offset1:25
	;; [unrolled: 2-line block ×7, first 2 shown]
.LBB70_367:
	s_or_b64 exec, exec, s[0:1]
	v_cmp_lt_i32_e32 vcc, 21, v47
	s_waitcnt lgkmcnt(0)
	s_barrier
	s_and_saveexec_b64 s[0:1], vcc
	s_cbranch_execz .LBB70_369
; %bb.368:
	ds_read2_b32 v[48:49], v17 offset0:22 offset1:23
	ds_read2_b32 v[50:51], v17 offset0:24 offset1:25
	v_mul_f32_e32 v44, v46, v25
	ds_read2_b32 v[52:53], v17 offset0:26 offset1:27
	ds_read2_b32 v[54:55], v17 offset0:28 offset1:29
	v_mov_b32_e32 v25, v44
	s_waitcnt vmcnt(12) lgkmcnt(3)
	v_pk_fma_f32 v[14:15], v[44:45], v[48:49], v[14:15] op_sel_hi:[0,1,1] neg_lo:[1,0,0] neg_hi:[1,0,0]
	s_waitcnt vmcnt(10) lgkmcnt(2)
	v_pk_fma_f32 v[42:43], v[44:45], v[50:51], v[42:43] op_sel_hi:[0,1,1] neg_lo:[1,0,0] neg_hi:[1,0,0]
	ds_read2_b32 v[48:49], v17 offset0:30 offset1:31
	ds_read2_b32 v[50:51], v17 offset0:32 offset1:33
	ds_read2_b32 v[56:57], v17 offset0:34 offset1:35
	s_waitcnt vmcnt(8) lgkmcnt(4)
	v_pk_fma_f32 v[38:39], v[44:45], v[52:53], v[38:39] op_sel_hi:[0,1,1] neg_lo:[1,0,0] neg_hi:[1,0,0]
	s_waitcnt vmcnt(6) lgkmcnt(3)
	v_pk_fma_f32 v[32:33], v[44:45], v[54:55], v[32:33] op_sel_hi:[0,1,1] neg_lo:[1,0,0] neg_hi:[1,0,0]
	s_waitcnt vmcnt(4) lgkmcnt(2)
	v_pk_fma_f32 v[26:27], v[44:45], v[48:49], v[26:27] op_sel_hi:[0,1,1] neg_lo:[1,0,0] neg_hi:[1,0,0]
	s_waitcnt vmcnt(2) lgkmcnt(1)
	v_pk_fma_f32 v[40:41], v[44:45], v[50:51], v[40:41] op_sel_hi:[0,1,1] neg_lo:[1,0,0] neg_hi:[1,0,0]
	s_waitcnt vmcnt(0) lgkmcnt(0)
	v_pk_fma_f32 v[36:37], v[44:45], v[56:57], v[36:37] op_sel_hi:[0,1,1] neg_lo:[1,0,0] neg_hi:[1,0,0]
.LBB70_369:
	s_or_b64 exec, exec, s[0:1]
	v_lshl_add_u32 v44, v47, 2, v17
	s_barrier
	s_waitcnt vmcnt(13)
	ds_write_b32 v44, v14
	s_waitcnt lgkmcnt(0)
	s_barrier
	ds_read_b32 v46, v17 offset:88
	s_cmp_lt_i32 s22, 24
	v_mov_b32_e32 v44, 22
	s_cbranch_scc1 .LBB70_372
; %bb.370:
	v_add_u32_e32 v48, 0x5c, v17
	v_mov_b32_e32 v44, 22
	s_mov_b32 s0, 23
.LBB70_371:                             ; =>This Inner Loop Header: Depth=1
	ds_read_b32 v49, v48
	v_mov_b32_e32 v50, s0
	s_add_i32 s0, s0, 1
	v_add_u32_e32 v48, 4, v48
	s_cmp_lg_u32 s22, s0
	s_waitcnt lgkmcnt(0)
	v_cmp_lt_f32_e64 vcc, |v46|, |v49|
	s_nop 1
	v_cndmask_b32_e32 v46, v46, v49, vcc
	v_cndmask_b32_e32 v44, v44, v50, vcc
	s_cbranch_scc1 .LBB70_371
.LBB70_372:
	s_waitcnt lgkmcnt(0)
	v_cmp_eq_f32_e32 vcc, 0, v46
	s_and_saveexec_b64 s[0:1], vcc
	s_xor_b64 s[0:1], exec, s[0:1]
; %bb.373:
	v_cmp_ne_u32_e32 vcc, 0, v19
	s_nop 1
	v_cndmask_b32_e32 v19, 23, v19, vcc
; %bb.374:
	s_andn2_saveexec_b64 s[0:1], s[0:1]
	s_cbranch_execz .LBB70_376
; %bb.375:
	v_div_scale_f32 v48, s[2:3], v46, v46, 1.0
	v_rcp_f32_e32 v49, v48
	v_div_scale_f32 v50, vcc, 1.0, v46, 1.0
	v_fma_f32 v51, -v48, v49, 1.0
	v_fmac_f32_e32 v49, v51, v49
	v_mul_f32_e32 v51, v50, v49
	v_fma_f32 v52, -v48, v51, v50
	v_fmac_f32_e32 v51, v52, v49
	v_fma_f32 v48, -v48, v51, v50
	v_div_fmas_f32 v48, v48, v49, v51
	v_div_fixup_f32 v46, v48, v46, 1.0
.LBB70_376:
	s_or_b64 exec, exec, s[0:1]
	v_cmp_ne_u32_e32 vcc, v47, v44
	s_and_saveexec_b64 s[0:1], vcc
	s_xor_b64 s[0:1], exec, s[0:1]
	s_cbranch_execz .LBB70_382
; %bb.377:
	v_cmp_eq_u32_e32 vcc, 22, v47
	s_and_saveexec_b64 s[2:3], vcc
	s_cbranch_execz .LBB70_381
; %bb.378:
	v_cmp_ne_u32_e32 vcc, 22, v44
	s_xor_b64 s[18:19], s[16:17], -1
	s_and_b64 s[20:21], s[18:19], vcc
	s_and_saveexec_b64 s[18:19], s[20:21]
	s_cbranch_execz .LBB70_380
; %bb.379:
	v_ashrrev_i32_e32 v45, 31, v44
	v_lshl_add_u64 v[48:49], v[44:45], 2, v[20:21]
	global_load_dword v45, v[48:49], off
	global_load_dword v47, v[20:21], off offset:88
	s_waitcnt vmcnt(1)
	global_store_dword v[20:21], v45, off offset:88
	s_waitcnt vmcnt(1)
	global_store_dword v[48:49], v47, off
.LBB70_380:
	s_or_b64 exec, exec, s[18:19]
	v_mov_b32_e32 v45, v44
	v_mov_b32_e32 v47, v44
.LBB70_381:
	s_or_b64 exec, exec, s[2:3]
.LBB70_382:
	s_andn2_saveexec_b64 s[0:1], s[0:1]
	s_cbranch_execz .LBB70_384
; %bb.383:
	s_waitcnt vmcnt(10)
	v_pk_mov_b32 v[48:49], v[14:15], v[42:43] op_sel:[1,0]
	ds_write2_b32 v17, v48, v49 offset0:23 offset1:24
	s_waitcnt vmcnt(8)
	v_pk_mov_b32 v[48:49], v[42:43], v[38:39] op_sel:[1,0]
	ds_write2_b32 v17, v48, v49 offset0:25 offset1:26
	;; [unrolled: 3-line block ×5, first 2 shown]
	s_waitcnt vmcnt(0)
	v_pk_mov_b32 v[48:49], v[40:41], v[36:37] op_sel:[1,0]
	v_mov_b32_e32 v47, 22
	ds_write2_b32 v17, v48, v49 offset0:33 offset1:34
	ds_write_b32 v17, v37 offset:140
.LBB70_384:
	s_or_b64 exec, exec, s[0:1]
	v_cmp_lt_i32_e32 vcc, 22, v47
	s_waitcnt lgkmcnt(0)
	s_barrier
	s_and_saveexec_b64 s[0:1], vcc
	s_cbranch_execz .LBB70_386
; %bb.385:
	ds_read_b32 v44, v17 offset:92
	ds_read2_b32 v[48:49], v17 offset0:24 offset1:25
	v_mul_f32_e32 v14, v46, v14
	ds_read2_b32 v[50:51], v17 offset0:26 offset1:27
	ds_read2_b32 v[52:53], v17 offset0:28 offset1:29
	s_waitcnt vmcnt(12) lgkmcnt(3)
	v_fma_f32 v15, -v14, v44, v15
	s_waitcnt vmcnt(10) lgkmcnt(2)
	v_pk_fma_f32 v[42:43], v[14:15], v[48:49], v[42:43] op_sel_hi:[0,1,1] neg_lo:[1,0,0] neg_hi:[1,0,0]
	ds_read2_b32 v[48:49], v17 offset0:30 offset1:31
	ds_read2_b32 v[54:55], v17 offset0:32 offset1:33
	;; [unrolled: 1-line block ×3, first 2 shown]
	s_waitcnt vmcnt(8) lgkmcnt(4)
	v_pk_fma_f32 v[38:39], v[14:15], v[50:51], v[38:39] op_sel_hi:[0,1,1] neg_lo:[1,0,0] neg_hi:[1,0,0]
	s_waitcnt vmcnt(6) lgkmcnt(3)
	v_pk_fma_f32 v[32:33], v[14:15], v[52:53], v[32:33] op_sel_hi:[0,1,1] neg_lo:[1,0,0] neg_hi:[1,0,0]
	;; [unrolled: 2-line block ×5, first 2 shown]
.LBB70_386:
	s_or_b64 exec, exec, s[0:1]
	v_lshl_add_u32 v44, v47, 2, v17
	s_barrier
	s_waitcnt vmcnt(12)
	ds_write_b32 v44, v15
	s_waitcnt lgkmcnt(0)
	s_barrier
	ds_read_b32 v46, v17 offset:92
	s_cmp_lt_i32 s22, 25
	v_mov_b32_e32 v44, 23
	s_cbranch_scc1 .LBB70_389
; %bb.387:
	v_add_u32_e32 v48, 0x60, v17
	v_mov_b32_e32 v44, 23
	s_mov_b32 s0, 24
.LBB70_388:                             ; =>This Inner Loop Header: Depth=1
	ds_read_b32 v49, v48
	v_mov_b32_e32 v50, s0
	s_add_i32 s0, s0, 1
	v_add_u32_e32 v48, 4, v48
	s_cmp_lg_u32 s22, s0
	s_waitcnt lgkmcnt(0)
	v_cmp_lt_f32_e64 vcc, |v46|, |v49|
	s_nop 1
	v_cndmask_b32_e32 v46, v46, v49, vcc
	v_cndmask_b32_e32 v44, v44, v50, vcc
	s_cbranch_scc1 .LBB70_388
.LBB70_389:
	s_waitcnt lgkmcnt(0)
	v_cmp_eq_f32_e32 vcc, 0, v46
	s_and_saveexec_b64 s[0:1], vcc
	s_xor_b64 s[0:1], exec, s[0:1]
; %bb.390:
	v_cmp_ne_u32_e32 vcc, 0, v19
	s_nop 1
	v_cndmask_b32_e32 v19, 24, v19, vcc
; %bb.391:
	s_andn2_saveexec_b64 s[0:1], s[0:1]
	s_cbranch_execz .LBB70_393
; %bb.392:
	v_div_scale_f32 v48, s[2:3], v46, v46, 1.0
	v_rcp_f32_e32 v49, v48
	v_div_scale_f32 v50, vcc, 1.0, v46, 1.0
	v_fma_f32 v51, -v48, v49, 1.0
	v_fmac_f32_e32 v49, v51, v49
	v_mul_f32_e32 v51, v50, v49
	v_fma_f32 v52, -v48, v51, v50
	v_fmac_f32_e32 v51, v52, v49
	v_fma_f32 v48, -v48, v51, v50
	v_div_fmas_f32 v48, v48, v49, v51
	v_div_fixup_f32 v46, v48, v46, 1.0
.LBB70_393:
	s_or_b64 exec, exec, s[0:1]
	v_cmp_ne_u32_e32 vcc, v47, v44
	s_and_saveexec_b64 s[0:1], vcc
	s_xor_b64 s[0:1], exec, s[0:1]
	s_cbranch_execz .LBB70_399
; %bb.394:
	v_cmp_eq_u32_e32 vcc, 23, v47
	s_and_saveexec_b64 s[2:3], vcc
	s_cbranch_execz .LBB70_398
; %bb.395:
	v_cmp_ne_u32_e32 vcc, 23, v44
	s_xor_b64 s[18:19], s[16:17], -1
	s_and_b64 s[20:21], s[18:19], vcc
	s_and_saveexec_b64 s[18:19], s[20:21]
	s_cbranch_execz .LBB70_397
; %bb.396:
	v_ashrrev_i32_e32 v45, 31, v44
	v_lshl_add_u64 v[48:49], v[44:45], 2, v[20:21]
	global_load_dword v45, v[48:49], off
	global_load_dword v47, v[20:21], off offset:92
	s_waitcnt vmcnt(1)
	global_store_dword v[20:21], v45, off offset:92
	s_waitcnt vmcnt(1)
	global_store_dword v[48:49], v47, off
.LBB70_397:
	s_or_b64 exec, exec, s[18:19]
	v_mov_b32_e32 v45, v44
	v_mov_b32_e32 v47, v44
.LBB70_398:
	s_or_b64 exec, exec, s[2:3]
.LBB70_399:
	s_andn2_saveexec_b64 s[0:1], s[0:1]
	s_cbranch_execz .LBB70_401
; %bb.400:
	v_mov_b32_e32 v47, 23
	s_waitcnt vmcnt(10)
	ds_write2_b32 v17, v42, v43 offset0:24 offset1:25
	s_waitcnt vmcnt(8)
	ds_write2_b32 v17, v38, v39 offset0:26 offset1:27
	;; [unrolled: 2-line block ×6, first 2 shown]
.LBB70_401:
	s_or_b64 exec, exec, s[0:1]
	v_cmp_lt_i32_e32 vcc, 23, v47
	s_waitcnt lgkmcnt(0)
	s_barrier
	s_and_saveexec_b64 s[0:1], vcc
	s_cbranch_execz .LBB70_403
; %bb.402:
	ds_read2_b32 v[48:49], v17 offset0:24 offset1:25
	v_mul_f32_e32 v44, v46, v15
	ds_read2_b32 v[50:51], v17 offset0:26 offset1:27
	ds_read2_b32 v[52:53], v17 offset0:28 offset1:29
	;; [unrolled: 1-line block ×3, first 2 shown]
	v_mov_b32_e32 v15, v44
	s_waitcnt vmcnt(8) lgkmcnt(2)
	v_pk_fma_f32 v[38:39], v[44:45], v[50:51], v[38:39] op_sel_hi:[0,1,1] neg_lo:[1,0,0] neg_hi:[1,0,0]
	v_pk_fma_f32 v[42:43], v[44:45], v[48:49], v[42:43] op_sel_hi:[0,1,1] neg_lo:[1,0,0] neg_hi:[1,0,0]
	ds_read2_b32 v[48:49], v17 offset0:32 offset1:33
	ds_read2_b32 v[56:57], v17 offset0:34 offset1:35
	s_waitcnt vmcnt(6) lgkmcnt(3)
	v_pk_fma_f32 v[32:33], v[44:45], v[52:53], v[32:33] op_sel_hi:[0,1,1] neg_lo:[1,0,0] neg_hi:[1,0,0]
	s_waitcnt vmcnt(4) lgkmcnt(2)
	v_pk_fma_f32 v[26:27], v[44:45], v[54:55], v[26:27] op_sel_hi:[0,1,1] neg_lo:[1,0,0] neg_hi:[1,0,0]
	;; [unrolled: 2-line block ×4, first 2 shown]
.LBB70_403:
	s_or_b64 exec, exec, s[0:1]
	v_lshl_add_u32 v44, v47, 2, v17
	s_barrier
	s_waitcnt vmcnt(11)
	ds_write_b32 v44, v42
	s_waitcnt lgkmcnt(0)
	s_barrier
	ds_read_b32 v46, v17 offset:96
	s_cmp_lt_i32 s22, 26
	v_mov_b32_e32 v44, 24
	s_cbranch_scc1 .LBB70_406
; %bb.404:
	v_add_u32_e32 v48, 0x64, v17
	v_mov_b32_e32 v44, 24
	s_mov_b32 s0, 25
.LBB70_405:                             ; =>This Inner Loop Header: Depth=1
	ds_read_b32 v49, v48
	v_mov_b32_e32 v50, s0
	s_add_i32 s0, s0, 1
	v_add_u32_e32 v48, 4, v48
	s_cmp_lg_u32 s22, s0
	s_waitcnt lgkmcnt(0)
	v_cmp_lt_f32_e64 vcc, |v46|, |v49|
	s_nop 1
	v_cndmask_b32_e32 v46, v46, v49, vcc
	v_cndmask_b32_e32 v44, v44, v50, vcc
	s_cbranch_scc1 .LBB70_405
.LBB70_406:
	s_waitcnt lgkmcnt(0)
	v_cmp_eq_f32_e32 vcc, 0, v46
	s_and_saveexec_b64 s[0:1], vcc
	s_xor_b64 s[0:1], exec, s[0:1]
; %bb.407:
	v_cmp_ne_u32_e32 vcc, 0, v19
	s_nop 1
	v_cndmask_b32_e32 v19, 25, v19, vcc
; %bb.408:
	s_andn2_saveexec_b64 s[0:1], s[0:1]
	s_cbranch_execz .LBB70_410
; %bb.409:
	v_div_scale_f32 v48, s[2:3], v46, v46, 1.0
	v_rcp_f32_e32 v49, v48
	v_div_scale_f32 v50, vcc, 1.0, v46, 1.0
	v_fma_f32 v51, -v48, v49, 1.0
	v_fmac_f32_e32 v49, v51, v49
	v_mul_f32_e32 v51, v50, v49
	v_fma_f32 v52, -v48, v51, v50
	v_fmac_f32_e32 v51, v52, v49
	v_fma_f32 v48, -v48, v51, v50
	v_div_fmas_f32 v48, v48, v49, v51
	v_div_fixup_f32 v46, v48, v46, 1.0
.LBB70_410:
	s_or_b64 exec, exec, s[0:1]
	v_cmp_ne_u32_e32 vcc, v47, v44
	s_and_saveexec_b64 s[0:1], vcc
	s_xor_b64 s[0:1], exec, s[0:1]
	s_cbranch_execz .LBB70_416
; %bb.411:
	v_cmp_eq_u32_e32 vcc, 24, v47
	s_and_saveexec_b64 s[2:3], vcc
	s_cbranch_execz .LBB70_415
; %bb.412:
	v_cmp_ne_u32_e32 vcc, 24, v44
	s_xor_b64 s[18:19], s[16:17], -1
	s_and_b64 s[20:21], s[18:19], vcc
	s_and_saveexec_b64 s[18:19], s[20:21]
	s_cbranch_execz .LBB70_414
; %bb.413:
	v_ashrrev_i32_e32 v45, 31, v44
	v_lshl_add_u64 v[48:49], v[44:45], 2, v[20:21]
	global_load_dword v45, v[48:49], off
	global_load_dword v47, v[20:21], off offset:96
	s_waitcnt vmcnt(1)
	global_store_dword v[20:21], v45, off offset:96
	s_waitcnt vmcnt(1)
	global_store_dword v[48:49], v47, off
.LBB70_414:
	s_or_b64 exec, exec, s[18:19]
	v_mov_b32_e32 v45, v44
	v_mov_b32_e32 v47, v44
.LBB70_415:
	s_or_b64 exec, exec, s[2:3]
.LBB70_416:
	s_andn2_saveexec_b64 s[0:1], s[0:1]
	s_cbranch_execz .LBB70_418
; %bb.417:
	s_waitcnt vmcnt(8)
	v_pk_mov_b32 v[48:49], v[42:43], v[38:39] op_sel:[1,0]
	ds_write2_b32 v17, v48, v49 offset0:25 offset1:26
	s_waitcnt vmcnt(6)
	v_pk_mov_b32 v[48:49], v[38:39], v[32:33] op_sel:[1,0]
	ds_write2_b32 v17, v48, v49 offset0:27 offset1:28
	;; [unrolled: 3-line block ×4, first 2 shown]
	s_waitcnt vmcnt(0)
	v_pk_mov_b32 v[48:49], v[40:41], v[36:37] op_sel:[1,0]
	v_mov_b32_e32 v47, 24
	ds_write2_b32 v17, v48, v49 offset0:33 offset1:34
	ds_write_b32 v17, v37 offset:140
.LBB70_418:
	s_or_b64 exec, exec, s[0:1]
	v_cmp_lt_i32_e32 vcc, 24, v47
	s_waitcnt lgkmcnt(0)
	s_barrier
	s_and_saveexec_b64 s[0:1], vcc
	s_cbranch_execz .LBB70_420
; %bb.419:
	ds_read_b32 v44, v17 offset:100
	ds_read2_b32 v[48:49], v17 offset0:26 offset1:27
	ds_read2_b32 v[50:51], v17 offset0:28 offset1:29
	;; [unrolled: 1-line block ×5, first 2 shown]
	v_mul_f32_e32 v42, v46, v42
	s_waitcnt vmcnt(10) lgkmcnt(5)
	v_fma_f32 v43, -v42, v44, v43
	s_waitcnt vmcnt(8) lgkmcnt(4)
	v_pk_fma_f32 v[38:39], v[42:43], v[48:49], v[38:39] op_sel_hi:[0,1,1] neg_lo:[1,0,0] neg_hi:[1,0,0]
	s_waitcnt vmcnt(6) lgkmcnt(3)
	v_pk_fma_f32 v[32:33], v[42:43], v[50:51], v[32:33] op_sel_hi:[0,1,1] neg_lo:[1,0,0] neg_hi:[1,0,0]
	;; [unrolled: 2-line block ×5, first 2 shown]
.LBB70_420:
	s_or_b64 exec, exec, s[0:1]
	v_lshl_add_u32 v44, v47, 2, v17
	s_barrier
	s_waitcnt vmcnt(10)
	ds_write_b32 v44, v43
	s_waitcnt lgkmcnt(0)
	s_barrier
	ds_read_b32 v46, v17 offset:100
	s_cmp_lt_i32 s22, 27
	v_mov_b32_e32 v44, 25
	s_cbranch_scc1 .LBB70_423
; %bb.421:
	v_add_u32_e32 v48, 0x68, v17
	v_mov_b32_e32 v44, 25
	s_mov_b32 s0, 26
.LBB70_422:                             ; =>This Inner Loop Header: Depth=1
	ds_read_b32 v49, v48
	v_mov_b32_e32 v50, s0
	s_add_i32 s0, s0, 1
	v_add_u32_e32 v48, 4, v48
	s_cmp_lg_u32 s22, s0
	s_waitcnt lgkmcnt(0)
	v_cmp_lt_f32_e64 vcc, |v46|, |v49|
	s_nop 1
	v_cndmask_b32_e32 v46, v46, v49, vcc
	v_cndmask_b32_e32 v44, v44, v50, vcc
	s_cbranch_scc1 .LBB70_422
.LBB70_423:
	s_waitcnt lgkmcnt(0)
	v_cmp_eq_f32_e32 vcc, 0, v46
	s_and_saveexec_b64 s[0:1], vcc
	s_xor_b64 s[0:1], exec, s[0:1]
; %bb.424:
	v_cmp_ne_u32_e32 vcc, 0, v19
	s_nop 1
	v_cndmask_b32_e32 v19, 26, v19, vcc
; %bb.425:
	s_andn2_saveexec_b64 s[0:1], s[0:1]
	s_cbranch_execz .LBB70_427
; %bb.426:
	v_div_scale_f32 v48, s[2:3], v46, v46, 1.0
	v_rcp_f32_e32 v49, v48
	v_div_scale_f32 v50, vcc, 1.0, v46, 1.0
	v_fma_f32 v51, -v48, v49, 1.0
	v_fmac_f32_e32 v49, v51, v49
	v_mul_f32_e32 v51, v50, v49
	v_fma_f32 v52, -v48, v51, v50
	v_fmac_f32_e32 v51, v52, v49
	v_fma_f32 v48, -v48, v51, v50
	v_div_fmas_f32 v48, v48, v49, v51
	v_div_fixup_f32 v46, v48, v46, 1.0
.LBB70_427:
	s_or_b64 exec, exec, s[0:1]
	v_cmp_ne_u32_e32 vcc, v47, v44
	s_and_saveexec_b64 s[0:1], vcc
	s_xor_b64 s[0:1], exec, s[0:1]
	s_cbranch_execz .LBB70_433
; %bb.428:
	v_cmp_eq_u32_e32 vcc, 25, v47
	s_and_saveexec_b64 s[2:3], vcc
	s_cbranch_execz .LBB70_432
; %bb.429:
	v_cmp_ne_u32_e32 vcc, 25, v44
	s_xor_b64 s[18:19], s[16:17], -1
	s_and_b64 s[20:21], s[18:19], vcc
	s_and_saveexec_b64 s[18:19], s[20:21]
	s_cbranch_execz .LBB70_431
; %bb.430:
	v_ashrrev_i32_e32 v45, 31, v44
	v_lshl_add_u64 v[48:49], v[44:45], 2, v[20:21]
	global_load_dword v45, v[48:49], off
	global_load_dword v47, v[20:21], off offset:100
	s_waitcnt vmcnt(1)
	global_store_dword v[20:21], v45, off offset:100
	s_waitcnt vmcnt(1)
	global_store_dword v[48:49], v47, off
.LBB70_431:
	s_or_b64 exec, exec, s[18:19]
	v_mov_b32_e32 v45, v44
	v_mov_b32_e32 v47, v44
.LBB70_432:
	s_or_b64 exec, exec, s[2:3]
.LBB70_433:
	s_andn2_saveexec_b64 s[0:1], s[0:1]
	s_cbranch_execz .LBB70_435
; %bb.434:
	v_mov_b32_e32 v47, 25
	s_waitcnt vmcnt(8)
	ds_write2_b32 v17, v38, v39 offset0:26 offset1:27
	s_waitcnt vmcnt(6)
	ds_write2_b32 v17, v32, v33 offset0:28 offset1:29
	;; [unrolled: 2-line block ×5, first 2 shown]
.LBB70_435:
	s_or_b64 exec, exec, s[0:1]
	v_cmp_lt_i32_e32 vcc, 25, v47
	s_waitcnt lgkmcnt(0)
	s_barrier
	s_and_saveexec_b64 s[0:1], vcc
	s_cbranch_execz .LBB70_437
; %bb.436:
	ds_read2_b32 v[48:49], v17 offset0:26 offset1:27
	ds_read2_b32 v[50:51], v17 offset0:28 offset1:29
	;; [unrolled: 1-line block ×5, first 2 shown]
	v_mul_f32_e32 v44, v46, v43
	s_waitcnt vmcnt(8) lgkmcnt(4)
	v_pk_fma_f32 v[38:39], v[44:45], v[48:49], v[38:39] op_sel_hi:[0,1,1] neg_lo:[1,0,0] neg_hi:[1,0,0]
	s_waitcnt vmcnt(6) lgkmcnt(3)
	v_pk_fma_f32 v[32:33], v[44:45], v[50:51], v[32:33] op_sel_hi:[0,1,1] neg_lo:[1,0,0] neg_hi:[1,0,0]
	;; [unrolled: 2-line block ×5, first 2 shown]
	v_mov_b32_e32 v43, v44
.LBB70_437:
	s_or_b64 exec, exec, s[0:1]
	v_lshl_add_u32 v44, v47, 2, v17
	s_barrier
	s_waitcnt vmcnt(9)
	ds_write_b32 v44, v38
	s_waitcnt lgkmcnt(0)
	s_barrier
	ds_read_b32 v46, v17 offset:104
	s_cmp_lt_i32 s22, 28
	v_mov_b32_e32 v44, 26
	s_cbranch_scc1 .LBB70_440
; %bb.438:
	v_add_u32_e32 v48, 0x6c, v17
	v_mov_b32_e32 v44, 26
	s_mov_b32 s0, 27
.LBB70_439:                             ; =>This Inner Loop Header: Depth=1
	ds_read_b32 v49, v48
	v_mov_b32_e32 v50, s0
	s_add_i32 s0, s0, 1
	v_add_u32_e32 v48, 4, v48
	s_cmp_lg_u32 s22, s0
	s_waitcnt lgkmcnt(0)
	v_cmp_lt_f32_e64 vcc, |v46|, |v49|
	s_nop 1
	v_cndmask_b32_e32 v46, v46, v49, vcc
	v_cndmask_b32_e32 v44, v44, v50, vcc
	s_cbranch_scc1 .LBB70_439
.LBB70_440:
	s_waitcnt lgkmcnt(0)
	v_cmp_eq_f32_e32 vcc, 0, v46
	s_and_saveexec_b64 s[0:1], vcc
	s_xor_b64 s[0:1], exec, s[0:1]
; %bb.441:
	v_cmp_ne_u32_e32 vcc, 0, v19
	s_nop 1
	v_cndmask_b32_e32 v19, 27, v19, vcc
; %bb.442:
	s_andn2_saveexec_b64 s[0:1], s[0:1]
	s_cbranch_execz .LBB70_444
; %bb.443:
	v_div_scale_f32 v48, s[2:3], v46, v46, 1.0
	v_rcp_f32_e32 v49, v48
	v_div_scale_f32 v50, vcc, 1.0, v46, 1.0
	v_fma_f32 v51, -v48, v49, 1.0
	v_fmac_f32_e32 v49, v51, v49
	v_mul_f32_e32 v51, v50, v49
	v_fma_f32 v52, -v48, v51, v50
	v_fmac_f32_e32 v51, v52, v49
	v_fma_f32 v48, -v48, v51, v50
	v_div_fmas_f32 v48, v48, v49, v51
	v_div_fixup_f32 v46, v48, v46, 1.0
.LBB70_444:
	s_or_b64 exec, exec, s[0:1]
	v_cmp_ne_u32_e32 vcc, v47, v44
	s_and_saveexec_b64 s[0:1], vcc
	s_xor_b64 s[0:1], exec, s[0:1]
	s_cbranch_execz .LBB70_450
; %bb.445:
	v_cmp_eq_u32_e32 vcc, 26, v47
	s_and_saveexec_b64 s[2:3], vcc
	s_cbranch_execz .LBB70_449
; %bb.446:
	v_cmp_ne_u32_e32 vcc, 26, v44
	s_xor_b64 s[18:19], s[16:17], -1
	s_and_b64 s[20:21], s[18:19], vcc
	s_and_saveexec_b64 s[18:19], s[20:21]
	s_cbranch_execz .LBB70_448
; %bb.447:
	v_ashrrev_i32_e32 v45, 31, v44
	v_lshl_add_u64 v[48:49], v[44:45], 2, v[20:21]
	global_load_dword v45, v[48:49], off
	global_load_dword v47, v[20:21], off offset:104
	s_waitcnt vmcnt(1)
	global_store_dword v[20:21], v45, off offset:104
	s_waitcnt vmcnt(1)
	global_store_dword v[48:49], v47, off
.LBB70_448:
	s_or_b64 exec, exec, s[18:19]
	v_mov_b32_e32 v45, v44
	v_mov_b32_e32 v47, v44
.LBB70_449:
	s_or_b64 exec, exec, s[2:3]
.LBB70_450:
	s_andn2_saveexec_b64 s[0:1], s[0:1]
	s_cbranch_execz .LBB70_452
; %bb.451:
	s_waitcnt vmcnt(6)
	v_pk_mov_b32 v[48:49], v[38:39], v[32:33] op_sel:[1,0]
	ds_write2_b32 v17, v48, v49 offset0:27 offset1:28
	s_waitcnt vmcnt(4)
	v_pk_mov_b32 v[48:49], v[32:33], v[26:27] op_sel:[1,0]
	ds_write2_b32 v17, v48, v49 offset0:29 offset1:30
	;; [unrolled: 3-line block ×3, first 2 shown]
	s_waitcnt vmcnt(0)
	v_pk_mov_b32 v[48:49], v[40:41], v[36:37] op_sel:[1,0]
	v_mov_b32_e32 v47, 26
	ds_write2_b32 v17, v48, v49 offset0:33 offset1:34
	ds_write_b32 v17, v37 offset:140
.LBB70_452:
	s_or_b64 exec, exec, s[0:1]
	v_cmp_lt_i32_e32 vcc, 26, v47
	s_waitcnt lgkmcnt(0)
	s_barrier
	s_and_saveexec_b64 s[0:1], vcc
	s_cbranch_execz .LBB70_454
; %bb.453:
	ds_read_b32 v44, v17 offset:108
	ds_read2_b32 v[48:49], v17 offset0:28 offset1:29
	ds_read2_b32 v[50:51], v17 offset0:30 offset1:31
	;; [unrolled: 1-line block ×4, first 2 shown]
	v_mul_f32_e32 v38, v46, v38
	s_waitcnt vmcnt(8) lgkmcnt(4)
	v_fma_f32 v39, -v38, v44, v39
	s_waitcnt vmcnt(6) lgkmcnt(3)
	v_pk_fma_f32 v[32:33], v[38:39], v[48:49], v[32:33] op_sel_hi:[0,1,1] neg_lo:[1,0,0] neg_hi:[1,0,0]
	s_waitcnt vmcnt(4) lgkmcnt(2)
	v_pk_fma_f32 v[26:27], v[38:39], v[50:51], v[26:27] op_sel_hi:[0,1,1] neg_lo:[1,0,0] neg_hi:[1,0,0]
	;; [unrolled: 2-line block ×4, first 2 shown]
.LBB70_454:
	s_or_b64 exec, exec, s[0:1]
	v_lshl_add_u32 v44, v47, 2, v17
	s_barrier
	s_waitcnt vmcnt(8)
	ds_write_b32 v44, v39
	s_waitcnt lgkmcnt(0)
	s_barrier
	ds_read_b32 v46, v17 offset:108
	s_cmp_lt_i32 s22, 29
	v_mov_b32_e32 v44, 27
	s_cbranch_scc1 .LBB70_457
; %bb.455:
	v_add_u32_e32 v48, 0x70, v17
	v_mov_b32_e32 v44, 27
	s_mov_b32 s0, 28
.LBB70_456:                             ; =>This Inner Loop Header: Depth=1
	ds_read_b32 v49, v48
	v_mov_b32_e32 v50, s0
	s_add_i32 s0, s0, 1
	v_add_u32_e32 v48, 4, v48
	s_cmp_lg_u32 s22, s0
	s_waitcnt lgkmcnt(0)
	v_cmp_lt_f32_e64 vcc, |v46|, |v49|
	s_nop 1
	v_cndmask_b32_e32 v46, v46, v49, vcc
	v_cndmask_b32_e32 v44, v44, v50, vcc
	s_cbranch_scc1 .LBB70_456
.LBB70_457:
	s_waitcnt lgkmcnt(0)
	v_cmp_eq_f32_e32 vcc, 0, v46
	s_and_saveexec_b64 s[0:1], vcc
	s_xor_b64 s[0:1], exec, s[0:1]
; %bb.458:
	v_cmp_ne_u32_e32 vcc, 0, v19
	s_nop 1
	v_cndmask_b32_e32 v19, 28, v19, vcc
; %bb.459:
	s_andn2_saveexec_b64 s[0:1], s[0:1]
	s_cbranch_execz .LBB70_461
; %bb.460:
	v_div_scale_f32 v48, s[2:3], v46, v46, 1.0
	v_rcp_f32_e32 v49, v48
	v_div_scale_f32 v50, vcc, 1.0, v46, 1.0
	v_fma_f32 v51, -v48, v49, 1.0
	v_fmac_f32_e32 v49, v51, v49
	v_mul_f32_e32 v51, v50, v49
	v_fma_f32 v52, -v48, v51, v50
	v_fmac_f32_e32 v51, v52, v49
	v_fma_f32 v48, -v48, v51, v50
	v_div_fmas_f32 v48, v48, v49, v51
	v_div_fixup_f32 v46, v48, v46, 1.0
.LBB70_461:
	s_or_b64 exec, exec, s[0:1]
	v_cmp_ne_u32_e32 vcc, v47, v44
	s_and_saveexec_b64 s[0:1], vcc
	s_xor_b64 s[0:1], exec, s[0:1]
	s_cbranch_execz .LBB70_467
; %bb.462:
	v_cmp_eq_u32_e32 vcc, 27, v47
	s_and_saveexec_b64 s[2:3], vcc
	s_cbranch_execz .LBB70_466
; %bb.463:
	v_cmp_ne_u32_e32 vcc, 27, v44
	s_xor_b64 s[18:19], s[16:17], -1
	s_and_b64 s[20:21], s[18:19], vcc
	s_and_saveexec_b64 s[18:19], s[20:21]
	s_cbranch_execz .LBB70_465
; %bb.464:
	v_ashrrev_i32_e32 v45, 31, v44
	v_lshl_add_u64 v[48:49], v[44:45], 2, v[20:21]
	global_load_dword v45, v[48:49], off
	global_load_dword v47, v[20:21], off offset:108
	s_waitcnt vmcnt(1)
	global_store_dword v[20:21], v45, off offset:108
	s_waitcnt vmcnt(1)
	global_store_dword v[48:49], v47, off
.LBB70_465:
	s_or_b64 exec, exec, s[18:19]
	v_mov_b32_e32 v45, v44
	v_mov_b32_e32 v47, v44
.LBB70_466:
	s_or_b64 exec, exec, s[2:3]
.LBB70_467:
	s_andn2_saveexec_b64 s[0:1], s[0:1]
	s_cbranch_execz .LBB70_469
; %bb.468:
	v_mov_b32_e32 v47, 27
	s_waitcnt vmcnt(6)
	ds_write2_b32 v17, v32, v33 offset0:28 offset1:29
	s_waitcnt vmcnt(4)
	ds_write2_b32 v17, v26, v27 offset0:30 offset1:31
	;; [unrolled: 2-line block ×4, first 2 shown]
.LBB70_469:
	s_or_b64 exec, exec, s[0:1]
	v_cmp_lt_i32_e32 vcc, 27, v47
	s_waitcnt lgkmcnt(0)
	s_barrier
	s_and_saveexec_b64 s[0:1], vcc
	s_cbranch_execz .LBB70_471
; %bb.470:
	ds_read2_b32 v[48:49], v17 offset0:28 offset1:29
	ds_read2_b32 v[50:51], v17 offset0:30 offset1:31
	ds_read2_b32 v[52:53], v17 offset0:32 offset1:33
	ds_read2_b32 v[54:55], v17 offset0:34 offset1:35
	v_mul_f32_e32 v44, v46, v39
	s_waitcnt vmcnt(6) lgkmcnt(3)
	v_pk_fma_f32 v[32:33], v[44:45], v[48:49], v[32:33] op_sel_hi:[0,1,1] neg_lo:[1,0,0] neg_hi:[1,0,0]
	s_waitcnt vmcnt(4) lgkmcnt(2)
	v_pk_fma_f32 v[26:27], v[44:45], v[50:51], v[26:27] op_sel_hi:[0,1,1] neg_lo:[1,0,0] neg_hi:[1,0,0]
	;; [unrolled: 2-line block ×4, first 2 shown]
	v_mov_b32_e32 v39, v44
.LBB70_471:
	s_or_b64 exec, exec, s[0:1]
	v_lshl_add_u32 v44, v47, 2, v17
	s_barrier
	s_waitcnt vmcnt(7)
	ds_write_b32 v44, v32
	s_waitcnt lgkmcnt(0)
	s_barrier
	ds_read_b32 v46, v17 offset:112
	s_cmp_lt_i32 s22, 30
	v_mov_b32_e32 v44, 28
	s_cbranch_scc1 .LBB70_474
; %bb.472:
	v_add_u32_e32 v48, 0x74, v17
	v_mov_b32_e32 v44, 28
	s_mov_b32 s0, 29
.LBB70_473:                             ; =>This Inner Loop Header: Depth=1
	ds_read_b32 v49, v48
	v_mov_b32_e32 v50, s0
	s_add_i32 s0, s0, 1
	v_add_u32_e32 v48, 4, v48
	s_cmp_lg_u32 s22, s0
	s_waitcnt lgkmcnt(0)
	v_cmp_lt_f32_e64 vcc, |v46|, |v49|
	s_nop 1
	v_cndmask_b32_e32 v46, v46, v49, vcc
	v_cndmask_b32_e32 v44, v44, v50, vcc
	s_cbranch_scc1 .LBB70_473
.LBB70_474:
	s_waitcnt lgkmcnt(0)
	v_cmp_eq_f32_e32 vcc, 0, v46
	s_and_saveexec_b64 s[0:1], vcc
	s_xor_b64 s[0:1], exec, s[0:1]
; %bb.475:
	v_cmp_ne_u32_e32 vcc, 0, v19
	s_nop 1
	v_cndmask_b32_e32 v19, 29, v19, vcc
; %bb.476:
	s_andn2_saveexec_b64 s[0:1], s[0:1]
	s_cbranch_execz .LBB70_478
; %bb.477:
	v_div_scale_f32 v48, s[2:3], v46, v46, 1.0
	v_rcp_f32_e32 v49, v48
	v_div_scale_f32 v50, vcc, 1.0, v46, 1.0
	v_fma_f32 v51, -v48, v49, 1.0
	v_fmac_f32_e32 v49, v51, v49
	v_mul_f32_e32 v51, v50, v49
	v_fma_f32 v52, -v48, v51, v50
	v_fmac_f32_e32 v51, v52, v49
	v_fma_f32 v48, -v48, v51, v50
	v_div_fmas_f32 v48, v48, v49, v51
	v_div_fixup_f32 v46, v48, v46, 1.0
.LBB70_478:
	s_or_b64 exec, exec, s[0:1]
	v_cmp_ne_u32_e32 vcc, v47, v44
	s_and_saveexec_b64 s[0:1], vcc
	s_xor_b64 s[0:1], exec, s[0:1]
	s_cbranch_execz .LBB70_484
; %bb.479:
	v_cmp_eq_u32_e32 vcc, 28, v47
	s_and_saveexec_b64 s[2:3], vcc
	s_cbranch_execz .LBB70_483
; %bb.480:
	v_cmp_ne_u32_e32 vcc, 28, v44
	s_xor_b64 s[18:19], s[16:17], -1
	s_and_b64 s[20:21], s[18:19], vcc
	s_and_saveexec_b64 s[18:19], s[20:21]
	s_cbranch_execz .LBB70_482
; %bb.481:
	v_ashrrev_i32_e32 v45, 31, v44
	v_lshl_add_u64 v[48:49], v[44:45], 2, v[20:21]
	global_load_dword v45, v[48:49], off
	global_load_dword v47, v[20:21], off offset:112
	s_waitcnt vmcnt(1)
	global_store_dword v[20:21], v45, off offset:112
	s_waitcnt vmcnt(1)
	global_store_dword v[48:49], v47, off
.LBB70_482:
	s_or_b64 exec, exec, s[18:19]
	v_mov_b32_e32 v45, v44
	v_mov_b32_e32 v47, v44
.LBB70_483:
	s_or_b64 exec, exec, s[2:3]
.LBB70_484:
	s_andn2_saveexec_b64 s[0:1], s[0:1]
	s_cbranch_execz .LBB70_486
; %bb.485:
	s_waitcnt vmcnt(4)
	v_pk_mov_b32 v[48:49], v[32:33], v[26:27] op_sel:[1,0]
	ds_write2_b32 v17, v48, v49 offset0:29 offset1:30
	s_waitcnt vmcnt(2)
	v_pk_mov_b32 v[48:49], v[26:27], v[40:41] op_sel:[1,0]
	ds_write2_b32 v17, v48, v49 offset0:31 offset1:32
	s_waitcnt vmcnt(0)
	v_pk_mov_b32 v[48:49], v[40:41], v[36:37] op_sel:[1,0]
	v_mov_b32_e32 v47, 28
	ds_write2_b32 v17, v48, v49 offset0:33 offset1:34
	ds_write_b32 v17, v37 offset:140
.LBB70_486:
	s_or_b64 exec, exec, s[0:1]
	v_cmp_lt_i32_e32 vcc, 28, v47
	s_waitcnt lgkmcnt(0)
	s_barrier
	s_and_saveexec_b64 s[0:1], vcc
	s_cbranch_execz .LBB70_488
; %bb.487:
	ds_read_b32 v44, v17 offset:116
	ds_read2_b32 v[48:49], v17 offset0:30 offset1:31
	ds_read2_b32 v[50:51], v17 offset0:32 offset1:33
	;; [unrolled: 1-line block ×3, first 2 shown]
	v_mul_f32_e32 v32, v46, v32
	s_waitcnt vmcnt(6) lgkmcnt(3)
	v_fma_f32 v33, -v32, v44, v33
	s_waitcnt vmcnt(4) lgkmcnt(2)
	v_pk_fma_f32 v[26:27], v[32:33], v[48:49], v[26:27] op_sel_hi:[0,1,1] neg_lo:[1,0,0] neg_hi:[1,0,0]
	s_waitcnt vmcnt(2) lgkmcnt(1)
	v_pk_fma_f32 v[40:41], v[32:33], v[50:51], v[40:41] op_sel_hi:[0,1,1] neg_lo:[1,0,0] neg_hi:[1,0,0]
	;; [unrolled: 2-line block ×3, first 2 shown]
.LBB70_488:
	s_or_b64 exec, exec, s[0:1]
	v_lshl_add_u32 v44, v47, 2, v17
	s_barrier
	s_waitcnt vmcnt(6)
	ds_write_b32 v44, v33
	s_waitcnt lgkmcnt(0)
	s_barrier
	ds_read_b32 v46, v17 offset:116
	s_cmp_lt_i32 s22, 31
	v_mov_b32_e32 v44, 29
	s_cbranch_scc1 .LBB70_491
; %bb.489:
	v_add_u32_e32 v48, 0x78, v17
	v_mov_b32_e32 v44, 29
	s_mov_b32 s0, 30
.LBB70_490:                             ; =>This Inner Loop Header: Depth=1
	ds_read_b32 v49, v48
	v_mov_b32_e32 v50, s0
	s_add_i32 s0, s0, 1
	v_add_u32_e32 v48, 4, v48
	s_cmp_lg_u32 s22, s0
	s_waitcnt lgkmcnt(0)
	v_cmp_lt_f32_e64 vcc, |v46|, |v49|
	s_nop 1
	v_cndmask_b32_e32 v46, v46, v49, vcc
	v_cndmask_b32_e32 v44, v44, v50, vcc
	s_cbranch_scc1 .LBB70_490
.LBB70_491:
	s_waitcnt lgkmcnt(0)
	v_cmp_eq_f32_e32 vcc, 0, v46
	s_and_saveexec_b64 s[0:1], vcc
	s_xor_b64 s[0:1], exec, s[0:1]
; %bb.492:
	v_cmp_ne_u32_e32 vcc, 0, v19
	s_nop 1
	v_cndmask_b32_e32 v19, 30, v19, vcc
; %bb.493:
	s_andn2_saveexec_b64 s[0:1], s[0:1]
	s_cbranch_execz .LBB70_495
; %bb.494:
	v_div_scale_f32 v48, s[2:3], v46, v46, 1.0
	v_rcp_f32_e32 v49, v48
	v_div_scale_f32 v50, vcc, 1.0, v46, 1.0
	v_fma_f32 v51, -v48, v49, 1.0
	v_fmac_f32_e32 v49, v51, v49
	v_mul_f32_e32 v51, v50, v49
	v_fma_f32 v52, -v48, v51, v50
	v_fmac_f32_e32 v51, v52, v49
	v_fma_f32 v48, -v48, v51, v50
	v_div_fmas_f32 v48, v48, v49, v51
	v_div_fixup_f32 v46, v48, v46, 1.0
.LBB70_495:
	s_or_b64 exec, exec, s[0:1]
	v_cmp_ne_u32_e32 vcc, v47, v44
	s_and_saveexec_b64 s[0:1], vcc
	s_xor_b64 s[0:1], exec, s[0:1]
	s_cbranch_execz .LBB70_501
; %bb.496:
	v_cmp_eq_u32_e32 vcc, 29, v47
	s_and_saveexec_b64 s[2:3], vcc
	s_cbranch_execz .LBB70_500
; %bb.497:
	v_cmp_ne_u32_e32 vcc, 29, v44
	s_xor_b64 s[18:19], s[16:17], -1
	s_and_b64 s[20:21], s[18:19], vcc
	s_and_saveexec_b64 s[18:19], s[20:21]
	s_cbranch_execz .LBB70_499
; %bb.498:
	v_ashrrev_i32_e32 v45, 31, v44
	v_lshl_add_u64 v[48:49], v[44:45], 2, v[20:21]
	global_load_dword v45, v[48:49], off
	global_load_dword v47, v[20:21], off offset:116
	s_waitcnt vmcnt(1)
	global_store_dword v[20:21], v45, off offset:116
	s_waitcnt vmcnt(1)
	global_store_dword v[48:49], v47, off
.LBB70_499:
	s_or_b64 exec, exec, s[18:19]
	v_mov_b32_e32 v45, v44
	v_mov_b32_e32 v47, v44
.LBB70_500:
	s_or_b64 exec, exec, s[2:3]
.LBB70_501:
	s_andn2_saveexec_b64 s[0:1], s[0:1]
	s_cbranch_execz .LBB70_503
; %bb.502:
	v_mov_b32_e32 v47, 29
	s_waitcnt vmcnt(4)
	ds_write2_b32 v17, v26, v27 offset0:30 offset1:31
	s_waitcnt vmcnt(2)
	ds_write2_b32 v17, v40, v41 offset0:32 offset1:33
	;; [unrolled: 2-line block ×3, first 2 shown]
.LBB70_503:
	s_or_b64 exec, exec, s[0:1]
	v_cmp_lt_i32_e32 vcc, 29, v47
	s_waitcnt lgkmcnt(0)
	s_barrier
	s_and_saveexec_b64 s[0:1], vcc
	s_cbranch_execz .LBB70_505
; %bb.504:
	ds_read2_b32 v[48:49], v17 offset0:30 offset1:31
	ds_read2_b32 v[50:51], v17 offset0:32 offset1:33
	;; [unrolled: 1-line block ×3, first 2 shown]
	v_mul_f32_e32 v44, v46, v33
	v_mov_b32_e32 v33, v44
	s_waitcnt vmcnt(4) lgkmcnt(2)
	v_pk_fma_f32 v[26:27], v[44:45], v[48:49], v[26:27] op_sel_hi:[0,1,1] neg_lo:[1,0,0] neg_hi:[1,0,0]
	s_waitcnt vmcnt(2) lgkmcnt(1)
	v_pk_fma_f32 v[40:41], v[44:45], v[50:51], v[40:41] op_sel_hi:[0,1,1] neg_lo:[1,0,0] neg_hi:[1,0,0]
	;; [unrolled: 2-line block ×3, first 2 shown]
.LBB70_505:
	s_or_b64 exec, exec, s[0:1]
	v_lshl_add_u32 v44, v47, 2, v17
	s_barrier
	s_waitcnt vmcnt(5)
	ds_write_b32 v44, v26
	s_waitcnt lgkmcnt(0)
	s_barrier
	ds_read_b32 v46, v17 offset:120
	s_cmp_lt_i32 s22, 32
	v_mov_b32_e32 v44, 30
	s_cbranch_scc1 .LBB70_508
; %bb.506:
	v_add_u32_e32 v48, 0x7c, v17
	v_mov_b32_e32 v44, 30
	s_mov_b32 s0, 31
.LBB70_507:                             ; =>This Inner Loop Header: Depth=1
	ds_read_b32 v49, v48
	v_mov_b32_e32 v50, s0
	s_add_i32 s0, s0, 1
	v_add_u32_e32 v48, 4, v48
	s_cmp_lg_u32 s22, s0
	s_waitcnt lgkmcnt(0)
	v_cmp_lt_f32_e64 vcc, |v46|, |v49|
	s_nop 1
	v_cndmask_b32_e32 v46, v46, v49, vcc
	v_cndmask_b32_e32 v44, v44, v50, vcc
	s_cbranch_scc1 .LBB70_507
.LBB70_508:
	s_waitcnt lgkmcnt(0)
	v_cmp_eq_f32_e32 vcc, 0, v46
	s_and_saveexec_b64 s[0:1], vcc
	s_xor_b64 s[0:1], exec, s[0:1]
; %bb.509:
	v_cmp_ne_u32_e32 vcc, 0, v19
	s_nop 1
	v_cndmask_b32_e32 v19, 31, v19, vcc
; %bb.510:
	s_andn2_saveexec_b64 s[0:1], s[0:1]
	s_cbranch_execz .LBB70_512
; %bb.511:
	v_div_scale_f32 v48, s[2:3], v46, v46, 1.0
	v_rcp_f32_e32 v49, v48
	v_div_scale_f32 v50, vcc, 1.0, v46, 1.0
	v_fma_f32 v51, -v48, v49, 1.0
	v_fmac_f32_e32 v49, v51, v49
	v_mul_f32_e32 v51, v50, v49
	v_fma_f32 v52, -v48, v51, v50
	v_fmac_f32_e32 v51, v52, v49
	v_fma_f32 v48, -v48, v51, v50
	v_div_fmas_f32 v48, v48, v49, v51
	v_div_fixup_f32 v46, v48, v46, 1.0
.LBB70_512:
	s_or_b64 exec, exec, s[0:1]
	v_cmp_ne_u32_e32 vcc, v47, v44
	s_and_saveexec_b64 s[0:1], vcc
	s_xor_b64 s[0:1], exec, s[0:1]
	s_cbranch_execz .LBB70_518
; %bb.513:
	v_cmp_eq_u32_e32 vcc, 30, v47
	s_and_saveexec_b64 s[2:3], vcc
	s_cbranch_execz .LBB70_517
; %bb.514:
	v_cmp_ne_u32_e32 vcc, 30, v44
	s_xor_b64 s[18:19], s[16:17], -1
	s_and_b64 s[20:21], s[18:19], vcc
	s_and_saveexec_b64 s[18:19], s[20:21]
	s_cbranch_execz .LBB70_516
; %bb.515:
	v_ashrrev_i32_e32 v45, 31, v44
	v_lshl_add_u64 v[48:49], v[44:45], 2, v[20:21]
	global_load_dword v45, v[48:49], off
	global_load_dword v47, v[20:21], off offset:120
	s_waitcnt vmcnt(1)
	global_store_dword v[20:21], v45, off offset:120
	s_waitcnt vmcnt(1)
	global_store_dword v[48:49], v47, off
.LBB70_516:
	s_or_b64 exec, exec, s[18:19]
	v_mov_b32_e32 v45, v44
	v_mov_b32_e32 v47, v44
.LBB70_517:
	s_or_b64 exec, exec, s[2:3]
.LBB70_518:
	s_andn2_saveexec_b64 s[0:1], s[0:1]
	s_cbranch_execz .LBB70_520
; %bb.519:
	s_waitcnt vmcnt(2)
	v_pk_mov_b32 v[48:49], v[26:27], v[40:41] op_sel:[1,0]
	ds_write2_b32 v17, v48, v49 offset0:31 offset1:32
	s_waitcnt vmcnt(0)
	v_pk_mov_b32 v[48:49], v[40:41], v[36:37] op_sel:[1,0]
	v_mov_b32_e32 v47, 30
	ds_write2_b32 v17, v48, v49 offset0:33 offset1:34
	ds_write_b32 v17, v37 offset:140
.LBB70_520:
	s_or_b64 exec, exec, s[0:1]
	v_cmp_lt_i32_e32 vcc, 30, v47
	s_waitcnt lgkmcnt(0)
	s_barrier
	s_and_saveexec_b64 s[0:1], vcc
	s_cbranch_execz .LBB70_522
; %bb.521:
	ds_read_b32 v44, v17 offset:124
	ds_read2_b32 v[48:49], v17 offset0:32 offset1:33
	ds_read2_b32 v[50:51], v17 offset0:34 offset1:35
	v_mul_f32_e32 v26, v46, v26
	s_waitcnt vmcnt(4) lgkmcnt(2)
	v_fma_f32 v27, -v26, v44, v27
	s_waitcnt vmcnt(2) lgkmcnt(1)
	v_pk_fma_f32 v[40:41], v[26:27], v[48:49], v[40:41] op_sel_hi:[0,1,1] neg_lo:[1,0,0] neg_hi:[1,0,0]
	s_waitcnt vmcnt(0) lgkmcnt(0)
	v_pk_fma_f32 v[36:37], v[26:27], v[50:51], v[36:37] op_sel_hi:[0,1,1] neg_lo:[1,0,0] neg_hi:[1,0,0]
.LBB70_522:
	s_or_b64 exec, exec, s[0:1]
	v_lshl_add_u32 v44, v47, 2, v17
	s_barrier
	s_waitcnt vmcnt(4)
	ds_write_b32 v44, v27
	s_waitcnt lgkmcnt(0)
	s_barrier
	ds_read_b32 v46, v17 offset:124
	s_cmp_lt_i32 s22, 33
	v_mov_b32_e32 v44, 31
	s_cbranch_scc1 .LBB70_525
; %bb.523:
	v_add_u32_e32 v48, 0x80, v17
	v_mov_b32_e32 v44, 31
	s_mov_b32 s0, 32
.LBB70_524:                             ; =>This Inner Loop Header: Depth=1
	ds_read_b32 v49, v48
	v_mov_b32_e32 v50, s0
	s_add_i32 s0, s0, 1
	v_add_u32_e32 v48, 4, v48
	s_cmp_lg_u32 s22, s0
	s_waitcnt lgkmcnt(0)
	v_cmp_lt_f32_e64 vcc, |v46|, |v49|
	s_nop 1
	v_cndmask_b32_e32 v46, v46, v49, vcc
	v_cndmask_b32_e32 v44, v44, v50, vcc
	s_cbranch_scc1 .LBB70_524
.LBB70_525:
	s_waitcnt lgkmcnt(0)
	v_cmp_eq_f32_e32 vcc, 0, v46
	s_and_saveexec_b64 s[0:1], vcc
	s_xor_b64 s[0:1], exec, s[0:1]
; %bb.526:
	v_cmp_ne_u32_e32 vcc, 0, v19
	s_nop 1
	v_cndmask_b32_e32 v19, 32, v19, vcc
; %bb.527:
	s_andn2_saveexec_b64 s[0:1], s[0:1]
	s_cbranch_execz .LBB70_529
; %bb.528:
	v_div_scale_f32 v48, s[2:3], v46, v46, 1.0
	v_rcp_f32_e32 v49, v48
	v_div_scale_f32 v50, vcc, 1.0, v46, 1.0
	v_fma_f32 v51, -v48, v49, 1.0
	v_fmac_f32_e32 v49, v51, v49
	v_mul_f32_e32 v51, v50, v49
	v_fma_f32 v52, -v48, v51, v50
	v_fmac_f32_e32 v51, v52, v49
	v_fma_f32 v48, -v48, v51, v50
	v_div_fmas_f32 v48, v48, v49, v51
	v_div_fixup_f32 v46, v48, v46, 1.0
.LBB70_529:
	s_or_b64 exec, exec, s[0:1]
	v_cmp_ne_u32_e32 vcc, v47, v44
	s_and_saveexec_b64 s[0:1], vcc
	s_xor_b64 s[0:1], exec, s[0:1]
	s_cbranch_execz .LBB70_535
; %bb.530:
	v_cmp_eq_u32_e32 vcc, 31, v47
	s_and_saveexec_b64 s[2:3], vcc
	s_cbranch_execz .LBB70_534
; %bb.531:
	v_cmp_ne_u32_e32 vcc, 31, v44
	s_xor_b64 s[18:19], s[16:17], -1
	s_and_b64 s[20:21], s[18:19], vcc
	s_and_saveexec_b64 s[18:19], s[20:21]
	s_cbranch_execz .LBB70_533
; %bb.532:
	v_ashrrev_i32_e32 v45, 31, v44
	v_lshl_add_u64 v[48:49], v[44:45], 2, v[20:21]
	global_load_dword v45, v[48:49], off
	global_load_dword v47, v[20:21], off offset:124
	s_waitcnt vmcnt(1)
	global_store_dword v[20:21], v45, off offset:124
	s_waitcnt vmcnt(1)
	global_store_dword v[48:49], v47, off
.LBB70_533:
	s_or_b64 exec, exec, s[18:19]
	v_mov_b32_e32 v45, v44
	v_mov_b32_e32 v47, v44
.LBB70_534:
	s_or_b64 exec, exec, s[2:3]
.LBB70_535:
	s_andn2_saveexec_b64 s[0:1], s[0:1]
	s_cbranch_execz .LBB70_537
; %bb.536:
	v_mov_b32_e32 v47, 31
	s_waitcnt vmcnt(2)
	ds_write2_b32 v17, v40, v41 offset0:32 offset1:33
	s_waitcnt vmcnt(0)
	ds_write2_b32 v17, v36, v37 offset0:34 offset1:35
.LBB70_537:
	s_or_b64 exec, exec, s[0:1]
	v_cmp_lt_i32_e32 vcc, 31, v47
	s_waitcnt lgkmcnt(0)
	s_barrier
	s_and_saveexec_b64 s[0:1], vcc
	s_cbranch_execz .LBB70_539
; %bb.538:
	ds_read2_b32 v[48:49], v17 offset0:32 offset1:33
	ds_read2_b32 v[50:51], v17 offset0:34 offset1:35
	v_mul_f32_e32 v44, v46, v27
	v_mov_b32_e32 v27, v44
	s_waitcnt vmcnt(2) lgkmcnt(1)
	v_pk_fma_f32 v[40:41], v[44:45], v[48:49], v[40:41] op_sel_hi:[0,1,1] neg_lo:[1,0,0] neg_hi:[1,0,0]
	s_waitcnt vmcnt(0) lgkmcnt(0)
	v_pk_fma_f32 v[36:37], v[44:45], v[50:51], v[36:37] op_sel_hi:[0,1,1] neg_lo:[1,0,0] neg_hi:[1,0,0]
.LBB70_539:
	s_or_b64 exec, exec, s[0:1]
	v_lshl_add_u32 v44, v47, 2, v17
	s_barrier
	s_waitcnt vmcnt(3)
	ds_write_b32 v44, v40
	s_waitcnt lgkmcnt(0)
	s_barrier
	ds_read_b32 v46, v17 offset:128
	s_cmp_lt_i32 s22, 34
	v_mov_b32_e32 v44, 32
	s_cbranch_scc1 .LBB70_542
; %bb.540:
	v_add_u32_e32 v48, 0x84, v17
	v_mov_b32_e32 v44, 32
	s_mov_b32 s0, 33
.LBB70_541:                             ; =>This Inner Loop Header: Depth=1
	ds_read_b32 v49, v48
	v_mov_b32_e32 v50, s0
	s_add_i32 s0, s0, 1
	v_add_u32_e32 v48, 4, v48
	s_cmp_lg_u32 s22, s0
	s_waitcnt lgkmcnt(0)
	v_cmp_lt_f32_e64 vcc, |v46|, |v49|
	s_nop 1
	v_cndmask_b32_e32 v46, v46, v49, vcc
	v_cndmask_b32_e32 v44, v44, v50, vcc
	s_cbranch_scc1 .LBB70_541
.LBB70_542:
	s_waitcnt lgkmcnt(0)
	v_cmp_eq_f32_e32 vcc, 0, v46
	s_and_saveexec_b64 s[0:1], vcc
	s_xor_b64 s[0:1], exec, s[0:1]
; %bb.543:
	v_cmp_ne_u32_e32 vcc, 0, v19
	s_nop 1
	v_cndmask_b32_e32 v19, 33, v19, vcc
; %bb.544:
	s_andn2_saveexec_b64 s[0:1], s[0:1]
	s_cbranch_execz .LBB70_546
; %bb.545:
	v_div_scale_f32 v48, s[2:3], v46, v46, 1.0
	v_rcp_f32_e32 v49, v48
	v_div_scale_f32 v50, vcc, 1.0, v46, 1.0
	v_fma_f32 v51, -v48, v49, 1.0
	v_fmac_f32_e32 v49, v51, v49
	v_mul_f32_e32 v51, v50, v49
	v_fma_f32 v52, -v48, v51, v50
	v_fmac_f32_e32 v51, v52, v49
	v_fma_f32 v48, -v48, v51, v50
	v_div_fmas_f32 v48, v48, v49, v51
	v_div_fixup_f32 v46, v48, v46, 1.0
.LBB70_546:
	s_or_b64 exec, exec, s[0:1]
	v_cmp_ne_u32_e32 vcc, v47, v44
	s_and_saveexec_b64 s[0:1], vcc
	s_xor_b64 s[0:1], exec, s[0:1]
	s_cbranch_execz .LBB70_552
; %bb.547:
	v_cmp_eq_u32_e32 vcc, 32, v47
	s_and_saveexec_b64 s[2:3], vcc
	s_cbranch_execz .LBB70_551
; %bb.548:
	v_cmp_ne_u32_e32 vcc, 32, v44
	s_xor_b64 s[18:19], s[16:17], -1
	s_and_b64 s[20:21], s[18:19], vcc
	s_and_saveexec_b64 s[18:19], s[20:21]
	s_cbranch_execz .LBB70_550
; %bb.549:
	v_ashrrev_i32_e32 v45, 31, v44
	v_lshl_add_u64 v[48:49], v[44:45], 2, v[20:21]
	global_load_dword v45, v[48:49], off
	global_load_dword v47, v[20:21], off offset:128
	s_waitcnt vmcnt(1)
	global_store_dword v[20:21], v45, off offset:128
	s_waitcnt vmcnt(1)
	global_store_dword v[48:49], v47, off
.LBB70_550:
	s_or_b64 exec, exec, s[18:19]
	v_mov_b32_e32 v45, v44
	v_mov_b32_e32 v47, v44
.LBB70_551:
	s_or_b64 exec, exec, s[2:3]
.LBB70_552:
	s_andn2_saveexec_b64 s[0:1], s[0:1]
	s_cbranch_execz .LBB70_554
; %bb.553:
	s_waitcnt vmcnt(0)
	v_pk_mov_b32 v[48:49], v[40:41], v[36:37] op_sel:[1,0]
	v_mov_b32_e32 v47, 32
	ds_write2_b32 v17, v48, v49 offset0:33 offset1:34
	ds_write_b32 v17, v37 offset:140
.LBB70_554:
	s_or_b64 exec, exec, s[0:1]
	v_cmp_lt_i32_e32 vcc, 32, v47
	s_waitcnt lgkmcnt(0)
	s_barrier
	s_and_saveexec_b64 s[0:1], vcc
	s_cbranch_execz .LBB70_556
; %bb.555:
	ds_read_b32 v44, v17 offset:132
	ds_read2_b32 v[48:49], v17 offset0:34 offset1:35
	v_mul_f32_e32 v40, v46, v40
	s_waitcnt vmcnt(2) lgkmcnt(1)
	v_fma_f32 v41, -v40, v44, v41
	s_waitcnt vmcnt(0) lgkmcnt(0)
	v_pk_fma_f32 v[36:37], v[40:41], v[48:49], v[36:37] op_sel_hi:[0,1,1] neg_lo:[1,0,0] neg_hi:[1,0,0]
.LBB70_556:
	s_or_b64 exec, exec, s[0:1]
	v_lshl_add_u32 v44, v47, 2, v17
	s_barrier
	s_waitcnt vmcnt(2)
	ds_write_b32 v44, v41
	s_waitcnt lgkmcnt(0)
	s_barrier
	ds_read_b32 v46, v17 offset:132
	s_cmp_lt_i32 s22, 35
	v_mov_b32_e32 v44, 33
	s_cbranch_scc1 .LBB70_559
; %bb.557:
	v_add_u32_e32 v48, 0x88, v17
	v_mov_b32_e32 v44, 33
	s_mov_b32 s0, 34
.LBB70_558:                             ; =>This Inner Loop Header: Depth=1
	ds_read_b32 v49, v48
	v_mov_b32_e32 v50, s0
	s_add_i32 s0, s0, 1
	v_add_u32_e32 v48, 4, v48
	s_cmp_lg_u32 s22, s0
	s_waitcnt lgkmcnt(0)
	v_cmp_lt_f32_e64 vcc, |v46|, |v49|
	s_nop 1
	v_cndmask_b32_e32 v46, v46, v49, vcc
	v_cndmask_b32_e32 v44, v44, v50, vcc
	s_cbranch_scc1 .LBB70_558
.LBB70_559:
	s_waitcnt lgkmcnt(0)
	v_cmp_eq_f32_e32 vcc, 0, v46
	s_and_saveexec_b64 s[0:1], vcc
	s_xor_b64 s[0:1], exec, s[0:1]
; %bb.560:
	v_cmp_ne_u32_e32 vcc, 0, v19
	s_nop 1
	v_cndmask_b32_e32 v19, 34, v19, vcc
; %bb.561:
	s_andn2_saveexec_b64 s[0:1], s[0:1]
	s_cbranch_execz .LBB70_563
; %bb.562:
	v_div_scale_f32 v48, s[2:3], v46, v46, 1.0
	v_rcp_f32_e32 v49, v48
	v_div_scale_f32 v50, vcc, 1.0, v46, 1.0
	v_fma_f32 v51, -v48, v49, 1.0
	v_fmac_f32_e32 v49, v51, v49
	v_mul_f32_e32 v51, v50, v49
	v_fma_f32 v52, -v48, v51, v50
	v_fmac_f32_e32 v51, v52, v49
	v_fma_f32 v48, -v48, v51, v50
	v_div_fmas_f32 v48, v48, v49, v51
	v_div_fixup_f32 v46, v48, v46, 1.0
.LBB70_563:
	s_or_b64 exec, exec, s[0:1]
	v_cmp_ne_u32_e32 vcc, v47, v44
	s_and_saveexec_b64 s[0:1], vcc
	s_xor_b64 s[0:1], exec, s[0:1]
	s_cbranch_execz .LBB70_569
; %bb.564:
	v_cmp_eq_u32_e32 vcc, 33, v47
	s_and_saveexec_b64 s[2:3], vcc
	s_cbranch_execz .LBB70_568
; %bb.565:
	v_cmp_ne_u32_e32 vcc, 33, v44
	s_xor_b64 s[18:19], s[16:17], -1
	s_and_b64 s[20:21], s[18:19], vcc
	s_and_saveexec_b64 s[18:19], s[20:21]
	s_cbranch_execz .LBB70_567
; %bb.566:
	v_ashrrev_i32_e32 v45, 31, v44
	v_lshl_add_u64 v[48:49], v[44:45], 2, v[20:21]
	global_load_dword v45, v[48:49], off
	global_load_dword v47, v[20:21], off offset:132
	s_waitcnt vmcnt(1)
	global_store_dword v[20:21], v45, off offset:132
	s_waitcnt vmcnt(1)
	global_store_dword v[48:49], v47, off
.LBB70_567:
	s_or_b64 exec, exec, s[18:19]
	v_mov_b32_e32 v45, v44
	v_mov_b32_e32 v47, v44
.LBB70_568:
	s_or_b64 exec, exec, s[2:3]
.LBB70_569:
	s_andn2_saveexec_b64 s[0:1], s[0:1]
	s_cbranch_execz .LBB70_571
; %bb.570:
	v_mov_b32_e32 v47, 33
	s_waitcnt vmcnt(0)
	ds_write2_b32 v17, v36, v37 offset0:34 offset1:35
.LBB70_571:
	s_or_b64 exec, exec, s[0:1]
	v_cmp_lt_i32_e32 vcc, 33, v47
	s_waitcnt lgkmcnt(0)
	s_barrier
	s_and_saveexec_b64 s[0:1], vcc
	s_cbranch_execz .LBB70_573
; %bb.572:
	ds_read2_b32 v[48:49], v17 offset0:34 offset1:35
	v_mul_f32_e32 v44, v46, v41
	v_mov_b32_e32 v41, v44
	s_waitcnt vmcnt(0) lgkmcnt(0)
	v_pk_fma_f32 v[36:37], v[44:45], v[48:49], v[36:37] op_sel_hi:[0,1,1] neg_lo:[1,0,0] neg_hi:[1,0,0]
.LBB70_573:
	s_or_b64 exec, exec, s[0:1]
	v_lshl_add_u32 v44, v47, 2, v17
	s_barrier
	s_waitcnt vmcnt(1)
	ds_write_b32 v44, v36
	s_waitcnt lgkmcnt(0)
	s_barrier
	ds_read_b32 v46, v17 offset:136
	s_cmp_lt_i32 s22, 36
	v_mov_b32_e32 v44, 34
	s_cbranch_scc1 .LBB70_576
; %bb.574:
	v_add_u32_e32 v48, 0x8c, v17
	v_mov_b32_e32 v44, 34
	s_mov_b32 s0, 35
.LBB70_575:                             ; =>This Inner Loop Header: Depth=1
	ds_read_b32 v49, v48
	v_mov_b32_e32 v50, s0
	s_add_i32 s0, s0, 1
	v_add_u32_e32 v48, 4, v48
	s_cmp_lg_u32 s22, s0
	s_waitcnt lgkmcnt(0)
	v_cmp_lt_f32_e64 vcc, |v46|, |v49|
	s_nop 1
	v_cndmask_b32_e32 v46, v46, v49, vcc
	v_cndmask_b32_e32 v44, v44, v50, vcc
	s_cbranch_scc1 .LBB70_575
.LBB70_576:
	s_waitcnt lgkmcnt(0)
	v_cmp_eq_f32_e32 vcc, 0, v46
	s_and_saveexec_b64 s[0:1], vcc
	s_xor_b64 s[0:1], exec, s[0:1]
; %bb.577:
	v_cmp_ne_u32_e32 vcc, 0, v19
	s_nop 1
	v_cndmask_b32_e32 v19, 35, v19, vcc
; %bb.578:
	s_andn2_saveexec_b64 s[0:1], s[0:1]
	s_cbranch_execz .LBB70_580
; %bb.579:
	v_div_scale_f32 v48, s[2:3], v46, v46, 1.0
	v_rcp_f32_e32 v49, v48
	v_div_scale_f32 v50, vcc, 1.0, v46, 1.0
	v_fma_f32 v51, -v48, v49, 1.0
	v_fmac_f32_e32 v49, v51, v49
	v_mul_f32_e32 v51, v50, v49
	v_fma_f32 v52, -v48, v51, v50
	v_fmac_f32_e32 v51, v52, v49
	v_fma_f32 v48, -v48, v51, v50
	v_div_fmas_f32 v48, v48, v49, v51
	v_div_fixup_f32 v46, v48, v46, 1.0
.LBB70_580:
	s_or_b64 exec, exec, s[0:1]
	v_cmp_ne_u32_e32 vcc, v47, v44
	s_and_saveexec_b64 s[0:1], vcc
	s_xor_b64 s[0:1], exec, s[0:1]
	s_cbranch_execz .LBB70_586
; %bb.581:
	v_cmp_eq_u32_e32 vcc, 34, v47
	s_and_saveexec_b64 s[2:3], vcc
	s_cbranch_execz .LBB70_585
; %bb.582:
	v_cmp_ne_u32_e32 vcc, 34, v44
	s_xor_b64 s[18:19], s[16:17], -1
	s_and_b64 s[20:21], s[18:19], vcc
	s_and_saveexec_b64 s[18:19], s[20:21]
	s_cbranch_execz .LBB70_584
; %bb.583:
	v_ashrrev_i32_e32 v45, 31, v44
	v_lshl_add_u64 v[48:49], v[44:45], 2, v[20:21]
	global_load_dword v45, v[48:49], off
	global_load_dword v47, v[20:21], off offset:136
	s_waitcnt vmcnt(1)
	global_store_dword v[20:21], v45, off offset:136
	s_waitcnt vmcnt(1)
	global_store_dword v[48:49], v47, off
.LBB70_584:
	s_or_b64 exec, exec, s[18:19]
	v_mov_b32_e32 v45, v44
	v_mov_b32_e32 v47, v44
.LBB70_585:
	s_or_b64 exec, exec, s[2:3]
.LBB70_586:
	s_andn2_saveexec_b64 s[0:1], s[0:1]
	s_cbranch_execz .LBB70_588
; %bb.587:
	v_mov_b32_e32 v47, 34
	s_waitcnt vmcnt(0)
	ds_write_b32 v17, v37 offset:140
.LBB70_588:
	s_or_b64 exec, exec, s[0:1]
	v_cmp_lt_i32_e32 vcc, 34, v47
	s_waitcnt lgkmcnt(0)
	s_barrier
	s_and_saveexec_b64 s[0:1], vcc
	s_cbranch_execz .LBB70_590
; %bb.589:
	ds_read_b32 v44, v17 offset:140
	v_mul_f32_e32 v36, v46, v36
	s_waitcnt vmcnt(0) lgkmcnt(0)
	v_fma_f32 v37, -v36, v44, v37
.LBB70_590:
	s_or_b64 exec, exec, s[0:1]
	v_lshl_add_u32 v44, v47, 2, v17
	s_barrier
	s_waitcnt vmcnt(0)
	ds_write_b32 v44, v37
	s_waitcnt lgkmcnt(0)
	s_barrier
	ds_read_b32 v48, v17 offset:140
	s_cmp_lt_i32 s22, 37
	v_mov_b32_e32 v44, 35
	s_cbranch_scc1 .LBB70_593
; %bb.591:
	v_add_u32_e32 v17, 0x90, v17
	v_mov_b32_e32 v44, 35
	s_mov_b32 s0, 36
.LBB70_592:                             ; =>This Inner Loop Header: Depth=1
	ds_read_b32 v46, v17
	v_mov_b32_e32 v49, s0
	s_add_i32 s0, s0, 1
	v_add_u32_e32 v17, 4, v17
	s_cmp_lg_u32 s22, s0
	s_waitcnt lgkmcnt(0)
	v_cmp_lt_f32_e64 vcc, |v48|, |v46|
	s_nop 1
	v_cndmask_b32_e32 v48, v48, v46, vcc
	v_cndmask_b32_e32 v44, v44, v49, vcc
	s_cbranch_scc1 .LBB70_592
.LBB70_593:
	s_waitcnt lgkmcnt(0)
	v_cmp_eq_f32_e32 vcc, 0, v48
	s_and_saveexec_b64 s[0:1], vcc
	s_xor_b64 s[0:1], exec, s[0:1]
; %bb.594:
	v_cmp_ne_u32_e32 vcc, 0, v19
	s_nop 1
	v_cndmask_b32_e32 v19, 36, v19, vcc
; %bb.595:
	s_andn2_saveexec_b64 s[0:1], s[0:1]
	s_cbranch_execz .LBB70_597
; %bb.596:
	v_div_scale_f32 v17, s[2:3], v48, v48, 1.0
	v_rcp_f32_e32 v46, v17
	v_div_scale_f32 v49, vcc, 1.0, v48, 1.0
	v_fma_f32 v50, -v17, v46, 1.0
	v_fmac_f32_e32 v46, v50, v46
	v_mul_f32_e32 v50, v49, v46
	v_fma_f32 v51, -v17, v50, v49
	v_fmac_f32_e32 v50, v51, v46
	v_fma_f32 v17, -v17, v50, v49
	v_div_fmas_f32 v17, v17, v46, v50
	v_div_fixup_f32 v48, v17, v48, 1.0
.LBB70_597:
	s_or_b64 exec, exec, s[0:1]
	v_cmp_ne_u32_e32 vcc, v47, v44
	v_mov_b32_e32 v46, 35
	s_and_saveexec_b64 s[0:1], vcc
	s_cbranch_execz .LBB70_603
; %bb.598:
	v_cmp_eq_u32_e32 vcc, 35, v47
	s_and_saveexec_b64 s[2:3], vcc
	s_cbranch_execz .LBB70_602
; %bb.599:
	v_cmp_ne_u32_e32 vcc, 35, v44
	s_xor_b64 s[16:17], s[16:17], -1
	s_and_b64 s[18:19], s[16:17], vcc
	s_and_saveexec_b64 s[16:17], s[18:19]
	s_cbranch_execz .LBB70_601
; %bb.600:
	v_ashrrev_i32_e32 v45, 31, v44
	v_lshl_add_u64 v[46:47], v[44:45], 2, v[20:21]
	global_load_dword v17, v[46:47], off
	global_load_dword v45, v[20:21], off offset:140
	s_waitcnt vmcnt(1)
	global_store_dword v[20:21], v17, off offset:140
	s_waitcnt vmcnt(1)
	global_store_dword v[46:47], v45, off
.LBB70_601:
	s_or_b64 exec, exec, s[16:17]
	v_mov_b32_e32 v45, v44
	v_mov_b32_e32 v47, v44
.LBB70_602:
	s_or_b64 exec, exec, s[2:3]
	v_mov_b32_e32 v46, v47
.LBB70_603:
	s_or_b64 exec, exec, s[0:1]
	v_cmp_gt_i32_e32 vcc, 36, v46
	v_ashrrev_i32_e32 v47, 31, v46
	s_barrier
	s_barrier
	s_and_saveexec_b64 s[0:1], vcc
	s_cbranch_execz .LBB70_605
; %bb.604:
	v_mul_lo_u32 v17, s11, v4
	v_mul_lo_u32 v44, s10, v5
	v_mad_u64_u32 v[50:51], s[2:3], s10, v4, 0
	v_mov_b32_e32 v20, s6
	v_mov_b32_e32 v21, s7
	v_add3_u32 v51, v51, v44, v17
	v_lshl_add_u64 v[20:21], v[50:51], 2, v[20:21]
	v_lshl_add_u64 v[20:21], s[8:9], 2, v[20:21]
	;; [unrolled: 1-line block ×3, first 2 shown]
	v_add3_u32 v17, v45, s15, 1
	global_store_dword v[20:21], v17, off
.LBB70_605:
	s_or_b64 exec, exec, s[0:1]
	v_cmp_eq_u32_e32 vcc, 0, v46
	s_and_saveexec_b64 s[2:3], vcc
	s_cbranch_execz .LBB70_608
; %bb.606:
	v_mov_b32_e32 v20, s4
	v_mov_b32_e32 v21, s5
	v_lshl_add_u64 v[4:5], v[4:5], 2, v[20:21]
	global_load_dword v17, v[4:5], off
	v_cmp_ne_u32_e64 s[0:1], 0, v19
	s_waitcnt vmcnt(0)
	v_cmp_eq_u32_e32 vcc, 0, v17
	s_and_b64 s[0:1], vcc, s[0:1]
	s_and_b64 exec, exec, s[0:1]
	s_cbranch_execz .LBB70_608
; %bb.607:
	v_add_u32_e32 v17, s15, v19
	global_store_dword v[4:5], v17, off
.LBB70_608:
	s_or_b64 exec, exec, s[2:3]
	v_mul_f32_e32 v4, v48, v37
	v_cmp_lt_i32_e32 vcc, 35, v46
	s_nop 1
	v_cndmask_b32_e32 v19, v37, v4, vcc
	v_lshl_add_u64 v[4:5], v[46:47], 2, v[2:3]
	global_store_dword v[4:5], v18, off
	v_lshl_add_u64 v[4:5], s[12:13], 2, v[4:5]
	global_store_dword v[4:5], v16, off
	v_add_u32_e32 v4, s14, v46
	v_ashrrev_i32_e32 v5, 31, v4
	v_lshl_add_u64 v[16:17], v[4:5], 2, v[2:3]
	v_add_u32_e32 v4, s12, v4
	v_ashrrev_i32_e32 v5, 31, v4
	global_store_dword v[16:17], v10, off
	v_lshl_add_u64 v[16:17], v[4:5], 2, v[2:3]
	v_add_u32_e32 v4, s12, v4
	v_ashrrev_i32_e32 v5, 31, v4
	global_store_dword v[16:17], v11, off
	;; [unrolled: 4-line block ×5, first 2 shown]
	v_lshl_add_u64 v[6:7], v[4:5], 2, v[2:3]
	v_add_u32_e32 v0, s12, v4
	global_store_dword v[6:7], v1, off
	v_ashrrev_i32_e32 v1, 31, v0
	v_lshl_add_u64 v[4:5], v[0:1], 2, v[2:3]
	v_add_u32_e32 v0, s12, v0
	v_ashrrev_i32_e32 v1, 31, v0
	global_store_dword v[4:5], v28, off
	v_lshl_add_u64 v[4:5], v[0:1], 2, v[2:3]
	v_add_u32_e32 v0, s12, v0
	v_ashrrev_i32_e32 v1, 31, v0
	global_store_dword v[4:5], v29, off
	;; [unrolled: 4-line block ×26, first 2 shown]
	v_lshl_add_u64 v[4:5], v[0:1], 2, v[2:3]
	v_add_u32_e32 v0, s12, v0
	v_ashrrev_i32_e32 v1, 31, v0
	v_lshl_add_u64 v[0:1], v[0:1], 2, v[2:3]
	global_store_dword v[4:5], v36, off
	global_store_dword v[0:1], v19, off
.LBB70_609:
	s_endpgm
	.section	.rodata,"a",@progbits
	.p2align	6, 0x0
	.amdhsa_kernel _ZN9rocsolver6v33100L18getf2_small_kernelILi36EfiiPfEEvT1_T3_lS3_lPS3_llPT2_S3_S3_S5_l
		.amdhsa_group_segment_fixed_size 0
		.amdhsa_private_segment_fixed_size 0
		.amdhsa_kernarg_size 352
		.amdhsa_user_sgpr_count 2
		.amdhsa_user_sgpr_dispatch_ptr 0
		.amdhsa_user_sgpr_queue_ptr 0
		.amdhsa_user_sgpr_kernarg_segment_ptr 1
		.amdhsa_user_sgpr_dispatch_id 0
		.amdhsa_user_sgpr_kernarg_preload_length 0
		.amdhsa_user_sgpr_kernarg_preload_offset 0
		.amdhsa_user_sgpr_private_segment_size 0
		.amdhsa_uses_dynamic_stack 0
		.amdhsa_enable_private_segment 0
		.amdhsa_system_sgpr_workgroup_id_x 1
		.amdhsa_system_sgpr_workgroup_id_y 1
		.amdhsa_system_sgpr_workgroup_id_z 0
		.amdhsa_system_sgpr_workgroup_info 0
		.amdhsa_system_vgpr_workitem_id 1
		.amdhsa_next_free_vgpr 60
		.amdhsa_next_free_sgpr 26
		.amdhsa_accum_offset 60
		.amdhsa_reserve_vcc 1
		.amdhsa_float_round_mode_32 0
		.amdhsa_float_round_mode_16_64 0
		.amdhsa_float_denorm_mode_32 3
		.amdhsa_float_denorm_mode_16_64 3
		.amdhsa_dx10_clamp 1
		.amdhsa_ieee_mode 1
		.amdhsa_fp16_overflow 0
		.amdhsa_tg_split 0
		.amdhsa_exception_fp_ieee_invalid_op 0
		.amdhsa_exception_fp_denorm_src 0
		.amdhsa_exception_fp_ieee_div_zero 0
		.amdhsa_exception_fp_ieee_overflow 0
		.amdhsa_exception_fp_ieee_underflow 0
		.amdhsa_exception_fp_ieee_inexact 0
		.amdhsa_exception_int_div_zero 0
	.end_amdhsa_kernel
	.section	.text._ZN9rocsolver6v33100L18getf2_small_kernelILi36EfiiPfEEvT1_T3_lS3_lPS3_llPT2_S3_S3_S5_l,"axG",@progbits,_ZN9rocsolver6v33100L18getf2_small_kernelILi36EfiiPfEEvT1_T3_lS3_lPS3_llPT2_S3_S3_S5_l,comdat
.Lfunc_end70:
	.size	_ZN9rocsolver6v33100L18getf2_small_kernelILi36EfiiPfEEvT1_T3_lS3_lPS3_llPT2_S3_S3_S5_l, .Lfunc_end70-_ZN9rocsolver6v33100L18getf2_small_kernelILi36EfiiPfEEvT1_T3_lS3_lPS3_llPT2_S3_S3_S5_l
                                        ; -- End function
	.set _ZN9rocsolver6v33100L18getf2_small_kernelILi36EfiiPfEEvT1_T3_lS3_lPS3_llPT2_S3_S3_S5_l.num_vgpr, 60
	.set _ZN9rocsolver6v33100L18getf2_small_kernelILi36EfiiPfEEvT1_T3_lS3_lPS3_llPT2_S3_S3_S5_l.num_agpr, 0
	.set _ZN9rocsolver6v33100L18getf2_small_kernelILi36EfiiPfEEvT1_T3_lS3_lPS3_llPT2_S3_S3_S5_l.numbered_sgpr, 26
	.set _ZN9rocsolver6v33100L18getf2_small_kernelILi36EfiiPfEEvT1_T3_lS3_lPS3_llPT2_S3_S3_S5_l.num_named_barrier, 0
	.set _ZN9rocsolver6v33100L18getf2_small_kernelILi36EfiiPfEEvT1_T3_lS3_lPS3_llPT2_S3_S3_S5_l.private_seg_size, 0
	.set _ZN9rocsolver6v33100L18getf2_small_kernelILi36EfiiPfEEvT1_T3_lS3_lPS3_llPT2_S3_S3_S5_l.uses_vcc, 1
	.set _ZN9rocsolver6v33100L18getf2_small_kernelILi36EfiiPfEEvT1_T3_lS3_lPS3_llPT2_S3_S3_S5_l.uses_flat_scratch, 0
	.set _ZN9rocsolver6v33100L18getf2_small_kernelILi36EfiiPfEEvT1_T3_lS3_lPS3_llPT2_S3_S3_S5_l.has_dyn_sized_stack, 0
	.set _ZN9rocsolver6v33100L18getf2_small_kernelILi36EfiiPfEEvT1_T3_lS3_lPS3_llPT2_S3_S3_S5_l.has_recursion, 0
	.set _ZN9rocsolver6v33100L18getf2_small_kernelILi36EfiiPfEEvT1_T3_lS3_lPS3_llPT2_S3_S3_S5_l.has_indirect_call, 0
	.section	.AMDGPU.csdata,"",@progbits
; Kernel info:
; codeLenInByte = 27692
; TotalNumSgprs: 32
; NumVgprs: 60
; NumAgprs: 0
; TotalNumVgprs: 60
; ScratchSize: 0
; MemoryBound: 0
; FloatMode: 240
; IeeeMode: 1
; LDSByteSize: 0 bytes/workgroup (compile time only)
; SGPRBlocks: 3
; VGPRBlocks: 7
; NumSGPRsForWavesPerEU: 32
; NumVGPRsForWavesPerEU: 60
; AccumOffset: 60
; Occupancy: 8
; WaveLimiterHint : 0
; COMPUTE_PGM_RSRC2:SCRATCH_EN: 0
; COMPUTE_PGM_RSRC2:USER_SGPR: 2
; COMPUTE_PGM_RSRC2:TRAP_HANDLER: 0
; COMPUTE_PGM_RSRC2:TGID_X_EN: 1
; COMPUTE_PGM_RSRC2:TGID_Y_EN: 1
; COMPUTE_PGM_RSRC2:TGID_Z_EN: 0
; COMPUTE_PGM_RSRC2:TIDIG_COMP_CNT: 1
; COMPUTE_PGM_RSRC3_GFX90A:ACCUM_OFFSET: 14
; COMPUTE_PGM_RSRC3_GFX90A:TG_SPLIT: 0
	.section	.text._ZN9rocsolver6v33100L23getf2_npvt_small_kernelILi36EfiiPfEEvT1_T3_lS3_lPT2_S3_S3_,"axG",@progbits,_ZN9rocsolver6v33100L23getf2_npvt_small_kernelILi36EfiiPfEEvT1_T3_lS3_lPT2_S3_S3_,comdat
	.globl	_ZN9rocsolver6v33100L23getf2_npvt_small_kernelILi36EfiiPfEEvT1_T3_lS3_lPT2_S3_S3_ ; -- Begin function _ZN9rocsolver6v33100L23getf2_npvt_small_kernelILi36EfiiPfEEvT1_T3_lS3_lPT2_S3_S3_
	.p2align	8
	.type	_ZN9rocsolver6v33100L23getf2_npvt_small_kernelILi36EfiiPfEEvT1_T3_lS3_lPT2_S3_S3_,@function
_ZN9rocsolver6v33100L23getf2_npvt_small_kernelILi36EfiiPfEEvT1_T3_lS3_lPT2_S3_S3_: ; @_ZN9rocsolver6v33100L23getf2_npvt_small_kernelILi36EfiiPfEEvT1_T3_lS3_lPT2_S3_S3_
; %bb.0:
	s_load_dword s2, s[0:1], 0x44
	s_load_dwordx2 s[8:9], s[0:1], 0x30
	v_bfe_u32 v111, v0, 10, 10
	s_waitcnt lgkmcnt(0)
	s_lshr_b32 s10, s2, 16
	s_mul_i32 s3, s3, s10
	v_add_u32_e32 v24, s3, v111
	v_cmp_gt_i32_e32 vcc, s8, v24
	s_and_saveexec_b64 s[2:3], vcc
	s_cbranch_execz .LBB71_199
; %bb.1:
	s_load_dwordx4 s[12:15], s[0:1], 0x8
	s_load_dword s2, s[0:1], 0x18
	s_load_dwordx4 s[4:7], s[0:1], 0x20
	v_ashrrev_i32_e32 v25, 31, v24
	v_and_b32_e32 v109, 0x3ff, v0
	s_waitcnt lgkmcnt(0)
	v_mov_b32_e32 v0, s12
	v_mov_b32_e32 v1, s13
	v_mad_u64_u32 v[2:3], s[0:1], s4, v24, 0
	v_mul_lo_u32 v4, s5, v24
	v_mul_lo_u32 v5, s4, v25
	s_add_i32 s0, s2, s2
	v_add3_u32 v3, v3, v5, v4
	v_add_u32_e32 v4, s0, v109
	v_add_u32_e32 v6, s2, v4
	;; [unrolled: 1-line block ×32, first 2 shown]
	v_lshl_add_u64 v[0:1], v[2:3], 2, v[0:1]
	v_add_u32_e32 v72, s2, v68
	v_lshl_add_u64 v[70:71], s[14:15], 2, v[0:1]
	v_ashrrev_i32_e32 v5, 31, v4
	v_ashrrev_i32_e32 v7, 31, v6
	;; [unrolled: 1-line block ×33, first 2 shown]
	v_lshl_add_u64 v[2:3], v[4:5], 2, v[70:71]
	v_lshl_add_u64 v[4:5], v[6:7], 2, v[70:71]
	v_lshl_add_u64 v[6:7], v[8:9], 2, v[70:71]
	v_lshl_add_u64 v[8:9], v[10:11], 2, v[70:71]
	v_lshl_add_u64 v[10:11], v[12:13], 2, v[70:71]
	v_lshl_add_u64 v[12:13], v[14:15], 2, v[70:71]
	v_lshl_add_u64 v[14:15], v[16:17], 2, v[70:71]
	v_lshl_add_u64 v[16:17], v[18:19], 2, v[70:71]
	v_lshl_add_u64 v[18:19], v[20:21], 2, v[70:71]
	v_lshl_add_u64 v[20:21], v[22:23], 2, v[70:71]
	v_lshl_add_u64 v[22:23], v[26:27], 2, v[70:71]
	v_lshl_add_u64 v[26:27], v[28:29], 2, v[70:71]
	v_lshl_add_u64 v[28:29], v[30:31], 2, v[70:71]
	v_lshl_add_u64 v[30:31], v[32:33], 2, v[70:71]
	v_lshl_add_u64 v[32:33], v[34:35], 2, v[70:71]
	v_lshl_add_u64 v[34:35], v[36:37], 2, v[70:71]
	v_lshl_add_u64 v[36:37], v[38:39], 2, v[70:71]
	v_lshl_add_u64 v[38:39], v[40:41], 2, v[70:71]
	v_lshl_add_u64 v[40:41], v[42:43], 2, v[70:71]
	v_lshl_add_u64 v[42:43], v[44:45], 2, v[70:71]
	v_lshl_add_u64 v[44:45], v[46:47], 2, v[70:71]
	v_lshl_add_u64 v[46:47], v[48:49], 2, v[70:71]
	v_lshl_add_u64 v[48:49], v[50:51], 2, v[70:71]
	v_lshl_add_u64 v[50:51], v[52:53], 2, v[70:71]
	v_lshl_add_u64 v[52:53], v[54:55], 2, v[70:71]
	v_lshl_add_u64 v[54:55], v[56:57], 2, v[70:71]
	v_lshl_add_u64 v[56:57], v[58:59], 2, v[70:71]
	v_lshl_add_u64 v[58:59], v[60:61], 2, v[70:71]
	v_lshl_add_u64 v[60:61], v[62:63], 2, v[70:71]
	v_lshl_add_u64 v[62:63], v[64:65], 2, v[70:71]
	v_lshl_add_u64 v[64:65], v[66:67], 2, v[70:71]
	v_lshl_add_u64 v[66:67], v[68:69], 2, v[70:71]
	v_lshl_add_u64 v[68:69], v[72:73], 2, v[70:71]
	v_add_u32_e32 v72, s2, v72
	v_lshlrev_b32_e32 v0, 2, v109
	v_mov_b32_e32 v1, 0
	v_ashrrev_i32_e32 v73, 31, v72
	v_lshl_add_u64 v[0:1], v[70:71], 0, v[0:1]
	v_lshl_add_u64 v[70:71], v[72:73], 2, v[70:71]
	global_load_dword v96, v[14:15], off
	global_load_dword v97, v[16:17], off
	;; [unrolled: 1-line block ×28, first 2 shown]
	s_ashr_i32 s3, s2, 31
	v_lshl_add_u64 v[106:107], s[2:3], 2, v[0:1]
	global_load_dword v102, v[2:3], off
	global_load_dword v103, v[4:5], off
	;; [unrolled: 1-line block ×8, first 2 shown]
	s_mulk_i32 s10, 0x90
	s_movk_i32 s0, 0x90
	s_add_i32 s1, s10, 0
	v_mad_u32_u24 v113, v111, s0, 0
	v_lshl_add_u32 v111, v111, 2, s1
	v_cmp_ne_u32_e64 s[2:3], 0, v109
	v_cmp_eq_u32_e64 s[0:1], 0, v109
	s_and_saveexec_b64 s[4:5], s[0:1]
	s_cbranch_execz .LBB71_4
; %bb.2:
	s_waitcnt vmcnt(1)
	ds_write_b32 v111, v108
	s_waitcnt vmcnt(0)
	ds_write2_b32 v113, v110, v102 offset0:1 offset1:2
	ds_write2_b32 v113, v103, v104 offset0:3 offset1:4
	;; [unrolled: 1-line block ×17, first 2 shown]
	ds_write_b32 v113, v99 offset:140
	ds_read_b32 v112, v111
	s_waitcnt lgkmcnt(0)
	v_cmp_neq_f32_e32 vcc, 0, v112
	s_and_b64 exec, exec, vcc
	s_cbranch_execz .LBB71_4
; %bb.3:
	v_div_scale_f32 v114, s[10:11], v112, v112, 1.0
	v_rcp_f32_e32 v115, v114
	v_div_scale_f32 v116, vcc, 1.0, v112, 1.0
	v_fma_f32 v117, -v114, v115, 1.0
	v_fmac_f32_e32 v115, v117, v115
	v_mul_f32_e32 v117, v116, v115
	v_fma_f32 v118, -v114, v117, v116
	v_fmac_f32_e32 v117, v118, v115
	v_fma_f32 v114, -v114, v117, v116
	v_div_fmas_f32 v114, v114, v115, v117
	v_div_fixup_f32 v112, v114, v112, 1.0
	ds_write_b32 v111, v112
.LBB71_4:
	s_or_b64 exec, exec, s[4:5]
	s_waitcnt lgkmcnt(0)
	s_barrier
	ds_read_b32 v112, v111
	s_and_saveexec_b64 s[4:5], s[2:3]
	s_cbranch_execz .LBB71_6
; %bb.5:
	ds_read_b32 v122, v113 offset:4
	ds_read2_b64 v[114:117], v113 offset0:1 offset1:2
	s_waitcnt vmcnt(1) lgkmcnt(2)
	v_mul_f32_e32 v108, v112, v108
	ds_read2_b64 v[118:121], v113 offset0:3 offset1:4
	s_waitcnt vmcnt(0) lgkmcnt(2)
	v_fma_f32 v110, -v108, v122, v110
	ds_read2_b64 v[122:125], v113 offset0:5 offset1:6
	s_waitcnt lgkmcnt(2)
	v_pk_fma_f32 v[102:103], v[108:109], v[114:115], v[102:103] op_sel_hi:[0,1,1] neg_lo:[1,0,0] neg_hi:[1,0,0]
	v_pk_fma_f32 v[104:105], v[108:109], v[116:117], v[104:105] op_sel_hi:[0,1,1] neg_lo:[1,0,0] neg_hi:[1,0,0]
	s_waitcnt lgkmcnt(1)
	v_pk_fma_f32 v[100:101], v[108:109], v[118:119], v[100:101] op_sel_hi:[0,1,1] neg_lo:[1,0,0] neg_hi:[1,0,0]
	ds_read2_b64 v[114:117], v113 offset0:7 offset1:8
	v_pk_fma_f32 v[96:97], v[108:109], v[120:121], v[96:97] op_sel_hi:[0,1,1] neg_lo:[1,0,0] neg_hi:[1,0,0]
	s_waitcnt lgkmcnt(1)
	v_pk_fma_f32 v[82:83], v[108:109], v[122:123], v[82:83] op_sel_hi:[0,1,1] neg_lo:[1,0,0] neg_hi:[1,0,0]
	ds_read2_b64 v[118:121], v113 offset0:9 offset1:10
	v_pk_fma_f32 v[94:95], v[108:109], v[124:125], v[94:95] op_sel_hi:[0,1,1] neg_lo:[1,0,0] neg_hi:[1,0,0]
	ds_read2_b64 v[122:125], v113 offset0:11 offset1:12
	s_waitcnt lgkmcnt(2)
	v_pk_fma_f32 v[80:81], v[108:109], v[114:115], v[80:81] op_sel_hi:[0,1,1] neg_lo:[1,0,0] neg_hi:[1,0,0]
	v_pk_fma_f32 v[92:93], v[108:109], v[116:117], v[92:93] op_sel_hi:[0,1,1] neg_lo:[1,0,0] neg_hi:[1,0,0]
	s_waitcnt lgkmcnt(1)
	v_pk_fma_f32 v[78:79], v[108:109], v[118:119], v[78:79] op_sel_hi:[0,1,1] neg_lo:[1,0,0] neg_hi:[1,0,0]
	v_pk_fma_f32 v[90:91], v[108:109], v[120:121], v[90:91] op_sel_hi:[0,1,1] neg_lo:[1,0,0] neg_hi:[1,0,0]
	ds_read2_b64 v[114:117], v113 offset0:13 offset1:14
	s_waitcnt lgkmcnt(1)
	v_pk_fma_f32 v[76:77], v[108:109], v[122:123], v[76:77] op_sel_hi:[0,1,1] neg_lo:[1,0,0] neg_hi:[1,0,0]
	ds_read2_b64 v[118:121], v113 offset0:15 offset1:16
	ds_read_b64 v[122:123], v113 offset:136
	v_pk_fma_f32 v[88:89], v[108:109], v[124:125], v[88:89] op_sel_hi:[0,1,1] neg_lo:[1,0,0] neg_hi:[1,0,0]
	s_waitcnt lgkmcnt(2)
	v_pk_fma_f32 v[74:75], v[108:109], v[114:115], v[74:75] op_sel_hi:[0,1,1] neg_lo:[1,0,0] neg_hi:[1,0,0]
	v_pk_fma_f32 v[86:87], v[108:109], v[116:117], v[86:87] op_sel_hi:[0,1,1] neg_lo:[1,0,0] neg_hi:[1,0,0]
	s_waitcnt lgkmcnt(1)
	v_pk_fma_f32 v[72:73], v[108:109], v[118:119], v[72:73] op_sel_hi:[0,1,1] neg_lo:[1,0,0] neg_hi:[1,0,0]
	;; [unrolled: 3-line block ×3, first 2 shown]
.LBB71_6:
	s_or_b64 exec, exec, s[4:5]
	v_cmp_eq_u32_e32 vcc, 1, v109
	s_waitcnt lgkmcnt(0)
	s_barrier
	s_and_saveexec_b64 s[2:3], vcc
	s_cbranch_execz .LBB71_9
; %bb.7:
	s_waitcnt vmcnt(0)
	ds_write_b32 v111, v110
	ds_write2_b64 v113, v[102:103], v[104:105] offset0:1 offset1:2
	ds_write2_b64 v113, v[100:101], v[96:97] offset0:3 offset1:4
	;; [unrolled: 1-line block ×8, first 2 shown]
	ds_write_b64 v113, v[98:99] offset:136
	ds_read_b32 v114, v111
	s_waitcnt lgkmcnt(0)
	v_cmp_neq_f32_e32 vcc, 0, v114
	s_and_b64 exec, exec, vcc
	s_cbranch_execz .LBB71_9
; %bb.8:
	v_div_scale_f32 v115, s[4:5], v114, v114, 1.0
	v_rcp_f32_e32 v116, v115
	v_div_scale_f32 v117, vcc, 1.0, v114, 1.0
	v_fma_f32 v118, -v115, v116, 1.0
	v_fmac_f32_e32 v116, v118, v116
	v_mul_f32_e32 v118, v117, v116
	v_fma_f32 v119, -v115, v118, v117
	v_fmac_f32_e32 v118, v119, v116
	v_fma_f32 v115, -v115, v118, v117
	v_div_fmas_f32 v115, v115, v116, v118
	v_div_fixup_f32 v114, v115, v114, 1.0
	ds_write_b32 v111, v114
.LBB71_9:
	s_or_b64 exec, exec, s[2:3]
	s_waitcnt lgkmcnt(0)
	s_barrier
	ds_read_b32 v114, v111
	v_cmp_lt_u32_e32 vcc, 1, v109
	s_and_saveexec_b64 s[2:3], vcc
	s_cbranch_execz .LBB71_11
; %bb.10:
	ds_read2_b64 v[116:119], v113 offset0:1 offset1:2
	ds_read2_b64 v[120:123], v113 offset0:3 offset1:4
	ds_read2_b64 v[124:127], v113 offset0:5 offset1:6
	s_waitcnt vmcnt(0) lgkmcnt(3)
	v_mul_f32_e32 v110, v114, v110
	s_waitcnt lgkmcnt(2)
	v_pk_fma_f32 v[102:103], v[110:111], v[116:117], v[102:103] op_sel_hi:[0,1,1] neg_lo:[1,0,0] neg_hi:[1,0,0]
	v_pk_fma_f32 v[104:105], v[110:111], v[118:119], v[104:105] op_sel_hi:[0,1,1] neg_lo:[1,0,0] neg_hi:[1,0,0]
	s_waitcnt lgkmcnt(1)
	v_pk_fma_f32 v[100:101], v[110:111], v[120:121], v[100:101] op_sel_hi:[0,1,1] neg_lo:[1,0,0] neg_hi:[1,0,0]
	ds_read2_b64 v[116:119], v113 offset0:7 offset1:8
	v_pk_fma_f32 v[96:97], v[110:111], v[122:123], v[96:97] op_sel_hi:[0,1,1] neg_lo:[1,0,0] neg_hi:[1,0,0]
	s_waitcnt lgkmcnt(1)
	v_pk_fma_f32 v[82:83], v[110:111], v[124:125], v[82:83] op_sel_hi:[0,1,1] neg_lo:[1,0,0] neg_hi:[1,0,0]
	ds_read2_b64 v[120:123], v113 offset0:9 offset1:10
	v_pk_fma_f32 v[94:95], v[110:111], v[126:127], v[94:95] op_sel_hi:[0,1,1] neg_lo:[1,0,0] neg_hi:[1,0,0]
	ds_read2_b64 v[124:127], v113 offset0:11 offset1:12
	s_waitcnt lgkmcnt(2)
	v_pk_fma_f32 v[80:81], v[110:111], v[116:117], v[80:81] op_sel_hi:[0,1,1] neg_lo:[1,0,0] neg_hi:[1,0,0]
	v_pk_fma_f32 v[92:93], v[110:111], v[118:119], v[92:93] op_sel_hi:[0,1,1] neg_lo:[1,0,0] neg_hi:[1,0,0]
	s_waitcnt lgkmcnt(1)
	v_pk_fma_f32 v[78:79], v[110:111], v[120:121], v[78:79] op_sel_hi:[0,1,1] neg_lo:[1,0,0] neg_hi:[1,0,0]
	v_pk_fma_f32 v[90:91], v[110:111], v[122:123], v[90:91] op_sel_hi:[0,1,1] neg_lo:[1,0,0] neg_hi:[1,0,0]
	ds_read2_b64 v[116:119], v113 offset0:13 offset1:14
	ds_read2_b64 v[120:123], v113 offset0:15 offset1:16
	s_waitcnt lgkmcnt(2)
	v_pk_fma_f32 v[76:77], v[110:111], v[124:125], v[76:77] op_sel_hi:[0,1,1] neg_lo:[1,0,0] neg_hi:[1,0,0]
	ds_read_b64 v[124:125], v113 offset:136
	v_pk_fma_f32 v[88:89], v[110:111], v[126:127], v[88:89] op_sel_hi:[0,1,1] neg_lo:[1,0,0] neg_hi:[1,0,0]
	s_waitcnt lgkmcnt(2)
	v_pk_fma_f32 v[74:75], v[110:111], v[116:117], v[74:75] op_sel_hi:[0,1,1] neg_lo:[1,0,0] neg_hi:[1,0,0]
	v_pk_fma_f32 v[86:87], v[110:111], v[118:119], v[86:87] op_sel_hi:[0,1,1] neg_lo:[1,0,0] neg_hi:[1,0,0]
	s_waitcnt lgkmcnt(1)
	v_pk_fma_f32 v[72:73], v[110:111], v[120:121], v[72:73] op_sel_hi:[0,1,1] neg_lo:[1,0,0] neg_hi:[1,0,0]
	;; [unrolled: 3-line block ×3, first 2 shown]
.LBB71_11:
	s_or_b64 exec, exec, s[2:3]
	v_cmp_eq_u32_e32 vcc, 2, v109
	s_waitcnt lgkmcnt(0)
	s_barrier
	s_and_saveexec_b64 s[2:3], vcc
	s_cbranch_execz .LBB71_14
; %bb.12:
	s_waitcnt vmcnt(4)
	v_pk_mov_b32 v[116:117], v[102:103], v[104:105] op_sel:[1,0]
	ds_write_b32 v111, v102
	ds_write2_b32 v113, v116, v117 offset0:3 offset1:4
	s_waitcnt vmcnt(2)
	v_pk_mov_b32 v[116:117], v[104:105], v[100:101] op_sel:[1,0]
	ds_write2_b32 v113, v116, v117 offset0:5 offset1:6
	v_pk_mov_b32 v[116:117], v[100:101], v[96:97] op_sel:[1,0]
	ds_write2_b32 v113, v116, v117 offset0:7 offset1:8
	;; [unrolled: 2-line block ×15, first 2 shown]
	ds_write_b32 v113, v99 offset:140
	ds_read_b32 v115, v111
	s_waitcnt lgkmcnt(0)
	v_cmp_neq_f32_e32 vcc, 0, v115
	s_and_b64 exec, exec, vcc
	s_cbranch_execz .LBB71_14
; %bb.13:
	v_div_scale_f32 v116, s[4:5], v115, v115, 1.0
	v_rcp_f32_e32 v117, v116
	v_div_scale_f32 v118, vcc, 1.0, v115, 1.0
	v_fma_f32 v119, -v116, v117, 1.0
	v_fmac_f32_e32 v117, v119, v117
	v_mul_f32_e32 v119, v118, v117
	v_fma_f32 v120, -v116, v119, v118
	v_fmac_f32_e32 v119, v120, v117
	v_fma_f32 v116, -v116, v119, v118
	v_div_fmas_f32 v116, v116, v117, v119
	v_div_fixup_f32 v115, v116, v115, 1.0
	ds_write_b32 v111, v115
.LBB71_14:
	s_or_b64 exec, exec, s[2:3]
	s_waitcnt lgkmcnt(0)
	s_barrier
	ds_read_b32 v115, v111
	v_cmp_lt_u32_e32 vcc, 2, v109
	s_and_saveexec_b64 s[2:3], vcc
	s_cbranch_execz .LBB71_16
; %bb.15:
	ds_read_b32 v116, v113 offset:12
	s_waitcnt vmcnt(7) lgkmcnt(1)
	v_mul_f32_e32 v102, v115, v102
	s_waitcnt vmcnt(6) lgkmcnt(0)
	v_fma_f32 v103, -v102, v116, v103
	ds_read2_b64 v[116:119], v113 offset0:2 offset1:3
	s_waitcnt vmcnt(4) lgkmcnt(0)
	v_pk_fma_f32 v[104:105], v[102:103], v[116:117], v[104:105] op_sel_hi:[0,1,1] neg_lo:[1,0,0] neg_hi:[1,0,0]
	s_waitcnt vmcnt(2)
	v_pk_fma_f32 v[100:101], v[102:103], v[118:119], v[100:101] op_sel_hi:[0,1,1] neg_lo:[1,0,0] neg_hi:[1,0,0]
	ds_read2_b64 v[116:119], v113 offset0:4 offset1:5
	s_waitcnt lgkmcnt(0)
	v_pk_fma_f32 v[96:97], v[102:103], v[116:117], v[96:97] op_sel_hi:[0,1,1] neg_lo:[1,0,0] neg_hi:[1,0,0]
	v_pk_fma_f32 v[82:83], v[102:103], v[118:119], v[82:83] op_sel_hi:[0,1,1] neg_lo:[1,0,0] neg_hi:[1,0,0]
	ds_read2_b64 v[116:119], v113 offset0:6 offset1:7
	s_waitcnt lgkmcnt(0)
	v_pk_fma_f32 v[94:95], v[102:103], v[116:117], v[94:95] op_sel_hi:[0,1,1] neg_lo:[1,0,0] neg_hi:[1,0,0]
	;; [unrolled: 4-line block ×7, first 2 shown]
	v_pk_fma_f32 v[98:99], v[102:103], v[118:119], v[98:99] op_sel_hi:[0,1,1] neg_lo:[1,0,0] neg_hi:[1,0,0]
.LBB71_16:
	s_or_b64 exec, exec, s[2:3]
	v_cmp_eq_u32_e32 vcc, 3, v109
	s_waitcnt lgkmcnt(0)
	s_barrier
	s_and_saveexec_b64 s[2:3], vcc
	s_cbranch_execz .LBB71_19
; %bb.17:
	s_waitcnt vmcnt(5)
	v_mov_b32_e32 v116, v104
	s_waitcnt vmcnt(4)
	v_mov_b32_e32 v117, v105
	;; [unrolled: 2-line block ×4, first 2 shown]
	ds_write_b32 v111, v103
	ds_write2_b64 v113, v[116:117], v[118:119] offset0:2 offset1:3
	v_mov_b32_e32 v116, v96
	v_mov_b32_e32 v117, v97
	v_mov_b32_e32 v118, v82
	v_mov_b32_e32 v119, v83
	ds_write2_b64 v113, v[116:117], v[118:119] offset0:4 offset1:5
	v_mov_b32_e32 v116, v94
	v_mov_b32_e32 v117, v95
	v_mov_b32_e32 v118, v80
	v_mov_b32_e32 v119, v81
	;; [unrolled: 5-line block ×6, first 2 shown]
	ds_write2_b64 v113, v[116:117], v[118:119] offset0:14 offset1:15
	v_mov_b32_e32 v116, v84
	v_mov_b32_e32 v117, v85
	ds_write2_b64 v113, v[116:117], v[98:99] offset0:16 offset1:17
	ds_read_b32 v116, v111
	s_waitcnt lgkmcnt(0)
	v_cmp_neq_f32_e32 vcc, 0, v116
	s_and_b64 exec, exec, vcc
	s_cbranch_execz .LBB71_19
; %bb.18:
	v_div_scale_f32 v117, s[4:5], v116, v116, 1.0
	v_rcp_f32_e32 v118, v117
	v_div_scale_f32 v119, vcc, 1.0, v116, 1.0
	v_fma_f32 v120, -v117, v118, 1.0
	v_fmac_f32_e32 v118, v120, v118
	v_mul_f32_e32 v120, v119, v118
	v_fma_f32 v121, -v117, v120, v119
	v_fmac_f32_e32 v120, v121, v118
	v_fma_f32 v117, -v117, v120, v119
	v_div_fmas_f32 v117, v117, v118, v120
	v_div_fixup_f32 v116, v117, v116, 1.0
	ds_write_b32 v111, v116
.LBB71_19:
	s_or_b64 exec, exec, s[2:3]
	s_waitcnt lgkmcnt(0)
	s_barrier
	ds_read_b32 v116, v111
	v_cmp_lt_u32_e32 vcc, 3, v109
	s_and_saveexec_b64 s[2:3], vcc
	s_cbranch_execz .LBB71_21
; %bb.20:
	ds_read2_b64 v[118:121], v113 offset0:2 offset1:3
	s_waitcnt vmcnt(6) lgkmcnt(1)
	v_mul_f32_e32 v122, v116, v103
	v_mov_b32_e32 v103, v122
	s_waitcnt vmcnt(4) lgkmcnt(0)
	v_pk_fma_f32 v[104:105], v[122:123], v[118:119], v[104:105] op_sel_hi:[0,1,1] neg_lo:[1,0,0] neg_hi:[1,0,0]
	s_waitcnt vmcnt(2)
	v_pk_fma_f32 v[100:101], v[122:123], v[120:121], v[100:101] op_sel_hi:[0,1,1] neg_lo:[1,0,0] neg_hi:[1,0,0]
	ds_read2_b64 v[118:121], v113 offset0:4 offset1:5
	s_waitcnt lgkmcnt(0)
	v_pk_fma_f32 v[96:97], v[122:123], v[118:119], v[96:97] op_sel_hi:[0,1,1] neg_lo:[1,0,0] neg_hi:[1,0,0]
	v_pk_fma_f32 v[82:83], v[122:123], v[120:121], v[82:83] op_sel_hi:[0,1,1] neg_lo:[1,0,0] neg_hi:[1,0,0]
	ds_read2_b64 v[118:121], v113 offset0:6 offset1:7
	s_waitcnt lgkmcnt(0)
	v_pk_fma_f32 v[94:95], v[122:123], v[118:119], v[94:95] op_sel_hi:[0,1,1] neg_lo:[1,0,0] neg_hi:[1,0,0]
	;; [unrolled: 4-line block ×7, first 2 shown]
	v_pk_fma_f32 v[98:99], v[122:123], v[120:121], v[98:99] op_sel_hi:[0,1,1] neg_lo:[1,0,0] neg_hi:[1,0,0]
.LBB71_21:
	s_or_b64 exec, exec, s[2:3]
	v_cmp_eq_u32_e32 vcc, 4, v109
	s_waitcnt lgkmcnt(0)
	s_barrier
	s_and_saveexec_b64 s[2:3], vcc
	s_cbranch_execz .LBB71_24
; %bb.22:
	s_waitcnt vmcnt(2)
	v_pk_mov_b32 v[118:119], v[104:105], v[100:101] op_sel:[1,0]
	ds_write_b32 v111, v104
	ds_write2_b32 v113, v118, v119 offset0:5 offset1:6
	v_pk_mov_b32 v[118:119], v[100:101], v[96:97] op_sel:[1,0]
	ds_write2_b32 v113, v118, v119 offset0:7 offset1:8
	v_pk_mov_b32 v[118:119], v[96:97], v[82:83] op_sel:[1,0]
	;; [unrolled: 2-line block ×14, first 2 shown]
	ds_write2_b32 v113, v118, v119 offset0:33 offset1:34
	ds_write_b32 v113, v99 offset:140
	ds_read_b32 v117, v111
	s_waitcnt lgkmcnt(0)
	v_cmp_neq_f32_e32 vcc, 0, v117
	s_and_b64 exec, exec, vcc
	s_cbranch_execz .LBB71_24
; %bb.23:
	v_div_scale_f32 v118, s[4:5], v117, v117, 1.0
	v_rcp_f32_e32 v119, v118
	v_div_scale_f32 v120, vcc, 1.0, v117, 1.0
	v_fma_f32 v121, -v118, v119, 1.0
	v_fmac_f32_e32 v119, v121, v119
	v_mul_f32_e32 v121, v120, v119
	v_fma_f32 v122, -v118, v121, v120
	v_fmac_f32_e32 v121, v122, v119
	v_fma_f32 v118, -v118, v121, v120
	v_div_fmas_f32 v118, v118, v119, v121
	v_div_fixup_f32 v117, v118, v117, 1.0
	ds_write_b32 v111, v117
.LBB71_24:
	s_or_b64 exec, exec, s[2:3]
	s_waitcnt lgkmcnt(0)
	s_barrier
	ds_read_b32 v117, v111
	v_cmp_lt_u32_e32 vcc, 4, v109
	s_and_saveexec_b64 s[2:3], vcc
	s_cbranch_execz .LBB71_26
; %bb.25:
	ds_read_b32 v118, v113 offset:20
	s_waitcnt vmcnt(5) lgkmcnt(1)
	v_mul_f32_e32 v104, v117, v104
	s_waitcnt vmcnt(4) lgkmcnt(0)
	v_fma_f32 v105, -v104, v118, v105
	ds_read2_b64 v[118:121], v113 offset0:3 offset1:4
	s_waitcnt vmcnt(2) lgkmcnt(0)
	v_pk_fma_f32 v[100:101], v[104:105], v[118:119], v[100:101] op_sel_hi:[0,1,1] neg_lo:[1,0,0] neg_hi:[1,0,0]
	v_pk_fma_f32 v[96:97], v[104:105], v[120:121], v[96:97] op_sel_hi:[0,1,1] neg_lo:[1,0,0] neg_hi:[1,0,0]
	ds_read2_b64 v[118:121], v113 offset0:5 offset1:6
	s_waitcnt lgkmcnt(0)
	v_pk_fma_f32 v[82:83], v[104:105], v[118:119], v[82:83] op_sel_hi:[0,1,1] neg_lo:[1,0,0] neg_hi:[1,0,0]
	v_pk_fma_f32 v[94:95], v[104:105], v[120:121], v[94:95] op_sel_hi:[0,1,1] neg_lo:[1,0,0] neg_hi:[1,0,0]
	ds_read2_b64 v[118:121], v113 offset0:7 offset1:8
	s_waitcnt lgkmcnt(0)
	v_pk_fma_f32 v[80:81], v[104:105], v[118:119], v[80:81] op_sel_hi:[0,1,1] neg_lo:[1,0,0] neg_hi:[1,0,0]
	v_pk_fma_f32 v[92:93], v[104:105], v[120:121], v[92:93] op_sel_hi:[0,1,1] neg_lo:[1,0,0] neg_hi:[1,0,0]
	ds_read2_b64 v[118:121], v113 offset0:9 offset1:10
	s_waitcnt lgkmcnt(0)
	v_pk_fma_f32 v[78:79], v[104:105], v[118:119], v[78:79] op_sel_hi:[0,1,1] neg_lo:[1,0,0] neg_hi:[1,0,0]
	v_pk_fma_f32 v[90:91], v[104:105], v[120:121], v[90:91] op_sel_hi:[0,1,1] neg_lo:[1,0,0] neg_hi:[1,0,0]
	ds_read2_b64 v[118:121], v113 offset0:11 offset1:12
	s_waitcnt lgkmcnt(0)
	v_pk_fma_f32 v[76:77], v[104:105], v[118:119], v[76:77] op_sel_hi:[0,1,1] neg_lo:[1,0,0] neg_hi:[1,0,0]
	v_pk_fma_f32 v[88:89], v[104:105], v[120:121], v[88:89] op_sel_hi:[0,1,1] neg_lo:[1,0,0] neg_hi:[1,0,0]
	ds_read2_b64 v[118:121], v113 offset0:13 offset1:14
	s_waitcnt lgkmcnt(0)
	v_pk_fma_f32 v[74:75], v[104:105], v[118:119], v[74:75] op_sel_hi:[0,1,1] neg_lo:[1,0,0] neg_hi:[1,0,0]
	v_pk_fma_f32 v[86:87], v[104:105], v[120:121], v[86:87] op_sel_hi:[0,1,1] neg_lo:[1,0,0] neg_hi:[1,0,0]
	ds_read2_b64 v[118:121], v113 offset0:15 offset1:16
	s_waitcnt lgkmcnt(0)
	v_pk_fma_f32 v[72:73], v[104:105], v[118:119], v[72:73] op_sel_hi:[0,1,1] neg_lo:[1,0,0] neg_hi:[1,0,0]
	ds_read_b64 v[118:119], v113 offset:136
	v_pk_fma_f32 v[84:85], v[104:105], v[120:121], v[84:85] op_sel_hi:[0,1,1] neg_lo:[1,0,0] neg_hi:[1,0,0]
	s_waitcnt lgkmcnt(0)
	v_pk_fma_f32 v[98:99], v[104:105], v[118:119], v[98:99] op_sel_hi:[0,1,1] neg_lo:[1,0,0] neg_hi:[1,0,0]
.LBB71_26:
	s_or_b64 exec, exec, s[2:3]
	v_cmp_ne_u32_e32 vcc, 5, v109
	s_waitcnt lgkmcnt(0)
	s_barrier
	s_and_saveexec_b64 s[2:3], vcc
	s_xor_b64 s[2:3], exec, s[2:3]
	s_andn2_saveexec_b64 s[2:3], s[2:3]
	s_cbranch_execz .LBB71_30
; %bb.27:
	s_waitcnt vmcnt(4)
	ds_write_b32 v111, v105
	s_waitcnt vmcnt(2)
	ds_write2_b64 v113, v[100:101], v[96:97] offset0:3 offset1:4
	ds_write2_b64 v113, v[82:83], v[94:95] offset0:5 offset1:6
	;; [unrolled: 1-line block ×7, first 2 shown]
	ds_write_b64 v113, v[98:99] offset:136
	ds_read_b32 v118, v111
	s_waitcnt lgkmcnt(0)
	v_cmp_neq_f32_e32 vcc, 0, v118
	s_and_saveexec_b64 s[4:5], vcc
	s_cbranch_execz .LBB71_29
; %bb.28:
	v_div_scale_f32 v119, s[10:11], v118, v118, 1.0
	v_rcp_f32_e32 v120, v119
	v_div_scale_f32 v121, vcc, 1.0, v118, 1.0
	v_fma_f32 v122, -v119, v120, 1.0
	v_fmac_f32_e32 v120, v122, v120
	v_mul_f32_e32 v122, v121, v120
	v_fma_f32 v123, -v119, v122, v121
	v_fmac_f32_e32 v122, v123, v120
	v_fma_f32 v119, -v119, v122, v121
	v_div_fmas_f32 v119, v119, v120, v122
	v_div_fixup_f32 v118, v119, v118, 1.0
	ds_write_b32 v111, v118
.LBB71_29:
	s_or_b64 exec, exec, s[4:5]
.LBB71_30:
	s_or_b64 exec, exec, s[2:3]
	s_waitcnt lgkmcnt(0)
	s_barrier
	ds_read_b32 v118, v111
	v_cmp_lt_u32_e32 vcc, 5, v109
	s_and_saveexec_b64 s[2:3], vcc
	s_cbranch_execz .LBB71_32
; %bb.31:
	ds_read2_b64 v[120:123], v113 offset0:3 offset1:4
	s_waitcnt vmcnt(4) lgkmcnt(1)
	v_mul_f32_e32 v124, v118, v105
	v_mov_b32_e32 v105, v124
	s_waitcnt vmcnt(2) lgkmcnt(0)
	v_pk_fma_f32 v[100:101], v[124:125], v[120:121], v[100:101] op_sel_hi:[0,1,1] neg_lo:[1,0,0] neg_hi:[1,0,0]
	v_pk_fma_f32 v[96:97], v[124:125], v[122:123], v[96:97] op_sel_hi:[0,1,1] neg_lo:[1,0,0] neg_hi:[1,0,0]
	ds_read2_b64 v[120:123], v113 offset0:5 offset1:6
	s_waitcnt lgkmcnt(0)
	v_pk_fma_f32 v[82:83], v[124:125], v[120:121], v[82:83] op_sel_hi:[0,1,1] neg_lo:[1,0,0] neg_hi:[1,0,0]
	v_pk_fma_f32 v[94:95], v[124:125], v[122:123], v[94:95] op_sel_hi:[0,1,1] neg_lo:[1,0,0] neg_hi:[1,0,0]
	ds_read2_b64 v[120:123], v113 offset0:7 offset1:8
	s_waitcnt lgkmcnt(0)
	;; [unrolled: 4-line block ×6, first 2 shown]
	v_pk_fma_f32 v[72:73], v[124:125], v[120:121], v[72:73] op_sel_hi:[0,1,1] neg_lo:[1,0,0] neg_hi:[1,0,0]
	ds_read_b64 v[120:121], v113 offset:136
	v_pk_fma_f32 v[84:85], v[124:125], v[122:123], v[84:85] op_sel_hi:[0,1,1] neg_lo:[1,0,0] neg_hi:[1,0,0]
	s_waitcnt lgkmcnt(0)
	v_pk_fma_f32 v[98:99], v[124:125], v[120:121], v[98:99] op_sel_hi:[0,1,1] neg_lo:[1,0,0] neg_hi:[1,0,0]
.LBB71_32:
	s_or_b64 exec, exec, s[2:3]
	v_cmp_eq_u32_e32 vcc, 6, v109
	s_waitcnt lgkmcnt(0)
	s_barrier
	s_and_saveexec_b64 s[2:3], vcc
	s_cbranch_execz .LBB71_35
; %bb.33:
	s_waitcnt vmcnt(2)
	v_pk_mov_b32 v[120:121], v[100:101], v[96:97] op_sel:[1,0]
	ds_write_b32 v111, v100
	ds_write2_b32 v113, v120, v121 offset0:7 offset1:8
	v_pk_mov_b32 v[120:121], v[96:97], v[82:83] op_sel:[1,0]
	ds_write2_b32 v113, v120, v121 offset0:9 offset1:10
	v_pk_mov_b32 v[120:121], v[82:83], v[94:95] op_sel:[1,0]
	;; [unrolled: 2-line block ×13, first 2 shown]
	ds_write2_b32 v113, v120, v121 offset0:33 offset1:34
	ds_write_b32 v113, v99 offset:140
	ds_read_b32 v119, v111
	s_waitcnt lgkmcnt(0)
	v_cmp_neq_f32_e32 vcc, 0, v119
	s_and_b64 exec, exec, vcc
	s_cbranch_execz .LBB71_35
; %bb.34:
	v_div_scale_f32 v120, s[4:5], v119, v119, 1.0
	v_rcp_f32_e32 v121, v120
	v_div_scale_f32 v122, vcc, 1.0, v119, 1.0
	v_fma_f32 v123, -v120, v121, 1.0
	v_fmac_f32_e32 v121, v123, v121
	v_mul_f32_e32 v123, v122, v121
	v_fma_f32 v124, -v120, v123, v122
	v_fmac_f32_e32 v123, v124, v121
	v_fma_f32 v120, -v120, v123, v122
	v_div_fmas_f32 v120, v120, v121, v123
	v_div_fixup_f32 v119, v120, v119, 1.0
	ds_write_b32 v111, v119
.LBB71_35:
	s_or_b64 exec, exec, s[2:3]
	s_waitcnt lgkmcnt(0)
	s_barrier
	ds_read_b32 v119, v111
	v_cmp_lt_u32_e32 vcc, 6, v109
	s_and_saveexec_b64 s[2:3], vcc
	s_cbranch_execz .LBB71_37
; %bb.36:
	ds_read_b32 v120, v113 offset:28
	s_waitcnt vmcnt(3) lgkmcnt(1)
	v_mul_f32_e32 v100, v119, v100
	s_waitcnt vmcnt(2) lgkmcnt(0)
	v_fma_f32 v101, -v100, v120, v101
	ds_read2_b64 v[120:123], v113 offset0:4 offset1:5
	s_waitcnt lgkmcnt(0)
	v_pk_fma_f32 v[96:97], v[100:101], v[120:121], v[96:97] op_sel_hi:[0,1,1] neg_lo:[1,0,0] neg_hi:[1,0,0]
	v_pk_fma_f32 v[82:83], v[100:101], v[122:123], v[82:83] op_sel_hi:[0,1,1] neg_lo:[1,0,0] neg_hi:[1,0,0]
	ds_read2_b64 v[120:123], v113 offset0:6 offset1:7
	s_waitcnt lgkmcnt(0)
	v_pk_fma_f32 v[94:95], v[100:101], v[120:121], v[94:95] op_sel_hi:[0,1,1] neg_lo:[1,0,0] neg_hi:[1,0,0]
	v_pk_fma_f32 v[80:81], v[100:101], v[122:123], v[80:81] op_sel_hi:[0,1,1] neg_lo:[1,0,0] neg_hi:[1,0,0]
	;; [unrolled: 4-line block ×7, first 2 shown]
.LBB71_37:
	s_or_b64 exec, exec, s[2:3]
	v_cmp_ne_u32_e32 vcc, 7, v109
	s_waitcnt lgkmcnt(0)
	s_barrier
	s_and_saveexec_b64 s[2:3], vcc
	s_xor_b64 s[2:3], exec, s[2:3]
	s_andn2_saveexec_b64 s[2:3], s[2:3]
	s_cbranch_execz .LBB71_41
; %bb.38:
	s_waitcnt vmcnt(35)
	v_mov_b32_e32 v120, v96
	s_waitcnt vmcnt(34)
	v_mov_b32_e32 v121, v97
	;; [unrolled: 2-line block ×4, first 2 shown]
	s_waitcnt vmcnt(2)
	ds_write_b32 v111, v101
	ds_write2_b64 v113, v[120:121], v[122:123] offset0:4 offset1:5
	v_mov_b32_e32 v120, v94
	v_mov_b32_e32 v121, v95
	v_mov_b32_e32 v122, v80
	v_mov_b32_e32 v123, v81
	ds_write2_b64 v113, v[120:121], v[122:123] offset0:6 offset1:7
	v_mov_b32_e32 v120, v92
	v_mov_b32_e32 v121, v93
	v_mov_b32_e32 v122, v78
	v_mov_b32_e32 v123, v79
	;; [unrolled: 5-line block ×5, first 2 shown]
	ds_write2_b64 v113, v[120:121], v[122:123] offset0:14 offset1:15
	v_mov_b32_e32 v120, v84
	v_mov_b32_e32 v121, v85
	ds_write2_b64 v113, v[120:121], v[98:99] offset0:16 offset1:17
	ds_read_b32 v120, v111
	s_waitcnt lgkmcnt(0)
	v_cmp_neq_f32_e32 vcc, 0, v120
	s_and_saveexec_b64 s[4:5], vcc
	s_cbranch_execz .LBB71_40
; %bb.39:
	v_div_scale_f32 v121, s[10:11], v120, v120, 1.0
	v_rcp_f32_e32 v122, v121
	v_div_scale_f32 v123, vcc, 1.0, v120, 1.0
	v_fma_f32 v124, -v121, v122, 1.0
	v_fmac_f32_e32 v122, v124, v122
	v_mul_f32_e32 v124, v123, v122
	v_fma_f32 v125, -v121, v124, v123
	v_fmac_f32_e32 v124, v125, v122
	v_fma_f32 v121, -v121, v124, v123
	v_div_fmas_f32 v121, v121, v122, v124
	v_div_fixup_f32 v120, v121, v120, 1.0
	ds_write_b32 v111, v120
.LBB71_40:
	s_or_b64 exec, exec, s[4:5]
.LBB71_41:
	s_or_b64 exec, exec, s[2:3]
	s_waitcnt lgkmcnt(0)
	s_barrier
	ds_read_b32 v120, v111
	v_cmp_lt_u32_e32 vcc, 7, v109
	s_and_saveexec_b64 s[2:3], vcc
	s_cbranch_execz .LBB71_43
; %bb.42:
	ds_read2_b64 v[122:125], v113 offset0:4 offset1:5
	s_waitcnt vmcnt(2) lgkmcnt(1)
	v_mul_f32_e32 v126, v120, v101
	v_mov_b32_e32 v101, v126
	s_waitcnt lgkmcnt(0)
	v_pk_fma_f32 v[96:97], v[126:127], v[122:123], v[96:97] op_sel_hi:[0,1,1] neg_lo:[1,0,0] neg_hi:[1,0,0]
	v_pk_fma_f32 v[82:83], v[126:127], v[124:125], v[82:83] op_sel_hi:[0,1,1] neg_lo:[1,0,0] neg_hi:[1,0,0]
	ds_read2_b64 v[122:125], v113 offset0:6 offset1:7
	s_waitcnt lgkmcnt(0)
	v_pk_fma_f32 v[94:95], v[126:127], v[122:123], v[94:95] op_sel_hi:[0,1,1] neg_lo:[1,0,0] neg_hi:[1,0,0]
	v_pk_fma_f32 v[80:81], v[126:127], v[124:125], v[80:81] op_sel_hi:[0,1,1] neg_lo:[1,0,0] neg_hi:[1,0,0]
	ds_read2_b64 v[122:125], v113 offset0:8 offset1:9
	;; [unrolled: 4-line block ×6, first 2 shown]
	s_waitcnt lgkmcnt(0)
	v_pk_fma_f32 v[84:85], v[126:127], v[122:123], v[84:85] op_sel_hi:[0,1,1] neg_lo:[1,0,0] neg_hi:[1,0,0]
	v_pk_fma_f32 v[98:99], v[126:127], v[124:125], v[98:99] op_sel_hi:[0,1,1] neg_lo:[1,0,0] neg_hi:[1,0,0]
.LBB71_43:
	s_or_b64 exec, exec, s[2:3]
	v_cmp_eq_u32_e32 vcc, 8, v109
	s_waitcnt lgkmcnt(0)
	s_barrier
	s_and_saveexec_b64 s[2:3], vcc
	s_cbranch_execz .LBB71_46
; %bb.44:
	s_waitcnt vmcnt(32)
	v_pk_mov_b32 v[122:123], v[96:97], v[82:83] op_sel:[1,0]
	ds_write_b32 v111, v96
	ds_write2_b32 v113, v122, v123 offset0:9 offset1:10
	s_waitcnt vmcnt(30)
	v_pk_mov_b32 v[122:123], v[82:83], v[94:95] op_sel:[1,0]
	ds_write2_b32 v113, v122, v123 offset0:11 offset1:12
	s_waitcnt vmcnt(28)
	v_pk_mov_b32 v[122:123], v[94:95], v[80:81] op_sel:[1,0]
	;; [unrolled: 3-line block ×12, first 2 shown]
	ds_write2_b32 v113, v122, v123 offset0:33 offset1:34
	ds_write_b32 v113, v99 offset:140
	ds_read_b32 v121, v111
	s_waitcnt lgkmcnt(0)
	v_cmp_neq_f32_e32 vcc, 0, v121
	s_and_b64 exec, exec, vcc
	s_cbranch_execz .LBB71_46
; %bb.45:
	v_div_scale_f32 v122, s[4:5], v121, v121, 1.0
	v_rcp_f32_e32 v123, v122
	v_div_scale_f32 v124, vcc, 1.0, v121, 1.0
	v_fma_f32 v125, -v122, v123, 1.0
	v_fmac_f32_e32 v123, v125, v123
	v_mul_f32_e32 v125, v124, v123
	v_fma_f32 v126, -v122, v125, v124
	v_fmac_f32_e32 v125, v126, v123
	v_fma_f32 v122, -v122, v125, v124
	v_div_fmas_f32 v122, v122, v123, v125
	v_div_fixup_f32 v121, v122, v121, 1.0
	ds_write_b32 v111, v121
.LBB71_46:
	s_or_b64 exec, exec, s[2:3]
	s_waitcnt lgkmcnt(0)
	s_barrier
	ds_read_b32 v121, v111
	v_cmp_lt_u32_e32 vcc, 8, v109
	s_and_saveexec_b64 s[2:3], vcc
	s_cbranch_execz .LBB71_48
; %bb.47:
	ds_read_b32 v122, v113 offset:36
	s_waitcnt vmcnt(35) lgkmcnt(1)
	v_mul_f32_e32 v96, v121, v96
	s_waitcnt vmcnt(34) lgkmcnt(0)
	v_fma_f32 v97, -v96, v122, v97
	ds_read2_b64 v[122:125], v113 offset0:5 offset1:6
	s_waitcnt vmcnt(32) lgkmcnt(0)
	v_pk_fma_f32 v[82:83], v[96:97], v[122:123], v[82:83] op_sel_hi:[0,1,1] neg_lo:[1,0,0] neg_hi:[1,0,0]
	s_waitcnt vmcnt(30)
	v_pk_fma_f32 v[94:95], v[96:97], v[124:125], v[94:95] op_sel_hi:[0,1,1] neg_lo:[1,0,0] neg_hi:[1,0,0]
	ds_read2_b64 v[122:125], v113 offset0:7 offset1:8
	s_waitcnt vmcnt(28) lgkmcnt(0)
	v_pk_fma_f32 v[80:81], v[96:97], v[122:123], v[80:81] op_sel_hi:[0,1,1] neg_lo:[1,0,0] neg_hi:[1,0,0]
	s_waitcnt vmcnt(26)
	v_pk_fma_f32 v[92:93], v[96:97], v[124:125], v[92:93] op_sel_hi:[0,1,1] neg_lo:[1,0,0] neg_hi:[1,0,0]
	;; [unrolled: 5-line block ×5, first 2 shown]
	ds_read2_b64 v[122:125], v113 offset0:15 offset1:16
	s_waitcnt vmcnt(12) lgkmcnt(0)
	v_pk_fma_f32 v[72:73], v[96:97], v[122:123], v[72:73] op_sel_hi:[0,1,1] neg_lo:[1,0,0] neg_hi:[1,0,0]
	ds_read_b64 v[122:123], v113 offset:136
	s_waitcnt vmcnt(10)
	v_pk_fma_f32 v[84:85], v[96:97], v[124:125], v[84:85] op_sel_hi:[0,1,1] neg_lo:[1,0,0] neg_hi:[1,0,0]
	s_waitcnt vmcnt(8) lgkmcnt(0)
	v_pk_fma_f32 v[98:99], v[96:97], v[122:123], v[98:99] op_sel_hi:[0,1,1] neg_lo:[1,0,0] neg_hi:[1,0,0]
.LBB71_48:
	s_or_b64 exec, exec, s[2:3]
	v_cmp_ne_u32_e32 vcc, 9, v109
	s_waitcnt lgkmcnt(0)
	s_barrier
	s_and_saveexec_b64 s[2:3], vcc
	s_xor_b64 s[2:3], exec, s[2:3]
	s_andn2_saveexec_b64 s[2:3], s[2:3]
	s_cbranch_execz .LBB71_52
; %bb.49:
	s_waitcnt vmcnt(34)
	ds_write_b32 v111, v97
	s_waitcnt vmcnt(30)
	ds_write2_b64 v113, v[82:83], v[94:95] offset0:5 offset1:6
	s_waitcnt vmcnt(26)
	ds_write2_b64 v113, v[80:81], v[92:93] offset0:7 offset1:8
	;; [unrolled: 2-line block ×6, first 2 shown]
	s_waitcnt vmcnt(8)
	ds_write_b64 v113, v[98:99] offset:136
	ds_read_b32 v122, v111
	s_waitcnt lgkmcnt(0)
	v_cmp_neq_f32_e32 vcc, 0, v122
	s_and_saveexec_b64 s[4:5], vcc
	s_cbranch_execz .LBB71_51
; %bb.50:
	v_div_scale_f32 v123, s[10:11], v122, v122, 1.0
	v_rcp_f32_e32 v124, v123
	v_div_scale_f32 v125, vcc, 1.0, v122, 1.0
	v_fma_f32 v126, -v123, v124, 1.0
	v_fmac_f32_e32 v124, v126, v124
	v_mul_f32_e32 v126, v125, v124
	v_fma_f32 v127, -v123, v126, v125
	v_fmac_f32_e32 v126, v127, v124
	v_fma_f32 v123, -v123, v126, v125
	v_div_fmas_f32 v123, v123, v124, v126
	v_div_fixup_f32 v122, v123, v122, 1.0
	ds_write_b32 v111, v122
.LBB71_51:
	s_or_b64 exec, exec, s[4:5]
.LBB71_52:
	s_or_b64 exec, exec, s[2:3]
	s_waitcnt lgkmcnt(0)
	s_barrier
	ds_read_b32 v122, v111
	v_cmp_lt_u32_e32 vcc, 9, v109
	s_and_saveexec_b64 s[2:3], vcc
	s_cbranch_execz .LBB71_54
; %bb.53:
	ds_read2_b64 v[124:127], v113 offset0:5 offset1:6
	s_waitcnt vmcnt(34) lgkmcnt(1)
	v_mul_f32_e32 v128, v122, v97
	v_mov_b32_e32 v97, v128
	s_waitcnt vmcnt(32) lgkmcnt(0)
	v_pk_fma_f32 v[82:83], v[128:129], v[124:125], v[82:83] op_sel_hi:[0,1,1] neg_lo:[1,0,0] neg_hi:[1,0,0]
	s_waitcnt vmcnt(30)
	v_pk_fma_f32 v[94:95], v[128:129], v[126:127], v[94:95] op_sel_hi:[0,1,1] neg_lo:[1,0,0] neg_hi:[1,0,0]
	ds_read2_b64 v[124:127], v113 offset0:7 offset1:8
	s_waitcnt vmcnt(28) lgkmcnt(0)
	v_pk_fma_f32 v[80:81], v[128:129], v[124:125], v[80:81] op_sel_hi:[0,1,1] neg_lo:[1,0,0] neg_hi:[1,0,0]
	s_waitcnt vmcnt(26)
	v_pk_fma_f32 v[92:93], v[128:129], v[126:127], v[92:93] op_sel_hi:[0,1,1] neg_lo:[1,0,0] neg_hi:[1,0,0]
	ds_read2_b64 v[124:127], v113 offset0:9 offset1:10
	;; [unrolled: 5-line block ×5, first 2 shown]
	s_waitcnt vmcnt(12) lgkmcnt(0)
	v_pk_fma_f32 v[72:73], v[128:129], v[124:125], v[72:73] op_sel_hi:[0,1,1] neg_lo:[1,0,0] neg_hi:[1,0,0]
	ds_read_b64 v[124:125], v113 offset:136
	s_waitcnt vmcnt(10)
	v_pk_fma_f32 v[84:85], v[128:129], v[126:127], v[84:85] op_sel_hi:[0,1,1] neg_lo:[1,0,0] neg_hi:[1,0,0]
	s_waitcnt vmcnt(8) lgkmcnt(0)
	v_pk_fma_f32 v[98:99], v[128:129], v[124:125], v[98:99] op_sel_hi:[0,1,1] neg_lo:[1,0,0] neg_hi:[1,0,0]
.LBB71_54:
	s_or_b64 exec, exec, s[2:3]
	v_cmp_eq_u32_e32 vcc, 10, v109
	s_waitcnt lgkmcnt(0)
	s_barrier
	s_and_saveexec_b64 s[2:3], vcc
	s_cbranch_execz .LBB71_57
; %bb.55:
	s_waitcnt vmcnt(30)
	v_pk_mov_b32 v[124:125], v[82:83], v[94:95] op_sel:[1,0]
	ds_write_b32 v111, v82
	ds_write2_b32 v113, v124, v125 offset0:11 offset1:12
	s_waitcnt vmcnt(28)
	v_pk_mov_b32 v[124:125], v[94:95], v[80:81] op_sel:[1,0]
	ds_write2_b32 v113, v124, v125 offset0:13 offset1:14
	s_waitcnt vmcnt(26)
	v_pk_mov_b32 v[124:125], v[80:81], v[92:93] op_sel:[1,0]
	;; [unrolled: 3-line block ×11, first 2 shown]
	ds_write2_b32 v113, v124, v125 offset0:33 offset1:34
	ds_write_b32 v113, v99 offset:140
	ds_read_b32 v123, v111
	s_waitcnt lgkmcnt(0)
	v_cmp_neq_f32_e32 vcc, 0, v123
	s_and_b64 exec, exec, vcc
	s_cbranch_execz .LBB71_57
; %bb.56:
	v_div_scale_f32 v124, s[4:5], v123, v123, 1.0
	v_rcp_f32_e32 v125, v124
	v_div_scale_f32 v126, vcc, 1.0, v123, 1.0
	v_fma_f32 v127, -v124, v125, 1.0
	v_fmac_f32_e32 v125, v127, v125
	v_mul_f32_e32 v127, v126, v125
	v_fma_f32 v128, -v124, v127, v126
	v_fmac_f32_e32 v127, v128, v125
	v_fma_f32 v124, -v124, v127, v126
	v_div_fmas_f32 v124, v124, v125, v127
	v_div_fixup_f32 v123, v124, v123, 1.0
	ds_write_b32 v111, v123
.LBB71_57:
	s_or_b64 exec, exec, s[2:3]
	s_waitcnt lgkmcnt(0)
	s_barrier
	ds_read_b32 v123, v111
	v_cmp_lt_u32_e32 vcc, 10, v109
	s_and_saveexec_b64 s[2:3], vcc
	s_cbranch_execz .LBB71_59
; %bb.58:
	ds_read_b32 v136, v113 offset:44
	ds_read2_b64 v[124:127], v113 offset0:6 offset1:7
	ds_read2_b64 v[128:131], v113 offset0:8 offset1:9
	;; [unrolled: 1-line block ×3, first 2 shown]
	s_waitcnt vmcnt(33) lgkmcnt(4)
	v_mul_f32_e32 v82, v123, v82
	s_waitcnt vmcnt(32) lgkmcnt(3)
	v_fma_f32 v83, -v82, v136, v83
	s_waitcnt vmcnt(30) lgkmcnt(2)
	v_pk_fma_f32 v[94:95], v[82:83], v[124:125], v[94:95] op_sel_hi:[0,1,1] neg_lo:[1,0,0] neg_hi:[1,0,0]
	s_waitcnt vmcnt(28)
	v_pk_fma_f32 v[80:81], v[82:83], v[126:127], v[80:81] op_sel_hi:[0,1,1] neg_lo:[1,0,0] neg_hi:[1,0,0]
	s_waitcnt vmcnt(26) lgkmcnt(1)
	v_pk_fma_f32 v[92:93], v[82:83], v[128:129], v[92:93] op_sel_hi:[0,1,1] neg_lo:[1,0,0] neg_hi:[1,0,0]
	s_waitcnt vmcnt(24)
	v_pk_fma_f32 v[78:79], v[82:83], v[130:131], v[78:79] op_sel_hi:[0,1,1] neg_lo:[1,0,0] neg_hi:[1,0,0]
	ds_read2_b64 v[124:127], v113 offset0:12 offset1:13
	ds_read2_b64 v[128:131], v113 offset0:14 offset1:15
	s_waitcnt vmcnt(22) lgkmcnt(2)
	v_pk_fma_f32 v[90:91], v[82:83], v[132:133], v[90:91] op_sel_hi:[0,1,1] neg_lo:[1,0,0] neg_hi:[1,0,0]
	s_waitcnt vmcnt(20)
	v_pk_fma_f32 v[76:77], v[82:83], v[134:135], v[76:77] op_sel_hi:[0,1,1] neg_lo:[1,0,0] neg_hi:[1,0,0]
	ds_read2_b64 v[132:135], v113 offset0:16 offset1:17
	s_waitcnt vmcnt(18) lgkmcnt(2)
	v_pk_fma_f32 v[88:89], v[82:83], v[124:125], v[88:89] op_sel_hi:[0,1,1] neg_lo:[1,0,0] neg_hi:[1,0,0]
	s_waitcnt vmcnt(16)
	v_pk_fma_f32 v[74:75], v[82:83], v[126:127], v[74:75] op_sel_hi:[0,1,1] neg_lo:[1,0,0] neg_hi:[1,0,0]
	s_waitcnt vmcnt(14) lgkmcnt(1)
	v_pk_fma_f32 v[86:87], v[82:83], v[128:129], v[86:87] op_sel_hi:[0,1,1] neg_lo:[1,0,0] neg_hi:[1,0,0]
	s_waitcnt vmcnt(12)
	v_pk_fma_f32 v[72:73], v[82:83], v[130:131], v[72:73] op_sel_hi:[0,1,1] neg_lo:[1,0,0] neg_hi:[1,0,0]
	;; [unrolled: 4-line block ×3, first 2 shown]
.LBB71_59:
	s_or_b64 exec, exec, s[2:3]
	v_cmp_ne_u32_e32 vcc, 11, v109
	s_waitcnt lgkmcnt(0)
	s_barrier
	s_and_saveexec_b64 s[2:3], vcc
	s_xor_b64 s[2:3], exec, s[2:3]
	s_andn2_saveexec_b64 s[2:3], s[2:3]
	s_cbranch_execz .LBB71_63
; %bb.60:
	s_waitcnt vmcnt(31)
	v_mov_b32_e32 v124, v94
	s_waitcnt vmcnt(30)
	v_mov_b32_e32 v125, v95
	;; [unrolled: 2-line block ×4, first 2 shown]
	ds_write_b32 v111, v83
	ds_write2_b64 v113, v[124:125], v[126:127] offset0:6 offset1:7
	s_waitcnt vmcnt(27)
	v_mov_b32_e32 v124, v92
	s_waitcnt vmcnt(26)
	v_mov_b32_e32 v125, v93
	s_waitcnt vmcnt(25)
	v_mov_b32_e32 v126, v78
	s_waitcnt vmcnt(24)
	v_mov_b32_e32 v127, v79
	ds_write2_b64 v113, v[124:125], v[126:127] offset0:8 offset1:9
	s_waitcnt vmcnt(23)
	v_mov_b32_e32 v124, v90
	s_waitcnt vmcnt(22)
	v_mov_b32_e32 v125, v91
	s_waitcnt vmcnt(21)
	v_mov_b32_e32 v126, v76
	s_waitcnt vmcnt(20)
	v_mov_b32_e32 v127, v77
	;; [unrolled: 9-line block ×4, first 2 shown]
	ds_write2_b64 v113, v[124:125], v[126:127] offset0:14 offset1:15
	s_waitcnt vmcnt(11)
	v_mov_b32_e32 v124, v84
	s_waitcnt vmcnt(10)
	v_mov_b32_e32 v125, v85
	s_waitcnt vmcnt(8)
	ds_write2_b64 v113, v[124:125], v[98:99] offset0:16 offset1:17
	ds_read_b32 v124, v111
	s_waitcnt lgkmcnt(0)
	v_cmp_neq_f32_e32 vcc, 0, v124
	s_and_saveexec_b64 s[4:5], vcc
	s_cbranch_execz .LBB71_62
; %bb.61:
	v_div_scale_f32 v125, s[10:11], v124, v124, 1.0
	v_rcp_f32_e32 v126, v125
	v_div_scale_f32 v127, vcc, 1.0, v124, 1.0
	v_fma_f32 v128, -v125, v126, 1.0
	v_fmac_f32_e32 v126, v128, v126
	v_mul_f32_e32 v128, v127, v126
	v_fma_f32 v129, -v125, v128, v127
	v_fmac_f32_e32 v128, v129, v126
	v_fma_f32 v125, -v125, v128, v127
	v_div_fmas_f32 v125, v125, v126, v128
	v_div_fixup_f32 v124, v125, v124, 1.0
	ds_write_b32 v111, v124
.LBB71_62:
	s_or_b64 exec, exec, s[4:5]
.LBB71_63:
	s_or_b64 exec, exec, s[2:3]
	s_waitcnt lgkmcnt(0)
	s_barrier
	ds_read_b32 v124, v111
	v_cmp_lt_u32_e32 vcc, 11, v109
	s_and_saveexec_b64 s[2:3], vcc
	s_cbranch_execz .LBB71_65
; %bb.64:
	ds_read2_b64 v[126:129], v113 offset0:6 offset1:7
	ds_read2_b64 v[130:133], v113 offset0:8 offset1:9
	ds_read2_b64 v[134:137], v113 offset0:10 offset1:11
	s_waitcnt vmcnt(32) lgkmcnt(3)
	v_mul_f32_e32 v138, v124, v83
	v_mov_b32_e32 v83, v138
	s_waitcnt vmcnt(30) lgkmcnt(2)
	v_pk_fma_f32 v[94:95], v[138:139], v[126:127], v[94:95] op_sel_hi:[0,1,1] neg_lo:[1,0,0] neg_hi:[1,0,0]
	s_waitcnt vmcnt(28)
	v_pk_fma_f32 v[80:81], v[138:139], v[128:129], v[80:81] op_sel_hi:[0,1,1] neg_lo:[1,0,0] neg_hi:[1,0,0]
	s_waitcnt vmcnt(26) lgkmcnt(1)
	v_pk_fma_f32 v[92:93], v[138:139], v[130:131], v[92:93] op_sel_hi:[0,1,1] neg_lo:[1,0,0] neg_hi:[1,0,0]
	s_waitcnt vmcnt(24)
	v_pk_fma_f32 v[78:79], v[138:139], v[132:133], v[78:79] op_sel_hi:[0,1,1] neg_lo:[1,0,0] neg_hi:[1,0,0]
	ds_read2_b64 v[126:129], v113 offset0:12 offset1:13
	s_waitcnt vmcnt(22) lgkmcnt(1)
	v_pk_fma_f32 v[90:91], v[138:139], v[134:135], v[90:91] op_sel_hi:[0,1,1] neg_lo:[1,0,0] neg_hi:[1,0,0]
	ds_read2_b64 v[130:133], v113 offset0:14 offset1:15
	s_waitcnt vmcnt(20)
	v_pk_fma_f32 v[76:77], v[138:139], v[136:137], v[76:77] op_sel_hi:[0,1,1] neg_lo:[1,0,0] neg_hi:[1,0,0]
	ds_read2_b64 v[134:137], v113 offset0:16 offset1:17
	s_waitcnt vmcnt(18) lgkmcnt(2)
	v_pk_fma_f32 v[88:89], v[138:139], v[126:127], v[88:89] op_sel_hi:[0,1,1] neg_lo:[1,0,0] neg_hi:[1,0,0]
	s_waitcnt vmcnt(16)
	v_pk_fma_f32 v[74:75], v[138:139], v[128:129], v[74:75] op_sel_hi:[0,1,1] neg_lo:[1,0,0] neg_hi:[1,0,0]
	s_waitcnt vmcnt(14) lgkmcnt(1)
	v_pk_fma_f32 v[86:87], v[138:139], v[130:131], v[86:87] op_sel_hi:[0,1,1] neg_lo:[1,0,0] neg_hi:[1,0,0]
	s_waitcnt vmcnt(12)
	v_pk_fma_f32 v[72:73], v[138:139], v[132:133], v[72:73] op_sel_hi:[0,1,1] neg_lo:[1,0,0] neg_hi:[1,0,0]
	;; [unrolled: 4-line block ×3, first 2 shown]
.LBB71_65:
	s_or_b64 exec, exec, s[2:3]
	v_cmp_eq_u32_e32 vcc, 12, v109
	s_waitcnt lgkmcnt(0)
	s_barrier
	s_and_saveexec_b64 s[2:3], vcc
	s_cbranch_execz .LBB71_68
; %bb.66:
	s_waitcnt vmcnt(28)
	v_pk_mov_b32 v[126:127], v[94:95], v[80:81] op_sel:[1,0]
	ds_write_b32 v111, v94
	ds_write2_b32 v113, v126, v127 offset0:13 offset1:14
	s_waitcnt vmcnt(26)
	v_pk_mov_b32 v[126:127], v[80:81], v[92:93] op_sel:[1,0]
	ds_write2_b32 v113, v126, v127 offset0:15 offset1:16
	s_waitcnt vmcnt(24)
	v_pk_mov_b32 v[126:127], v[92:93], v[78:79] op_sel:[1,0]
	;; [unrolled: 3-line block ×10, first 2 shown]
	ds_write2_b32 v113, v126, v127 offset0:33 offset1:34
	ds_write_b32 v113, v99 offset:140
	ds_read_b32 v125, v111
	s_waitcnt lgkmcnt(0)
	v_cmp_neq_f32_e32 vcc, 0, v125
	s_and_b64 exec, exec, vcc
	s_cbranch_execz .LBB71_68
; %bb.67:
	v_div_scale_f32 v126, s[4:5], v125, v125, 1.0
	v_rcp_f32_e32 v127, v126
	v_div_scale_f32 v128, vcc, 1.0, v125, 1.0
	v_fma_f32 v129, -v126, v127, 1.0
	v_fmac_f32_e32 v127, v129, v127
	v_mul_f32_e32 v129, v128, v127
	v_fma_f32 v130, -v126, v129, v128
	v_fmac_f32_e32 v129, v130, v127
	v_fma_f32 v126, -v126, v129, v128
	v_div_fmas_f32 v126, v126, v127, v129
	v_div_fixup_f32 v125, v126, v125, 1.0
	ds_write_b32 v111, v125
.LBB71_68:
	s_or_b64 exec, exec, s[2:3]
	s_waitcnt lgkmcnt(0)
	s_barrier
	ds_read_b32 v125, v111
	v_cmp_lt_u32_e32 vcc, 12, v109
	s_and_saveexec_b64 s[2:3], vcc
	s_cbranch_execz .LBB71_70
; %bb.69:
	ds_read_b32 v138, v113 offset:52
	ds_read2_b64 v[126:129], v113 offset0:7 offset1:8
	ds_read2_b64 v[130:133], v113 offset0:9 offset1:10
	;; [unrolled: 1-line block ×3, first 2 shown]
	s_waitcnt vmcnt(31) lgkmcnt(4)
	v_mul_f32_e32 v94, v125, v94
	s_waitcnt vmcnt(30) lgkmcnt(3)
	v_fma_f32 v95, -v94, v138, v95
	s_waitcnt vmcnt(28) lgkmcnt(2)
	v_pk_fma_f32 v[80:81], v[94:95], v[126:127], v[80:81] op_sel_hi:[0,1,1] neg_lo:[1,0,0] neg_hi:[1,0,0]
	s_waitcnt vmcnt(26)
	v_pk_fma_f32 v[92:93], v[94:95], v[128:129], v[92:93] op_sel_hi:[0,1,1] neg_lo:[1,0,0] neg_hi:[1,0,0]
	s_waitcnt vmcnt(24) lgkmcnt(1)
	v_pk_fma_f32 v[78:79], v[94:95], v[130:131], v[78:79] op_sel_hi:[0,1,1] neg_lo:[1,0,0] neg_hi:[1,0,0]
	s_waitcnt vmcnt(22)
	v_pk_fma_f32 v[90:91], v[94:95], v[132:133], v[90:91] op_sel_hi:[0,1,1] neg_lo:[1,0,0] neg_hi:[1,0,0]
	ds_read2_b64 v[126:129], v113 offset0:13 offset1:14
	ds_read2_b64 v[130:133], v113 offset0:15 offset1:16
	s_waitcnt vmcnt(20) lgkmcnt(2)
	v_pk_fma_f32 v[76:77], v[94:95], v[134:135], v[76:77] op_sel_hi:[0,1,1] neg_lo:[1,0,0] neg_hi:[1,0,0]
	ds_read_b64 v[134:135], v113 offset:136
	s_waitcnt vmcnt(18)
	v_pk_fma_f32 v[88:89], v[94:95], v[136:137], v[88:89] op_sel_hi:[0,1,1] neg_lo:[1,0,0] neg_hi:[1,0,0]
	s_waitcnt vmcnt(16) lgkmcnt(2)
	v_pk_fma_f32 v[74:75], v[94:95], v[126:127], v[74:75] op_sel_hi:[0,1,1] neg_lo:[1,0,0] neg_hi:[1,0,0]
	s_waitcnt vmcnt(14)
	v_pk_fma_f32 v[86:87], v[94:95], v[128:129], v[86:87] op_sel_hi:[0,1,1] neg_lo:[1,0,0] neg_hi:[1,0,0]
	s_waitcnt vmcnt(12) lgkmcnt(1)
	v_pk_fma_f32 v[72:73], v[94:95], v[130:131], v[72:73] op_sel_hi:[0,1,1] neg_lo:[1,0,0] neg_hi:[1,0,0]
	;; [unrolled: 4-line block ×3, first 2 shown]
.LBB71_70:
	s_or_b64 exec, exec, s[2:3]
	v_cmp_ne_u32_e32 vcc, 13, v109
	s_waitcnt lgkmcnt(0)
	s_barrier
	s_and_saveexec_b64 s[2:3], vcc
	s_xor_b64 s[2:3], exec, s[2:3]
	s_andn2_saveexec_b64 s[2:3], s[2:3]
	s_cbranch_execz .LBB71_74
; %bb.71:
	s_waitcnt vmcnt(30)
	ds_write_b32 v111, v95
	s_waitcnt vmcnt(26)
	ds_write2_b64 v113, v[80:81], v[92:93] offset0:7 offset1:8
	s_waitcnt vmcnt(22)
	ds_write2_b64 v113, v[78:79], v[90:91] offset0:9 offset1:10
	;; [unrolled: 2-line block ×5, first 2 shown]
	s_waitcnt vmcnt(8)
	ds_write_b64 v113, v[98:99] offset:136
	ds_read_b32 v126, v111
	s_waitcnt lgkmcnt(0)
	v_cmp_neq_f32_e32 vcc, 0, v126
	s_and_saveexec_b64 s[4:5], vcc
	s_cbranch_execz .LBB71_73
; %bb.72:
	v_div_scale_f32 v127, s[10:11], v126, v126, 1.0
	v_rcp_f32_e32 v128, v127
	v_div_scale_f32 v129, vcc, 1.0, v126, 1.0
	v_fma_f32 v130, -v127, v128, 1.0
	v_fmac_f32_e32 v128, v130, v128
	v_mul_f32_e32 v130, v129, v128
	v_fma_f32 v131, -v127, v130, v129
	v_fmac_f32_e32 v130, v131, v128
	v_fma_f32 v127, -v127, v130, v129
	v_div_fmas_f32 v127, v127, v128, v130
	v_div_fixup_f32 v126, v127, v126, 1.0
	ds_write_b32 v111, v126
.LBB71_73:
	s_or_b64 exec, exec, s[4:5]
.LBB71_74:
	s_or_b64 exec, exec, s[2:3]
	s_waitcnt lgkmcnt(0)
	s_barrier
	ds_read_b32 v126, v111
	v_cmp_lt_u32_e32 vcc, 13, v109
	s_and_saveexec_b64 s[2:3], vcc
	s_cbranch_execz .LBB71_76
; %bb.75:
	ds_read2_b64 v[128:131], v113 offset0:7 offset1:8
	ds_read2_b64 v[132:135], v113 offset0:9 offset1:10
	;; [unrolled: 1-line block ×3, first 2 shown]
	s_waitcnt vmcnt(30) lgkmcnt(3)
	v_mul_f32_e32 v140, v126, v95
	v_mov_b32_e32 v95, v140
	s_waitcnt vmcnt(28) lgkmcnt(2)
	v_pk_fma_f32 v[80:81], v[140:141], v[128:129], v[80:81] op_sel_hi:[0,1,1] neg_lo:[1,0,0] neg_hi:[1,0,0]
	s_waitcnt vmcnt(26)
	v_pk_fma_f32 v[92:93], v[140:141], v[130:131], v[92:93] op_sel_hi:[0,1,1] neg_lo:[1,0,0] neg_hi:[1,0,0]
	s_waitcnt vmcnt(24) lgkmcnt(1)
	v_pk_fma_f32 v[78:79], v[140:141], v[132:133], v[78:79] op_sel_hi:[0,1,1] neg_lo:[1,0,0] neg_hi:[1,0,0]
	s_waitcnt vmcnt(22)
	v_pk_fma_f32 v[90:91], v[140:141], v[134:135], v[90:91] op_sel_hi:[0,1,1] neg_lo:[1,0,0] neg_hi:[1,0,0]
	ds_read2_b64 v[128:131], v113 offset0:13 offset1:14
	s_waitcnt vmcnt(20) lgkmcnt(1)
	v_pk_fma_f32 v[76:77], v[140:141], v[136:137], v[76:77] op_sel_hi:[0,1,1] neg_lo:[1,0,0] neg_hi:[1,0,0]
	ds_read2_b64 v[132:135], v113 offset0:15 offset1:16
	ds_read_b64 v[136:137], v113 offset:136
	s_waitcnt vmcnt(18)
	v_pk_fma_f32 v[88:89], v[140:141], v[138:139], v[88:89] op_sel_hi:[0,1,1] neg_lo:[1,0,0] neg_hi:[1,0,0]
	s_waitcnt vmcnt(16) lgkmcnt(2)
	v_pk_fma_f32 v[74:75], v[140:141], v[128:129], v[74:75] op_sel_hi:[0,1,1] neg_lo:[1,0,0] neg_hi:[1,0,0]
	s_waitcnt vmcnt(14)
	v_pk_fma_f32 v[86:87], v[140:141], v[130:131], v[86:87] op_sel_hi:[0,1,1] neg_lo:[1,0,0] neg_hi:[1,0,0]
	s_waitcnt vmcnt(12) lgkmcnt(1)
	v_pk_fma_f32 v[72:73], v[140:141], v[132:133], v[72:73] op_sel_hi:[0,1,1] neg_lo:[1,0,0] neg_hi:[1,0,0]
	;; [unrolled: 4-line block ×3, first 2 shown]
.LBB71_76:
	s_or_b64 exec, exec, s[2:3]
	v_cmp_eq_u32_e32 vcc, 14, v109
	s_waitcnt lgkmcnt(0)
	s_barrier
	s_and_saveexec_b64 s[2:3], vcc
	s_cbranch_execz .LBB71_79
; %bb.77:
	s_waitcnt vmcnt(26)
	v_pk_mov_b32 v[128:129], v[80:81], v[92:93] op_sel:[1,0]
	ds_write_b32 v111, v80
	ds_write2_b32 v113, v128, v129 offset0:15 offset1:16
	s_waitcnt vmcnt(24)
	v_pk_mov_b32 v[128:129], v[92:93], v[78:79] op_sel:[1,0]
	ds_write2_b32 v113, v128, v129 offset0:17 offset1:18
	s_waitcnt vmcnt(22)
	v_pk_mov_b32 v[128:129], v[78:79], v[90:91] op_sel:[1,0]
	;; [unrolled: 3-line block ×9, first 2 shown]
	ds_write2_b32 v113, v128, v129 offset0:33 offset1:34
	ds_write_b32 v113, v99 offset:140
	ds_read_b32 v127, v111
	s_waitcnt lgkmcnt(0)
	v_cmp_neq_f32_e32 vcc, 0, v127
	s_and_b64 exec, exec, vcc
	s_cbranch_execz .LBB71_79
; %bb.78:
	v_div_scale_f32 v128, s[4:5], v127, v127, 1.0
	v_rcp_f32_e32 v129, v128
	v_div_scale_f32 v130, vcc, 1.0, v127, 1.0
	v_fma_f32 v131, -v128, v129, 1.0
	v_fmac_f32_e32 v129, v131, v129
	v_mul_f32_e32 v131, v130, v129
	v_fma_f32 v132, -v128, v131, v130
	v_fmac_f32_e32 v131, v132, v129
	v_fma_f32 v128, -v128, v131, v130
	v_div_fmas_f32 v128, v128, v129, v131
	v_div_fixup_f32 v127, v128, v127, 1.0
	ds_write_b32 v111, v127
.LBB71_79:
	s_or_b64 exec, exec, s[2:3]
	s_waitcnt lgkmcnt(0)
	s_barrier
	ds_read_b32 v127, v111
	v_cmp_lt_u32_e32 vcc, 14, v109
	s_and_saveexec_b64 s[2:3], vcc
	s_cbranch_execz .LBB71_81
; %bb.80:
	ds_read_b32 v136, v113 offset:60
	ds_read2_b64 v[128:131], v113 offset0:8 offset1:9
	ds_read2_b64 v[132:135], v113 offset0:10 offset1:11
	s_waitcnt vmcnt(29) lgkmcnt(3)
	v_mul_f32_e32 v80, v127, v80
	s_waitcnt vmcnt(28) lgkmcnt(2)
	v_fma_f32 v81, -v80, v136, v81
	s_waitcnt vmcnt(26) lgkmcnt(1)
	v_pk_fma_f32 v[92:93], v[80:81], v[128:129], v[92:93] op_sel_hi:[0,1,1] neg_lo:[1,0,0] neg_hi:[1,0,0]
	s_waitcnt vmcnt(24)
	v_pk_fma_f32 v[78:79], v[80:81], v[130:131], v[78:79] op_sel_hi:[0,1,1] neg_lo:[1,0,0] neg_hi:[1,0,0]
	ds_read2_b64 v[128:131], v113 offset0:12 offset1:13
	s_waitcnt vmcnt(22) lgkmcnt(1)
	v_pk_fma_f32 v[90:91], v[80:81], v[132:133], v[90:91] op_sel_hi:[0,1,1] neg_lo:[1,0,0] neg_hi:[1,0,0]
	ds_read2_b64 v[136:139], v113 offset0:14 offset1:15
	s_waitcnt vmcnt(20)
	v_pk_fma_f32 v[76:77], v[80:81], v[134:135], v[76:77] op_sel_hi:[0,1,1] neg_lo:[1,0,0] neg_hi:[1,0,0]
	ds_read2_b64 v[132:135], v113 offset0:16 offset1:17
	s_waitcnt vmcnt(18) lgkmcnt(2)
	v_pk_fma_f32 v[88:89], v[80:81], v[128:129], v[88:89] op_sel_hi:[0,1,1] neg_lo:[1,0,0] neg_hi:[1,0,0]
	s_waitcnt vmcnt(16)
	v_pk_fma_f32 v[74:75], v[80:81], v[130:131], v[74:75] op_sel_hi:[0,1,1] neg_lo:[1,0,0] neg_hi:[1,0,0]
	s_waitcnt vmcnt(14) lgkmcnt(1)
	v_pk_fma_f32 v[86:87], v[80:81], v[136:137], v[86:87] op_sel_hi:[0,1,1] neg_lo:[1,0,0] neg_hi:[1,0,0]
	s_waitcnt vmcnt(12)
	v_pk_fma_f32 v[72:73], v[80:81], v[138:139], v[72:73] op_sel_hi:[0,1,1] neg_lo:[1,0,0] neg_hi:[1,0,0]
	;; [unrolled: 4-line block ×3, first 2 shown]
.LBB71_81:
	s_or_b64 exec, exec, s[2:3]
	v_cmp_ne_u32_e32 vcc, 15, v109
	s_waitcnt lgkmcnt(0)
	s_barrier
	s_and_saveexec_b64 s[2:3], vcc
	s_xor_b64 s[2:3], exec, s[2:3]
	s_andn2_saveexec_b64 s[2:3], s[2:3]
	s_cbranch_execz .LBB71_85
; %bb.82:
	s_waitcnt vmcnt(27)
	v_mov_b32_e32 v128, v92
	s_waitcnt vmcnt(26)
	v_mov_b32_e32 v129, v93
	s_waitcnt vmcnt(25)
	v_mov_b32_e32 v130, v78
	s_waitcnt vmcnt(24)
	v_mov_b32_e32 v131, v79
	ds_write_b32 v111, v81
	ds_write2_b64 v113, v[128:129], v[130:131] offset0:8 offset1:9
	s_waitcnt vmcnt(23)
	v_mov_b32_e32 v128, v90
	s_waitcnt vmcnt(22)
	v_mov_b32_e32 v129, v91
	s_waitcnt vmcnt(21)
	v_mov_b32_e32 v130, v76
	s_waitcnt vmcnt(20)
	v_mov_b32_e32 v131, v77
	ds_write2_b64 v113, v[128:129], v[130:131] offset0:10 offset1:11
	s_waitcnt vmcnt(19)
	v_mov_b32_e32 v128, v88
	s_waitcnt vmcnt(18)
	v_mov_b32_e32 v129, v89
	s_waitcnt vmcnt(17)
	v_mov_b32_e32 v130, v74
	s_waitcnt vmcnt(16)
	v_mov_b32_e32 v131, v75
	;; [unrolled: 9-line block ×3, first 2 shown]
	ds_write2_b64 v113, v[128:129], v[130:131] offset0:14 offset1:15
	s_waitcnt vmcnt(11)
	v_mov_b32_e32 v128, v84
	s_waitcnt vmcnt(10)
	v_mov_b32_e32 v129, v85
	s_waitcnt vmcnt(8)
	ds_write2_b64 v113, v[128:129], v[98:99] offset0:16 offset1:17
	ds_read_b32 v128, v111
	s_waitcnt lgkmcnt(0)
	v_cmp_neq_f32_e32 vcc, 0, v128
	s_and_saveexec_b64 s[4:5], vcc
	s_cbranch_execz .LBB71_84
; %bb.83:
	v_div_scale_f32 v129, s[10:11], v128, v128, 1.0
	v_rcp_f32_e32 v130, v129
	v_div_scale_f32 v131, vcc, 1.0, v128, 1.0
	v_fma_f32 v132, -v129, v130, 1.0
	v_fmac_f32_e32 v130, v132, v130
	v_mul_f32_e32 v132, v131, v130
	v_fma_f32 v133, -v129, v132, v131
	v_fmac_f32_e32 v132, v133, v130
	v_fma_f32 v129, -v129, v132, v131
	v_div_fmas_f32 v129, v129, v130, v132
	v_div_fixup_f32 v128, v129, v128, 1.0
	ds_write_b32 v111, v128
.LBB71_84:
	s_or_b64 exec, exec, s[4:5]
.LBB71_85:
	s_or_b64 exec, exec, s[2:3]
	s_waitcnt lgkmcnt(0)
	s_barrier
	ds_read_b32 v128, v111
	v_cmp_lt_u32_e32 vcc, 15, v109
	s_and_saveexec_b64 s[2:3], vcc
	s_cbranch_execz .LBB71_87
; %bb.86:
	ds_read2_b64 v[130:133], v113 offset0:8 offset1:9
	ds_read2_b64 v[134:137], v113 offset0:10 offset1:11
	s_waitcnt vmcnt(28) lgkmcnt(2)
	v_mul_f32_e32 v142, v128, v81
	ds_read2_b64 v[138:141], v113 offset0:12 offset1:13
	v_mov_b32_e32 v81, v142
	s_waitcnt vmcnt(26) lgkmcnt(2)
	v_pk_fma_f32 v[92:93], v[142:143], v[130:131], v[92:93] op_sel_hi:[0,1,1] neg_lo:[1,0,0] neg_hi:[1,0,0]
	s_waitcnt vmcnt(24)
	v_pk_fma_f32 v[78:79], v[142:143], v[132:133], v[78:79] op_sel_hi:[0,1,1] neg_lo:[1,0,0] neg_hi:[1,0,0]
	s_waitcnt vmcnt(22) lgkmcnt(1)
	v_pk_fma_f32 v[90:91], v[142:143], v[134:135], v[90:91] op_sel_hi:[0,1,1] neg_lo:[1,0,0] neg_hi:[1,0,0]
	ds_read2_b64 v[130:133], v113 offset0:14 offset1:15
	s_waitcnt vmcnt(20)
	v_pk_fma_f32 v[76:77], v[142:143], v[136:137], v[76:77] op_sel_hi:[0,1,1] neg_lo:[1,0,0] neg_hi:[1,0,0]
	ds_read2_b64 v[134:137], v113 offset0:16 offset1:17
	s_waitcnt vmcnt(18) lgkmcnt(2)
	v_pk_fma_f32 v[88:89], v[142:143], v[138:139], v[88:89] op_sel_hi:[0,1,1] neg_lo:[1,0,0] neg_hi:[1,0,0]
	s_waitcnt vmcnt(16)
	v_pk_fma_f32 v[74:75], v[142:143], v[140:141], v[74:75] op_sel_hi:[0,1,1] neg_lo:[1,0,0] neg_hi:[1,0,0]
	s_waitcnt vmcnt(14) lgkmcnt(1)
	v_pk_fma_f32 v[86:87], v[142:143], v[130:131], v[86:87] op_sel_hi:[0,1,1] neg_lo:[1,0,0] neg_hi:[1,0,0]
	s_waitcnt vmcnt(12)
	v_pk_fma_f32 v[72:73], v[142:143], v[132:133], v[72:73] op_sel_hi:[0,1,1] neg_lo:[1,0,0] neg_hi:[1,0,0]
	;; [unrolled: 4-line block ×3, first 2 shown]
.LBB71_87:
	s_or_b64 exec, exec, s[2:3]
	v_cmp_eq_u32_e32 vcc, 16, v109
	s_waitcnt lgkmcnt(0)
	s_barrier
	s_and_saveexec_b64 s[2:3], vcc
	s_cbranch_execz .LBB71_90
; %bb.88:
	s_waitcnt vmcnt(24)
	v_pk_mov_b32 v[130:131], v[92:93], v[78:79] op_sel:[1,0]
	ds_write_b32 v111, v92
	ds_write2_b32 v113, v130, v131 offset0:17 offset1:18
	s_waitcnt vmcnt(22)
	v_pk_mov_b32 v[130:131], v[78:79], v[90:91] op_sel:[1,0]
	ds_write2_b32 v113, v130, v131 offset0:19 offset1:20
	s_waitcnt vmcnt(20)
	v_pk_mov_b32 v[130:131], v[90:91], v[76:77] op_sel:[1,0]
	;; [unrolled: 3-line block ×8, first 2 shown]
	ds_write2_b32 v113, v130, v131 offset0:33 offset1:34
	ds_write_b32 v113, v99 offset:140
	ds_read_b32 v129, v111
	s_waitcnt lgkmcnt(0)
	v_cmp_neq_f32_e32 vcc, 0, v129
	s_and_b64 exec, exec, vcc
	s_cbranch_execz .LBB71_90
; %bb.89:
	v_div_scale_f32 v130, s[4:5], v129, v129, 1.0
	v_rcp_f32_e32 v131, v130
	v_div_scale_f32 v132, vcc, 1.0, v129, 1.0
	v_fma_f32 v133, -v130, v131, 1.0
	v_fmac_f32_e32 v131, v133, v131
	v_mul_f32_e32 v133, v132, v131
	v_fma_f32 v134, -v130, v133, v132
	v_fmac_f32_e32 v133, v134, v131
	v_fma_f32 v130, -v130, v133, v132
	v_div_fmas_f32 v130, v130, v131, v133
	v_div_fixup_f32 v129, v130, v129, 1.0
	ds_write_b32 v111, v129
.LBB71_90:
	s_or_b64 exec, exec, s[2:3]
	s_waitcnt lgkmcnt(0)
	s_barrier
	ds_read_b32 v129, v111
	v_cmp_lt_u32_e32 vcc, 16, v109
	s_and_saveexec_b64 s[2:3], vcc
	s_cbranch_execz .LBB71_92
; %bb.91:
	ds_read_b32 v138, v113 offset:68
	ds_read2_b64 v[130:133], v113 offset0:9 offset1:10
	ds_read2_b64 v[134:137], v113 offset0:11 offset1:12
	s_waitcnt vmcnt(27) lgkmcnt(3)
	v_mul_f32_e32 v92, v129, v92
	s_waitcnt vmcnt(26) lgkmcnt(2)
	v_fma_f32 v93, -v92, v138, v93
	s_waitcnt vmcnt(24) lgkmcnt(1)
	v_pk_fma_f32 v[78:79], v[92:93], v[130:131], v[78:79] op_sel_hi:[0,1,1] neg_lo:[1,0,0] neg_hi:[1,0,0]
	s_waitcnt vmcnt(22)
	v_pk_fma_f32 v[90:91], v[92:93], v[132:133], v[90:91] op_sel_hi:[0,1,1] neg_lo:[1,0,0] neg_hi:[1,0,0]
	ds_read2_b64 v[130:133], v113 offset0:13 offset1:14
	s_waitcnt vmcnt(20) lgkmcnt(1)
	v_pk_fma_f32 v[76:77], v[92:93], v[134:135], v[76:77] op_sel_hi:[0,1,1] neg_lo:[1,0,0] neg_hi:[1,0,0]
	ds_read2_b64 v[138:141], v113 offset0:15 offset1:16
	ds_read_b64 v[134:135], v113 offset:136
	s_waitcnt vmcnt(18)
	v_pk_fma_f32 v[88:89], v[92:93], v[136:137], v[88:89] op_sel_hi:[0,1,1] neg_lo:[1,0,0] neg_hi:[1,0,0]
	s_waitcnt vmcnt(16) lgkmcnt(2)
	v_pk_fma_f32 v[74:75], v[92:93], v[130:131], v[74:75] op_sel_hi:[0,1,1] neg_lo:[1,0,0] neg_hi:[1,0,0]
	s_waitcnt vmcnt(14)
	v_pk_fma_f32 v[86:87], v[92:93], v[132:133], v[86:87] op_sel_hi:[0,1,1] neg_lo:[1,0,0] neg_hi:[1,0,0]
	s_waitcnt vmcnt(12) lgkmcnt(1)
	v_pk_fma_f32 v[72:73], v[92:93], v[138:139], v[72:73] op_sel_hi:[0,1,1] neg_lo:[1,0,0] neg_hi:[1,0,0]
	;; [unrolled: 4-line block ×3, first 2 shown]
.LBB71_92:
	s_or_b64 exec, exec, s[2:3]
	v_cmp_ne_u32_e32 vcc, 17, v109
	s_waitcnt lgkmcnt(0)
	s_barrier
	s_and_saveexec_b64 s[2:3], vcc
	s_xor_b64 s[2:3], exec, s[2:3]
	s_andn2_saveexec_b64 s[2:3], s[2:3]
	s_cbranch_execz .LBB71_96
; %bb.93:
	s_waitcnt vmcnt(26)
	ds_write_b32 v111, v93
	s_waitcnt vmcnt(22)
	ds_write2_b64 v113, v[78:79], v[90:91] offset0:9 offset1:10
	s_waitcnt vmcnt(18)
	ds_write2_b64 v113, v[76:77], v[88:89] offset0:11 offset1:12
	;; [unrolled: 2-line block ×4, first 2 shown]
	s_waitcnt vmcnt(8)
	ds_write_b64 v113, v[98:99] offset:136
	ds_read_b32 v130, v111
	s_waitcnt lgkmcnt(0)
	v_cmp_neq_f32_e32 vcc, 0, v130
	s_and_saveexec_b64 s[4:5], vcc
	s_cbranch_execz .LBB71_95
; %bb.94:
	v_div_scale_f32 v131, s[10:11], v130, v130, 1.0
	v_rcp_f32_e32 v132, v131
	v_div_scale_f32 v133, vcc, 1.0, v130, 1.0
	v_fma_f32 v134, -v131, v132, 1.0
	v_fmac_f32_e32 v132, v134, v132
	v_mul_f32_e32 v134, v133, v132
	v_fma_f32 v135, -v131, v134, v133
	v_fmac_f32_e32 v134, v135, v132
	v_fma_f32 v131, -v131, v134, v133
	v_div_fmas_f32 v131, v131, v132, v134
	v_div_fixup_f32 v130, v131, v130, 1.0
	ds_write_b32 v111, v130
.LBB71_95:
	s_or_b64 exec, exec, s[4:5]
.LBB71_96:
	s_or_b64 exec, exec, s[2:3]
	s_waitcnt lgkmcnt(0)
	s_barrier
	ds_read_b32 v130, v111
	v_cmp_lt_u32_e32 vcc, 17, v109
	s_and_saveexec_b64 s[2:3], vcc
	s_cbranch_execz .LBB71_98
; %bb.97:
	ds_read2_b64 v[132:135], v113 offset0:9 offset1:10
	ds_read2_b64 v[136:139], v113 offset0:11 offset1:12
	s_waitcnt vmcnt(26) lgkmcnt(2)
	v_mul_f32_e32 v144, v130, v93
	ds_read2_b64 v[140:143], v113 offset0:13 offset1:14
	v_mov_b32_e32 v93, v144
	s_waitcnt vmcnt(24) lgkmcnt(2)
	v_pk_fma_f32 v[78:79], v[144:145], v[132:133], v[78:79] op_sel_hi:[0,1,1] neg_lo:[1,0,0] neg_hi:[1,0,0]
	s_waitcnt vmcnt(22)
	v_pk_fma_f32 v[90:91], v[144:145], v[134:135], v[90:91] op_sel_hi:[0,1,1] neg_lo:[1,0,0] neg_hi:[1,0,0]
	s_waitcnt vmcnt(20) lgkmcnt(1)
	v_pk_fma_f32 v[76:77], v[144:145], v[136:137], v[76:77] op_sel_hi:[0,1,1] neg_lo:[1,0,0] neg_hi:[1,0,0]
	ds_read2_b64 v[132:135], v113 offset0:15 offset1:16
	ds_read_b64 v[136:137], v113 offset:136
	s_waitcnt vmcnt(18)
	v_pk_fma_f32 v[88:89], v[144:145], v[138:139], v[88:89] op_sel_hi:[0,1,1] neg_lo:[1,0,0] neg_hi:[1,0,0]
	s_waitcnt vmcnt(16) lgkmcnt(2)
	v_pk_fma_f32 v[74:75], v[144:145], v[140:141], v[74:75] op_sel_hi:[0,1,1] neg_lo:[1,0,0] neg_hi:[1,0,0]
	s_waitcnt vmcnt(14)
	v_pk_fma_f32 v[86:87], v[144:145], v[142:143], v[86:87] op_sel_hi:[0,1,1] neg_lo:[1,0,0] neg_hi:[1,0,0]
	s_waitcnt vmcnt(12) lgkmcnt(1)
	v_pk_fma_f32 v[72:73], v[144:145], v[132:133], v[72:73] op_sel_hi:[0,1,1] neg_lo:[1,0,0] neg_hi:[1,0,0]
	;; [unrolled: 4-line block ×3, first 2 shown]
.LBB71_98:
	s_or_b64 exec, exec, s[2:3]
	v_cmp_eq_u32_e32 vcc, 18, v109
	s_waitcnt lgkmcnt(0)
	s_barrier
	s_and_saveexec_b64 s[2:3], vcc
	s_cbranch_execz .LBB71_101
; %bb.99:
	s_waitcnt vmcnt(22)
	v_pk_mov_b32 v[132:133], v[78:79], v[90:91] op_sel:[1,0]
	ds_write_b32 v111, v78
	ds_write2_b32 v113, v132, v133 offset0:19 offset1:20
	s_waitcnt vmcnt(20)
	v_pk_mov_b32 v[132:133], v[90:91], v[76:77] op_sel:[1,0]
	ds_write2_b32 v113, v132, v133 offset0:21 offset1:22
	s_waitcnt vmcnt(18)
	v_pk_mov_b32 v[132:133], v[76:77], v[88:89] op_sel:[1,0]
	;; [unrolled: 3-line block ×7, first 2 shown]
	ds_write2_b32 v113, v132, v133 offset0:33 offset1:34
	ds_write_b32 v113, v99 offset:140
	ds_read_b32 v131, v111
	s_waitcnt lgkmcnt(0)
	v_cmp_neq_f32_e32 vcc, 0, v131
	s_and_b64 exec, exec, vcc
	s_cbranch_execz .LBB71_101
; %bb.100:
	v_div_scale_f32 v132, s[4:5], v131, v131, 1.0
	v_rcp_f32_e32 v133, v132
	v_div_scale_f32 v134, vcc, 1.0, v131, 1.0
	v_fma_f32 v135, -v132, v133, 1.0
	v_fmac_f32_e32 v133, v135, v133
	v_mul_f32_e32 v135, v134, v133
	v_fma_f32 v136, -v132, v135, v134
	v_fmac_f32_e32 v135, v136, v133
	v_fma_f32 v132, -v132, v135, v134
	v_div_fmas_f32 v132, v132, v133, v135
	v_div_fixup_f32 v131, v132, v131, 1.0
	ds_write_b32 v111, v131
.LBB71_101:
	s_or_b64 exec, exec, s[2:3]
	s_waitcnt lgkmcnt(0)
	s_barrier
	ds_read_b32 v131, v111
	v_cmp_lt_u32_e32 vcc, 18, v109
	s_and_saveexec_b64 s[2:3], vcc
	s_cbranch_execz .LBB71_103
; %bb.102:
	ds_read_b32 v144, v113 offset:76
	ds_read2_b64 v[132:135], v113 offset0:10 offset1:11
	s_waitcnt vmcnt(25) lgkmcnt(2)
	v_mul_f32_e32 v78, v131, v78
	ds_read2_b64 v[136:139], v113 offset0:12 offset1:13
	ds_read2_b64 v[140:143], v113 offset0:14 offset1:15
	s_waitcnt vmcnt(24) lgkmcnt(3)
	v_fma_f32 v79, -v78, v144, v79
	s_waitcnt vmcnt(22) lgkmcnt(2)
	v_pk_fma_f32 v[90:91], v[78:79], v[132:133], v[90:91] op_sel_hi:[0,1,1] neg_lo:[1,0,0] neg_hi:[1,0,0]
	s_waitcnt vmcnt(20)
	v_pk_fma_f32 v[76:77], v[78:79], v[134:135], v[76:77] op_sel_hi:[0,1,1] neg_lo:[1,0,0] neg_hi:[1,0,0]
	ds_read2_b64 v[132:135], v113 offset0:16 offset1:17
	s_waitcnt vmcnt(18) lgkmcnt(2)
	v_pk_fma_f32 v[88:89], v[78:79], v[136:137], v[88:89] op_sel_hi:[0,1,1] neg_lo:[1,0,0] neg_hi:[1,0,0]
	s_waitcnt vmcnt(16)
	v_pk_fma_f32 v[74:75], v[78:79], v[138:139], v[74:75] op_sel_hi:[0,1,1] neg_lo:[1,0,0] neg_hi:[1,0,0]
	s_waitcnt vmcnt(14) lgkmcnt(1)
	v_pk_fma_f32 v[86:87], v[78:79], v[140:141], v[86:87] op_sel_hi:[0,1,1] neg_lo:[1,0,0] neg_hi:[1,0,0]
	s_waitcnt vmcnt(12)
	v_pk_fma_f32 v[72:73], v[78:79], v[142:143], v[72:73] op_sel_hi:[0,1,1] neg_lo:[1,0,0] neg_hi:[1,0,0]
	;; [unrolled: 4-line block ×3, first 2 shown]
.LBB71_103:
	s_or_b64 exec, exec, s[2:3]
	v_cmp_ne_u32_e32 vcc, 19, v109
	s_waitcnt lgkmcnt(0)
	s_barrier
	s_and_saveexec_b64 s[2:3], vcc
	s_xor_b64 s[2:3], exec, s[2:3]
	s_andn2_saveexec_b64 s[2:3], s[2:3]
	s_cbranch_execz .LBB71_107
; %bb.104:
	s_waitcnt vmcnt(23)
	v_mov_b32_e32 v132, v90
	s_waitcnt vmcnt(22)
	v_mov_b32_e32 v133, v91
	;; [unrolled: 2-line block ×4, first 2 shown]
	ds_write_b32 v111, v79
	ds_write2_b64 v113, v[132:133], v[134:135] offset0:10 offset1:11
	s_waitcnt vmcnt(19)
	v_mov_b32_e32 v132, v88
	s_waitcnt vmcnt(18)
	v_mov_b32_e32 v133, v89
	;; [unrolled: 2-line block ×4, first 2 shown]
	ds_write2_b64 v113, v[132:133], v[134:135] offset0:12 offset1:13
	s_waitcnt vmcnt(15)
	v_mov_b32_e32 v132, v86
	s_waitcnt vmcnt(14)
	v_mov_b32_e32 v133, v87
	;; [unrolled: 2-line block ×4, first 2 shown]
	ds_write2_b64 v113, v[132:133], v[134:135] offset0:14 offset1:15
	s_waitcnt vmcnt(11)
	v_mov_b32_e32 v132, v84
	s_waitcnt vmcnt(10)
	v_mov_b32_e32 v133, v85
	s_waitcnt vmcnt(8)
	ds_write2_b64 v113, v[132:133], v[98:99] offset0:16 offset1:17
	ds_read_b32 v132, v111
	s_waitcnt lgkmcnt(0)
	v_cmp_neq_f32_e32 vcc, 0, v132
	s_and_saveexec_b64 s[4:5], vcc
	s_cbranch_execz .LBB71_106
; %bb.105:
	v_div_scale_f32 v133, s[10:11], v132, v132, 1.0
	v_rcp_f32_e32 v134, v133
	v_div_scale_f32 v135, vcc, 1.0, v132, 1.0
	v_fma_f32 v136, -v133, v134, 1.0
	v_fmac_f32_e32 v134, v136, v134
	v_mul_f32_e32 v136, v135, v134
	v_fma_f32 v137, -v133, v136, v135
	v_fmac_f32_e32 v136, v137, v134
	v_fma_f32 v133, -v133, v136, v135
	v_div_fmas_f32 v133, v133, v134, v136
	v_div_fixup_f32 v132, v133, v132, 1.0
	ds_write_b32 v111, v132
.LBB71_106:
	s_or_b64 exec, exec, s[4:5]
.LBB71_107:
	s_or_b64 exec, exec, s[2:3]
	s_waitcnt lgkmcnt(0)
	s_barrier
	ds_read_b32 v132, v111
	v_cmp_lt_u32_e32 vcc, 19, v109
	s_and_saveexec_b64 s[2:3], vcc
	s_cbranch_execz .LBB71_109
; %bb.108:
	ds_read2_b64 v[134:137], v113 offset0:10 offset1:11
	s_waitcnt vmcnt(24) lgkmcnt(1)
	v_mul_f32_e32 v146, v132, v79
	ds_read2_b64 v[138:141], v113 offset0:12 offset1:13
	ds_read2_b64 v[142:145], v113 offset0:14 offset1:15
	v_mov_b32_e32 v79, v146
	s_waitcnt vmcnt(22) lgkmcnt(2)
	v_pk_fma_f32 v[90:91], v[146:147], v[134:135], v[90:91] op_sel_hi:[0,1,1] neg_lo:[1,0,0] neg_hi:[1,0,0]
	s_waitcnt vmcnt(20)
	v_pk_fma_f32 v[76:77], v[146:147], v[136:137], v[76:77] op_sel_hi:[0,1,1] neg_lo:[1,0,0] neg_hi:[1,0,0]
	ds_read2_b64 v[134:137], v113 offset0:16 offset1:17
	s_waitcnt vmcnt(18) lgkmcnt(2)
	v_pk_fma_f32 v[88:89], v[146:147], v[138:139], v[88:89] op_sel_hi:[0,1,1] neg_lo:[1,0,0] neg_hi:[1,0,0]
	s_waitcnt vmcnt(16)
	v_pk_fma_f32 v[74:75], v[146:147], v[140:141], v[74:75] op_sel_hi:[0,1,1] neg_lo:[1,0,0] neg_hi:[1,0,0]
	s_waitcnt vmcnt(14) lgkmcnt(1)
	v_pk_fma_f32 v[86:87], v[146:147], v[142:143], v[86:87] op_sel_hi:[0,1,1] neg_lo:[1,0,0] neg_hi:[1,0,0]
	s_waitcnt vmcnt(12)
	v_pk_fma_f32 v[72:73], v[146:147], v[144:145], v[72:73] op_sel_hi:[0,1,1] neg_lo:[1,0,0] neg_hi:[1,0,0]
	;; [unrolled: 4-line block ×3, first 2 shown]
.LBB71_109:
	s_or_b64 exec, exec, s[2:3]
	v_cmp_eq_u32_e32 vcc, 20, v109
	s_waitcnt lgkmcnt(0)
	s_barrier
	s_and_saveexec_b64 s[2:3], vcc
	s_cbranch_execz .LBB71_112
; %bb.110:
	s_waitcnt vmcnt(20)
	v_pk_mov_b32 v[134:135], v[90:91], v[76:77] op_sel:[1,0]
	ds_write_b32 v111, v90
	ds_write2_b32 v113, v134, v135 offset0:21 offset1:22
	s_waitcnt vmcnt(18)
	v_pk_mov_b32 v[134:135], v[76:77], v[88:89] op_sel:[1,0]
	ds_write2_b32 v113, v134, v135 offset0:23 offset1:24
	s_waitcnt vmcnt(16)
	v_pk_mov_b32 v[134:135], v[88:89], v[74:75] op_sel:[1,0]
	;; [unrolled: 3-line block ×6, first 2 shown]
	ds_write2_b32 v113, v134, v135 offset0:33 offset1:34
	ds_write_b32 v113, v99 offset:140
	ds_read_b32 v133, v111
	s_waitcnt lgkmcnt(0)
	v_cmp_neq_f32_e32 vcc, 0, v133
	s_and_b64 exec, exec, vcc
	s_cbranch_execz .LBB71_112
; %bb.111:
	v_div_scale_f32 v134, s[4:5], v133, v133, 1.0
	v_rcp_f32_e32 v135, v134
	v_div_scale_f32 v136, vcc, 1.0, v133, 1.0
	v_fma_f32 v137, -v134, v135, 1.0
	v_fmac_f32_e32 v135, v137, v135
	v_mul_f32_e32 v137, v136, v135
	v_fma_f32 v138, -v134, v137, v136
	v_fmac_f32_e32 v137, v138, v135
	v_fma_f32 v134, -v134, v137, v136
	v_div_fmas_f32 v134, v134, v135, v137
	v_div_fixup_f32 v133, v134, v133, 1.0
	ds_write_b32 v111, v133
.LBB71_112:
	s_or_b64 exec, exec, s[2:3]
	s_waitcnt lgkmcnt(0)
	s_barrier
	ds_read_b32 v133, v111
	v_cmp_lt_u32_e32 vcc, 20, v109
	s_and_saveexec_b64 s[2:3], vcc
	s_cbranch_execz .LBB71_114
; %bb.113:
	ds_read_b32 v142, v113 offset:84
	s_waitcnt vmcnt(23) lgkmcnt(1)
	v_mul_f32_e32 v90, v133, v90
	ds_read2_b64 v[134:137], v113 offset0:11 offset1:12
	ds_read_b64 v[146:147], v113 offset:136
	ds_read2_b64 v[138:141], v113 offset0:13 offset1:14
	s_waitcnt vmcnt(22) lgkmcnt(3)
	v_fma_f32 v91, -v90, v142, v91
	ds_read2_b64 v[142:145], v113 offset0:15 offset1:16
	s_waitcnt vmcnt(20) lgkmcnt(3)
	v_pk_fma_f32 v[76:77], v[90:91], v[134:135], v[76:77] op_sel_hi:[0,1,1] neg_lo:[1,0,0] neg_hi:[1,0,0]
	s_waitcnt vmcnt(18)
	v_pk_fma_f32 v[88:89], v[90:91], v[136:137], v[88:89] op_sel_hi:[0,1,1] neg_lo:[1,0,0] neg_hi:[1,0,0]
	s_waitcnt vmcnt(16) lgkmcnt(1)
	v_pk_fma_f32 v[74:75], v[90:91], v[138:139], v[74:75] op_sel_hi:[0,1,1] neg_lo:[1,0,0] neg_hi:[1,0,0]
	s_waitcnt vmcnt(14)
	v_pk_fma_f32 v[86:87], v[90:91], v[140:141], v[86:87] op_sel_hi:[0,1,1] neg_lo:[1,0,0] neg_hi:[1,0,0]
	;; [unrolled: 4-line block ×3, first 2 shown]
	s_waitcnt vmcnt(8)
	v_pk_fma_f32 v[98:99], v[90:91], v[146:147], v[98:99] op_sel_hi:[0,1,1] neg_lo:[1,0,0] neg_hi:[1,0,0]
.LBB71_114:
	s_or_b64 exec, exec, s[2:3]
	v_cmp_ne_u32_e32 vcc, 21, v109
	s_waitcnt lgkmcnt(0)
	s_barrier
	s_and_saveexec_b64 s[2:3], vcc
	s_xor_b64 s[2:3], exec, s[2:3]
	s_andn2_saveexec_b64 s[2:3], s[2:3]
	s_cbranch_execz .LBB71_118
; %bb.115:
	s_waitcnt vmcnt(22)
	ds_write_b32 v111, v91
	s_waitcnt vmcnt(18)
	ds_write2_b64 v113, v[76:77], v[88:89] offset0:11 offset1:12
	s_waitcnt vmcnt(14)
	ds_write2_b64 v113, v[74:75], v[86:87] offset0:13 offset1:14
	;; [unrolled: 2-line block ×3, first 2 shown]
	s_waitcnt vmcnt(8)
	ds_write_b64 v113, v[98:99] offset:136
	ds_read_b32 v134, v111
	s_waitcnt lgkmcnt(0)
	v_cmp_neq_f32_e32 vcc, 0, v134
	s_and_saveexec_b64 s[4:5], vcc
	s_cbranch_execz .LBB71_117
; %bb.116:
	v_div_scale_f32 v135, s[10:11], v134, v134, 1.0
	v_rcp_f32_e32 v136, v135
	v_div_scale_f32 v137, vcc, 1.0, v134, 1.0
	v_fma_f32 v138, -v135, v136, 1.0
	v_fmac_f32_e32 v136, v138, v136
	v_mul_f32_e32 v138, v137, v136
	v_fma_f32 v139, -v135, v138, v137
	v_fmac_f32_e32 v138, v139, v136
	v_fma_f32 v135, -v135, v138, v137
	v_div_fmas_f32 v135, v135, v136, v138
	v_div_fixup_f32 v134, v135, v134, 1.0
	ds_write_b32 v111, v134
.LBB71_117:
	s_or_b64 exec, exec, s[4:5]
.LBB71_118:
	s_or_b64 exec, exec, s[2:3]
	s_waitcnt lgkmcnt(0)
	s_barrier
	ds_read_b32 v134, v111
	v_cmp_lt_u32_e32 vcc, 21, v109
	s_and_saveexec_b64 s[2:3], vcc
	s_cbranch_execz .LBB71_120
; %bb.119:
	ds_read2_b64 v[136:139], v113 offset0:11 offset1:12
	s_waitcnt vmcnt(22) lgkmcnt(1)
	v_mul_f32_e32 v148, v134, v91
	ds_read2_b64 v[140:143], v113 offset0:13 offset1:14
	ds_read2_b64 v[144:147], v113 offset0:15 offset1:16
	v_mov_b32_e32 v91, v148
	s_waitcnt vmcnt(20) lgkmcnt(2)
	v_pk_fma_f32 v[76:77], v[148:149], v[136:137], v[76:77] op_sel_hi:[0,1,1] neg_lo:[1,0,0] neg_hi:[1,0,0]
	ds_read_b64 v[136:137], v113 offset:136
	s_waitcnt vmcnt(18)
	v_pk_fma_f32 v[88:89], v[148:149], v[138:139], v[88:89] op_sel_hi:[0,1,1] neg_lo:[1,0,0] neg_hi:[1,0,0]
	s_waitcnt vmcnt(16) lgkmcnt(2)
	v_pk_fma_f32 v[74:75], v[148:149], v[140:141], v[74:75] op_sel_hi:[0,1,1] neg_lo:[1,0,0] neg_hi:[1,0,0]
	s_waitcnt vmcnt(14)
	v_pk_fma_f32 v[86:87], v[148:149], v[142:143], v[86:87] op_sel_hi:[0,1,1] neg_lo:[1,0,0] neg_hi:[1,0,0]
	s_waitcnt vmcnt(12) lgkmcnt(1)
	v_pk_fma_f32 v[72:73], v[148:149], v[144:145], v[72:73] op_sel_hi:[0,1,1] neg_lo:[1,0,0] neg_hi:[1,0,0]
	;; [unrolled: 4-line block ×3, first 2 shown]
.LBB71_120:
	s_or_b64 exec, exec, s[2:3]
	v_cmp_eq_u32_e32 vcc, 22, v109
	s_waitcnt lgkmcnt(0)
	s_barrier
	s_and_saveexec_b64 s[2:3], vcc
	s_cbranch_execz .LBB71_123
; %bb.121:
	s_waitcnt vmcnt(18)
	v_pk_mov_b32 v[136:137], v[76:77], v[88:89] op_sel:[1,0]
	ds_write_b32 v111, v76
	ds_write2_b32 v113, v136, v137 offset0:23 offset1:24
	s_waitcnt vmcnt(16)
	v_pk_mov_b32 v[136:137], v[88:89], v[74:75] op_sel:[1,0]
	ds_write2_b32 v113, v136, v137 offset0:25 offset1:26
	s_waitcnt vmcnt(14)
	v_pk_mov_b32 v[136:137], v[74:75], v[86:87] op_sel:[1,0]
	;; [unrolled: 3-line block ×5, first 2 shown]
	ds_write2_b32 v113, v136, v137 offset0:33 offset1:34
	ds_write_b32 v113, v99 offset:140
	ds_read_b32 v135, v111
	s_waitcnt lgkmcnt(0)
	v_cmp_neq_f32_e32 vcc, 0, v135
	s_and_b64 exec, exec, vcc
	s_cbranch_execz .LBB71_123
; %bb.122:
	v_div_scale_f32 v136, s[4:5], v135, v135, 1.0
	v_rcp_f32_e32 v137, v136
	v_div_scale_f32 v138, vcc, 1.0, v135, 1.0
	v_fma_f32 v139, -v136, v137, 1.0
	v_fmac_f32_e32 v137, v139, v137
	v_mul_f32_e32 v139, v138, v137
	v_fma_f32 v140, -v136, v139, v138
	v_fmac_f32_e32 v139, v140, v137
	v_fma_f32 v136, -v136, v139, v138
	v_div_fmas_f32 v136, v136, v137, v139
	v_div_fixup_f32 v135, v136, v135, 1.0
	ds_write_b32 v111, v135
.LBB71_123:
	s_or_b64 exec, exec, s[2:3]
	s_waitcnt lgkmcnt(0)
	s_barrier
	ds_read_b32 v135, v111
	v_cmp_lt_u32_e32 vcc, 22, v109
	s_and_saveexec_b64 s[2:3], vcc
	s_cbranch_execz .LBB71_125
; %bb.124:
	ds_read_b32 v148, v113 offset:92
	ds_read2_b64 v[136:139], v113 offset0:12 offset1:13
	ds_read2_b64 v[140:143], v113 offset0:14 offset1:15
	;; [unrolled: 1-line block ×3, first 2 shown]
	s_waitcnt vmcnt(21) lgkmcnt(4)
	v_mul_f32_e32 v76, v135, v76
	s_waitcnt vmcnt(20) lgkmcnt(3)
	v_fma_f32 v77, -v76, v148, v77
	s_waitcnt vmcnt(18) lgkmcnt(2)
	v_pk_fma_f32 v[88:89], v[76:77], v[136:137], v[88:89] op_sel_hi:[0,1,1] neg_lo:[1,0,0] neg_hi:[1,0,0]
	s_waitcnt vmcnt(16)
	v_pk_fma_f32 v[74:75], v[76:77], v[138:139], v[74:75] op_sel_hi:[0,1,1] neg_lo:[1,0,0] neg_hi:[1,0,0]
	s_waitcnt vmcnt(14) lgkmcnt(1)
	v_pk_fma_f32 v[86:87], v[76:77], v[140:141], v[86:87] op_sel_hi:[0,1,1] neg_lo:[1,0,0] neg_hi:[1,0,0]
	s_waitcnt vmcnt(12)
	v_pk_fma_f32 v[72:73], v[76:77], v[142:143], v[72:73] op_sel_hi:[0,1,1] neg_lo:[1,0,0] neg_hi:[1,0,0]
	;; [unrolled: 4-line block ×3, first 2 shown]
.LBB71_125:
	s_or_b64 exec, exec, s[2:3]
	v_cmp_ne_u32_e32 vcc, 23, v109
	s_waitcnt lgkmcnt(0)
	s_barrier
	s_and_saveexec_b64 s[2:3], vcc
	s_xor_b64 s[2:3], exec, s[2:3]
	s_andn2_saveexec_b64 s[2:3], s[2:3]
	s_cbranch_execz .LBB71_129
; %bb.126:
	s_waitcnt vmcnt(19)
	v_mov_b32_e32 v136, v88
	s_waitcnt vmcnt(18)
	v_mov_b32_e32 v137, v89
	;; [unrolled: 2-line block ×4, first 2 shown]
	ds_write_b32 v111, v77
	ds_write2_b64 v113, v[136:137], v[138:139] offset0:12 offset1:13
	s_waitcnt vmcnt(15)
	v_mov_b32_e32 v136, v86
	s_waitcnt vmcnt(14)
	v_mov_b32_e32 v137, v87
	;; [unrolled: 2-line block ×4, first 2 shown]
	ds_write2_b64 v113, v[136:137], v[138:139] offset0:14 offset1:15
	s_waitcnt vmcnt(11)
	v_mov_b32_e32 v136, v84
	s_waitcnt vmcnt(10)
	v_mov_b32_e32 v137, v85
	s_waitcnt vmcnt(8)
	ds_write2_b64 v113, v[136:137], v[98:99] offset0:16 offset1:17
	ds_read_b32 v136, v111
	s_waitcnt lgkmcnt(0)
	v_cmp_neq_f32_e32 vcc, 0, v136
	s_and_saveexec_b64 s[4:5], vcc
	s_cbranch_execz .LBB71_128
; %bb.127:
	v_div_scale_f32 v137, s[10:11], v136, v136, 1.0
	v_rcp_f32_e32 v138, v137
	v_div_scale_f32 v139, vcc, 1.0, v136, 1.0
	v_fma_f32 v140, -v137, v138, 1.0
	v_fmac_f32_e32 v138, v140, v138
	v_mul_f32_e32 v140, v139, v138
	v_fma_f32 v141, -v137, v140, v139
	v_fmac_f32_e32 v140, v141, v138
	v_fma_f32 v137, -v137, v140, v139
	v_div_fmas_f32 v137, v137, v138, v140
	v_div_fixup_f32 v136, v137, v136, 1.0
	ds_write_b32 v111, v136
.LBB71_128:
	s_or_b64 exec, exec, s[4:5]
.LBB71_129:
	s_or_b64 exec, exec, s[2:3]
	s_waitcnt lgkmcnt(0)
	s_barrier
	ds_read_b32 v136, v111
	v_cmp_lt_u32_e32 vcc, 23, v109
	s_and_saveexec_b64 s[2:3], vcc
	s_cbranch_execz .LBB71_131
; %bb.130:
	ds_read2_b64 v[138:141], v113 offset0:12 offset1:13
	ds_read2_b64 v[142:145], v113 offset0:14 offset1:15
	ds_read2_b64 v[146:149], v113 offset0:16 offset1:17
	s_waitcnt vmcnt(20) lgkmcnt(3)
	v_mul_f32_e32 v150, v136, v77
	v_mov_b32_e32 v77, v150
	s_waitcnt vmcnt(18) lgkmcnt(2)
	v_pk_fma_f32 v[88:89], v[150:151], v[138:139], v[88:89] op_sel_hi:[0,1,1] neg_lo:[1,0,0] neg_hi:[1,0,0]
	s_waitcnt vmcnt(16)
	v_pk_fma_f32 v[74:75], v[150:151], v[140:141], v[74:75] op_sel_hi:[0,1,1] neg_lo:[1,0,0] neg_hi:[1,0,0]
	s_waitcnt vmcnt(14) lgkmcnt(1)
	v_pk_fma_f32 v[86:87], v[150:151], v[142:143], v[86:87] op_sel_hi:[0,1,1] neg_lo:[1,0,0] neg_hi:[1,0,0]
	s_waitcnt vmcnt(12)
	v_pk_fma_f32 v[72:73], v[150:151], v[144:145], v[72:73] op_sel_hi:[0,1,1] neg_lo:[1,0,0] neg_hi:[1,0,0]
	;; [unrolled: 4-line block ×3, first 2 shown]
.LBB71_131:
	s_or_b64 exec, exec, s[2:3]
	v_cmp_eq_u32_e32 vcc, 24, v109
	s_waitcnt lgkmcnt(0)
	s_barrier
	s_and_saveexec_b64 s[2:3], vcc
	s_cbranch_execz .LBB71_134
; %bb.132:
	s_waitcnt vmcnt(16)
	v_pk_mov_b32 v[138:139], v[88:89], v[74:75] op_sel:[1,0]
	ds_write_b32 v111, v88
	ds_write2_b32 v113, v138, v139 offset0:25 offset1:26
	s_waitcnt vmcnt(14)
	v_pk_mov_b32 v[138:139], v[74:75], v[86:87] op_sel:[1,0]
	ds_write2_b32 v113, v138, v139 offset0:27 offset1:28
	s_waitcnt vmcnt(12)
	v_pk_mov_b32 v[138:139], v[86:87], v[72:73] op_sel:[1,0]
	;; [unrolled: 3-line block ×4, first 2 shown]
	ds_write2_b32 v113, v138, v139 offset0:33 offset1:34
	ds_write_b32 v113, v99 offset:140
	ds_read_b32 v137, v111
	s_waitcnt lgkmcnt(0)
	v_cmp_neq_f32_e32 vcc, 0, v137
	s_and_b64 exec, exec, vcc
	s_cbranch_execz .LBB71_134
; %bb.133:
	v_div_scale_f32 v138, s[4:5], v137, v137, 1.0
	v_rcp_f32_e32 v139, v138
	v_div_scale_f32 v140, vcc, 1.0, v137, 1.0
	v_fma_f32 v141, -v138, v139, 1.0
	v_fmac_f32_e32 v139, v141, v139
	v_mul_f32_e32 v141, v140, v139
	v_fma_f32 v142, -v138, v141, v140
	v_fmac_f32_e32 v141, v142, v139
	v_fma_f32 v138, -v138, v141, v140
	v_div_fmas_f32 v138, v138, v139, v141
	v_div_fixup_f32 v137, v138, v137, 1.0
	ds_write_b32 v111, v137
.LBB71_134:
	s_or_b64 exec, exec, s[2:3]
	s_waitcnt lgkmcnt(0)
	s_barrier
	ds_read_b32 v137, v111
	v_cmp_lt_u32_e32 vcc, 24, v109
	s_and_saveexec_b64 s[2:3], vcc
	s_cbranch_execz .LBB71_136
; %bb.135:
	ds_read_b32 v148, v113 offset:100
	ds_read2_b64 v[138:141], v113 offset0:13 offset1:14
	ds_read_b64 v[146:147], v113 offset:136
	ds_read2_b64 v[142:145], v113 offset0:15 offset1:16
	s_waitcnt vmcnt(19) lgkmcnt(4)
	v_mul_f32_e32 v88, v137, v88
	s_waitcnt vmcnt(18) lgkmcnt(3)
	v_fma_f32 v89, -v88, v148, v89
	s_waitcnt vmcnt(16) lgkmcnt(2)
	v_pk_fma_f32 v[74:75], v[88:89], v[138:139], v[74:75] op_sel_hi:[0,1,1] neg_lo:[1,0,0] neg_hi:[1,0,0]
	s_waitcnt vmcnt(14)
	v_pk_fma_f32 v[86:87], v[88:89], v[140:141], v[86:87] op_sel_hi:[0,1,1] neg_lo:[1,0,0] neg_hi:[1,0,0]
	s_waitcnt vmcnt(12) lgkmcnt(0)
	v_pk_fma_f32 v[72:73], v[88:89], v[142:143], v[72:73] op_sel_hi:[0,1,1] neg_lo:[1,0,0] neg_hi:[1,0,0]
	s_waitcnt vmcnt(10)
	v_pk_fma_f32 v[84:85], v[88:89], v[144:145], v[84:85] op_sel_hi:[0,1,1] neg_lo:[1,0,0] neg_hi:[1,0,0]
	s_waitcnt vmcnt(8)
	v_pk_fma_f32 v[98:99], v[88:89], v[146:147], v[98:99] op_sel_hi:[0,1,1] neg_lo:[1,0,0] neg_hi:[1,0,0]
.LBB71_136:
	s_or_b64 exec, exec, s[2:3]
	v_cmp_ne_u32_e32 vcc, 25, v109
	s_waitcnt lgkmcnt(0)
	s_barrier
	s_and_saveexec_b64 s[2:3], vcc
	s_xor_b64 s[2:3], exec, s[2:3]
	s_andn2_saveexec_b64 s[2:3], s[2:3]
	s_cbranch_execz .LBB71_140
; %bb.137:
	s_waitcnt vmcnt(18)
	ds_write_b32 v111, v89
	s_waitcnt vmcnt(14)
	ds_write2_b64 v113, v[74:75], v[86:87] offset0:13 offset1:14
	s_waitcnt vmcnt(10)
	ds_write2_b64 v113, v[72:73], v[84:85] offset0:15 offset1:16
	s_waitcnt vmcnt(8)
	ds_write_b64 v113, v[98:99] offset:136
	ds_read_b32 v138, v111
	s_waitcnt lgkmcnt(0)
	v_cmp_neq_f32_e32 vcc, 0, v138
	s_and_saveexec_b64 s[4:5], vcc
	s_cbranch_execz .LBB71_139
; %bb.138:
	v_div_scale_f32 v139, s[10:11], v138, v138, 1.0
	v_rcp_f32_e32 v140, v139
	v_div_scale_f32 v141, vcc, 1.0, v138, 1.0
	v_fma_f32 v142, -v139, v140, 1.0
	v_fmac_f32_e32 v140, v142, v140
	v_mul_f32_e32 v142, v141, v140
	v_fma_f32 v143, -v139, v142, v141
	v_fmac_f32_e32 v142, v143, v140
	v_fma_f32 v139, -v139, v142, v141
	v_div_fmas_f32 v139, v139, v140, v142
	v_div_fixup_f32 v138, v139, v138, 1.0
	ds_write_b32 v111, v138
.LBB71_139:
	s_or_b64 exec, exec, s[4:5]
.LBB71_140:
	s_or_b64 exec, exec, s[2:3]
	s_waitcnt lgkmcnt(0)
	s_barrier
	ds_read_b32 v138, v111
	v_cmp_lt_u32_e32 vcc, 25, v109
	s_and_saveexec_b64 s[2:3], vcc
	s_cbranch_execz .LBB71_142
; %bb.141:
	ds_read2_b64 v[140:143], v113 offset0:13 offset1:14
	ds_read2_b64 v[144:147], v113 offset0:15 offset1:16
	ds_read_b64 v[150:151], v113 offset:136
	s_waitcnt vmcnt(18) lgkmcnt(3)
	v_mul_f32_e32 v148, v138, v89
	v_mov_b32_e32 v89, v148
	s_waitcnt vmcnt(16) lgkmcnt(2)
	v_pk_fma_f32 v[74:75], v[148:149], v[140:141], v[74:75] op_sel_hi:[0,1,1] neg_lo:[1,0,0] neg_hi:[1,0,0]
	s_waitcnt vmcnt(14)
	v_pk_fma_f32 v[86:87], v[148:149], v[142:143], v[86:87] op_sel_hi:[0,1,1] neg_lo:[1,0,0] neg_hi:[1,0,0]
	s_waitcnt vmcnt(12) lgkmcnt(1)
	v_pk_fma_f32 v[72:73], v[148:149], v[144:145], v[72:73] op_sel_hi:[0,1,1] neg_lo:[1,0,0] neg_hi:[1,0,0]
	s_waitcnt vmcnt(10)
	v_pk_fma_f32 v[84:85], v[148:149], v[146:147], v[84:85] op_sel_hi:[0,1,1] neg_lo:[1,0,0] neg_hi:[1,0,0]
	s_waitcnt vmcnt(8) lgkmcnt(0)
	v_pk_fma_f32 v[98:99], v[148:149], v[150:151], v[98:99] op_sel_hi:[0,1,1] neg_lo:[1,0,0] neg_hi:[1,0,0]
.LBB71_142:
	s_or_b64 exec, exec, s[2:3]
	v_cmp_eq_u32_e32 vcc, 26, v109
	s_waitcnt lgkmcnt(0)
	s_barrier
	s_and_saveexec_b64 s[2:3], vcc
	s_cbranch_execz .LBB71_145
; %bb.143:
	s_waitcnt vmcnt(14)
	v_pk_mov_b32 v[140:141], v[74:75], v[86:87] op_sel:[1,0]
	ds_write_b32 v111, v74
	ds_write2_b32 v113, v140, v141 offset0:27 offset1:28
	s_waitcnt vmcnt(12)
	v_pk_mov_b32 v[140:141], v[86:87], v[72:73] op_sel:[1,0]
	ds_write2_b32 v113, v140, v141 offset0:29 offset1:30
	s_waitcnt vmcnt(10)
	v_pk_mov_b32 v[140:141], v[72:73], v[84:85] op_sel:[1,0]
	;; [unrolled: 3-line block ×3, first 2 shown]
	ds_write2_b32 v113, v140, v141 offset0:33 offset1:34
	ds_write_b32 v113, v99 offset:140
	ds_read_b32 v139, v111
	s_waitcnt lgkmcnt(0)
	v_cmp_neq_f32_e32 vcc, 0, v139
	s_and_b64 exec, exec, vcc
	s_cbranch_execz .LBB71_145
; %bb.144:
	v_div_scale_f32 v140, s[4:5], v139, v139, 1.0
	v_rcp_f32_e32 v141, v140
	v_div_scale_f32 v142, vcc, 1.0, v139, 1.0
	v_fma_f32 v143, -v140, v141, 1.0
	v_fmac_f32_e32 v141, v143, v141
	v_mul_f32_e32 v143, v142, v141
	v_fma_f32 v144, -v140, v143, v142
	v_fmac_f32_e32 v143, v144, v141
	v_fma_f32 v140, -v140, v143, v142
	v_div_fmas_f32 v140, v140, v141, v143
	v_div_fixup_f32 v139, v140, v139, 1.0
	ds_write_b32 v111, v139
.LBB71_145:
	s_or_b64 exec, exec, s[2:3]
	s_waitcnt lgkmcnt(0)
	s_barrier
	ds_read_b32 v139, v111
	v_cmp_lt_u32_e32 vcc, 26, v109
	s_and_saveexec_b64 s[2:3], vcc
	s_cbranch_execz .LBB71_147
; %bb.146:
	ds_read_b32 v148, v113 offset:108
	ds_read2_b64 v[140:143], v113 offset0:14 offset1:15
	ds_read2_b64 v[144:147], v113 offset0:16 offset1:17
	s_waitcnt vmcnt(17) lgkmcnt(3)
	v_mul_f32_e32 v74, v139, v74
	s_waitcnt vmcnt(16) lgkmcnt(2)
	v_fma_f32 v75, -v74, v148, v75
	s_waitcnt vmcnt(14) lgkmcnt(1)
	v_pk_fma_f32 v[86:87], v[74:75], v[140:141], v[86:87] op_sel_hi:[0,1,1] neg_lo:[1,0,0] neg_hi:[1,0,0]
	s_waitcnt vmcnt(12)
	v_pk_fma_f32 v[72:73], v[74:75], v[142:143], v[72:73] op_sel_hi:[0,1,1] neg_lo:[1,0,0] neg_hi:[1,0,0]
	s_waitcnt vmcnt(10) lgkmcnt(0)
	v_pk_fma_f32 v[84:85], v[74:75], v[144:145], v[84:85] op_sel_hi:[0,1,1] neg_lo:[1,0,0] neg_hi:[1,0,0]
	s_waitcnt vmcnt(8)
	v_pk_fma_f32 v[98:99], v[74:75], v[146:147], v[98:99] op_sel_hi:[0,1,1] neg_lo:[1,0,0] neg_hi:[1,0,0]
.LBB71_147:
	s_or_b64 exec, exec, s[2:3]
	v_cmp_ne_u32_e32 vcc, 27, v109
	s_waitcnt lgkmcnt(0)
	s_barrier
	s_and_saveexec_b64 s[2:3], vcc
	s_xor_b64 s[2:3], exec, s[2:3]
	s_andn2_saveexec_b64 s[2:3], s[2:3]
	s_cbranch_execz .LBB71_151
; %bb.148:
	s_waitcnt vmcnt(15)
	v_mov_b32_e32 v140, v86
	s_waitcnt vmcnt(14)
	v_mov_b32_e32 v141, v87
	;; [unrolled: 2-line block ×4, first 2 shown]
	ds_write_b32 v111, v75
	ds_write2_b64 v113, v[140:141], v[142:143] offset0:14 offset1:15
	s_waitcnt vmcnt(11)
	v_mov_b32_e32 v140, v84
	s_waitcnt vmcnt(10)
	v_mov_b32_e32 v141, v85
	s_waitcnt vmcnt(8)
	ds_write2_b64 v113, v[140:141], v[98:99] offset0:16 offset1:17
	ds_read_b32 v140, v111
	s_waitcnt lgkmcnt(0)
	v_cmp_neq_f32_e32 vcc, 0, v140
	s_and_saveexec_b64 s[4:5], vcc
	s_cbranch_execz .LBB71_150
; %bb.149:
	v_div_scale_f32 v141, s[10:11], v140, v140, 1.0
	v_rcp_f32_e32 v142, v141
	v_div_scale_f32 v143, vcc, 1.0, v140, 1.0
	v_fma_f32 v144, -v141, v142, 1.0
	v_fmac_f32_e32 v142, v144, v142
	v_mul_f32_e32 v144, v143, v142
	v_fma_f32 v145, -v141, v144, v143
	v_fmac_f32_e32 v144, v145, v142
	v_fma_f32 v141, -v141, v144, v143
	v_div_fmas_f32 v141, v141, v142, v144
	v_div_fixup_f32 v140, v141, v140, 1.0
	ds_write_b32 v111, v140
.LBB71_150:
	s_or_b64 exec, exec, s[4:5]
.LBB71_151:
	s_or_b64 exec, exec, s[2:3]
	s_waitcnt lgkmcnt(0)
	s_barrier
	ds_read_b32 v140, v111
	v_cmp_lt_u32_e32 vcc, 27, v109
	s_and_saveexec_b64 s[2:3], vcc
	s_cbranch_execz .LBB71_153
; %bb.152:
	ds_read2_b64 v[142:145], v113 offset0:14 offset1:15
	ds_read2_b64 v[146:149], v113 offset0:16 offset1:17
	s_waitcnt vmcnt(16) lgkmcnt(2)
	v_mul_f32_e32 v150, v140, v75
	v_mov_b32_e32 v75, v150
	s_waitcnt vmcnt(14) lgkmcnt(1)
	v_pk_fma_f32 v[86:87], v[150:151], v[142:143], v[86:87] op_sel_hi:[0,1,1] neg_lo:[1,0,0] neg_hi:[1,0,0]
	s_waitcnt vmcnt(12)
	v_pk_fma_f32 v[72:73], v[150:151], v[144:145], v[72:73] op_sel_hi:[0,1,1] neg_lo:[1,0,0] neg_hi:[1,0,0]
	s_waitcnt vmcnt(10) lgkmcnt(0)
	v_pk_fma_f32 v[84:85], v[150:151], v[146:147], v[84:85] op_sel_hi:[0,1,1] neg_lo:[1,0,0] neg_hi:[1,0,0]
	s_waitcnt vmcnt(8)
	v_pk_fma_f32 v[98:99], v[150:151], v[148:149], v[98:99] op_sel_hi:[0,1,1] neg_lo:[1,0,0] neg_hi:[1,0,0]
.LBB71_153:
	s_or_b64 exec, exec, s[2:3]
	v_cmp_eq_u32_e32 vcc, 28, v109
	s_waitcnt lgkmcnt(0)
	s_barrier
	s_and_saveexec_b64 s[2:3], vcc
	s_cbranch_execz .LBB71_156
; %bb.154:
	s_waitcnt vmcnt(12)
	v_pk_mov_b32 v[142:143], v[86:87], v[72:73] op_sel:[1,0]
	ds_write_b32 v111, v86
	ds_write2_b32 v113, v142, v143 offset0:29 offset1:30
	s_waitcnt vmcnt(10)
	v_pk_mov_b32 v[142:143], v[72:73], v[84:85] op_sel:[1,0]
	ds_write2_b32 v113, v142, v143 offset0:31 offset1:32
	s_waitcnt vmcnt(8)
	v_pk_mov_b32 v[142:143], v[84:85], v[98:99] op_sel:[1,0]
	ds_write2_b32 v113, v142, v143 offset0:33 offset1:34
	ds_write_b32 v113, v99 offset:140
	ds_read_b32 v141, v111
	s_waitcnt lgkmcnt(0)
	v_cmp_neq_f32_e32 vcc, 0, v141
	s_and_b64 exec, exec, vcc
	s_cbranch_execz .LBB71_156
; %bb.155:
	v_div_scale_f32 v142, s[4:5], v141, v141, 1.0
	v_rcp_f32_e32 v143, v142
	v_div_scale_f32 v144, vcc, 1.0, v141, 1.0
	v_fma_f32 v145, -v142, v143, 1.0
	v_fmac_f32_e32 v143, v145, v143
	v_mul_f32_e32 v145, v144, v143
	v_fma_f32 v146, -v142, v145, v144
	v_fmac_f32_e32 v145, v146, v143
	v_fma_f32 v142, -v142, v145, v144
	v_div_fmas_f32 v142, v142, v143, v145
	v_div_fixup_f32 v141, v142, v141, 1.0
	ds_write_b32 v111, v141
.LBB71_156:
	s_or_b64 exec, exec, s[2:3]
	s_waitcnt lgkmcnt(0)
	s_barrier
	ds_read_b32 v141, v111
	v_cmp_lt_u32_e32 vcc, 28, v109
	s_and_saveexec_b64 s[2:3], vcc
	s_cbranch_execz .LBB71_158
; %bb.157:
	ds_read_b32 v148, v113 offset:116
	ds_read2_b64 v[142:145], v113 offset0:15 offset1:16
	ds_read_b64 v[146:147], v113 offset:136
	s_waitcnt vmcnt(15) lgkmcnt(3)
	v_mul_f32_e32 v86, v141, v86
	s_waitcnt vmcnt(14) lgkmcnt(2)
	v_fma_f32 v87, -v86, v148, v87
	s_waitcnt vmcnt(12) lgkmcnt(1)
	v_pk_fma_f32 v[72:73], v[86:87], v[142:143], v[72:73] op_sel_hi:[0,1,1] neg_lo:[1,0,0] neg_hi:[1,0,0]
	s_waitcnt vmcnt(10)
	v_pk_fma_f32 v[84:85], v[86:87], v[144:145], v[84:85] op_sel_hi:[0,1,1] neg_lo:[1,0,0] neg_hi:[1,0,0]
	s_waitcnt vmcnt(8) lgkmcnt(0)
	v_pk_fma_f32 v[98:99], v[86:87], v[146:147], v[98:99] op_sel_hi:[0,1,1] neg_lo:[1,0,0] neg_hi:[1,0,0]
.LBB71_158:
	s_or_b64 exec, exec, s[2:3]
	v_cmp_ne_u32_e32 vcc, 29, v109
	s_waitcnt lgkmcnt(0)
	s_barrier
	s_and_saveexec_b64 s[2:3], vcc
	s_xor_b64 s[2:3], exec, s[2:3]
	s_andn2_saveexec_b64 s[2:3], s[2:3]
	s_cbranch_execz .LBB71_162
; %bb.159:
	s_waitcnt vmcnt(14)
	ds_write_b32 v111, v87
	s_waitcnt vmcnt(10)
	ds_write2_b64 v113, v[72:73], v[84:85] offset0:15 offset1:16
	s_waitcnt vmcnt(8)
	ds_write_b64 v113, v[98:99] offset:136
	ds_read_b32 v142, v111
	s_waitcnt lgkmcnt(0)
	v_cmp_neq_f32_e32 vcc, 0, v142
	s_and_saveexec_b64 s[4:5], vcc
	s_cbranch_execz .LBB71_161
; %bb.160:
	v_div_scale_f32 v143, s[10:11], v142, v142, 1.0
	v_rcp_f32_e32 v144, v143
	v_div_scale_f32 v145, vcc, 1.0, v142, 1.0
	v_fma_f32 v146, -v143, v144, 1.0
	v_fmac_f32_e32 v144, v146, v144
	v_mul_f32_e32 v146, v145, v144
	v_fma_f32 v147, -v143, v146, v145
	v_fmac_f32_e32 v146, v147, v144
	v_fma_f32 v143, -v143, v146, v145
	v_div_fmas_f32 v143, v143, v144, v146
	v_div_fixup_f32 v142, v143, v142, 1.0
	ds_write_b32 v111, v142
.LBB71_161:
	s_or_b64 exec, exec, s[4:5]
.LBB71_162:
	s_or_b64 exec, exec, s[2:3]
	s_waitcnt lgkmcnt(0)
	s_barrier
	ds_read_b32 v142, v111
	v_cmp_lt_u32_e32 vcc, 29, v109
	s_and_saveexec_b64 s[2:3], vcc
	s_cbranch_execz .LBB71_164
; %bb.163:
	ds_read2_b64 v[144:147], v113 offset0:15 offset1:16
	ds_read_b64 v[148:149], v113 offset:136
	s_waitcnt vmcnt(14) lgkmcnt(2)
	v_mul_f32_e32 v150, v142, v87
	v_mov_b32_e32 v87, v150
	s_waitcnt vmcnt(12) lgkmcnt(1)
	v_pk_fma_f32 v[72:73], v[150:151], v[144:145], v[72:73] op_sel_hi:[0,1,1] neg_lo:[1,0,0] neg_hi:[1,0,0]
	s_waitcnt vmcnt(10)
	v_pk_fma_f32 v[84:85], v[150:151], v[146:147], v[84:85] op_sel_hi:[0,1,1] neg_lo:[1,0,0] neg_hi:[1,0,0]
	s_waitcnt vmcnt(8) lgkmcnt(0)
	v_pk_fma_f32 v[98:99], v[150:151], v[148:149], v[98:99] op_sel_hi:[0,1,1] neg_lo:[1,0,0] neg_hi:[1,0,0]
.LBB71_164:
	s_or_b64 exec, exec, s[2:3]
	v_cmp_eq_u32_e32 vcc, 30, v109
	s_waitcnt lgkmcnt(0)
	s_barrier
	s_and_saveexec_b64 s[2:3], vcc
	s_cbranch_execz .LBB71_167
; %bb.165:
	s_waitcnt vmcnt(10)
	v_pk_mov_b32 v[144:145], v[72:73], v[84:85] op_sel:[1,0]
	ds_write_b32 v111, v72
	ds_write2_b32 v113, v144, v145 offset0:31 offset1:32
	s_waitcnt vmcnt(8)
	v_pk_mov_b32 v[144:145], v[84:85], v[98:99] op_sel:[1,0]
	ds_write2_b32 v113, v144, v145 offset0:33 offset1:34
	ds_write_b32 v113, v99 offset:140
	ds_read_b32 v143, v111
	s_waitcnt lgkmcnt(0)
	v_cmp_neq_f32_e32 vcc, 0, v143
	s_and_b64 exec, exec, vcc
	s_cbranch_execz .LBB71_167
; %bb.166:
	v_div_scale_f32 v144, s[4:5], v143, v143, 1.0
	v_rcp_f32_e32 v145, v144
	v_div_scale_f32 v146, vcc, 1.0, v143, 1.0
	v_fma_f32 v147, -v144, v145, 1.0
	v_fmac_f32_e32 v145, v147, v145
	v_mul_f32_e32 v147, v146, v145
	v_fma_f32 v148, -v144, v147, v146
	v_fmac_f32_e32 v147, v148, v145
	v_fma_f32 v144, -v144, v147, v146
	v_div_fmas_f32 v144, v144, v145, v147
	v_div_fixup_f32 v143, v144, v143, 1.0
	ds_write_b32 v111, v143
.LBB71_167:
	s_or_b64 exec, exec, s[2:3]
	s_waitcnt lgkmcnt(0)
	s_barrier
	ds_read_b32 v143, v111
	v_cmp_lt_u32_e32 vcc, 30, v109
	s_and_saveexec_b64 s[2:3], vcc
	s_cbranch_execz .LBB71_169
; %bb.168:
	ds_read_b32 v148, v113 offset:124
	ds_read2_b64 v[144:147], v113 offset0:16 offset1:17
	s_waitcnt vmcnt(13) lgkmcnt(2)
	v_mul_f32_e32 v72, v143, v72
	s_waitcnt vmcnt(12) lgkmcnt(1)
	v_fma_f32 v73, -v72, v148, v73
	s_waitcnt vmcnt(10) lgkmcnt(0)
	v_pk_fma_f32 v[84:85], v[72:73], v[144:145], v[84:85] op_sel_hi:[0,1,1] neg_lo:[1,0,0] neg_hi:[1,0,0]
	s_waitcnt vmcnt(8)
	v_pk_fma_f32 v[98:99], v[72:73], v[146:147], v[98:99] op_sel_hi:[0,1,1] neg_lo:[1,0,0] neg_hi:[1,0,0]
.LBB71_169:
	s_or_b64 exec, exec, s[2:3]
	v_cmp_ne_u32_e32 vcc, 31, v109
	s_waitcnt lgkmcnt(0)
	s_barrier
	s_and_saveexec_b64 s[2:3], vcc
	s_xor_b64 s[2:3], exec, s[2:3]
	s_andn2_saveexec_b64 s[2:3], s[2:3]
	s_cbranch_execz .LBB71_173
; %bb.170:
	s_waitcnt vmcnt(11)
	v_mov_b32_e32 v144, v84
	s_waitcnt vmcnt(10)
	v_mov_b32_e32 v145, v85
	ds_write_b32 v111, v73
	s_waitcnt vmcnt(8)
	ds_write2_b64 v113, v[144:145], v[98:99] offset0:16 offset1:17
	ds_read_b32 v144, v111
	s_waitcnt lgkmcnt(0)
	v_cmp_neq_f32_e32 vcc, 0, v144
	s_and_saveexec_b64 s[4:5], vcc
	s_cbranch_execz .LBB71_172
; %bb.171:
	v_div_scale_f32 v145, s[10:11], v144, v144, 1.0
	v_rcp_f32_e32 v146, v145
	v_div_scale_f32 v147, vcc, 1.0, v144, 1.0
	v_fma_f32 v148, -v145, v146, 1.0
	v_fmac_f32_e32 v146, v148, v146
	v_mul_f32_e32 v148, v147, v146
	v_fma_f32 v149, -v145, v148, v147
	v_fmac_f32_e32 v148, v149, v146
	v_fma_f32 v145, -v145, v148, v147
	v_div_fmas_f32 v145, v145, v146, v148
	v_div_fixup_f32 v144, v145, v144, 1.0
	ds_write_b32 v111, v144
.LBB71_172:
	s_or_b64 exec, exec, s[4:5]
.LBB71_173:
	s_or_b64 exec, exec, s[2:3]
	s_waitcnt lgkmcnt(0)
	s_barrier
	ds_read_b32 v144, v111
	v_cmp_lt_u32_e32 vcc, 31, v109
	s_and_saveexec_b64 s[2:3], vcc
	s_cbranch_execz .LBB71_175
; %bb.174:
	ds_read2_b64 v[146:149], v113 offset0:16 offset1:17
	s_waitcnt vmcnt(12) lgkmcnt(1)
	v_mul_f32_e32 v150, v144, v73
	v_mov_b32_e32 v73, v150
	s_waitcnt vmcnt(10) lgkmcnt(0)
	v_pk_fma_f32 v[84:85], v[150:151], v[146:147], v[84:85] op_sel_hi:[0,1,1] neg_lo:[1,0,0] neg_hi:[1,0,0]
	s_waitcnt vmcnt(8)
	v_pk_fma_f32 v[98:99], v[150:151], v[148:149], v[98:99] op_sel_hi:[0,1,1] neg_lo:[1,0,0] neg_hi:[1,0,0]
.LBB71_175:
	s_or_b64 exec, exec, s[2:3]
	v_cmp_eq_u32_e32 vcc, 32, v109
	s_waitcnt lgkmcnt(0)
	s_barrier
	s_and_saveexec_b64 s[2:3], vcc
	s_cbranch_execz .LBB71_178
; %bb.176:
	s_waitcnt vmcnt(8)
	v_pk_mov_b32 v[146:147], v[84:85], v[98:99] op_sel:[1,0]
	ds_write_b32 v111, v84
	ds_write2_b32 v113, v146, v147 offset0:33 offset1:34
	ds_write_b32 v113, v99 offset:140
	ds_read_b32 v145, v111
	s_waitcnt lgkmcnt(0)
	v_cmp_neq_f32_e32 vcc, 0, v145
	s_and_b64 exec, exec, vcc
	s_cbranch_execz .LBB71_178
; %bb.177:
	v_div_scale_f32 v146, s[4:5], v145, v145, 1.0
	v_rcp_f32_e32 v147, v146
	v_div_scale_f32 v148, vcc, 1.0, v145, 1.0
	v_fma_f32 v149, -v146, v147, 1.0
	v_fmac_f32_e32 v147, v149, v147
	v_mul_f32_e32 v149, v148, v147
	v_fma_f32 v150, -v146, v149, v148
	v_fmac_f32_e32 v149, v150, v147
	v_fma_f32 v146, -v146, v149, v148
	v_div_fmas_f32 v146, v146, v147, v149
	v_div_fixup_f32 v145, v146, v145, 1.0
	ds_write_b32 v111, v145
.LBB71_178:
	s_or_b64 exec, exec, s[2:3]
	s_waitcnt lgkmcnt(0)
	s_barrier
	ds_read_b32 v145, v111
	v_cmp_lt_u32_e32 vcc, 32, v109
	s_and_saveexec_b64 s[2:3], vcc
	s_cbranch_execz .LBB71_180
; %bb.179:
	ds_read_b32 v148, v113 offset:132
	ds_read_b64 v[146:147], v113 offset:136
	s_waitcnt vmcnt(11) lgkmcnt(2)
	v_mul_f32_e32 v84, v145, v84
	s_waitcnt vmcnt(10) lgkmcnt(1)
	v_fma_f32 v85, -v84, v148, v85
	s_waitcnt vmcnt(8) lgkmcnt(0)
	v_pk_fma_f32 v[98:99], v[84:85], v[146:147], v[98:99] op_sel_hi:[0,1,1] neg_lo:[1,0,0] neg_hi:[1,0,0]
.LBB71_180:
	s_or_b64 exec, exec, s[2:3]
	v_cmp_ne_u32_e32 vcc, 33, v109
	s_waitcnt lgkmcnt(0)
	s_barrier
	s_and_saveexec_b64 s[2:3], vcc
	s_xor_b64 s[2:3], exec, s[2:3]
	s_andn2_saveexec_b64 s[2:3], s[2:3]
	s_cbranch_execz .LBB71_184
; %bb.181:
	s_waitcnt vmcnt(10)
	ds_write_b32 v111, v85
	s_waitcnt vmcnt(8)
	ds_write_b64 v113, v[98:99] offset:136
	ds_read_b32 v146, v111
	s_waitcnt lgkmcnt(0)
	v_cmp_neq_f32_e32 vcc, 0, v146
	s_and_saveexec_b64 s[4:5], vcc
	s_cbranch_execz .LBB71_183
; %bb.182:
	v_div_scale_f32 v147, s[10:11], v146, v146, 1.0
	v_rcp_f32_e32 v148, v147
	v_div_scale_f32 v149, vcc, 1.0, v146, 1.0
	v_fma_f32 v150, -v147, v148, 1.0
	v_fmac_f32_e32 v148, v150, v148
	v_mul_f32_e32 v150, v149, v148
	v_fma_f32 v151, -v147, v150, v149
	v_fmac_f32_e32 v150, v151, v148
	v_fma_f32 v147, -v147, v150, v149
	v_div_fmas_f32 v147, v147, v148, v150
	v_div_fixup_f32 v146, v147, v146, 1.0
	ds_write_b32 v111, v146
.LBB71_183:
	s_or_b64 exec, exec, s[4:5]
.LBB71_184:
	s_or_b64 exec, exec, s[2:3]
	s_waitcnt lgkmcnt(0)
	s_barrier
	ds_read_b32 v146, v111
	v_cmp_lt_u32_e32 vcc, 33, v109
	s_and_saveexec_b64 s[2:3], vcc
	s_cbranch_execz .LBB71_186
; %bb.185:
	ds_read_b64 v[148:149], v113 offset:136
	s_waitcnt vmcnt(10) lgkmcnt(1)
	v_mul_f32_e32 v150, v146, v85
	v_mov_b32_e32 v85, v150
	s_waitcnt vmcnt(8) lgkmcnt(0)
	v_pk_fma_f32 v[98:99], v[150:151], v[148:149], v[98:99] op_sel_hi:[0,1,1] neg_lo:[1,0,0] neg_hi:[1,0,0]
.LBB71_186:
	s_or_b64 exec, exec, s[2:3]
	v_cmp_eq_u32_e32 vcc, 34, v109
	s_waitcnt lgkmcnt(0)
	s_barrier
	s_and_saveexec_b64 s[2:3], vcc
	s_cbranch_execz .LBB71_189
; %bb.187:
	s_waitcnt vmcnt(9)
	ds_write_b32 v111, v98
	s_waitcnt vmcnt(8)
	ds_write_b32 v113, v99 offset:140
	ds_read_b32 v147, v111
	s_waitcnt lgkmcnt(0)
	v_cmp_neq_f32_e32 vcc, 0, v147
	s_and_b64 exec, exec, vcc
	s_cbranch_execz .LBB71_189
; %bb.188:
	v_div_scale_f32 v148, s[4:5], v147, v147, 1.0
	v_rcp_f32_e32 v149, v148
	v_div_scale_f32 v150, vcc, 1.0, v147, 1.0
	v_fma_f32 v151, -v148, v149, 1.0
	v_fmac_f32_e32 v149, v151, v149
	v_mul_f32_e32 v151, v150, v149
	v_fma_f32 v152, -v148, v151, v150
	v_fmac_f32_e32 v151, v152, v149
	v_fma_f32 v148, -v148, v151, v150
	v_div_fmas_f32 v148, v148, v149, v151
	v_div_fixup_f32 v147, v148, v147, 1.0
	ds_write_b32 v111, v147
.LBB71_189:
	s_or_b64 exec, exec, s[2:3]
	s_waitcnt lgkmcnt(0)
	s_barrier
	ds_read_b32 v147, v111
	v_cmp_lt_u32_e32 vcc, 34, v109
	s_and_saveexec_b64 s[2:3], vcc
	s_cbranch_execz .LBB71_191
; %bb.190:
	ds_read_b32 v113, v113 offset:140
	s_waitcnt vmcnt(9) lgkmcnt(1)
	v_mul_f32_e32 v98, v147, v98
	s_waitcnt vmcnt(8) lgkmcnt(0)
	v_fma_f32 v99, -v98, v113, v99
.LBB71_191:
	s_or_b64 exec, exec, s[2:3]
	v_cmp_ne_u32_e32 vcc, 35, v109
	s_waitcnt lgkmcnt(0)
	s_barrier
	s_and_saveexec_b64 s[2:3], vcc
	s_xor_b64 s[2:3], exec, s[2:3]
	s_andn2_saveexec_b64 s[2:3], s[2:3]
	s_cbranch_execz .LBB71_195
; %bb.192:
	s_waitcnt vmcnt(8)
	v_cmp_neq_f32_e32 vcc, 0, v99
	ds_write_b32 v111, v99
	s_and_saveexec_b64 s[4:5], vcc
	s_cbranch_execz .LBB71_194
; %bb.193:
	v_div_scale_f32 v113, s[10:11], v99, v99, 1.0
	v_rcp_f32_e32 v148, v113
	v_div_scale_f32 v149, vcc, 1.0, v99, 1.0
	v_fma_f32 v150, -v113, v148, 1.0
	v_fmac_f32_e32 v148, v150, v148
	v_mul_f32_e32 v150, v149, v148
	v_fma_f32 v151, -v113, v150, v149
	v_fmac_f32_e32 v150, v151, v148
	v_fma_f32 v113, -v113, v150, v149
	v_div_fmas_f32 v113, v113, v148, v150
	v_div_fixup_f32 v113, v113, v99, 1.0
	ds_write_b32 v111, v113
.LBB71_194:
	s_or_b64 exec, exec, s[4:5]
.LBB71_195:
	s_or_b64 exec, exec, s[2:3]
	s_waitcnt lgkmcnt(0)
	s_barrier
	ds_read_b32 v111, v111
	s_waitcnt lgkmcnt(0)
	s_barrier
	s_and_saveexec_b64 s[2:3], s[0:1]
	s_cbranch_execz .LBB71_198
; %bb.196:
	v_cmp_eq_f32_e32 vcc, 0, v112
	v_cmp_neq_f32_e64 s[0:1], 0, v114
	v_mov_b32_e32 v113, s7
	v_cndmask_b32_e64 v112, 0, 1, vcc
	s_or_b64 vcc, s[0:1], vcc
	v_cndmask_b32_e32 v112, 2, v112, vcc
	v_cmp_eq_f32_e32 vcc, 0, v115
	v_cmp_eq_u32_e64 s[0:1], 0, v112
	s_and_b64 s[0:1], vcc, s[0:1]
	v_cmp_eq_f32_e32 vcc, 0, v116
	v_cndmask_b32_e64 v112, v112, 3, s[0:1]
	v_cmp_eq_u32_e64 s[0:1], 0, v112
	s_and_b64 s[0:1], vcc, s[0:1]
	v_cmp_eq_f32_e32 vcc, 0, v117
	v_cndmask_b32_e64 v112, v112, 4, s[0:1]
	;; [unrolled: 4-line block ×14, first 2 shown]
	v_mov_b32_e32 v112, s6
	v_lshl_add_u64 v[24:25], v[24:25], 2, v[112:113]
	global_load_dword v113, v[24:25], off
	v_cmp_eq_u32_e64 s[0:1], 0, v114
	s_and_b64 s[0:1], vcc, s[0:1]
	v_cmp_eq_f32_e32 vcc, 0, v130
	v_cndmask_b32_e64 v112, v114, 17, s[0:1]
	v_cmp_eq_u32_e64 s[0:1], 0, v112
	s_and_b64 s[0:1], vcc, s[0:1]
	v_cmp_eq_f32_e32 vcc, 0, v131
	v_cndmask_b32_e64 v112, v112, 18, s[0:1]
	;; [unrolled: 4-line block ×19, first 2 shown]
	v_cmp_eq_u32_e64 s[0:1], 0, v112
	s_and_b64 s[0:1], vcc, s[0:1]
	s_waitcnt vmcnt(0)
	v_cmp_eq_u32_e32 vcc, 0, v113
	v_cndmask_b32_e64 v112, v112, 36, s[0:1]
	v_cmp_ne_u32_e64 s[0:1], 0, v112
	s_and_b64 s[0:1], vcc, s[0:1]
	s_and_b64 exec, exec, s[0:1]
	s_cbranch_execz .LBB71_198
; %bb.197:
	v_add_u32_e32 v112, s9, v112
	global_store_dword v[24:25], v112, off
.LBB71_198:
	s_or_b64 exec, exec, s[2:3]
	s_waitcnt vmcnt(8)
	v_mul_f32_e32 v24, v111, v99
	v_cmp_lt_u32_e32 vcc, 35, v109
	s_nop 1
	v_cndmask_b32_e32 v24, v99, v24, vcc
	s_waitcnt vmcnt(1)
	global_store_dword v[0:1], v108, off
	s_waitcnt vmcnt(1)
	global_store_dword v[106:107], v110, off
	global_store_dword v[2:3], v102, off
	;; [unrolled: 1-line block ×35, first 2 shown]
.LBB71_199:
	s_endpgm
	.section	.rodata,"a",@progbits
	.p2align	6, 0x0
	.amdhsa_kernel _ZN9rocsolver6v33100L23getf2_npvt_small_kernelILi36EfiiPfEEvT1_T3_lS3_lPT2_S3_S3_
		.amdhsa_group_segment_fixed_size 0
		.amdhsa_private_segment_fixed_size 0
		.amdhsa_kernarg_size 312
		.amdhsa_user_sgpr_count 2
		.amdhsa_user_sgpr_dispatch_ptr 0
		.amdhsa_user_sgpr_queue_ptr 0
		.amdhsa_user_sgpr_kernarg_segment_ptr 1
		.amdhsa_user_sgpr_dispatch_id 0
		.amdhsa_user_sgpr_kernarg_preload_length 0
		.amdhsa_user_sgpr_kernarg_preload_offset 0
		.amdhsa_user_sgpr_private_segment_size 0
		.amdhsa_uses_dynamic_stack 0
		.amdhsa_enable_private_segment 0
		.amdhsa_system_sgpr_workgroup_id_x 1
		.amdhsa_system_sgpr_workgroup_id_y 1
		.amdhsa_system_sgpr_workgroup_id_z 0
		.amdhsa_system_sgpr_workgroup_info 0
		.amdhsa_system_vgpr_workitem_id 1
		.amdhsa_next_free_vgpr 153
		.amdhsa_next_free_sgpr 16
		.amdhsa_accum_offset 156
		.amdhsa_reserve_vcc 1
		.amdhsa_float_round_mode_32 0
		.amdhsa_float_round_mode_16_64 0
		.amdhsa_float_denorm_mode_32 3
		.amdhsa_float_denorm_mode_16_64 3
		.amdhsa_dx10_clamp 1
		.amdhsa_ieee_mode 1
		.amdhsa_fp16_overflow 0
		.amdhsa_tg_split 0
		.amdhsa_exception_fp_ieee_invalid_op 0
		.amdhsa_exception_fp_denorm_src 0
		.amdhsa_exception_fp_ieee_div_zero 0
		.amdhsa_exception_fp_ieee_overflow 0
		.amdhsa_exception_fp_ieee_underflow 0
		.amdhsa_exception_fp_ieee_inexact 0
		.amdhsa_exception_int_div_zero 0
	.end_amdhsa_kernel
	.section	.text._ZN9rocsolver6v33100L23getf2_npvt_small_kernelILi36EfiiPfEEvT1_T3_lS3_lPT2_S3_S3_,"axG",@progbits,_ZN9rocsolver6v33100L23getf2_npvt_small_kernelILi36EfiiPfEEvT1_T3_lS3_lPT2_S3_S3_,comdat
.Lfunc_end71:
	.size	_ZN9rocsolver6v33100L23getf2_npvt_small_kernelILi36EfiiPfEEvT1_T3_lS3_lPT2_S3_S3_, .Lfunc_end71-_ZN9rocsolver6v33100L23getf2_npvt_small_kernelILi36EfiiPfEEvT1_T3_lS3_lPT2_S3_S3_
                                        ; -- End function
	.set _ZN9rocsolver6v33100L23getf2_npvt_small_kernelILi36EfiiPfEEvT1_T3_lS3_lPT2_S3_S3_.num_vgpr, 153
	.set _ZN9rocsolver6v33100L23getf2_npvt_small_kernelILi36EfiiPfEEvT1_T3_lS3_lPT2_S3_S3_.num_agpr, 0
	.set _ZN9rocsolver6v33100L23getf2_npvt_small_kernelILi36EfiiPfEEvT1_T3_lS3_lPT2_S3_S3_.numbered_sgpr, 16
	.set _ZN9rocsolver6v33100L23getf2_npvt_small_kernelILi36EfiiPfEEvT1_T3_lS3_lPT2_S3_S3_.num_named_barrier, 0
	.set _ZN9rocsolver6v33100L23getf2_npvt_small_kernelILi36EfiiPfEEvT1_T3_lS3_lPT2_S3_S3_.private_seg_size, 0
	.set _ZN9rocsolver6v33100L23getf2_npvt_small_kernelILi36EfiiPfEEvT1_T3_lS3_lPT2_S3_S3_.uses_vcc, 1
	.set _ZN9rocsolver6v33100L23getf2_npvt_small_kernelILi36EfiiPfEEvT1_T3_lS3_lPT2_S3_S3_.uses_flat_scratch, 0
	.set _ZN9rocsolver6v33100L23getf2_npvt_small_kernelILi36EfiiPfEEvT1_T3_lS3_lPT2_S3_S3_.has_dyn_sized_stack, 0
	.set _ZN9rocsolver6v33100L23getf2_npvt_small_kernelILi36EfiiPfEEvT1_T3_lS3_lPT2_S3_S3_.has_recursion, 0
	.set _ZN9rocsolver6v33100L23getf2_npvt_small_kernelILi36EfiiPfEEvT1_T3_lS3_lPT2_S3_S3_.has_indirect_call, 0
	.section	.AMDGPU.csdata,"",@progbits
; Kernel info:
; codeLenInByte = 18456
; TotalNumSgprs: 22
; NumVgprs: 153
; NumAgprs: 0
; TotalNumVgprs: 153
; ScratchSize: 0
; MemoryBound: 0
; FloatMode: 240
; IeeeMode: 1
; LDSByteSize: 0 bytes/workgroup (compile time only)
; SGPRBlocks: 2
; VGPRBlocks: 19
; NumSGPRsForWavesPerEU: 22
; NumVGPRsForWavesPerEU: 153
; AccumOffset: 156
; Occupancy: 3
; WaveLimiterHint : 0
; COMPUTE_PGM_RSRC2:SCRATCH_EN: 0
; COMPUTE_PGM_RSRC2:USER_SGPR: 2
; COMPUTE_PGM_RSRC2:TRAP_HANDLER: 0
; COMPUTE_PGM_RSRC2:TGID_X_EN: 1
; COMPUTE_PGM_RSRC2:TGID_Y_EN: 1
; COMPUTE_PGM_RSRC2:TGID_Z_EN: 0
; COMPUTE_PGM_RSRC2:TIDIG_COMP_CNT: 1
; COMPUTE_PGM_RSRC3_GFX90A:ACCUM_OFFSET: 38
; COMPUTE_PGM_RSRC3_GFX90A:TG_SPLIT: 0
	.section	.text._ZN9rocsolver6v33100L18getf2_small_kernelILi37EfiiPfEEvT1_T3_lS3_lPS3_llPT2_S3_S3_S5_l,"axG",@progbits,_ZN9rocsolver6v33100L18getf2_small_kernelILi37EfiiPfEEvT1_T3_lS3_lPS3_llPT2_S3_S3_S5_l,comdat
	.globl	_ZN9rocsolver6v33100L18getf2_small_kernelILi37EfiiPfEEvT1_T3_lS3_lPS3_llPT2_S3_S3_S5_l ; -- Begin function _ZN9rocsolver6v33100L18getf2_small_kernelILi37EfiiPfEEvT1_T3_lS3_lPS3_llPT2_S3_S3_S5_l
	.p2align	8
	.type	_ZN9rocsolver6v33100L18getf2_small_kernelILi37EfiiPfEEvT1_T3_lS3_lPS3_llPT2_S3_S3_S5_l,@function
_ZN9rocsolver6v33100L18getf2_small_kernelILi37EfiiPfEEvT1_T3_lS3_lPS3_llPT2_S3_S3_S5_l: ; @_ZN9rocsolver6v33100L18getf2_small_kernelILi37EfiiPfEEvT1_T3_lS3_lPS3_llPT2_S3_S3_S5_l
; %bb.0:
	s_load_dword s2, s[0:1], 0x6c
	s_load_dwordx2 s[14:15], s[0:1], 0x48
	v_bfe_u32 v21, v0, 10, 10
	s_waitcnt lgkmcnt(0)
	s_lshr_b32 s2, s2, 16
	s_mul_i32 s3, s3, s2
	v_add_u32_e32 v4, s3, v21
	v_cmp_gt_i32_e32 vcc, s14, v4
	s_and_saveexec_b64 s[2:3], vcc
	s_cbranch_execz .LBB72_626
; %bb.1:
	s_load_dwordx4 s[4:7], s[0:1], 0x50
	v_ashrrev_i32_e32 v5, 31, v4
	v_mov_b64_e32 v[22:23], 0
	s_waitcnt lgkmcnt(0)
	s_cmp_eq_u64 s[4:5], 0
	s_cselect_b64 s[16:17], -1, 0
	s_and_b64 vcc, exec, s[16:17]
	s_cbranch_vccnz .LBB72_3
; %bb.2:
	v_mul_lo_u32 v1, s7, v4
	v_mul_lo_u32 v6, s6, v5
	v_mad_u64_u32 v[2:3], s[2:3], s6, v4, 0
	v_add3_u32 v3, v3, v6, v1
	v_lshl_add_u64 v[22:23], v[2:3], 2, s[4:5]
.LBB72_3:
	s_load_dwordx4 s[20:23], s[0:1], 0x8
	s_load_dwordx8 s[4:11], s[0:1], 0x20
	s_load_dword s12, s[0:1], 0x18
	v_and_b32_e32 v48, 0x3ff, v0
	v_lshlrev_b32_e32 v44, 2, v48
	s_waitcnt lgkmcnt(0)
	v_mov_b32_e32 v2, s20
	v_mul_lo_u32 v1, s5, v4
	v_mul_lo_u32 v8, s4, v5
	v_mad_u64_u32 v[6:7], s[2:3], s4, v4, 0
	v_mov_b32_e32 v3, s21
	v_add3_u32 v7, v7, v8, v1
	s_add_i32 s14, s12, s12
	v_lshl_add_u64 v[2:3], v[6:7], 2, v[2:3]
	v_add_u32_e32 v0, s14, v48
	v_lshl_add_u64 v[2:3], s[22:23], 2, v[2:3]
	v_ashrrev_i32_e32 v1, 31, v0
	v_lshl_add_u64 v[16:17], v[0:1], 2, v[2:3]
	v_add_u32_e32 v0, s12, v0
	v_ashrrev_i32_e32 v1, 31, v0
	v_lshl_add_u64 v[18:19], v[0:1], 2, v[2:3]
	v_add_u32_e32 v0, s12, v0
	;; [unrolled: 3-line block ×4, first 2 shown]
	v_mov_b32_e32 v45, 0
	v_add_u32_e32 v30, s12, v0
	v_lshl_add_u64 v[8:9], v[2:3], 0, v[44:45]
	s_ashr_i32 s13, s12, 31
	v_ashrrev_i32_e32 v1, 31, v0
	v_ashrrev_i32_e32 v31, 31, v30
	v_lshl_add_u64 v[12:13], s[12:13], 2, v[8:9]
	v_lshl_add_u64 v[28:29], v[0:1], 2, v[2:3]
	;; [unrolled: 1-line block ×3, first 2 shown]
	global_load_dword v20, v[8:9], off
	global_load_dword v14, v[12:13], off
	global_load_dword v15, v[16:17], off
	global_load_dword v10, v[18:19], off
	global_load_dword v11, v[24:25], off
	global_load_dword v6, v[26:27], off
	global_load_dword v7, v[28:29], off
	global_load_dword v0, v[32:33], off
	v_add_u32_e32 v8, s12, v30
	v_ashrrev_i32_e32 v9, 31, v8
	v_lshl_add_u64 v[16:17], v[8:9], 2, v[2:3]
	v_add_u32_e32 v8, s12, v8
	v_ashrrev_i32_e32 v9, 31, v8
	v_lshl_add_u64 v[24:25], v[8:9], 2, v[2:3]
	v_add_u32_e32 v8, s12, v8
	v_ashrrev_i32_e32 v9, 31, v8
	v_lshl_add_u64 v[26:27], v[8:9], 2, v[2:3]
	v_add_u32_e32 v8, s12, v8
	v_ashrrev_i32_e32 v9, 31, v8
	v_lshl_add_u64 v[30:31], v[8:9], 2, v[2:3]
	v_add_u32_e32 v8, s12, v8
	v_ashrrev_i32_e32 v9, 31, v8
	v_lshl_add_u64 v[32:33], v[8:9], 2, v[2:3]
	v_add_u32_e32 v8, s12, v8
	v_ashrrev_i32_e32 v9, 31, v8
	v_lshl_add_u64 v[34:35], v[8:9], 2, v[2:3]
	v_add_u32_e32 v8, s12, v8
	v_add_u32_e32 v38, s12, v8
	v_ashrrev_i32_e32 v9, 31, v8
	v_ashrrev_i32_e32 v39, 31, v38
	v_lshl_add_u64 v[36:37], v[8:9], 2, v[2:3]
	v_lshl_add_u64 v[40:41], v[38:39], 2, v[2:3]
	global_load_dword v1, v[16:17], off
	global_load_dword v28, v[24:25], off
	global_load_dword v29, v[26:27], off
	global_load_dword v18, v[30:31], off
	global_load_dword v19, v[32:33], off
	global_load_dword v12, v[34:35], off
	global_load_dword v13, v[36:37], off
	global_load_dword v8, v[40:41], off
	v_add_u32_e32 v16, s12, v38
	v_ashrrev_i32_e32 v17, 31, v16
	v_lshl_add_u64 v[26:27], v[16:17], 2, v[2:3]
	v_add_u32_e32 v16, s12, v16
	v_ashrrev_i32_e32 v17, 31, v16
	v_lshl_add_u64 v[32:33], v[16:17], 2, v[2:3]
	v_add_u32_e32 v16, s12, v16
	v_ashrrev_i32_e32 v17, 31, v16
	v_lshl_add_u64 v[36:37], v[16:17], 2, v[2:3]
	v_add_u32_e32 v16, s12, v16
	v_ashrrev_i32_e32 v17, 31, v16
	v_lshl_add_u64 v[38:39], v[16:17], 2, v[2:3]
	v_add_u32_e32 v16, s12, v16
	v_ashrrev_i32_e32 v17, 31, v16
	v_lshl_add_u64 v[40:41], v[16:17], 2, v[2:3]
	v_add_u32_e32 v16, s12, v16
	v_ashrrev_i32_e32 v17, 31, v16
	v_lshl_add_u64 v[42:43], v[16:17], 2, v[2:3]
	v_add_u32_e32 v16, s12, v16
	v_add_u32_e32 v50, s12, v16
	v_ashrrev_i32_e32 v17, 31, v16
	v_ashrrev_i32_e32 v51, 31, v50
	v_lshl_add_u64 v[46:47], v[16:17], 2, v[2:3]
	v_lshl_add_u64 v[52:53], v[50:51], 2, v[2:3]
	;; [unrolled: 32-line block ×3, first 2 shown]
	global_load_dword v17, v[38:39], off
	global_load_dword v42, v[40:41], off
	;; [unrolled: 1-line block ×8, first 2 shown]
	v_add_u32_e32 v38, s12, v58
	v_ashrrev_i32_e32 v39, 31, v38
	v_lshl_add_u64 v[46:47], v[38:39], 2, v[2:3]
	v_add_u32_e32 v38, s12, v38
	v_ashrrev_i32_e32 v39, 31, v38
	v_lshl_add_u64 v[50:51], v[38:39], 2, v[2:3]
	;; [unrolled: 3-line block ×5, first 2 shown]
	global_load_dword v27, v[46:47], off
	global_load_dword v40, v[50:51], off
	;; [unrolled: 1-line block ×5, first 2 shown]
	s_load_dword s22, s[0:1], 0x0
	s_load_dwordx2 s[4:5], s[0:1], 0x40
	s_waitcnt lgkmcnt(0)
	s_max_i32 s0, s22, 37
	v_mul_lo_u32 v46, s0, v21
	v_lshl_add_u32 v21, v46, 2, 0
	v_add_u32_e32 v44, v21, v44
	s_waitcnt vmcnt(36)
	ds_write_b32 v44, v20
	s_waitcnt lgkmcnt(0)
	s_barrier
	ds_read_b32 v44, v21
	s_cmp_lt_i32 s22, 2
	v_lshlrev_b32_e32 v46, 2, v46
	s_cbranch_scc1 .LBB72_6
; %bb.4:
	v_add3_u32 v47, v46, 0, 4
	v_mov_b32_e32 v45, 0
	s_mov_b32 s0, 1
.LBB72_5:                               ; =>This Inner Loop Header: Depth=1
	ds_read_b32 v49, v47
	v_mov_b32_e32 v50, s0
	s_add_i32 s0, s0, 1
	v_add_u32_e32 v47, 4, v47
	s_cmp_eq_u32 s22, s0
	s_waitcnt lgkmcnt(0)
	v_cmp_lt_f32_e64 vcc, |v44|, |v49|
	s_nop 1
	v_cndmask_b32_e32 v44, v44, v49, vcc
	v_cndmask_b32_e32 v45, v45, v50, vcc
	s_cbranch_scc0 .LBB72_5
.LBB72_6:
	v_cmp_ne_u32_e32 vcc, v48, v45
                                        ; implicit-def: $vgpr47
	s_and_saveexec_b64 s[0:1], vcc
	s_xor_b64 s[0:1], exec, s[0:1]
	s_cbranch_execz .LBB72_12
; %bb.7:
	v_cmp_eq_u32_e32 vcc, 0, v48
	s_and_saveexec_b64 s[2:3], vcc
	s_cbranch_execz .LBB72_11
; %bb.8:
	v_cmp_ne_u32_e32 vcc, 0, v45
	s_xor_b64 s[18:19], s[16:17], -1
	s_and_b64 s[20:21], s[18:19], vcc
	s_and_saveexec_b64 s[18:19], s[20:21]
	s_cbranch_execz .LBB72_10
; %bb.9:
	v_ashrrev_i32_e32 v49, 31, v45
	v_mov_b32_e32 v48, v45
	v_lshl_add_u64 v[48:49], v[48:49], 2, v[22:23]
	global_load_dword v47, v[48:49], off
	global_load_dword v50, v[22:23], off
	s_waitcnt vmcnt(1)
	global_store_dword v[22:23], v47, off
	s_waitcnt vmcnt(1)
	global_store_dword v[48:49], v50, off
.LBB72_10:
	s_or_b64 exec, exec, s[18:19]
	v_mov_b32_e32 v48, v45
.LBB72_11:
	s_or_b64 exec, exec, s[2:3]
	v_mov_b32_e32 v47, v48
                                        ; implicit-def: $vgpr48
.LBB72_12:
	s_or_saveexec_b64 s[0:1], s[0:1]
	v_mov_b32_e32 v45, v47
	s_xor_b64 exec, exec, s[0:1]
	s_cbranch_execz .LBB72_14
; %bb.13:
	v_mov_b32_e32 v47, 0
	v_mov_b32_e32 v45, v48
	s_waitcnt vmcnt(34)
	ds_write2_b32 v21, v14, v15 offset0:1 offset1:2
	s_waitcnt vmcnt(32)
	ds_write2_b32 v21, v10, v11 offset0:3 offset1:4
	;; [unrolled: 2-line block ×18, first 2 shown]
.LBB72_14:
	s_or_b64 exec, exec, s[0:1]
	s_waitcnt lgkmcnt(0)
	v_cmp_eq_f32_e64 s[0:1], 0, v44
	v_cmp_lt_i32_e32 vcc, 0, v47
	s_barrier
	s_and_saveexec_b64 s[2:3], vcc
	s_cbranch_execz .LBB72_16
; %bb.15:
	v_div_scale_f32 v48, s[18:19], v44, v44, 1.0
	v_rcp_f32_e32 v49, v48
	v_div_scale_f32 v50, vcc, 1.0, v44, 1.0
	v_fma_f32 v51, -v48, v49, 1.0
	v_fmac_f32_e32 v49, v51, v49
	v_mul_f32_e32 v51, v50, v49
	v_fma_f32 v52, -v48, v51, v50
	v_fmac_f32_e32 v51, v52, v49
	v_fma_f32 v48, -v48, v51, v50
	v_div_fmas_f32 v48, v48, v49, v51
	v_div_fixup_f32 v48, v48, v44, 1.0
	v_cndmask_b32_e64 v44, v48, v44, s[0:1]
	ds_read2_b32 v[48:49], v21 offset0:1 offset1:2
	ds_read2_b32 v[50:51], v21 offset0:3 offset1:4
	;; [unrolled: 1-line block ×4, first 2 shown]
	v_mul_f32_e32 v20, v44, v20
	s_waitcnt vmcnt(34) lgkmcnt(3)
	v_pk_fma_f32 v[14:15], v[20:21], v[48:49], v[14:15] op_sel_hi:[0,1,1] neg_lo:[1,0,0] neg_hi:[1,0,0]
	s_waitcnt vmcnt(32) lgkmcnt(2)
	v_pk_fma_f32 v[10:11], v[20:21], v[50:51], v[10:11] op_sel_hi:[0,1,1] neg_lo:[1,0,0] neg_hi:[1,0,0]
	;; [unrolled: 2-line block ×3, first 2 shown]
	ds_read2_b32 v[48:49], v21 offset0:9 offset1:10
	ds_read2_b32 v[50:51], v21 offset0:11 offset1:12
	;; [unrolled: 1-line block ×3, first 2 shown]
	s_waitcnt vmcnt(28) lgkmcnt(3)
	v_pk_fma_f32 v[0:1], v[20:21], v[54:55], v[0:1] op_sel_hi:[0,1,1] neg_lo:[1,0,0] neg_hi:[1,0,0]
	ds_read2_b32 v[54:55], v21 offset0:15 offset1:16
	s_waitcnt vmcnt(26) lgkmcnt(3)
	v_pk_fma_f32 v[28:29], v[20:21], v[48:49], v[28:29] op_sel_hi:[0,1,1] neg_lo:[1,0,0] neg_hi:[1,0,0]
	s_waitcnt vmcnt(24) lgkmcnt(2)
	v_pk_fma_f32 v[18:19], v[20:21], v[50:51], v[18:19] op_sel_hi:[0,1,1] neg_lo:[1,0,0] neg_hi:[1,0,0]
	;; [unrolled: 2-line block ×3, first 2 shown]
	ds_read2_b32 v[48:49], v21 offset0:17 offset1:18
	ds_read2_b32 v[50:51], v21 offset0:19 offset1:20
	;; [unrolled: 1-line block ×3, first 2 shown]
	s_waitcnt vmcnt(20) lgkmcnt(3)
	v_pk_fma_f32 v[8:9], v[20:21], v[54:55], v[8:9] op_sel_hi:[0,1,1] neg_lo:[1,0,0] neg_hi:[1,0,0]
	ds_read2_b32 v[54:55], v21 offset0:23 offset1:24
	s_waitcnt vmcnt(18) lgkmcnt(3)
	v_pk_fma_f32 v[34:35], v[20:21], v[48:49], v[34:35] op_sel_hi:[0,1,1] neg_lo:[1,0,0] neg_hi:[1,0,0]
	ds_read2_b32 v[48:49], v21 offset0:25 offset1:26
	s_waitcnt vmcnt(16) lgkmcnt(3)
	v_pk_fma_f32 v[30:31], v[20:21], v[50:51], v[30:31] op_sel_hi:[0,1,1] neg_lo:[1,0,0] neg_hi:[1,0,0]
	s_waitcnt vmcnt(14) lgkmcnt(2)
	v_pk_fma_f32 v[24:25], v[20:21], v[52:53], v[24:25] op_sel_hi:[0,1,1] neg_lo:[1,0,0] neg_hi:[1,0,0]
	;; [unrolled: 2-line block ×3, first 2 shown]
	ds_read2_b32 v[50:51], v21 offset0:27 offset1:28
	ds_read2_b32 v[52:53], v21 offset0:29 offset1:30
	;; [unrolled: 1-line block ×3, first 2 shown]
	s_waitcnt vmcnt(10) lgkmcnt(3)
	v_pk_fma_f32 v[42:43], v[20:21], v[48:49], v[42:43] op_sel_hi:[0,1,1] neg_lo:[1,0,0] neg_hi:[1,0,0]
	ds_read2_b32 v[48:49], v21 offset0:33 offset1:34
	ds_read2_b32 v[56:57], v21 offset0:35 offset1:36
	s_waitcnt vmcnt(8) lgkmcnt(4)
	v_pk_fma_f32 v[36:37], v[20:21], v[50:51], v[36:37] op_sel_hi:[0,1,1] neg_lo:[1,0,0] neg_hi:[1,0,0]
	s_waitcnt vmcnt(6) lgkmcnt(3)
	v_pk_fma_f32 v[32:33], v[20:21], v[52:53], v[32:33] op_sel_hi:[0,1,1] neg_lo:[1,0,0] neg_hi:[1,0,0]
	;; [unrolled: 2-line block ×5, first 2 shown]
.LBB72_16:
	s_or_b64 exec, exec, s[2:3]
	v_lshl_add_u32 v44, v47, 2, v21
	s_barrier
	s_waitcnt vmcnt(35)
	ds_write_b32 v44, v14
	s_waitcnt lgkmcnt(0)
	s_barrier
	ds_read_b32 v48, v21 offset:4
	s_mov_b32 s2, 2
	s_cmp_lt_i32 s22, 3
	v_mov_b32_e32 v44, 1
	s_cbranch_scc1 .LBB72_19
; %bb.17:
	v_add3_u32 v49, v46, 0, 8
	v_mov_b32_e32 v44, 1
.LBB72_18:                              ; =>This Inner Loop Header: Depth=1
	ds_read_b32 v50, v49
	v_mov_b32_e32 v51, s2
	s_add_i32 s2, s2, 1
	v_add_u32_e32 v49, 4, v49
	s_cmp_lg_u32 s22, s2
	s_waitcnt lgkmcnt(0)
	v_cmp_lt_f32_e64 vcc, |v48|, |v50|
	s_nop 1
	v_cndmask_b32_e32 v48, v48, v50, vcc
	v_cndmask_b32_e32 v44, v44, v51, vcc
	s_cbranch_scc1 .LBB72_18
.LBB72_19:
	v_cmp_ne_u32_e32 vcc, v47, v44
	s_and_saveexec_b64 s[2:3], vcc
	s_xor_b64 s[2:3], exec, s[2:3]
	s_cbranch_execz .LBB72_25
; %bb.20:
	v_cmp_eq_u32_e32 vcc, 1, v47
	s_and_saveexec_b64 s[18:19], vcc
	s_cbranch_execz .LBB72_24
; %bb.21:
	v_cmp_ne_u32_e32 vcc, 1, v44
	s_xor_b64 s[20:21], s[16:17], -1
	s_and_b64 s[24:25], s[20:21], vcc
	s_and_saveexec_b64 s[20:21], s[24:25]
	s_cbranch_execz .LBB72_23
; %bb.22:
	v_ashrrev_i32_e32 v45, 31, v44
	v_lshl_add_u64 v[50:51], v[44:45], 2, v[22:23]
	global_load_dword v45, v[50:51], off
	global_load_dword v47, v[22:23], off offset:4
	s_waitcnt vmcnt(1)
	global_store_dword v[22:23], v45, off offset:4
	s_waitcnt vmcnt(1)
	global_store_dword v[50:51], v47, off
.LBB72_23:
	s_or_b64 exec, exec, s[20:21]
	v_mov_b32_e32 v45, v44
	v_mov_b32_e32 v47, v44
.LBB72_24:
	s_or_b64 exec, exec, s[18:19]
.LBB72_25:
	s_andn2_saveexec_b64 s[2:3], s[2:3]
	s_cbranch_execz .LBB72_27
; %bb.26:
	s_waitcnt vmcnt(32)
	v_pk_mov_b32 v[50:51], v[14:15], v[10:11] op_sel:[1,0]
	ds_write2_b32 v21, v50, v51 offset0:2 offset1:3
	s_waitcnt vmcnt(30)
	v_pk_mov_b32 v[50:51], v[10:11], v[6:7] op_sel:[1,0]
	ds_write2_b32 v21, v50, v51 offset0:4 offset1:5
	;; [unrolled: 3-line block ×16, first 2 shown]
	s_waitcnt vmcnt(0)
	v_pk_mov_b32 v[50:51], v[40:41], v[38:39] op_sel:[1,0]
	v_mov_b32_e32 v47, 1
	ds_write2_b32 v21, v50, v51 offset0:34 offset1:35
	ds_write_b32 v21, v39 offset:144
.LBB72_27:
	s_or_b64 exec, exec, s[2:3]
	s_waitcnt lgkmcnt(0)
	v_cmp_neq_f32_e64 s[2:3], 0, v48
	v_cmp_lt_i32_e32 vcc, 1, v47
	s_barrier
	s_and_saveexec_b64 s[18:19], vcc
	s_cbranch_execz .LBB72_29
; %bb.28:
	v_div_scale_f32 v44, s[20:21], v48, v48, 1.0
	v_rcp_f32_e32 v49, v44
	v_div_scale_f32 v50, vcc, 1.0, v48, 1.0
	v_fma_f32 v51, -v44, v49, 1.0
	v_fmac_f32_e32 v49, v51, v49
	v_mul_f32_e32 v51, v50, v49
	v_fma_f32 v52, -v44, v51, v50
	v_fmac_f32_e32 v51, v52, v49
	v_fma_f32 v44, -v44, v51, v50
	v_div_fmas_f32 v44, v44, v49, v51
	v_div_fixup_f32 v44, v44, v48, 1.0
	v_cndmask_b32_e64 v44, v48, v44, s[2:3]
	ds_read_b32 v54, v21 offset:8
	ds_read2_b32 v[48:49], v21 offset0:3 offset1:4
	ds_read2_b32 v[50:51], v21 offset0:5 offset1:6
	v_mul_f32_e32 v14, v44, v14
	ds_read2_b32 v[52:53], v21 offset0:7 offset1:8
	s_waitcnt vmcnt(34) lgkmcnt(3)
	v_fma_f32 v15, -v14, v54, v15
	s_waitcnt vmcnt(32) lgkmcnt(2)
	v_pk_fma_f32 v[10:11], v[14:15], v[48:49], v[10:11] op_sel_hi:[0,1,1] neg_lo:[1,0,0] neg_hi:[1,0,0]
	s_waitcnt vmcnt(30) lgkmcnt(1)
	v_pk_fma_f32 v[6:7], v[14:15], v[50:51], v[6:7] op_sel_hi:[0,1,1] neg_lo:[1,0,0] neg_hi:[1,0,0]
	ds_read2_b32 v[48:49], v21 offset0:9 offset1:10
	ds_read2_b32 v[50:51], v21 offset0:11 offset1:12
	;; [unrolled: 1-line block ×3, first 2 shown]
	s_waitcnt vmcnt(28) lgkmcnt(3)
	v_pk_fma_f32 v[0:1], v[14:15], v[52:53], v[0:1] op_sel_hi:[0,1,1] neg_lo:[1,0,0] neg_hi:[1,0,0]
	ds_read2_b32 v[52:53], v21 offset0:15 offset1:16
	s_waitcnt vmcnt(26) lgkmcnt(3)
	v_pk_fma_f32 v[28:29], v[14:15], v[48:49], v[28:29] op_sel_hi:[0,1,1] neg_lo:[1,0,0] neg_hi:[1,0,0]
	s_waitcnt vmcnt(24) lgkmcnt(2)
	v_pk_fma_f32 v[18:19], v[14:15], v[50:51], v[18:19] op_sel_hi:[0,1,1] neg_lo:[1,0,0] neg_hi:[1,0,0]
	;; [unrolled: 2-line block ×3, first 2 shown]
	ds_read2_b32 v[48:49], v21 offset0:17 offset1:18
	ds_read2_b32 v[50:51], v21 offset0:19 offset1:20
	;; [unrolled: 1-line block ×3, first 2 shown]
	s_waitcnt vmcnt(20) lgkmcnt(3)
	v_pk_fma_f32 v[8:9], v[14:15], v[52:53], v[8:9] op_sel_hi:[0,1,1] neg_lo:[1,0,0] neg_hi:[1,0,0]
	ds_read2_b32 v[52:53], v21 offset0:23 offset1:24
	s_waitcnt vmcnt(18) lgkmcnt(3)
	v_pk_fma_f32 v[34:35], v[14:15], v[48:49], v[34:35] op_sel_hi:[0,1,1] neg_lo:[1,0,0] neg_hi:[1,0,0]
	ds_read2_b32 v[48:49], v21 offset0:25 offset1:26
	s_waitcnt vmcnt(16) lgkmcnt(3)
	v_pk_fma_f32 v[30:31], v[14:15], v[50:51], v[30:31] op_sel_hi:[0,1,1] neg_lo:[1,0,0] neg_hi:[1,0,0]
	s_waitcnt vmcnt(14) lgkmcnt(2)
	v_pk_fma_f32 v[24:25], v[14:15], v[54:55], v[24:25] op_sel_hi:[0,1,1] neg_lo:[1,0,0] neg_hi:[1,0,0]
	;; [unrolled: 2-line block ×3, first 2 shown]
	ds_read2_b32 v[50:51], v21 offset0:27 offset1:28
	ds_read2_b32 v[52:53], v21 offset0:29 offset1:30
	;; [unrolled: 1-line block ×3, first 2 shown]
	s_waitcnt vmcnt(10) lgkmcnt(3)
	v_pk_fma_f32 v[42:43], v[14:15], v[48:49], v[42:43] op_sel_hi:[0,1,1] neg_lo:[1,0,0] neg_hi:[1,0,0]
	ds_read2_b32 v[48:49], v21 offset0:33 offset1:34
	ds_read2_b32 v[56:57], v21 offset0:35 offset1:36
	s_waitcnt vmcnt(8) lgkmcnt(4)
	v_pk_fma_f32 v[36:37], v[14:15], v[50:51], v[36:37] op_sel_hi:[0,1,1] neg_lo:[1,0,0] neg_hi:[1,0,0]
	s_waitcnt vmcnt(6) lgkmcnt(3)
	v_pk_fma_f32 v[32:33], v[14:15], v[52:53], v[32:33] op_sel_hi:[0,1,1] neg_lo:[1,0,0] neg_hi:[1,0,0]
	;; [unrolled: 2-line block ×5, first 2 shown]
.LBB72_29:
	s_or_b64 exec, exec, s[18:19]
	v_lshl_add_u32 v44, v47, 2, v21
	s_barrier
	s_waitcnt vmcnt(34)
	ds_write_b32 v44, v15
	s_waitcnt lgkmcnt(0)
	s_barrier
	ds_read_b32 v49, v21 offset:8
	s_cmp_lt_i32 s22, 4
	v_mov_b32_e32 v44, 2
	s_cbranch_scc1 .LBB72_32
; %bb.30:
	v_mov_b32_e32 v44, 2
	v_add3_u32 v48, v46, 0, 12
	s_mov_b32 s18, 3
.LBB72_31:                              ; =>This Inner Loop Header: Depth=1
	ds_read_b32 v50, v48
	v_mov_b32_e32 v51, s18
	s_add_i32 s18, s18, 1
	v_add_u32_e32 v48, 4, v48
	s_cmp_lg_u32 s22, s18
	s_waitcnt lgkmcnt(0)
	v_cmp_lt_f32_e64 vcc, |v49|, |v50|
	s_nop 1
	v_cndmask_b32_e32 v49, v49, v50, vcc
	v_cndmask_b32_e32 v44, v44, v51, vcc
	s_cbranch_scc1 .LBB72_31
.LBB72_32:
	v_cndmask_b32_e64 v48, 2, 1, s[0:1]
	v_cndmask_b32_e64 v50, 0, 1, s[0:1]
	;; [unrolled: 1-line block ×3, first 2 shown]
	s_waitcnt lgkmcnt(0)
	v_cmp_eq_f32_e32 vcc, 0, v49
	s_and_saveexec_b64 s[0:1], vcc
	s_xor_b64 s[0:1], exec, s[0:1]
; %bb.33:
	v_cmp_ne_u32_e32 vcc, 0, v48
	s_nop 1
	v_cndmask_b32_e32 v48, 3, v48, vcc
; %bb.34:
	s_andn2_saveexec_b64 s[0:1], s[0:1]
	s_cbranch_execz .LBB72_36
; %bb.35:
	v_div_scale_f32 v50, s[2:3], v49, v49, 1.0
	v_rcp_f32_e32 v51, v50
	v_div_scale_f32 v52, vcc, 1.0, v49, 1.0
	v_fma_f32 v53, -v50, v51, 1.0
	v_fmac_f32_e32 v51, v53, v51
	v_mul_f32_e32 v53, v52, v51
	v_fma_f32 v54, -v50, v53, v52
	v_fmac_f32_e32 v53, v54, v51
	v_fma_f32 v50, -v50, v53, v52
	v_div_fmas_f32 v50, v50, v51, v53
	v_div_fixup_f32 v49, v50, v49, 1.0
.LBB72_36:
	s_or_b64 exec, exec, s[0:1]
	v_cmp_ne_u32_e32 vcc, v47, v44
	s_and_saveexec_b64 s[0:1], vcc
	s_xor_b64 s[0:1], exec, s[0:1]
	s_cbranch_execz .LBB72_42
; %bb.37:
	v_cmp_eq_u32_e32 vcc, 2, v47
	s_and_saveexec_b64 s[2:3], vcc
	s_cbranch_execz .LBB72_41
; %bb.38:
	v_cmp_ne_u32_e32 vcc, 2, v44
	s_xor_b64 s[18:19], s[16:17], -1
	s_and_b64 s[20:21], s[18:19], vcc
	s_and_saveexec_b64 s[18:19], s[20:21]
	s_cbranch_execz .LBB72_40
; %bb.39:
	v_ashrrev_i32_e32 v45, 31, v44
	v_lshl_add_u64 v[50:51], v[44:45], 2, v[22:23]
	global_load_dword v45, v[50:51], off
	global_load_dword v47, v[22:23], off offset:8
	s_waitcnt vmcnt(1)
	global_store_dword v[22:23], v45, off offset:8
	s_waitcnt vmcnt(1)
	global_store_dword v[50:51], v47, off
.LBB72_40:
	s_or_b64 exec, exec, s[18:19]
	v_mov_b32_e32 v45, v44
	v_mov_b32_e32 v47, v44
.LBB72_41:
	s_or_b64 exec, exec, s[2:3]
.LBB72_42:
	s_andn2_saveexec_b64 s[0:1], s[0:1]
	s_cbranch_execz .LBB72_44
; %bb.43:
	v_mov_b32_e32 v47, 2
	s_waitcnt vmcnt(32)
	ds_write2_b32 v21, v10, v11 offset0:3 offset1:4
	s_waitcnt vmcnt(30)
	ds_write2_b32 v21, v6, v7 offset0:5 offset1:6
	;; [unrolled: 2-line block ×17, first 2 shown]
.LBB72_44:
	s_or_b64 exec, exec, s[0:1]
	v_cmp_lt_i32_e32 vcc, 2, v47
	s_waitcnt lgkmcnt(0)
	s_barrier
	s_and_saveexec_b64 s[0:1], vcc
	s_cbranch_execz .LBB72_46
; %bb.45:
	ds_read2_b32 v[50:51], v21 offset0:3 offset1:4
	ds_read2_b32 v[52:53], v21 offset0:5 offset1:6
	;; [unrolled: 1-line block ×3, first 2 shown]
	v_mul_f32_e32 v44, v49, v15
	ds_read2_b32 v[56:57], v21 offset0:9 offset1:10
	s_waitcnt vmcnt(32) lgkmcnt(3)
	v_pk_fma_f32 v[10:11], v[44:45], v[50:51], v[10:11] op_sel_hi:[0,1,1] neg_lo:[1,0,0] neg_hi:[1,0,0]
	s_waitcnt vmcnt(30) lgkmcnt(2)
	v_pk_fma_f32 v[6:7], v[44:45], v[52:53], v[6:7] op_sel_hi:[0,1,1] neg_lo:[1,0,0] neg_hi:[1,0,0]
	;; [unrolled: 2-line block ×3, first 2 shown]
	ds_read2_b32 v[50:51], v21 offset0:11 offset1:12
	ds_read2_b32 v[52:53], v21 offset0:13 offset1:14
	;; [unrolled: 1-line block ×3, first 2 shown]
	s_waitcnt vmcnt(26) lgkmcnt(3)
	v_pk_fma_f32 v[28:29], v[44:45], v[56:57], v[28:29] op_sel_hi:[0,1,1] neg_lo:[1,0,0] neg_hi:[1,0,0]
	ds_read2_b32 v[56:57], v21 offset0:17 offset1:18
	s_waitcnt vmcnt(24) lgkmcnt(3)
	v_pk_fma_f32 v[18:19], v[44:45], v[50:51], v[18:19] op_sel_hi:[0,1,1] neg_lo:[1,0,0] neg_hi:[1,0,0]
	s_waitcnt vmcnt(22) lgkmcnt(2)
	v_pk_fma_f32 v[12:13], v[44:45], v[52:53], v[12:13] op_sel_hi:[0,1,1] neg_lo:[1,0,0] neg_hi:[1,0,0]
	s_waitcnt vmcnt(20) lgkmcnt(1)
	v_pk_fma_f32 v[8:9], v[44:45], v[54:55], v[8:9] op_sel_hi:[0,1,1] neg_lo:[1,0,0] neg_hi:[1,0,0]
	ds_read2_b32 v[50:51], v21 offset0:19 offset1:20
	ds_read2_b32 v[52:53], v21 offset0:21 offset1:22
	;; [unrolled: 1-line block ×4, first 2 shown]
	s_waitcnt vmcnt(18) lgkmcnt(4)
	v_pk_fma_f32 v[34:35], v[44:45], v[56:57], v[34:35] op_sel_hi:[0,1,1] neg_lo:[1,0,0] neg_hi:[1,0,0]
	s_waitcnt vmcnt(16) lgkmcnt(3)
	v_pk_fma_f32 v[30:31], v[44:45], v[50:51], v[30:31] op_sel_hi:[0,1,1] neg_lo:[1,0,0] neg_hi:[1,0,0]
	;; [unrolled: 2-line block ×5, first 2 shown]
	ds_read2_b32 v[50:51], v21 offset0:27 offset1:28
	ds_read2_b32 v[52:53], v21 offset0:29 offset1:30
	;; [unrolled: 1-line block ×5, first 2 shown]
	s_waitcnt vmcnt(8) lgkmcnt(4)
	v_pk_fma_f32 v[36:37], v[44:45], v[50:51], v[36:37] op_sel_hi:[0,1,1] neg_lo:[1,0,0] neg_hi:[1,0,0]
	s_waitcnt vmcnt(6) lgkmcnt(3)
	v_pk_fma_f32 v[32:33], v[44:45], v[52:53], v[32:33] op_sel_hi:[0,1,1] neg_lo:[1,0,0] neg_hi:[1,0,0]
	;; [unrolled: 2-line block ×5, first 2 shown]
	v_mov_b32_e32 v15, v44
.LBB72_46:
	s_or_b64 exec, exec, s[0:1]
	v_lshl_add_u32 v44, v47, 2, v21
	s_barrier
	s_waitcnt vmcnt(33)
	ds_write_b32 v44, v10
	s_waitcnt lgkmcnt(0)
	s_barrier
	ds_read_b32 v49, v21 offset:12
	s_cmp_lt_i32 s22, 5
	v_mov_b32_e32 v44, 3
	s_cbranch_scc1 .LBB72_49
; %bb.47:
	v_add3_u32 v50, v46, 0, 16
	v_mov_b32_e32 v44, 3
	s_mov_b32 s0, 4
.LBB72_48:                              ; =>This Inner Loop Header: Depth=1
	ds_read_b32 v51, v50
	v_mov_b32_e32 v52, s0
	s_add_i32 s0, s0, 1
	v_add_u32_e32 v50, 4, v50
	s_cmp_lg_u32 s22, s0
	s_waitcnt lgkmcnt(0)
	v_cmp_lt_f32_e64 vcc, |v49|, |v51|
	s_nop 1
	v_cndmask_b32_e32 v49, v49, v51, vcc
	v_cndmask_b32_e32 v44, v44, v52, vcc
	s_cbranch_scc1 .LBB72_48
.LBB72_49:
	s_waitcnt lgkmcnt(0)
	v_cmp_eq_f32_e32 vcc, 0, v49
	s_and_saveexec_b64 s[0:1], vcc
	s_xor_b64 s[0:1], exec, s[0:1]
; %bb.50:
	v_cmp_ne_u32_e32 vcc, 0, v48
	s_nop 1
	v_cndmask_b32_e32 v48, 4, v48, vcc
; %bb.51:
	s_andn2_saveexec_b64 s[0:1], s[0:1]
	s_cbranch_execz .LBB72_53
; %bb.52:
	v_div_scale_f32 v50, s[2:3], v49, v49, 1.0
	v_rcp_f32_e32 v51, v50
	v_div_scale_f32 v52, vcc, 1.0, v49, 1.0
	v_fma_f32 v53, -v50, v51, 1.0
	v_fmac_f32_e32 v51, v53, v51
	v_mul_f32_e32 v53, v52, v51
	v_fma_f32 v54, -v50, v53, v52
	v_fmac_f32_e32 v53, v54, v51
	v_fma_f32 v50, -v50, v53, v52
	v_div_fmas_f32 v50, v50, v51, v53
	v_div_fixup_f32 v49, v50, v49, 1.0
.LBB72_53:
	s_or_b64 exec, exec, s[0:1]
	v_cmp_ne_u32_e32 vcc, v47, v44
	s_and_saveexec_b64 s[0:1], vcc
	s_xor_b64 s[0:1], exec, s[0:1]
	s_cbranch_execz .LBB72_59
; %bb.54:
	v_cmp_eq_u32_e32 vcc, 3, v47
	s_and_saveexec_b64 s[2:3], vcc
	s_cbranch_execz .LBB72_58
; %bb.55:
	v_cmp_ne_u32_e32 vcc, 3, v44
	s_xor_b64 s[18:19], s[16:17], -1
	s_and_b64 s[20:21], s[18:19], vcc
	s_and_saveexec_b64 s[18:19], s[20:21]
	s_cbranch_execz .LBB72_57
; %bb.56:
	v_ashrrev_i32_e32 v45, 31, v44
	v_lshl_add_u64 v[50:51], v[44:45], 2, v[22:23]
	global_load_dword v45, v[50:51], off
	global_load_dword v47, v[22:23], off offset:12
	s_waitcnt vmcnt(1)
	global_store_dword v[22:23], v45, off offset:12
	s_waitcnt vmcnt(1)
	global_store_dword v[50:51], v47, off
.LBB72_57:
	s_or_b64 exec, exec, s[18:19]
	v_mov_b32_e32 v45, v44
	v_mov_b32_e32 v47, v44
.LBB72_58:
	s_or_b64 exec, exec, s[2:3]
.LBB72_59:
	s_andn2_saveexec_b64 s[0:1], s[0:1]
	s_cbranch_execz .LBB72_61
; %bb.60:
	s_waitcnt vmcnt(30)
	v_pk_mov_b32 v[50:51], v[10:11], v[6:7] op_sel:[1,0]
	ds_write2_b32 v21, v50, v51 offset0:4 offset1:5
	s_waitcnt vmcnt(28)
	v_pk_mov_b32 v[50:51], v[6:7], v[0:1] op_sel:[1,0]
	ds_write2_b32 v21, v50, v51 offset0:6 offset1:7
	;; [unrolled: 3-line block ×15, first 2 shown]
	s_waitcnt vmcnt(0)
	v_pk_mov_b32 v[50:51], v[40:41], v[38:39] op_sel:[1,0]
	v_mov_b32_e32 v47, 3
	ds_write2_b32 v21, v50, v51 offset0:34 offset1:35
	ds_write_b32 v21, v39 offset:144
.LBB72_61:
	s_or_b64 exec, exec, s[0:1]
	v_cmp_lt_i32_e32 vcc, 3, v47
	s_waitcnt lgkmcnt(0)
	s_barrier
	s_and_saveexec_b64 s[0:1], vcc
	s_cbranch_execz .LBB72_63
; %bb.62:
	ds_read_b32 v44, v21 offset:16
	ds_read2_b32 v[50:51], v21 offset0:5 offset1:6
	ds_read2_b32 v[52:53], v21 offset0:7 offset1:8
	v_mul_f32_e32 v10, v49, v10
	ds_read2_b32 v[54:55], v21 offset0:9 offset1:10
	s_waitcnt vmcnt(32) lgkmcnt(3)
	v_fma_f32 v11, -v10, v44, v11
	s_waitcnt vmcnt(30) lgkmcnt(2)
	v_pk_fma_f32 v[6:7], v[10:11], v[50:51], v[6:7] op_sel_hi:[0,1,1] neg_lo:[1,0,0] neg_hi:[1,0,0]
	s_waitcnt vmcnt(28) lgkmcnt(1)
	v_pk_fma_f32 v[0:1], v[10:11], v[52:53], v[0:1] op_sel_hi:[0,1,1] neg_lo:[1,0,0] neg_hi:[1,0,0]
	ds_read2_b32 v[50:51], v21 offset0:11 offset1:12
	ds_read2_b32 v[52:53], v21 offset0:13 offset1:14
	;; [unrolled: 1-line block ×3, first 2 shown]
	s_waitcnt vmcnt(26) lgkmcnt(3)
	v_pk_fma_f32 v[28:29], v[10:11], v[54:55], v[28:29] op_sel_hi:[0,1,1] neg_lo:[1,0,0] neg_hi:[1,0,0]
	ds_read2_b32 v[54:55], v21 offset0:17 offset1:18
	s_waitcnt vmcnt(24) lgkmcnt(3)
	v_pk_fma_f32 v[18:19], v[10:11], v[50:51], v[18:19] op_sel_hi:[0,1,1] neg_lo:[1,0,0] neg_hi:[1,0,0]
	s_waitcnt vmcnt(22) lgkmcnt(2)
	v_pk_fma_f32 v[12:13], v[10:11], v[52:53], v[12:13] op_sel_hi:[0,1,1] neg_lo:[1,0,0] neg_hi:[1,0,0]
	;; [unrolled: 2-line block ×3, first 2 shown]
	ds_read2_b32 v[50:51], v21 offset0:19 offset1:20
	ds_read2_b32 v[52:53], v21 offset0:21 offset1:22
	;; [unrolled: 1-line block ×4, first 2 shown]
	s_waitcnt vmcnt(18) lgkmcnt(4)
	v_pk_fma_f32 v[34:35], v[10:11], v[54:55], v[34:35] op_sel_hi:[0,1,1] neg_lo:[1,0,0] neg_hi:[1,0,0]
	s_waitcnt vmcnt(16) lgkmcnt(3)
	v_pk_fma_f32 v[30:31], v[10:11], v[50:51], v[30:31] op_sel_hi:[0,1,1] neg_lo:[1,0,0] neg_hi:[1,0,0]
	;; [unrolled: 2-line block ×5, first 2 shown]
	ds_read2_b32 v[50:51], v21 offset0:27 offset1:28
	ds_read2_b32 v[52:53], v21 offset0:29 offset1:30
	;; [unrolled: 1-line block ×5, first 2 shown]
	s_waitcnt vmcnt(8) lgkmcnt(4)
	v_pk_fma_f32 v[36:37], v[10:11], v[50:51], v[36:37] op_sel_hi:[0,1,1] neg_lo:[1,0,0] neg_hi:[1,0,0]
	s_waitcnt vmcnt(6) lgkmcnt(3)
	v_pk_fma_f32 v[32:33], v[10:11], v[52:53], v[32:33] op_sel_hi:[0,1,1] neg_lo:[1,0,0] neg_hi:[1,0,0]
	;; [unrolled: 2-line block ×5, first 2 shown]
.LBB72_63:
	s_or_b64 exec, exec, s[0:1]
	v_lshl_add_u32 v44, v47, 2, v21
	s_barrier
	s_waitcnt vmcnt(32)
	ds_write_b32 v44, v11
	s_waitcnt lgkmcnt(0)
	s_barrier
	ds_read_b32 v49, v21 offset:16
	s_cmp_lt_i32 s22, 6
	v_mov_b32_e32 v44, 4
	s_cbranch_scc1 .LBB72_66
; %bb.64:
	v_add3_u32 v50, v46, 0, 20
	v_mov_b32_e32 v44, 4
	s_mov_b32 s0, 5
.LBB72_65:                              ; =>This Inner Loop Header: Depth=1
	ds_read_b32 v51, v50
	v_mov_b32_e32 v52, s0
	s_add_i32 s0, s0, 1
	v_add_u32_e32 v50, 4, v50
	s_cmp_lg_u32 s22, s0
	s_waitcnt lgkmcnt(0)
	v_cmp_lt_f32_e64 vcc, |v49|, |v51|
	s_nop 1
	v_cndmask_b32_e32 v49, v49, v51, vcc
	v_cndmask_b32_e32 v44, v44, v52, vcc
	s_cbranch_scc1 .LBB72_65
.LBB72_66:
	s_waitcnt lgkmcnt(0)
	v_cmp_eq_f32_e32 vcc, 0, v49
	s_and_saveexec_b64 s[0:1], vcc
	s_xor_b64 s[0:1], exec, s[0:1]
; %bb.67:
	v_cmp_ne_u32_e32 vcc, 0, v48
	s_nop 1
	v_cndmask_b32_e32 v48, 5, v48, vcc
; %bb.68:
	s_andn2_saveexec_b64 s[0:1], s[0:1]
	s_cbranch_execz .LBB72_70
; %bb.69:
	v_div_scale_f32 v50, s[2:3], v49, v49, 1.0
	v_rcp_f32_e32 v51, v50
	v_div_scale_f32 v52, vcc, 1.0, v49, 1.0
	v_fma_f32 v53, -v50, v51, 1.0
	v_fmac_f32_e32 v51, v53, v51
	v_mul_f32_e32 v53, v52, v51
	v_fma_f32 v54, -v50, v53, v52
	v_fmac_f32_e32 v53, v54, v51
	v_fma_f32 v50, -v50, v53, v52
	v_div_fmas_f32 v50, v50, v51, v53
	v_div_fixup_f32 v49, v50, v49, 1.0
.LBB72_70:
	s_or_b64 exec, exec, s[0:1]
	v_cmp_ne_u32_e32 vcc, v47, v44
	s_and_saveexec_b64 s[0:1], vcc
	s_xor_b64 s[0:1], exec, s[0:1]
	s_cbranch_execz .LBB72_76
; %bb.71:
	v_cmp_eq_u32_e32 vcc, 4, v47
	s_and_saveexec_b64 s[2:3], vcc
	s_cbranch_execz .LBB72_75
; %bb.72:
	v_cmp_ne_u32_e32 vcc, 4, v44
	s_xor_b64 s[18:19], s[16:17], -1
	s_and_b64 s[20:21], s[18:19], vcc
	s_and_saveexec_b64 s[18:19], s[20:21]
	s_cbranch_execz .LBB72_74
; %bb.73:
	v_ashrrev_i32_e32 v45, 31, v44
	v_lshl_add_u64 v[50:51], v[44:45], 2, v[22:23]
	global_load_dword v45, v[50:51], off
	global_load_dword v47, v[22:23], off offset:16
	s_waitcnt vmcnt(1)
	global_store_dword v[22:23], v45, off offset:16
	s_waitcnt vmcnt(1)
	global_store_dword v[50:51], v47, off
.LBB72_74:
	s_or_b64 exec, exec, s[18:19]
	v_mov_b32_e32 v45, v44
	v_mov_b32_e32 v47, v44
.LBB72_75:
	s_or_b64 exec, exec, s[2:3]
.LBB72_76:
	s_andn2_saveexec_b64 s[0:1], s[0:1]
	s_cbranch_execz .LBB72_78
; %bb.77:
	v_mov_b32_e32 v47, 4
	s_waitcnt vmcnt(30)
	ds_write2_b32 v21, v6, v7 offset0:5 offset1:6
	s_waitcnt vmcnt(28)
	ds_write2_b32 v21, v0, v1 offset0:7 offset1:8
	;; [unrolled: 2-line block ×16, first 2 shown]
.LBB72_78:
	s_or_b64 exec, exec, s[0:1]
	v_cmp_lt_i32_e32 vcc, 4, v47
	s_waitcnt lgkmcnt(0)
	s_barrier
	s_and_saveexec_b64 s[0:1], vcc
	s_cbranch_execz .LBB72_80
; %bb.79:
	ds_read2_b32 v[50:51], v21 offset0:5 offset1:6
	ds_read2_b32 v[52:53], v21 offset0:7 offset1:8
	;; [unrolled: 1-line block ×3, first 2 shown]
	v_mul_f32_e32 v44, v49, v11
	ds_read2_b32 v[56:57], v21 offset0:11 offset1:12
	s_waitcnt vmcnt(30) lgkmcnt(3)
	v_pk_fma_f32 v[6:7], v[44:45], v[50:51], v[6:7] op_sel_hi:[0,1,1] neg_lo:[1,0,0] neg_hi:[1,0,0]
	s_waitcnt vmcnt(28) lgkmcnt(2)
	v_pk_fma_f32 v[0:1], v[44:45], v[52:53], v[0:1] op_sel_hi:[0,1,1] neg_lo:[1,0,0] neg_hi:[1,0,0]
	;; [unrolled: 2-line block ×3, first 2 shown]
	ds_read2_b32 v[50:51], v21 offset0:13 offset1:14
	ds_read2_b32 v[52:53], v21 offset0:15 offset1:16
	;; [unrolled: 1-line block ×3, first 2 shown]
	s_waitcnt vmcnt(24) lgkmcnt(3)
	v_pk_fma_f32 v[18:19], v[44:45], v[56:57], v[18:19] op_sel_hi:[0,1,1] neg_lo:[1,0,0] neg_hi:[1,0,0]
	ds_read2_b32 v[56:57], v21 offset0:19 offset1:20
	s_waitcnt vmcnt(22) lgkmcnt(3)
	v_pk_fma_f32 v[12:13], v[44:45], v[50:51], v[12:13] op_sel_hi:[0,1,1] neg_lo:[1,0,0] neg_hi:[1,0,0]
	s_waitcnt vmcnt(20) lgkmcnt(2)
	v_pk_fma_f32 v[8:9], v[44:45], v[52:53], v[8:9] op_sel_hi:[0,1,1] neg_lo:[1,0,0] neg_hi:[1,0,0]
	;; [unrolled: 2-line block ×3, first 2 shown]
	ds_read2_b32 v[50:51], v21 offset0:21 offset1:22
	ds_read2_b32 v[52:53], v21 offset0:23 offset1:24
	ds_read2_b32 v[54:55], v21 offset0:25 offset1:26
	s_waitcnt vmcnt(16) lgkmcnt(3)
	v_pk_fma_f32 v[30:31], v[44:45], v[56:57], v[30:31] op_sel_hi:[0,1,1] neg_lo:[1,0,0] neg_hi:[1,0,0]
	ds_read2_b32 v[56:57], v21 offset0:27 offset1:28
	s_waitcnt vmcnt(14) lgkmcnt(3)
	v_pk_fma_f32 v[24:25], v[44:45], v[50:51], v[24:25] op_sel_hi:[0,1,1] neg_lo:[1,0,0] neg_hi:[1,0,0]
	s_waitcnt vmcnt(12) lgkmcnt(2)
	v_pk_fma_f32 v[16:17], v[44:45], v[52:53], v[16:17] op_sel_hi:[0,1,1] neg_lo:[1,0,0] neg_hi:[1,0,0]
	;; [unrolled: 2-line block ×3, first 2 shown]
	ds_read2_b32 v[50:51], v21 offset0:29 offset1:30
	ds_read2_b32 v[52:53], v21 offset0:31 offset1:32
	;; [unrolled: 1-line block ×4, first 2 shown]
	s_waitcnt vmcnt(8) lgkmcnt(4)
	v_pk_fma_f32 v[36:37], v[44:45], v[56:57], v[36:37] op_sel_hi:[0,1,1] neg_lo:[1,0,0] neg_hi:[1,0,0]
	s_waitcnt vmcnt(6) lgkmcnt(3)
	v_pk_fma_f32 v[32:33], v[44:45], v[50:51], v[32:33] op_sel_hi:[0,1,1] neg_lo:[1,0,0] neg_hi:[1,0,0]
	;; [unrolled: 2-line block ×5, first 2 shown]
	v_mov_b32_e32 v11, v44
.LBB72_80:
	s_or_b64 exec, exec, s[0:1]
	v_lshl_add_u32 v44, v47, 2, v21
	s_barrier
	s_waitcnt vmcnt(31)
	ds_write_b32 v44, v6
	s_waitcnt lgkmcnt(0)
	s_barrier
	ds_read_b32 v49, v21 offset:20
	s_cmp_lt_i32 s22, 7
	v_mov_b32_e32 v44, 5
	s_cbranch_scc1 .LBB72_83
; %bb.81:
	v_add3_u32 v50, v46, 0, 24
	v_mov_b32_e32 v44, 5
	s_mov_b32 s0, 6
.LBB72_82:                              ; =>This Inner Loop Header: Depth=1
	ds_read_b32 v51, v50
	v_mov_b32_e32 v52, s0
	s_add_i32 s0, s0, 1
	v_add_u32_e32 v50, 4, v50
	s_cmp_lg_u32 s22, s0
	s_waitcnt lgkmcnt(0)
	v_cmp_lt_f32_e64 vcc, |v49|, |v51|
	s_nop 1
	v_cndmask_b32_e32 v49, v49, v51, vcc
	v_cndmask_b32_e32 v44, v44, v52, vcc
	s_cbranch_scc1 .LBB72_82
.LBB72_83:
	s_waitcnt lgkmcnt(0)
	v_cmp_eq_f32_e32 vcc, 0, v49
	s_and_saveexec_b64 s[0:1], vcc
	s_xor_b64 s[0:1], exec, s[0:1]
; %bb.84:
	v_cmp_ne_u32_e32 vcc, 0, v48
	s_nop 1
	v_cndmask_b32_e32 v48, 6, v48, vcc
; %bb.85:
	s_andn2_saveexec_b64 s[0:1], s[0:1]
	s_cbranch_execz .LBB72_87
; %bb.86:
	v_div_scale_f32 v50, s[2:3], v49, v49, 1.0
	v_rcp_f32_e32 v51, v50
	v_div_scale_f32 v52, vcc, 1.0, v49, 1.0
	v_fma_f32 v53, -v50, v51, 1.0
	v_fmac_f32_e32 v51, v53, v51
	v_mul_f32_e32 v53, v52, v51
	v_fma_f32 v54, -v50, v53, v52
	v_fmac_f32_e32 v53, v54, v51
	v_fma_f32 v50, -v50, v53, v52
	v_div_fmas_f32 v50, v50, v51, v53
	v_div_fixup_f32 v49, v50, v49, 1.0
.LBB72_87:
	s_or_b64 exec, exec, s[0:1]
	v_cmp_ne_u32_e32 vcc, v47, v44
	s_and_saveexec_b64 s[0:1], vcc
	s_xor_b64 s[0:1], exec, s[0:1]
	s_cbranch_execz .LBB72_93
; %bb.88:
	v_cmp_eq_u32_e32 vcc, 5, v47
	s_and_saveexec_b64 s[2:3], vcc
	s_cbranch_execz .LBB72_92
; %bb.89:
	v_cmp_ne_u32_e32 vcc, 5, v44
	s_xor_b64 s[18:19], s[16:17], -1
	s_and_b64 s[20:21], s[18:19], vcc
	s_and_saveexec_b64 s[18:19], s[20:21]
	s_cbranch_execz .LBB72_91
; %bb.90:
	v_ashrrev_i32_e32 v45, 31, v44
	v_lshl_add_u64 v[50:51], v[44:45], 2, v[22:23]
	global_load_dword v45, v[50:51], off
	global_load_dword v47, v[22:23], off offset:20
	s_waitcnt vmcnt(1)
	global_store_dword v[22:23], v45, off offset:20
	s_waitcnt vmcnt(1)
	global_store_dword v[50:51], v47, off
.LBB72_91:
	s_or_b64 exec, exec, s[18:19]
	v_mov_b32_e32 v45, v44
	v_mov_b32_e32 v47, v44
.LBB72_92:
	s_or_b64 exec, exec, s[2:3]
.LBB72_93:
	s_andn2_saveexec_b64 s[0:1], s[0:1]
	s_cbranch_execz .LBB72_95
; %bb.94:
	s_waitcnt vmcnt(28)
	v_pk_mov_b32 v[50:51], v[6:7], v[0:1] op_sel:[1,0]
	ds_write2_b32 v21, v50, v51 offset0:6 offset1:7
	s_waitcnt vmcnt(26)
	v_pk_mov_b32 v[50:51], v[0:1], v[28:29] op_sel:[1,0]
	ds_write2_b32 v21, v50, v51 offset0:8 offset1:9
	;; [unrolled: 3-line block ×14, first 2 shown]
	s_waitcnt vmcnt(0)
	v_pk_mov_b32 v[50:51], v[40:41], v[38:39] op_sel:[1,0]
	v_mov_b32_e32 v47, 5
	ds_write2_b32 v21, v50, v51 offset0:34 offset1:35
	ds_write_b32 v21, v39 offset:144
.LBB72_95:
	s_or_b64 exec, exec, s[0:1]
	v_cmp_lt_i32_e32 vcc, 5, v47
	s_waitcnt lgkmcnt(0)
	s_barrier
	s_and_saveexec_b64 s[0:1], vcc
	s_cbranch_execz .LBB72_97
; %bb.96:
	ds_read_b32 v44, v21 offset:24
	ds_read2_b32 v[50:51], v21 offset0:7 offset1:8
	ds_read2_b32 v[52:53], v21 offset0:9 offset1:10
	v_mul_f32_e32 v6, v49, v6
	ds_read2_b32 v[54:55], v21 offset0:11 offset1:12
	s_waitcnt vmcnt(30) lgkmcnt(3)
	v_fma_f32 v7, -v6, v44, v7
	s_waitcnt vmcnt(28) lgkmcnt(2)
	v_pk_fma_f32 v[0:1], v[6:7], v[50:51], v[0:1] op_sel_hi:[0,1,1] neg_lo:[1,0,0] neg_hi:[1,0,0]
	s_waitcnt vmcnt(26) lgkmcnt(1)
	v_pk_fma_f32 v[28:29], v[6:7], v[52:53], v[28:29] op_sel_hi:[0,1,1] neg_lo:[1,0,0] neg_hi:[1,0,0]
	ds_read2_b32 v[50:51], v21 offset0:13 offset1:14
	ds_read2_b32 v[52:53], v21 offset0:15 offset1:16
	;; [unrolled: 1-line block ×3, first 2 shown]
	s_waitcnt vmcnt(24) lgkmcnt(3)
	v_pk_fma_f32 v[18:19], v[6:7], v[54:55], v[18:19] op_sel_hi:[0,1,1] neg_lo:[1,0,0] neg_hi:[1,0,0]
	ds_read2_b32 v[54:55], v21 offset0:19 offset1:20
	s_waitcnt vmcnt(22) lgkmcnt(3)
	v_pk_fma_f32 v[12:13], v[6:7], v[50:51], v[12:13] op_sel_hi:[0,1,1] neg_lo:[1,0,0] neg_hi:[1,0,0]
	s_waitcnt vmcnt(20) lgkmcnt(2)
	v_pk_fma_f32 v[8:9], v[6:7], v[52:53], v[8:9] op_sel_hi:[0,1,1] neg_lo:[1,0,0] neg_hi:[1,0,0]
	;; [unrolled: 2-line block ×3, first 2 shown]
	ds_read2_b32 v[50:51], v21 offset0:21 offset1:22
	ds_read2_b32 v[52:53], v21 offset0:23 offset1:24
	;; [unrolled: 1-line block ×3, first 2 shown]
	s_waitcnt vmcnt(16) lgkmcnt(3)
	v_pk_fma_f32 v[30:31], v[6:7], v[54:55], v[30:31] op_sel_hi:[0,1,1] neg_lo:[1,0,0] neg_hi:[1,0,0]
	ds_read2_b32 v[54:55], v21 offset0:27 offset1:28
	s_waitcnt vmcnt(14) lgkmcnt(3)
	v_pk_fma_f32 v[24:25], v[6:7], v[50:51], v[24:25] op_sel_hi:[0,1,1] neg_lo:[1,0,0] neg_hi:[1,0,0]
	s_waitcnt vmcnt(12) lgkmcnt(2)
	v_pk_fma_f32 v[16:17], v[6:7], v[52:53], v[16:17] op_sel_hi:[0,1,1] neg_lo:[1,0,0] neg_hi:[1,0,0]
	;; [unrolled: 2-line block ×3, first 2 shown]
	ds_read2_b32 v[50:51], v21 offset0:29 offset1:30
	ds_read2_b32 v[52:53], v21 offset0:31 offset1:32
	;; [unrolled: 1-line block ×4, first 2 shown]
	s_waitcnt vmcnt(8) lgkmcnt(4)
	v_pk_fma_f32 v[36:37], v[6:7], v[54:55], v[36:37] op_sel_hi:[0,1,1] neg_lo:[1,0,0] neg_hi:[1,0,0]
	s_waitcnt vmcnt(6) lgkmcnt(3)
	v_pk_fma_f32 v[32:33], v[6:7], v[50:51], v[32:33] op_sel_hi:[0,1,1] neg_lo:[1,0,0] neg_hi:[1,0,0]
	;; [unrolled: 2-line block ×5, first 2 shown]
.LBB72_97:
	s_or_b64 exec, exec, s[0:1]
	v_lshl_add_u32 v44, v47, 2, v21
	s_barrier
	s_waitcnt vmcnt(30)
	ds_write_b32 v44, v7
	s_waitcnt lgkmcnt(0)
	s_barrier
	ds_read_b32 v49, v21 offset:24
	s_cmp_lt_i32 s22, 8
	v_mov_b32_e32 v44, 6
	s_cbranch_scc1 .LBB72_100
; %bb.98:
	v_add3_u32 v50, v46, 0, 28
	v_mov_b32_e32 v44, 6
	s_mov_b32 s0, 7
.LBB72_99:                              ; =>This Inner Loop Header: Depth=1
	ds_read_b32 v51, v50
	v_mov_b32_e32 v52, s0
	s_add_i32 s0, s0, 1
	v_add_u32_e32 v50, 4, v50
	s_cmp_lg_u32 s22, s0
	s_waitcnt lgkmcnt(0)
	v_cmp_lt_f32_e64 vcc, |v49|, |v51|
	s_nop 1
	v_cndmask_b32_e32 v49, v49, v51, vcc
	v_cndmask_b32_e32 v44, v44, v52, vcc
	s_cbranch_scc1 .LBB72_99
.LBB72_100:
	s_waitcnt lgkmcnt(0)
	v_cmp_eq_f32_e32 vcc, 0, v49
	s_and_saveexec_b64 s[0:1], vcc
	s_xor_b64 s[0:1], exec, s[0:1]
; %bb.101:
	v_cmp_ne_u32_e32 vcc, 0, v48
	s_nop 1
	v_cndmask_b32_e32 v48, 7, v48, vcc
; %bb.102:
	s_andn2_saveexec_b64 s[0:1], s[0:1]
	s_cbranch_execz .LBB72_104
; %bb.103:
	v_div_scale_f32 v50, s[2:3], v49, v49, 1.0
	v_rcp_f32_e32 v51, v50
	v_div_scale_f32 v52, vcc, 1.0, v49, 1.0
	v_fma_f32 v53, -v50, v51, 1.0
	v_fmac_f32_e32 v51, v53, v51
	v_mul_f32_e32 v53, v52, v51
	v_fma_f32 v54, -v50, v53, v52
	v_fmac_f32_e32 v53, v54, v51
	v_fma_f32 v50, -v50, v53, v52
	v_div_fmas_f32 v50, v50, v51, v53
	v_div_fixup_f32 v49, v50, v49, 1.0
.LBB72_104:
	s_or_b64 exec, exec, s[0:1]
	v_cmp_ne_u32_e32 vcc, v47, v44
	s_and_saveexec_b64 s[0:1], vcc
	s_xor_b64 s[0:1], exec, s[0:1]
	s_cbranch_execz .LBB72_110
; %bb.105:
	v_cmp_eq_u32_e32 vcc, 6, v47
	s_and_saveexec_b64 s[2:3], vcc
	s_cbranch_execz .LBB72_109
; %bb.106:
	v_cmp_ne_u32_e32 vcc, 6, v44
	s_xor_b64 s[18:19], s[16:17], -1
	s_and_b64 s[20:21], s[18:19], vcc
	s_and_saveexec_b64 s[18:19], s[20:21]
	s_cbranch_execz .LBB72_108
; %bb.107:
	v_ashrrev_i32_e32 v45, 31, v44
	v_lshl_add_u64 v[50:51], v[44:45], 2, v[22:23]
	global_load_dword v45, v[50:51], off
	global_load_dword v47, v[22:23], off offset:24
	s_waitcnt vmcnt(1)
	global_store_dword v[22:23], v45, off offset:24
	s_waitcnt vmcnt(1)
	global_store_dword v[50:51], v47, off
.LBB72_108:
	s_or_b64 exec, exec, s[18:19]
	v_mov_b32_e32 v45, v44
	v_mov_b32_e32 v47, v44
.LBB72_109:
	s_or_b64 exec, exec, s[2:3]
.LBB72_110:
	s_andn2_saveexec_b64 s[0:1], s[0:1]
	s_cbranch_execz .LBB72_112
; %bb.111:
	v_mov_b32_e32 v47, 6
	s_waitcnt vmcnt(28)
	ds_write2_b32 v21, v0, v1 offset0:7 offset1:8
	s_waitcnt vmcnt(26)
	ds_write2_b32 v21, v28, v29 offset0:9 offset1:10
	s_waitcnt vmcnt(24)
	ds_write2_b32 v21, v18, v19 offset0:11 offset1:12
	s_waitcnt vmcnt(22)
	ds_write2_b32 v21, v12, v13 offset0:13 offset1:14
	s_waitcnt vmcnt(20)
	ds_write2_b32 v21, v8, v9 offset0:15 offset1:16
	s_waitcnt vmcnt(18)
	ds_write2_b32 v21, v34, v35 offset0:17 offset1:18
	s_waitcnt vmcnt(16)
	ds_write2_b32 v21, v30, v31 offset0:19 offset1:20
	s_waitcnt vmcnt(14)
	ds_write2_b32 v21, v24, v25 offset0:21 offset1:22
	s_waitcnt vmcnt(12)
	ds_write2_b32 v21, v16, v17 offset0:23 offset1:24
	s_waitcnt vmcnt(10)
	ds_write2_b32 v21, v42, v43 offset0:25 offset1:26
	s_waitcnt vmcnt(8)
	ds_write2_b32 v21, v36, v37 offset0:27 offset1:28
	s_waitcnt vmcnt(6)
	ds_write2_b32 v21, v32, v33 offset0:29 offset1:30
	s_waitcnt vmcnt(4)
	ds_write2_b32 v21, v26, v27 offset0:31 offset1:32
	s_waitcnt vmcnt(2)
	ds_write2_b32 v21, v40, v41 offset0:33 offset1:34
	s_waitcnt vmcnt(0)
	ds_write2_b32 v21, v38, v39 offset0:35 offset1:36
.LBB72_112:
	s_or_b64 exec, exec, s[0:1]
	v_cmp_lt_i32_e32 vcc, 6, v47
	s_waitcnt lgkmcnt(0)
	s_barrier
	s_and_saveexec_b64 s[0:1], vcc
	s_cbranch_execz .LBB72_114
; %bb.113:
	ds_read2_b32 v[50:51], v21 offset0:7 offset1:8
	ds_read2_b32 v[52:53], v21 offset0:9 offset1:10
	;; [unrolled: 1-line block ×3, first 2 shown]
	v_mul_f32_e32 v44, v49, v7
	ds_read2_b32 v[56:57], v21 offset0:13 offset1:14
	s_waitcnt vmcnt(28) lgkmcnt(3)
	v_pk_fma_f32 v[0:1], v[44:45], v[50:51], v[0:1] op_sel_hi:[0,1,1] neg_lo:[1,0,0] neg_hi:[1,0,0]
	s_waitcnt vmcnt(26) lgkmcnt(2)
	v_pk_fma_f32 v[28:29], v[44:45], v[52:53], v[28:29] op_sel_hi:[0,1,1] neg_lo:[1,0,0] neg_hi:[1,0,0]
	;; [unrolled: 2-line block ×3, first 2 shown]
	ds_read2_b32 v[50:51], v21 offset0:15 offset1:16
	ds_read2_b32 v[52:53], v21 offset0:17 offset1:18
	;; [unrolled: 1-line block ×3, first 2 shown]
	s_waitcnt vmcnt(22) lgkmcnt(3)
	v_pk_fma_f32 v[12:13], v[44:45], v[56:57], v[12:13] op_sel_hi:[0,1,1] neg_lo:[1,0,0] neg_hi:[1,0,0]
	ds_read2_b32 v[56:57], v21 offset0:21 offset1:22
	s_waitcnt vmcnt(20) lgkmcnt(3)
	v_pk_fma_f32 v[8:9], v[44:45], v[50:51], v[8:9] op_sel_hi:[0,1,1] neg_lo:[1,0,0] neg_hi:[1,0,0]
	s_waitcnt vmcnt(18) lgkmcnt(2)
	v_pk_fma_f32 v[34:35], v[44:45], v[52:53], v[34:35] op_sel_hi:[0,1,1] neg_lo:[1,0,0] neg_hi:[1,0,0]
	ds_read2_b32 v[50:51], v21 offset0:23 offset1:24
	ds_read2_b32 v[52:53], v21 offset0:25 offset1:26
	s_waitcnt vmcnt(16) lgkmcnt(3)
	v_pk_fma_f32 v[30:31], v[44:45], v[54:55], v[30:31] op_sel_hi:[0,1,1] neg_lo:[1,0,0] neg_hi:[1,0,0]
	s_waitcnt vmcnt(14) lgkmcnt(2)
	v_pk_fma_f32 v[24:25], v[44:45], v[56:57], v[24:25] op_sel_hi:[0,1,1] neg_lo:[1,0,0] neg_hi:[1,0,0]
	ds_read2_b32 v[54:55], v21 offset0:27 offset1:28
	ds_read2_b32 v[56:57], v21 offset0:29 offset1:30
	s_waitcnt vmcnt(12) lgkmcnt(3)
	v_pk_fma_f32 v[16:17], v[44:45], v[50:51], v[16:17] op_sel_hi:[0,1,1] neg_lo:[1,0,0] neg_hi:[1,0,0]
	s_waitcnt vmcnt(10) lgkmcnt(2)
	v_pk_fma_f32 v[42:43], v[44:45], v[52:53], v[42:43] op_sel_hi:[0,1,1] neg_lo:[1,0,0] neg_hi:[1,0,0]
	ds_read2_b32 v[50:51], v21 offset0:31 offset1:32
	ds_read2_b32 v[52:53], v21 offset0:33 offset1:34
	ds_read2_b32 v[58:59], v21 offset0:35 offset1:36
	s_waitcnt vmcnt(8) lgkmcnt(4)
	v_pk_fma_f32 v[36:37], v[44:45], v[54:55], v[36:37] op_sel_hi:[0,1,1] neg_lo:[1,0,0] neg_hi:[1,0,0]
	s_waitcnt vmcnt(6) lgkmcnt(3)
	v_pk_fma_f32 v[32:33], v[44:45], v[56:57], v[32:33] op_sel_hi:[0,1,1] neg_lo:[1,0,0] neg_hi:[1,0,0]
	;; [unrolled: 2-line block ×5, first 2 shown]
	v_mov_b32_e32 v7, v44
.LBB72_114:
	s_or_b64 exec, exec, s[0:1]
	v_lshl_add_u32 v44, v47, 2, v21
	s_barrier
	s_waitcnt vmcnt(29)
	ds_write_b32 v44, v0
	s_waitcnt lgkmcnt(0)
	s_barrier
	ds_read_b32 v49, v21 offset:28
	s_cmp_lt_i32 s22, 9
	v_mov_b32_e32 v44, 7
	s_cbranch_scc1 .LBB72_117
; %bb.115:
	v_add3_u32 v50, v46, 0, 32
	v_mov_b32_e32 v44, 7
	s_mov_b32 s0, 8
.LBB72_116:                             ; =>This Inner Loop Header: Depth=1
	ds_read_b32 v51, v50
	v_mov_b32_e32 v52, s0
	s_add_i32 s0, s0, 1
	v_add_u32_e32 v50, 4, v50
	s_cmp_lg_u32 s22, s0
	s_waitcnt lgkmcnt(0)
	v_cmp_lt_f32_e64 vcc, |v49|, |v51|
	s_nop 1
	v_cndmask_b32_e32 v49, v49, v51, vcc
	v_cndmask_b32_e32 v44, v44, v52, vcc
	s_cbranch_scc1 .LBB72_116
.LBB72_117:
	s_waitcnt lgkmcnt(0)
	v_cmp_eq_f32_e32 vcc, 0, v49
	s_and_saveexec_b64 s[0:1], vcc
	s_xor_b64 s[0:1], exec, s[0:1]
; %bb.118:
	v_cmp_ne_u32_e32 vcc, 0, v48
	s_nop 1
	v_cndmask_b32_e32 v48, 8, v48, vcc
; %bb.119:
	s_andn2_saveexec_b64 s[0:1], s[0:1]
	s_cbranch_execz .LBB72_121
; %bb.120:
	v_div_scale_f32 v50, s[2:3], v49, v49, 1.0
	v_rcp_f32_e32 v51, v50
	v_div_scale_f32 v52, vcc, 1.0, v49, 1.0
	v_fma_f32 v53, -v50, v51, 1.0
	v_fmac_f32_e32 v51, v53, v51
	v_mul_f32_e32 v53, v52, v51
	v_fma_f32 v54, -v50, v53, v52
	v_fmac_f32_e32 v53, v54, v51
	v_fma_f32 v50, -v50, v53, v52
	v_div_fmas_f32 v50, v50, v51, v53
	v_div_fixup_f32 v49, v50, v49, 1.0
.LBB72_121:
	s_or_b64 exec, exec, s[0:1]
	v_cmp_ne_u32_e32 vcc, v47, v44
	s_and_saveexec_b64 s[0:1], vcc
	s_xor_b64 s[0:1], exec, s[0:1]
	s_cbranch_execz .LBB72_127
; %bb.122:
	v_cmp_eq_u32_e32 vcc, 7, v47
	s_and_saveexec_b64 s[2:3], vcc
	s_cbranch_execz .LBB72_126
; %bb.123:
	v_cmp_ne_u32_e32 vcc, 7, v44
	s_xor_b64 s[18:19], s[16:17], -1
	s_and_b64 s[20:21], s[18:19], vcc
	s_and_saveexec_b64 s[18:19], s[20:21]
	s_cbranch_execz .LBB72_125
; %bb.124:
	v_ashrrev_i32_e32 v45, 31, v44
	v_lshl_add_u64 v[50:51], v[44:45], 2, v[22:23]
	global_load_dword v45, v[50:51], off
	global_load_dword v47, v[22:23], off offset:28
	s_waitcnt vmcnt(1)
	global_store_dword v[22:23], v45, off offset:28
	s_waitcnt vmcnt(1)
	global_store_dword v[50:51], v47, off
.LBB72_125:
	s_or_b64 exec, exec, s[18:19]
	v_mov_b32_e32 v45, v44
	v_mov_b32_e32 v47, v44
.LBB72_126:
	s_or_b64 exec, exec, s[2:3]
.LBB72_127:
	s_andn2_saveexec_b64 s[0:1], s[0:1]
	s_cbranch_execz .LBB72_129
; %bb.128:
	s_waitcnt vmcnt(26)
	v_pk_mov_b32 v[50:51], v[0:1], v[28:29] op_sel:[1,0]
	ds_write2_b32 v21, v50, v51 offset0:8 offset1:9
	s_waitcnt vmcnt(24)
	v_pk_mov_b32 v[50:51], v[28:29], v[18:19] op_sel:[1,0]
	ds_write2_b32 v21, v50, v51 offset0:10 offset1:11
	;; [unrolled: 3-line block ×13, first 2 shown]
	s_waitcnt vmcnt(0)
	v_pk_mov_b32 v[50:51], v[40:41], v[38:39] op_sel:[1,0]
	v_mov_b32_e32 v47, 7
	ds_write2_b32 v21, v50, v51 offset0:34 offset1:35
	ds_write_b32 v21, v39 offset:144
.LBB72_129:
	s_or_b64 exec, exec, s[0:1]
	v_cmp_lt_i32_e32 vcc, 7, v47
	s_waitcnt lgkmcnt(0)
	s_barrier
	s_and_saveexec_b64 s[0:1], vcc
	s_cbranch_execz .LBB72_131
; %bb.130:
	ds_read_b32 v44, v21 offset:32
	ds_read2_b32 v[50:51], v21 offset0:9 offset1:10
	ds_read2_b32 v[52:53], v21 offset0:11 offset1:12
	v_mul_f32_e32 v0, v49, v0
	ds_read2_b32 v[54:55], v21 offset0:13 offset1:14
	s_waitcnt vmcnt(28) lgkmcnt(3)
	v_fma_f32 v1, -v0, v44, v1
	s_waitcnt vmcnt(26) lgkmcnt(2)
	v_pk_fma_f32 v[28:29], v[0:1], v[50:51], v[28:29] op_sel_hi:[0,1,1] neg_lo:[1,0,0] neg_hi:[1,0,0]
	s_waitcnt vmcnt(24) lgkmcnt(1)
	v_pk_fma_f32 v[18:19], v[0:1], v[52:53], v[18:19] op_sel_hi:[0,1,1] neg_lo:[1,0,0] neg_hi:[1,0,0]
	ds_read2_b32 v[50:51], v21 offset0:15 offset1:16
	ds_read2_b32 v[52:53], v21 offset0:17 offset1:18
	;; [unrolled: 1-line block ×3, first 2 shown]
	s_waitcnt vmcnt(22) lgkmcnt(3)
	v_pk_fma_f32 v[12:13], v[0:1], v[54:55], v[12:13] op_sel_hi:[0,1,1] neg_lo:[1,0,0] neg_hi:[1,0,0]
	ds_read2_b32 v[54:55], v21 offset0:21 offset1:22
	s_waitcnt vmcnt(20) lgkmcnt(3)
	v_pk_fma_f32 v[8:9], v[0:1], v[50:51], v[8:9] op_sel_hi:[0,1,1] neg_lo:[1,0,0] neg_hi:[1,0,0]
	s_waitcnt vmcnt(18) lgkmcnt(2)
	v_pk_fma_f32 v[34:35], v[0:1], v[52:53], v[34:35] op_sel_hi:[0,1,1] neg_lo:[1,0,0] neg_hi:[1,0,0]
	ds_read2_b32 v[50:51], v21 offset0:23 offset1:24
	ds_read2_b32 v[52:53], v21 offset0:25 offset1:26
	s_waitcnt vmcnt(16) lgkmcnt(3)
	v_pk_fma_f32 v[30:31], v[0:1], v[56:57], v[30:31] op_sel_hi:[0,1,1] neg_lo:[1,0,0] neg_hi:[1,0,0]
	s_waitcnt vmcnt(14) lgkmcnt(2)
	v_pk_fma_f32 v[24:25], v[0:1], v[54:55], v[24:25] op_sel_hi:[0,1,1] neg_lo:[1,0,0] neg_hi:[1,0,0]
	ds_read2_b32 v[54:55], v21 offset0:27 offset1:28
	;; [unrolled: 6-line block ×3, first 2 shown]
	ds_read2_b32 v[52:53], v21 offset0:33 offset1:34
	ds_read2_b32 v[58:59], v21 offset0:35 offset1:36
	s_waitcnt vmcnt(8) lgkmcnt(4)
	v_pk_fma_f32 v[36:37], v[0:1], v[54:55], v[36:37] op_sel_hi:[0,1,1] neg_lo:[1,0,0] neg_hi:[1,0,0]
	s_waitcnt vmcnt(6) lgkmcnt(3)
	v_pk_fma_f32 v[32:33], v[0:1], v[56:57], v[32:33] op_sel_hi:[0,1,1] neg_lo:[1,0,0] neg_hi:[1,0,0]
	;; [unrolled: 2-line block ×5, first 2 shown]
.LBB72_131:
	s_or_b64 exec, exec, s[0:1]
	v_lshl_add_u32 v44, v47, 2, v21
	s_barrier
	s_waitcnt vmcnt(28)
	ds_write_b32 v44, v1
	s_waitcnt lgkmcnt(0)
	s_barrier
	ds_read_b32 v49, v21 offset:32
	s_cmp_lt_i32 s22, 10
	v_mov_b32_e32 v44, 8
	s_cbranch_scc1 .LBB72_134
; %bb.132:
	v_add3_u32 v50, v46, 0, 36
	v_mov_b32_e32 v44, 8
	s_mov_b32 s0, 9
.LBB72_133:                             ; =>This Inner Loop Header: Depth=1
	ds_read_b32 v51, v50
	v_mov_b32_e32 v52, s0
	s_add_i32 s0, s0, 1
	v_add_u32_e32 v50, 4, v50
	s_cmp_lg_u32 s22, s0
	s_waitcnt lgkmcnt(0)
	v_cmp_lt_f32_e64 vcc, |v49|, |v51|
	s_nop 1
	v_cndmask_b32_e32 v49, v49, v51, vcc
	v_cndmask_b32_e32 v44, v44, v52, vcc
	s_cbranch_scc1 .LBB72_133
.LBB72_134:
	s_waitcnt lgkmcnt(0)
	v_cmp_eq_f32_e32 vcc, 0, v49
	s_and_saveexec_b64 s[0:1], vcc
	s_xor_b64 s[0:1], exec, s[0:1]
; %bb.135:
	v_cmp_ne_u32_e32 vcc, 0, v48
	s_nop 1
	v_cndmask_b32_e32 v48, 9, v48, vcc
; %bb.136:
	s_andn2_saveexec_b64 s[0:1], s[0:1]
	s_cbranch_execz .LBB72_138
; %bb.137:
	v_div_scale_f32 v50, s[2:3], v49, v49, 1.0
	v_rcp_f32_e32 v51, v50
	v_div_scale_f32 v52, vcc, 1.0, v49, 1.0
	v_fma_f32 v53, -v50, v51, 1.0
	v_fmac_f32_e32 v51, v53, v51
	v_mul_f32_e32 v53, v52, v51
	v_fma_f32 v54, -v50, v53, v52
	v_fmac_f32_e32 v53, v54, v51
	v_fma_f32 v50, -v50, v53, v52
	v_div_fmas_f32 v50, v50, v51, v53
	v_div_fixup_f32 v49, v50, v49, 1.0
.LBB72_138:
	s_or_b64 exec, exec, s[0:1]
	v_cmp_ne_u32_e32 vcc, v47, v44
	s_and_saveexec_b64 s[0:1], vcc
	s_xor_b64 s[0:1], exec, s[0:1]
	s_cbranch_execz .LBB72_144
; %bb.139:
	v_cmp_eq_u32_e32 vcc, 8, v47
	s_and_saveexec_b64 s[2:3], vcc
	s_cbranch_execz .LBB72_143
; %bb.140:
	v_cmp_ne_u32_e32 vcc, 8, v44
	s_xor_b64 s[18:19], s[16:17], -1
	s_and_b64 s[20:21], s[18:19], vcc
	s_and_saveexec_b64 s[18:19], s[20:21]
	s_cbranch_execz .LBB72_142
; %bb.141:
	v_ashrrev_i32_e32 v45, 31, v44
	v_lshl_add_u64 v[50:51], v[44:45], 2, v[22:23]
	global_load_dword v45, v[50:51], off
	global_load_dword v47, v[22:23], off offset:32
	s_waitcnt vmcnt(1)
	global_store_dword v[22:23], v45, off offset:32
	s_waitcnt vmcnt(1)
	global_store_dword v[50:51], v47, off
.LBB72_142:
	s_or_b64 exec, exec, s[18:19]
	v_mov_b32_e32 v45, v44
	v_mov_b32_e32 v47, v44
.LBB72_143:
	s_or_b64 exec, exec, s[2:3]
.LBB72_144:
	s_andn2_saveexec_b64 s[0:1], s[0:1]
	s_cbranch_execz .LBB72_146
; %bb.145:
	v_mov_b32_e32 v47, 8
	s_waitcnt vmcnt(26)
	ds_write2_b32 v21, v28, v29 offset0:9 offset1:10
	s_waitcnt vmcnt(24)
	ds_write2_b32 v21, v18, v19 offset0:11 offset1:12
	;; [unrolled: 2-line block ×14, first 2 shown]
.LBB72_146:
	s_or_b64 exec, exec, s[0:1]
	v_cmp_lt_i32_e32 vcc, 8, v47
	s_waitcnt lgkmcnt(0)
	s_barrier
	s_and_saveexec_b64 s[0:1], vcc
	s_cbranch_execz .LBB72_148
; %bb.147:
	ds_read2_b32 v[50:51], v21 offset0:9 offset1:10
	ds_read2_b32 v[52:53], v21 offset0:11 offset1:12
	;; [unrolled: 1-line block ×4, first 2 shown]
	v_mul_f32_e32 v44, v49, v1
	s_waitcnt vmcnt(26) lgkmcnt(3)
	v_pk_fma_f32 v[28:29], v[44:45], v[50:51], v[28:29] op_sel_hi:[0,1,1] neg_lo:[1,0,0] neg_hi:[1,0,0]
	s_waitcnt vmcnt(24) lgkmcnt(2)
	v_pk_fma_f32 v[18:19], v[44:45], v[52:53], v[18:19] op_sel_hi:[0,1,1] neg_lo:[1,0,0] neg_hi:[1,0,0]
	;; [unrolled: 2-line block ×3, first 2 shown]
	ds_read2_b32 v[50:51], v21 offset0:17 offset1:18
	ds_read2_b32 v[52:53], v21 offset0:19 offset1:20
	;; [unrolled: 1-line block ×3, first 2 shown]
	s_waitcnt vmcnt(20) lgkmcnt(3)
	v_pk_fma_f32 v[8:9], v[44:45], v[56:57], v[8:9] op_sel_hi:[0,1,1] neg_lo:[1,0,0] neg_hi:[1,0,0]
	ds_read2_b32 v[56:57], v21 offset0:23 offset1:24
	s_waitcnt vmcnt(18) lgkmcnt(3)
	v_pk_fma_f32 v[34:35], v[44:45], v[50:51], v[34:35] op_sel_hi:[0,1,1] neg_lo:[1,0,0] neg_hi:[1,0,0]
	ds_read2_b32 v[50:51], v21 offset0:25 offset1:26
	s_waitcnt vmcnt(16) lgkmcnt(3)
	v_pk_fma_f32 v[30:31], v[44:45], v[52:53], v[30:31] op_sel_hi:[0,1,1] neg_lo:[1,0,0] neg_hi:[1,0,0]
	s_waitcnt vmcnt(14) lgkmcnt(2)
	v_pk_fma_f32 v[24:25], v[44:45], v[54:55], v[24:25] op_sel_hi:[0,1,1] neg_lo:[1,0,0] neg_hi:[1,0,0]
	;; [unrolled: 2-line block ×3, first 2 shown]
	ds_read2_b32 v[52:53], v21 offset0:27 offset1:28
	ds_read2_b32 v[54:55], v21 offset0:29 offset1:30
	;; [unrolled: 1-line block ×3, first 2 shown]
	s_waitcnt vmcnt(10) lgkmcnt(3)
	v_pk_fma_f32 v[42:43], v[44:45], v[50:51], v[42:43] op_sel_hi:[0,1,1] neg_lo:[1,0,0] neg_hi:[1,0,0]
	ds_read2_b32 v[50:51], v21 offset0:33 offset1:34
	ds_read2_b32 v[58:59], v21 offset0:35 offset1:36
	s_waitcnt vmcnt(8) lgkmcnt(4)
	v_pk_fma_f32 v[36:37], v[44:45], v[52:53], v[36:37] op_sel_hi:[0,1,1] neg_lo:[1,0,0] neg_hi:[1,0,0]
	s_waitcnt vmcnt(6) lgkmcnt(3)
	v_pk_fma_f32 v[32:33], v[44:45], v[54:55], v[32:33] op_sel_hi:[0,1,1] neg_lo:[1,0,0] neg_hi:[1,0,0]
	;; [unrolled: 2-line block ×5, first 2 shown]
	v_mov_b32_e32 v1, v44
.LBB72_148:
	s_or_b64 exec, exec, s[0:1]
	v_lshl_add_u32 v44, v47, 2, v21
	s_barrier
	s_waitcnt vmcnt(27)
	ds_write_b32 v44, v28
	s_waitcnt lgkmcnt(0)
	s_barrier
	ds_read_b32 v49, v21 offset:36
	s_cmp_lt_i32 s22, 11
	v_mov_b32_e32 v44, 9
	s_cbranch_scc1 .LBB72_151
; %bb.149:
	v_add3_u32 v50, v46, 0, 40
	v_mov_b32_e32 v44, 9
	s_mov_b32 s0, 10
.LBB72_150:                             ; =>This Inner Loop Header: Depth=1
	ds_read_b32 v51, v50
	v_mov_b32_e32 v52, s0
	s_add_i32 s0, s0, 1
	v_add_u32_e32 v50, 4, v50
	s_cmp_lg_u32 s22, s0
	s_waitcnt lgkmcnt(0)
	v_cmp_lt_f32_e64 vcc, |v49|, |v51|
	s_nop 1
	v_cndmask_b32_e32 v49, v49, v51, vcc
	v_cndmask_b32_e32 v44, v44, v52, vcc
	s_cbranch_scc1 .LBB72_150
.LBB72_151:
	s_waitcnt lgkmcnt(0)
	v_cmp_eq_f32_e32 vcc, 0, v49
	s_and_saveexec_b64 s[0:1], vcc
	s_xor_b64 s[0:1], exec, s[0:1]
; %bb.152:
	v_cmp_ne_u32_e32 vcc, 0, v48
	s_nop 1
	v_cndmask_b32_e32 v48, 10, v48, vcc
; %bb.153:
	s_andn2_saveexec_b64 s[0:1], s[0:1]
	s_cbranch_execz .LBB72_155
; %bb.154:
	v_div_scale_f32 v50, s[2:3], v49, v49, 1.0
	v_rcp_f32_e32 v51, v50
	v_div_scale_f32 v52, vcc, 1.0, v49, 1.0
	v_fma_f32 v53, -v50, v51, 1.0
	v_fmac_f32_e32 v51, v53, v51
	v_mul_f32_e32 v53, v52, v51
	v_fma_f32 v54, -v50, v53, v52
	v_fmac_f32_e32 v53, v54, v51
	v_fma_f32 v50, -v50, v53, v52
	v_div_fmas_f32 v50, v50, v51, v53
	v_div_fixup_f32 v49, v50, v49, 1.0
.LBB72_155:
	s_or_b64 exec, exec, s[0:1]
	v_cmp_ne_u32_e32 vcc, v47, v44
	s_and_saveexec_b64 s[0:1], vcc
	s_xor_b64 s[0:1], exec, s[0:1]
	s_cbranch_execz .LBB72_161
; %bb.156:
	v_cmp_eq_u32_e32 vcc, 9, v47
	s_and_saveexec_b64 s[2:3], vcc
	s_cbranch_execz .LBB72_160
; %bb.157:
	v_cmp_ne_u32_e32 vcc, 9, v44
	s_xor_b64 s[18:19], s[16:17], -1
	s_and_b64 s[20:21], s[18:19], vcc
	s_and_saveexec_b64 s[18:19], s[20:21]
	s_cbranch_execz .LBB72_159
; %bb.158:
	v_ashrrev_i32_e32 v45, 31, v44
	v_lshl_add_u64 v[50:51], v[44:45], 2, v[22:23]
	global_load_dword v45, v[50:51], off
	global_load_dword v47, v[22:23], off offset:36
	s_waitcnt vmcnt(1)
	global_store_dword v[22:23], v45, off offset:36
	s_waitcnt vmcnt(1)
	global_store_dword v[50:51], v47, off
.LBB72_159:
	s_or_b64 exec, exec, s[18:19]
	v_mov_b32_e32 v45, v44
	v_mov_b32_e32 v47, v44
.LBB72_160:
	s_or_b64 exec, exec, s[2:3]
.LBB72_161:
	s_andn2_saveexec_b64 s[0:1], s[0:1]
	s_cbranch_execz .LBB72_163
; %bb.162:
	s_waitcnt vmcnt(24)
	v_pk_mov_b32 v[50:51], v[28:29], v[18:19] op_sel:[1,0]
	ds_write2_b32 v21, v50, v51 offset0:10 offset1:11
	s_waitcnt vmcnt(22)
	v_pk_mov_b32 v[50:51], v[18:19], v[12:13] op_sel:[1,0]
	ds_write2_b32 v21, v50, v51 offset0:12 offset1:13
	;; [unrolled: 3-line block ×12, first 2 shown]
	s_waitcnt vmcnt(0)
	v_pk_mov_b32 v[50:51], v[40:41], v[38:39] op_sel:[1,0]
	v_mov_b32_e32 v47, 9
	ds_write2_b32 v21, v50, v51 offset0:34 offset1:35
	ds_write_b32 v21, v39 offset:144
.LBB72_163:
	s_or_b64 exec, exec, s[0:1]
	v_cmp_lt_i32_e32 vcc, 9, v47
	s_waitcnt lgkmcnt(0)
	s_barrier
	s_and_saveexec_b64 s[0:1], vcc
	s_cbranch_execz .LBB72_165
; %bb.164:
	ds_read_b32 v44, v21 offset:40
	ds_read2_b32 v[50:51], v21 offset0:11 offset1:12
	ds_read2_b32 v[52:53], v21 offset0:13 offset1:14
	v_mul_f32_e32 v28, v49, v28
	ds_read2_b32 v[54:55], v21 offset0:15 offset1:16
	s_waitcnt vmcnt(26) lgkmcnt(3)
	v_fma_f32 v29, -v28, v44, v29
	s_waitcnt vmcnt(24) lgkmcnt(2)
	v_pk_fma_f32 v[18:19], v[28:29], v[50:51], v[18:19] op_sel_hi:[0,1,1] neg_lo:[1,0,0] neg_hi:[1,0,0]
	s_waitcnt vmcnt(22) lgkmcnt(1)
	v_pk_fma_f32 v[12:13], v[28:29], v[52:53], v[12:13] op_sel_hi:[0,1,1] neg_lo:[1,0,0] neg_hi:[1,0,0]
	ds_read2_b32 v[50:51], v21 offset0:17 offset1:18
	ds_read2_b32 v[52:53], v21 offset0:19 offset1:20
	;; [unrolled: 1-line block ×3, first 2 shown]
	s_waitcnt vmcnt(20) lgkmcnt(3)
	v_pk_fma_f32 v[8:9], v[28:29], v[54:55], v[8:9] op_sel_hi:[0,1,1] neg_lo:[1,0,0] neg_hi:[1,0,0]
	ds_read2_b32 v[54:55], v21 offset0:23 offset1:24
	s_waitcnt vmcnt(18) lgkmcnt(3)
	v_pk_fma_f32 v[34:35], v[28:29], v[50:51], v[34:35] op_sel_hi:[0,1,1] neg_lo:[1,0,0] neg_hi:[1,0,0]
	ds_read2_b32 v[50:51], v21 offset0:25 offset1:26
	s_waitcnt vmcnt(16) lgkmcnt(3)
	v_pk_fma_f32 v[30:31], v[28:29], v[52:53], v[30:31] op_sel_hi:[0,1,1] neg_lo:[1,0,0] neg_hi:[1,0,0]
	s_waitcnt vmcnt(14) lgkmcnt(2)
	v_pk_fma_f32 v[24:25], v[28:29], v[56:57], v[24:25] op_sel_hi:[0,1,1] neg_lo:[1,0,0] neg_hi:[1,0,0]
	;; [unrolled: 2-line block ×3, first 2 shown]
	ds_read2_b32 v[52:53], v21 offset0:27 offset1:28
	ds_read2_b32 v[54:55], v21 offset0:29 offset1:30
	;; [unrolled: 1-line block ×3, first 2 shown]
	s_waitcnt vmcnt(10) lgkmcnt(3)
	v_pk_fma_f32 v[42:43], v[28:29], v[50:51], v[42:43] op_sel_hi:[0,1,1] neg_lo:[1,0,0] neg_hi:[1,0,0]
	ds_read2_b32 v[50:51], v21 offset0:33 offset1:34
	ds_read2_b32 v[58:59], v21 offset0:35 offset1:36
	s_waitcnt vmcnt(8) lgkmcnt(4)
	v_pk_fma_f32 v[36:37], v[28:29], v[52:53], v[36:37] op_sel_hi:[0,1,1] neg_lo:[1,0,0] neg_hi:[1,0,0]
	s_waitcnt vmcnt(6) lgkmcnt(3)
	v_pk_fma_f32 v[32:33], v[28:29], v[54:55], v[32:33] op_sel_hi:[0,1,1] neg_lo:[1,0,0] neg_hi:[1,0,0]
	;; [unrolled: 2-line block ×5, first 2 shown]
.LBB72_165:
	s_or_b64 exec, exec, s[0:1]
	v_lshl_add_u32 v44, v47, 2, v21
	s_barrier
	s_waitcnt vmcnt(26)
	ds_write_b32 v44, v29
	s_waitcnt lgkmcnt(0)
	s_barrier
	ds_read_b32 v49, v21 offset:40
	s_cmp_lt_i32 s22, 12
	v_mov_b32_e32 v44, 10
	s_cbranch_scc1 .LBB72_168
; %bb.166:
	v_add3_u32 v50, v46, 0, 44
	v_mov_b32_e32 v44, 10
	s_mov_b32 s0, 11
.LBB72_167:                             ; =>This Inner Loop Header: Depth=1
	ds_read_b32 v51, v50
	v_mov_b32_e32 v52, s0
	s_add_i32 s0, s0, 1
	v_add_u32_e32 v50, 4, v50
	s_cmp_lg_u32 s22, s0
	s_waitcnt lgkmcnt(0)
	v_cmp_lt_f32_e64 vcc, |v49|, |v51|
	s_nop 1
	v_cndmask_b32_e32 v49, v49, v51, vcc
	v_cndmask_b32_e32 v44, v44, v52, vcc
	s_cbranch_scc1 .LBB72_167
.LBB72_168:
	s_waitcnt lgkmcnt(0)
	v_cmp_eq_f32_e32 vcc, 0, v49
	s_and_saveexec_b64 s[0:1], vcc
	s_xor_b64 s[0:1], exec, s[0:1]
; %bb.169:
	v_cmp_ne_u32_e32 vcc, 0, v48
	s_nop 1
	v_cndmask_b32_e32 v48, 11, v48, vcc
; %bb.170:
	s_andn2_saveexec_b64 s[0:1], s[0:1]
	s_cbranch_execz .LBB72_172
; %bb.171:
	v_div_scale_f32 v50, s[2:3], v49, v49, 1.0
	v_rcp_f32_e32 v51, v50
	v_div_scale_f32 v52, vcc, 1.0, v49, 1.0
	v_fma_f32 v53, -v50, v51, 1.0
	v_fmac_f32_e32 v51, v53, v51
	v_mul_f32_e32 v53, v52, v51
	v_fma_f32 v54, -v50, v53, v52
	v_fmac_f32_e32 v53, v54, v51
	v_fma_f32 v50, -v50, v53, v52
	v_div_fmas_f32 v50, v50, v51, v53
	v_div_fixup_f32 v49, v50, v49, 1.0
.LBB72_172:
	s_or_b64 exec, exec, s[0:1]
	v_cmp_ne_u32_e32 vcc, v47, v44
	s_and_saveexec_b64 s[0:1], vcc
	s_xor_b64 s[0:1], exec, s[0:1]
	s_cbranch_execz .LBB72_178
; %bb.173:
	v_cmp_eq_u32_e32 vcc, 10, v47
	s_and_saveexec_b64 s[2:3], vcc
	s_cbranch_execz .LBB72_177
; %bb.174:
	v_cmp_ne_u32_e32 vcc, 10, v44
	s_xor_b64 s[18:19], s[16:17], -1
	s_and_b64 s[20:21], s[18:19], vcc
	s_and_saveexec_b64 s[18:19], s[20:21]
	s_cbranch_execz .LBB72_176
; %bb.175:
	v_ashrrev_i32_e32 v45, 31, v44
	v_lshl_add_u64 v[50:51], v[44:45], 2, v[22:23]
	global_load_dword v45, v[50:51], off
	global_load_dword v47, v[22:23], off offset:40
	s_waitcnt vmcnt(1)
	global_store_dword v[22:23], v45, off offset:40
	s_waitcnt vmcnt(1)
	global_store_dword v[50:51], v47, off
.LBB72_176:
	s_or_b64 exec, exec, s[18:19]
	v_mov_b32_e32 v45, v44
	v_mov_b32_e32 v47, v44
.LBB72_177:
	s_or_b64 exec, exec, s[2:3]
.LBB72_178:
	s_andn2_saveexec_b64 s[0:1], s[0:1]
	s_cbranch_execz .LBB72_180
; %bb.179:
	v_mov_b32_e32 v47, 10
	s_waitcnt vmcnt(24)
	ds_write2_b32 v21, v18, v19 offset0:11 offset1:12
	s_waitcnt vmcnt(22)
	ds_write2_b32 v21, v12, v13 offset0:13 offset1:14
	;; [unrolled: 2-line block ×13, first 2 shown]
.LBB72_180:
	s_or_b64 exec, exec, s[0:1]
	v_cmp_lt_i32_e32 vcc, 10, v47
	s_waitcnt lgkmcnt(0)
	s_barrier
	s_and_saveexec_b64 s[0:1], vcc
	s_cbranch_execz .LBB72_182
; %bb.181:
	ds_read2_b32 v[50:51], v21 offset0:11 offset1:12
	ds_read2_b32 v[52:53], v21 offset0:13 offset1:14
	;; [unrolled: 1-line block ×3, first 2 shown]
	v_mul_f32_e32 v44, v49, v29
	ds_read2_b32 v[56:57], v21 offset0:17 offset1:18
	s_waitcnt vmcnt(24) lgkmcnt(3)
	v_pk_fma_f32 v[18:19], v[44:45], v[50:51], v[18:19] op_sel_hi:[0,1,1] neg_lo:[1,0,0] neg_hi:[1,0,0]
	s_waitcnt vmcnt(22) lgkmcnt(2)
	v_pk_fma_f32 v[12:13], v[44:45], v[52:53], v[12:13] op_sel_hi:[0,1,1] neg_lo:[1,0,0] neg_hi:[1,0,0]
	;; [unrolled: 2-line block ×3, first 2 shown]
	ds_read2_b32 v[50:51], v21 offset0:19 offset1:20
	ds_read2_b32 v[52:53], v21 offset0:21 offset1:22
	;; [unrolled: 1-line block ×4, first 2 shown]
	s_waitcnt vmcnt(18) lgkmcnt(4)
	v_pk_fma_f32 v[34:35], v[44:45], v[56:57], v[34:35] op_sel_hi:[0,1,1] neg_lo:[1,0,0] neg_hi:[1,0,0]
	s_waitcnt vmcnt(16) lgkmcnt(3)
	v_pk_fma_f32 v[30:31], v[44:45], v[50:51], v[30:31] op_sel_hi:[0,1,1] neg_lo:[1,0,0] neg_hi:[1,0,0]
	s_waitcnt vmcnt(14) lgkmcnt(2)
	v_pk_fma_f32 v[24:25], v[44:45], v[52:53], v[24:25] op_sel_hi:[0,1,1] neg_lo:[1,0,0] neg_hi:[1,0,0]
	s_waitcnt vmcnt(12) lgkmcnt(1)
	v_pk_fma_f32 v[16:17], v[44:45], v[54:55], v[16:17] op_sel_hi:[0,1,1] neg_lo:[1,0,0] neg_hi:[1,0,0]
	s_waitcnt vmcnt(10) lgkmcnt(0)
	v_pk_fma_f32 v[42:43], v[44:45], v[58:59], v[42:43] op_sel_hi:[0,1,1] neg_lo:[1,0,0] neg_hi:[1,0,0]
	ds_read2_b32 v[50:51], v21 offset0:27 offset1:28
	ds_read2_b32 v[52:53], v21 offset0:29 offset1:30
	;; [unrolled: 1-line block ×5, first 2 shown]
	s_waitcnt vmcnt(8) lgkmcnt(4)
	v_pk_fma_f32 v[36:37], v[44:45], v[50:51], v[36:37] op_sel_hi:[0,1,1] neg_lo:[1,0,0] neg_hi:[1,0,0]
	s_waitcnt vmcnt(6) lgkmcnt(3)
	v_pk_fma_f32 v[32:33], v[44:45], v[52:53], v[32:33] op_sel_hi:[0,1,1] neg_lo:[1,0,0] neg_hi:[1,0,0]
	;; [unrolled: 2-line block ×5, first 2 shown]
	v_mov_b32_e32 v29, v44
.LBB72_182:
	s_or_b64 exec, exec, s[0:1]
	v_lshl_add_u32 v44, v47, 2, v21
	s_barrier
	s_waitcnt vmcnt(25)
	ds_write_b32 v44, v18
	s_waitcnt lgkmcnt(0)
	s_barrier
	ds_read_b32 v49, v21 offset:44
	s_cmp_lt_i32 s22, 13
	v_mov_b32_e32 v44, 11
	s_cbranch_scc1 .LBB72_185
; %bb.183:
	v_add3_u32 v50, v46, 0, 48
	v_mov_b32_e32 v44, 11
	s_mov_b32 s0, 12
.LBB72_184:                             ; =>This Inner Loop Header: Depth=1
	ds_read_b32 v51, v50
	v_mov_b32_e32 v52, s0
	s_add_i32 s0, s0, 1
	v_add_u32_e32 v50, 4, v50
	s_cmp_lg_u32 s22, s0
	s_waitcnt lgkmcnt(0)
	v_cmp_lt_f32_e64 vcc, |v49|, |v51|
	s_nop 1
	v_cndmask_b32_e32 v49, v49, v51, vcc
	v_cndmask_b32_e32 v44, v44, v52, vcc
	s_cbranch_scc1 .LBB72_184
.LBB72_185:
	s_waitcnt lgkmcnt(0)
	v_cmp_eq_f32_e32 vcc, 0, v49
	s_and_saveexec_b64 s[0:1], vcc
	s_xor_b64 s[0:1], exec, s[0:1]
; %bb.186:
	v_cmp_ne_u32_e32 vcc, 0, v48
	s_nop 1
	v_cndmask_b32_e32 v48, 12, v48, vcc
; %bb.187:
	s_andn2_saveexec_b64 s[0:1], s[0:1]
	s_cbranch_execz .LBB72_189
; %bb.188:
	v_div_scale_f32 v50, s[2:3], v49, v49, 1.0
	v_rcp_f32_e32 v51, v50
	v_div_scale_f32 v52, vcc, 1.0, v49, 1.0
	v_fma_f32 v53, -v50, v51, 1.0
	v_fmac_f32_e32 v51, v53, v51
	v_mul_f32_e32 v53, v52, v51
	v_fma_f32 v54, -v50, v53, v52
	v_fmac_f32_e32 v53, v54, v51
	v_fma_f32 v50, -v50, v53, v52
	v_div_fmas_f32 v50, v50, v51, v53
	v_div_fixup_f32 v49, v50, v49, 1.0
.LBB72_189:
	s_or_b64 exec, exec, s[0:1]
	v_cmp_ne_u32_e32 vcc, v47, v44
	s_and_saveexec_b64 s[0:1], vcc
	s_xor_b64 s[0:1], exec, s[0:1]
	s_cbranch_execz .LBB72_195
; %bb.190:
	v_cmp_eq_u32_e32 vcc, 11, v47
	s_and_saveexec_b64 s[2:3], vcc
	s_cbranch_execz .LBB72_194
; %bb.191:
	v_cmp_ne_u32_e32 vcc, 11, v44
	s_xor_b64 s[18:19], s[16:17], -1
	s_and_b64 s[20:21], s[18:19], vcc
	s_and_saveexec_b64 s[18:19], s[20:21]
	s_cbranch_execz .LBB72_193
; %bb.192:
	v_ashrrev_i32_e32 v45, 31, v44
	v_lshl_add_u64 v[50:51], v[44:45], 2, v[22:23]
	global_load_dword v45, v[50:51], off
	global_load_dword v47, v[22:23], off offset:44
	s_waitcnt vmcnt(1)
	global_store_dword v[22:23], v45, off offset:44
	s_waitcnt vmcnt(1)
	global_store_dword v[50:51], v47, off
.LBB72_193:
	s_or_b64 exec, exec, s[18:19]
	v_mov_b32_e32 v45, v44
	v_mov_b32_e32 v47, v44
.LBB72_194:
	s_or_b64 exec, exec, s[2:3]
.LBB72_195:
	s_andn2_saveexec_b64 s[0:1], s[0:1]
	s_cbranch_execz .LBB72_197
; %bb.196:
	s_waitcnt vmcnt(22)
	v_pk_mov_b32 v[50:51], v[18:19], v[12:13] op_sel:[1,0]
	ds_write2_b32 v21, v50, v51 offset0:12 offset1:13
	s_waitcnt vmcnt(20)
	v_pk_mov_b32 v[50:51], v[12:13], v[8:9] op_sel:[1,0]
	ds_write2_b32 v21, v50, v51 offset0:14 offset1:15
	;; [unrolled: 3-line block ×11, first 2 shown]
	s_waitcnt vmcnt(0)
	v_pk_mov_b32 v[50:51], v[40:41], v[38:39] op_sel:[1,0]
	v_mov_b32_e32 v47, 11
	ds_write2_b32 v21, v50, v51 offset0:34 offset1:35
	ds_write_b32 v21, v39 offset:144
.LBB72_197:
	s_or_b64 exec, exec, s[0:1]
	v_cmp_lt_i32_e32 vcc, 11, v47
	s_waitcnt lgkmcnt(0)
	s_barrier
	s_and_saveexec_b64 s[0:1], vcc
	s_cbranch_execz .LBB72_199
; %bb.198:
	ds_read_b32 v44, v21 offset:48
	ds_read2_b32 v[50:51], v21 offset0:13 offset1:14
	ds_read2_b32 v[52:53], v21 offset0:15 offset1:16
	v_mul_f32_e32 v18, v49, v18
	ds_read2_b32 v[54:55], v21 offset0:17 offset1:18
	s_waitcnt vmcnt(24) lgkmcnt(3)
	v_fma_f32 v19, -v18, v44, v19
	s_waitcnt vmcnt(22) lgkmcnt(2)
	v_pk_fma_f32 v[12:13], v[18:19], v[50:51], v[12:13] op_sel_hi:[0,1,1] neg_lo:[1,0,0] neg_hi:[1,0,0]
	s_waitcnt vmcnt(20) lgkmcnt(1)
	v_pk_fma_f32 v[8:9], v[18:19], v[52:53], v[8:9] op_sel_hi:[0,1,1] neg_lo:[1,0,0] neg_hi:[1,0,0]
	ds_read2_b32 v[50:51], v21 offset0:19 offset1:20
	ds_read2_b32 v[52:53], v21 offset0:21 offset1:22
	;; [unrolled: 1-line block ×4, first 2 shown]
	s_waitcnt vmcnt(18) lgkmcnt(4)
	v_pk_fma_f32 v[34:35], v[18:19], v[54:55], v[34:35] op_sel_hi:[0,1,1] neg_lo:[1,0,0] neg_hi:[1,0,0]
	s_waitcnt vmcnt(16) lgkmcnt(3)
	v_pk_fma_f32 v[30:31], v[18:19], v[50:51], v[30:31] op_sel_hi:[0,1,1] neg_lo:[1,0,0] neg_hi:[1,0,0]
	;; [unrolled: 2-line block ×5, first 2 shown]
	ds_read2_b32 v[50:51], v21 offset0:27 offset1:28
	ds_read2_b32 v[52:53], v21 offset0:29 offset1:30
	;; [unrolled: 1-line block ×5, first 2 shown]
	s_waitcnt vmcnt(8) lgkmcnt(4)
	v_pk_fma_f32 v[36:37], v[18:19], v[50:51], v[36:37] op_sel_hi:[0,1,1] neg_lo:[1,0,0] neg_hi:[1,0,0]
	s_waitcnt vmcnt(6) lgkmcnt(3)
	v_pk_fma_f32 v[32:33], v[18:19], v[52:53], v[32:33] op_sel_hi:[0,1,1] neg_lo:[1,0,0] neg_hi:[1,0,0]
	;; [unrolled: 2-line block ×5, first 2 shown]
.LBB72_199:
	s_or_b64 exec, exec, s[0:1]
	v_lshl_add_u32 v44, v47, 2, v21
	s_barrier
	s_waitcnt vmcnt(24)
	ds_write_b32 v44, v19
	s_waitcnt lgkmcnt(0)
	s_barrier
	ds_read_b32 v49, v21 offset:48
	s_cmp_lt_i32 s22, 14
	v_mov_b32_e32 v44, 12
	s_cbranch_scc1 .LBB72_202
; %bb.200:
	v_add3_u32 v50, v46, 0, 52
	v_mov_b32_e32 v44, 12
	s_mov_b32 s0, 13
.LBB72_201:                             ; =>This Inner Loop Header: Depth=1
	ds_read_b32 v51, v50
	v_mov_b32_e32 v52, s0
	s_add_i32 s0, s0, 1
	v_add_u32_e32 v50, 4, v50
	s_cmp_lg_u32 s22, s0
	s_waitcnt lgkmcnt(0)
	v_cmp_lt_f32_e64 vcc, |v49|, |v51|
	s_nop 1
	v_cndmask_b32_e32 v49, v49, v51, vcc
	v_cndmask_b32_e32 v44, v44, v52, vcc
	s_cbranch_scc1 .LBB72_201
.LBB72_202:
	s_waitcnt lgkmcnt(0)
	v_cmp_eq_f32_e32 vcc, 0, v49
	s_and_saveexec_b64 s[0:1], vcc
	s_xor_b64 s[0:1], exec, s[0:1]
; %bb.203:
	v_cmp_ne_u32_e32 vcc, 0, v48
	s_nop 1
	v_cndmask_b32_e32 v48, 13, v48, vcc
; %bb.204:
	s_andn2_saveexec_b64 s[0:1], s[0:1]
	s_cbranch_execz .LBB72_206
; %bb.205:
	v_div_scale_f32 v50, s[2:3], v49, v49, 1.0
	v_rcp_f32_e32 v51, v50
	v_div_scale_f32 v52, vcc, 1.0, v49, 1.0
	v_fma_f32 v53, -v50, v51, 1.0
	v_fmac_f32_e32 v51, v53, v51
	v_mul_f32_e32 v53, v52, v51
	v_fma_f32 v54, -v50, v53, v52
	v_fmac_f32_e32 v53, v54, v51
	v_fma_f32 v50, -v50, v53, v52
	v_div_fmas_f32 v50, v50, v51, v53
	v_div_fixup_f32 v49, v50, v49, 1.0
.LBB72_206:
	s_or_b64 exec, exec, s[0:1]
	v_cmp_ne_u32_e32 vcc, v47, v44
	s_and_saveexec_b64 s[0:1], vcc
	s_xor_b64 s[0:1], exec, s[0:1]
	s_cbranch_execz .LBB72_212
; %bb.207:
	v_cmp_eq_u32_e32 vcc, 12, v47
	s_and_saveexec_b64 s[2:3], vcc
	s_cbranch_execz .LBB72_211
; %bb.208:
	v_cmp_ne_u32_e32 vcc, 12, v44
	s_xor_b64 s[18:19], s[16:17], -1
	s_and_b64 s[20:21], s[18:19], vcc
	s_and_saveexec_b64 s[18:19], s[20:21]
	s_cbranch_execz .LBB72_210
; %bb.209:
	v_ashrrev_i32_e32 v45, 31, v44
	v_lshl_add_u64 v[50:51], v[44:45], 2, v[22:23]
	global_load_dword v45, v[50:51], off
	global_load_dword v47, v[22:23], off offset:48
	s_waitcnt vmcnt(1)
	global_store_dword v[22:23], v45, off offset:48
	s_waitcnt vmcnt(1)
	global_store_dword v[50:51], v47, off
.LBB72_210:
	s_or_b64 exec, exec, s[18:19]
	v_mov_b32_e32 v45, v44
	v_mov_b32_e32 v47, v44
.LBB72_211:
	s_or_b64 exec, exec, s[2:3]
.LBB72_212:
	s_andn2_saveexec_b64 s[0:1], s[0:1]
	s_cbranch_execz .LBB72_214
; %bb.213:
	v_mov_b32_e32 v47, 12
	s_waitcnt vmcnt(22)
	ds_write2_b32 v21, v12, v13 offset0:13 offset1:14
	s_waitcnt vmcnt(20)
	ds_write2_b32 v21, v8, v9 offset0:15 offset1:16
	;; [unrolled: 2-line block ×12, first 2 shown]
.LBB72_214:
	s_or_b64 exec, exec, s[0:1]
	v_cmp_lt_i32_e32 vcc, 12, v47
	s_waitcnt lgkmcnt(0)
	s_barrier
	s_and_saveexec_b64 s[0:1], vcc
	s_cbranch_execz .LBB72_216
; %bb.215:
	ds_read2_b32 v[50:51], v21 offset0:13 offset1:14
	ds_read2_b32 v[52:53], v21 offset0:15 offset1:16
	;; [unrolled: 1-line block ×3, first 2 shown]
	v_mul_f32_e32 v44, v49, v19
	ds_read2_b32 v[56:57], v21 offset0:19 offset1:20
	s_waitcnt vmcnt(22) lgkmcnt(3)
	v_pk_fma_f32 v[12:13], v[44:45], v[50:51], v[12:13] op_sel_hi:[0,1,1] neg_lo:[1,0,0] neg_hi:[1,0,0]
	s_waitcnt vmcnt(20) lgkmcnt(2)
	v_pk_fma_f32 v[8:9], v[44:45], v[52:53], v[8:9] op_sel_hi:[0,1,1] neg_lo:[1,0,0] neg_hi:[1,0,0]
	;; [unrolled: 2-line block ×3, first 2 shown]
	ds_read2_b32 v[50:51], v21 offset0:21 offset1:22
	ds_read2_b32 v[52:53], v21 offset0:23 offset1:24
	;; [unrolled: 1-line block ×3, first 2 shown]
	s_waitcnt vmcnt(16) lgkmcnt(3)
	v_pk_fma_f32 v[30:31], v[44:45], v[56:57], v[30:31] op_sel_hi:[0,1,1] neg_lo:[1,0,0] neg_hi:[1,0,0]
	ds_read2_b32 v[56:57], v21 offset0:27 offset1:28
	s_waitcnt vmcnt(14) lgkmcnt(3)
	v_pk_fma_f32 v[24:25], v[44:45], v[50:51], v[24:25] op_sel_hi:[0,1,1] neg_lo:[1,0,0] neg_hi:[1,0,0]
	s_waitcnt vmcnt(12) lgkmcnt(2)
	v_pk_fma_f32 v[16:17], v[44:45], v[52:53], v[16:17] op_sel_hi:[0,1,1] neg_lo:[1,0,0] neg_hi:[1,0,0]
	;; [unrolled: 2-line block ×3, first 2 shown]
	ds_read2_b32 v[50:51], v21 offset0:29 offset1:30
	ds_read2_b32 v[52:53], v21 offset0:31 offset1:32
	;; [unrolled: 1-line block ×4, first 2 shown]
	s_waitcnt vmcnt(8) lgkmcnt(4)
	v_pk_fma_f32 v[36:37], v[44:45], v[56:57], v[36:37] op_sel_hi:[0,1,1] neg_lo:[1,0,0] neg_hi:[1,0,0]
	s_waitcnt vmcnt(6) lgkmcnt(3)
	v_pk_fma_f32 v[32:33], v[44:45], v[50:51], v[32:33] op_sel_hi:[0,1,1] neg_lo:[1,0,0] neg_hi:[1,0,0]
	;; [unrolled: 2-line block ×5, first 2 shown]
	v_mov_b32_e32 v19, v44
.LBB72_216:
	s_or_b64 exec, exec, s[0:1]
	v_lshl_add_u32 v44, v47, 2, v21
	s_barrier
	s_waitcnt vmcnt(23)
	ds_write_b32 v44, v12
	s_waitcnt lgkmcnt(0)
	s_barrier
	ds_read_b32 v49, v21 offset:52
	s_cmp_lt_i32 s22, 15
	v_mov_b32_e32 v44, 13
	s_cbranch_scc1 .LBB72_219
; %bb.217:
	v_add3_u32 v50, v46, 0, 56
	v_mov_b32_e32 v44, 13
	s_mov_b32 s0, 14
.LBB72_218:                             ; =>This Inner Loop Header: Depth=1
	ds_read_b32 v51, v50
	v_mov_b32_e32 v52, s0
	s_add_i32 s0, s0, 1
	v_add_u32_e32 v50, 4, v50
	s_cmp_lg_u32 s22, s0
	s_waitcnt lgkmcnt(0)
	v_cmp_lt_f32_e64 vcc, |v49|, |v51|
	s_nop 1
	v_cndmask_b32_e32 v49, v49, v51, vcc
	v_cndmask_b32_e32 v44, v44, v52, vcc
	s_cbranch_scc1 .LBB72_218
.LBB72_219:
	s_waitcnt lgkmcnt(0)
	v_cmp_eq_f32_e32 vcc, 0, v49
	s_and_saveexec_b64 s[0:1], vcc
	s_xor_b64 s[0:1], exec, s[0:1]
; %bb.220:
	v_cmp_ne_u32_e32 vcc, 0, v48
	s_nop 1
	v_cndmask_b32_e32 v48, 14, v48, vcc
; %bb.221:
	s_andn2_saveexec_b64 s[0:1], s[0:1]
	s_cbranch_execz .LBB72_223
; %bb.222:
	v_div_scale_f32 v50, s[2:3], v49, v49, 1.0
	v_rcp_f32_e32 v51, v50
	v_div_scale_f32 v52, vcc, 1.0, v49, 1.0
	v_fma_f32 v53, -v50, v51, 1.0
	v_fmac_f32_e32 v51, v53, v51
	v_mul_f32_e32 v53, v52, v51
	v_fma_f32 v54, -v50, v53, v52
	v_fmac_f32_e32 v53, v54, v51
	v_fma_f32 v50, -v50, v53, v52
	v_div_fmas_f32 v50, v50, v51, v53
	v_div_fixup_f32 v49, v50, v49, 1.0
.LBB72_223:
	s_or_b64 exec, exec, s[0:1]
	v_cmp_ne_u32_e32 vcc, v47, v44
	s_and_saveexec_b64 s[0:1], vcc
	s_xor_b64 s[0:1], exec, s[0:1]
	s_cbranch_execz .LBB72_229
; %bb.224:
	v_cmp_eq_u32_e32 vcc, 13, v47
	s_and_saveexec_b64 s[2:3], vcc
	s_cbranch_execz .LBB72_228
; %bb.225:
	v_cmp_ne_u32_e32 vcc, 13, v44
	s_xor_b64 s[18:19], s[16:17], -1
	s_and_b64 s[20:21], s[18:19], vcc
	s_and_saveexec_b64 s[18:19], s[20:21]
	s_cbranch_execz .LBB72_227
; %bb.226:
	v_ashrrev_i32_e32 v45, 31, v44
	v_lshl_add_u64 v[50:51], v[44:45], 2, v[22:23]
	global_load_dword v45, v[50:51], off
	global_load_dword v47, v[22:23], off offset:52
	s_waitcnt vmcnt(1)
	global_store_dword v[22:23], v45, off offset:52
	s_waitcnt vmcnt(1)
	global_store_dword v[50:51], v47, off
.LBB72_227:
	s_or_b64 exec, exec, s[18:19]
	v_mov_b32_e32 v45, v44
	v_mov_b32_e32 v47, v44
.LBB72_228:
	s_or_b64 exec, exec, s[2:3]
.LBB72_229:
	s_andn2_saveexec_b64 s[0:1], s[0:1]
	s_cbranch_execz .LBB72_231
; %bb.230:
	s_waitcnt vmcnt(20)
	v_pk_mov_b32 v[50:51], v[12:13], v[8:9] op_sel:[1,0]
	ds_write2_b32 v21, v50, v51 offset0:14 offset1:15
	s_waitcnt vmcnt(18)
	v_pk_mov_b32 v[50:51], v[8:9], v[34:35] op_sel:[1,0]
	ds_write2_b32 v21, v50, v51 offset0:16 offset1:17
	;; [unrolled: 3-line block ×10, first 2 shown]
	s_waitcnt vmcnt(0)
	v_pk_mov_b32 v[50:51], v[40:41], v[38:39] op_sel:[1,0]
	v_mov_b32_e32 v47, 13
	ds_write2_b32 v21, v50, v51 offset0:34 offset1:35
	ds_write_b32 v21, v39 offset:144
.LBB72_231:
	s_or_b64 exec, exec, s[0:1]
	v_cmp_lt_i32_e32 vcc, 13, v47
	s_waitcnt lgkmcnt(0)
	s_barrier
	s_and_saveexec_b64 s[0:1], vcc
	s_cbranch_execz .LBB72_233
; %bb.232:
	ds_read_b32 v44, v21 offset:56
	ds_read2_b32 v[50:51], v21 offset0:15 offset1:16
	ds_read2_b32 v[52:53], v21 offset0:17 offset1:18
	v_mul_f32_e32 v12, v49, v12
	ds_read2_b32 v[54:55], v21 offset0:19 offset1:20
	s_waitcnt vmcnt(22) lgkmcnt(3)
	v_fma_f32 v13, -v12, v44, v13
	s_waitcnt vmcnt(20) lgkmcnt(2)
	v_pk_fma_f32 v[8:9], v[12:13], v[50:51], v[8:9] op_sel_hi:[0,1,1] neg_lo:[1,0,0] neg_hi:[1,0,0]
	s_waitcnt vmcnt(18) lgkmcnt(1)
	v_pk_fma_f32 v[34:35], v[12:13], v[52:53], v[34:35] op_sel_hi:[0,1,1] neg_lo:[1,0,0] neg_hi:[1,0,0]
	ds_read2_b32 v[50:51], v21 offset0:21 offset1:22
	ds_read2_b32 v[52:53], v21 offset0:23 offset1:24
	;; [unrolled: 1-line block ×3, first 2 shown]
	s_waitcnt vmcnt(16) lgkmcnt(3)
	v_pk_fma_f32 v[30:31], v[12:13], v[54:55], v[30:31] op_sel_hi:[0,1,1] neg_lo:[1,0,0] neg_hi:[1,0,0]
	ds_read2_b32 v[54:55], v21 offset0:27 offset1:28
	s_waitcnt vmcnt(14) lgkmcnt(3)
	v_pk_fma_f32 v[24:25], v[12:13], v[50:51], v[24:25] op_sel_hi:[0,1,1] neg_lo:[1,0,0] neg_hi:[1,0,0]
	s_waitcnt vmcnt(12) lgkmcnt(2)
	v_pk_fma_f32 v[16:17], v[12:13], v[52:53], v[16:17] op_sel_hi:[0,1,1] neg_lo:[1,0,0] neg_hi:[1,0,0]
	;; [unrolled: 2-line block ×3, first 2 shown]
	ds_read2_b32 v[50:51], v21 offset0:29 offset1:30
	ds_read2_b32 v[52:53], v21 offset0:31 offset1:32
	;; [unrolled: 1-line block ×4, first 2 shown]
	s_waitcnt vmcnt(8) lgkmcnt(4)
	v_pk_fma_f32 v[36:37], v[12:13], v[54:55], v[36:37] op_sel_hi:[0,1,1] neg_lo:[1,0,0] neg_hi:[1,0,0]
	s_waitcnt vmcnt(6) lgkmcnt(3)
	v_pk_fma_f32 v[32:33], v[12:13], v[50:51], v[32:33] op_sel_hi:[0,1,1] neg_lo:[1,0,0] neg_hi:[1,0,0]
	;; [unrolled: 2-line block ×5, first 2 shown]
.LBB72_233:
	s_or_b64 exec, exec, s[0:1]
	v_lshl_add_u32 v44, v47, 2, v21
	s_barrier
	s_waitcnt vmcnt(22)
	ds_write_b32 v44, v13
	s_waitcnt lgkmcnt(0)
	s_barrier
	ds_read_b32 v49, v21 offset:56
	s_cmp_lt_i32 s22, 16
	v_mov_b32_e32 v44, 14
	s_cbranch_scc1 .LBB72_236
; %bb.234:
	v_add3_u32 v50, v46, 0, 60
	v_mov_b32_e32 v44, 14
	s_mov_b32 s0, 15
.LBB72_235:                             ; =>This Inner Loop Header: Depth=1
	ds_read_b32 v51, v50
	v_mov_b32_e32 v52, s0
	s_add_i32 s0, s0, 1
	v_add_u32_e32 v50, 4, v50
	s_cmp_lg_u32 s22, s0
	s_waitcnt lgkmcnt(0)
	v_cmp_lt_f32_e64 vcc, |v49|, |v51|
	s_nop 1
	v_cndmask_b32_e32 v49, v49, v51, vcc
	v_cndmask_b32_e32 v44, v44, v52, vcc
	s_cbranch_scc1 .LBB72_235
.LBB72_236:
	s_waitcnt lgkmcnt(0)
	v_cmp_eq_f32_e32 vcc, 0, v49
	s_and_saveexec_b64 s[0:1], vcc
	s_xor_b64 s[0:1], exec, s[0:1]
; %bb.237:
	v_cmp_ne_u32_e32 vcc, 0, v48
	s_nop 1
	v_cndmask_b32_e32 v48, 15, v48, vcc
; %bb.238:
	s_andn2_saveexec_b64 s[0:1], s[0:1]
	s_cbranch_execz .LBB72_240
; %bb.239:
	v_div_scale_f32 v50, s[2:3], v49, v49, 1.0
	v_rcp_f32_e32 v51, v50
	v_div_scale_f32 v52, vcc, 1.0, v49, 1.0
	v_fma_f32 v53, -v50, v51, 1.0
	v_fmac_f32_e32 v51, v53, v51
	v_mul_f32_e32 v53, v52, v51
	v_fma_f32 v54, -v50, v53, v52
	v_fmac_f32_e32 v53, v54, v51
	v_fma_f32 v50, -v50, v53, v52
	v_div_fmas_f32 v50, v50, v51, v53
	v_div_fixup_f32 v49, v50, v49, 1.0
.LBB72_240:
	s_or_b64 exec, exec, s[0:1]
	v_cmp_ne_u32_e32 vcc, v47, v44
	s_and_saveexec_b64 s[0:1], vcc
	s_xor_b64 s[0:1], exec, s[0:1]
	s_cbranch_execz .LBB72_246
; %bb.241:
	v_cmp_eq_u32_e32 vcc, 14, v47
	s_and_saveexec_b64 s[2:3], vcc
	s_cbranch_execz .LBB72_245
; %bb.242:
	v_cmp_ne_u32_e32 vcc, 14, v44
	s_xor_b64 s[18:19], s[16:17], -1
	s_and_b64 s[20:21], s[18:19], vcc
	s_and_saveexec_b64 s[18:19], s[20:21]
	s_cbranch_execz .LBB72_244
; %bb.243:
	v_ashrrev_i32_e32 v45, 31, v44
	v_lshl_add_u64 v[50:51], v[44:45], 2, v[22:23]
	global_load_dword v45, v[50:51], off
	global_load_dword v47, v[22:23], off offset:56
	s_waitcnt vmcnt(1)
	global_store_dword v[22:23], v45, off offset:56
	s_waitcnt vmcnt(1)
	global_store_dword v[50:51], v47, off
.LBB72_244:
	s_or_b64 exec, exec, s[18:19]
	v_mov_b32_e32 v45, v44
	v_mov_b32_e32 v47, v44
.LBB72_245:
	s_or_b64 exec, exec, s[2:3]
.LBB72_246:
	s_andn2_saveexec_b64 s[0:1], s[0:1]
	s_cbranch_execz .LBB72_248
; %bb.247:
	v_mov_b32_e32 v47, 14
	s_waitcnt vmcnt(20)
	ds_write2_b32 v21, v8, v9 offset0:15 offset1:16
	s_waitcnt vmcnt(18)
	ds_write2_b32 v21, v34, v35 offset0:17 offset1:18
	;; [unrolled: 2-line block ×11, first 2 shown]
.LBB72_248:
	s_or_b64 exec, exec, s[0:1]
	v_cmp_lt_i32_e32 vcc, 14, v47
	s_waitcnt lgkmcnt(0)
	s_barrier
	s_and_saveexec_b64 s[0:1], vcc
	s_cbranch_execz .LBB72_250
; %bb.249:
	ds_read2_b32 v[50:51], v21 offset0:15 offset1:16
	ds_read2_b32 v[52:53], v21 offset0:17 offset1:18
	;; [unrolled: 1-line block ×3, first 2 shown]
	v_mul_f32_e32 v44, v49, v13
	ds_read2_b32 v[56:57], v21 offset0:21 offset1:22
	s_waitcnt vmcnt(20) lgkmcnt(3)
	v_pk_fma_f32 v[8:9], v[44:45], v[50:51], v[8:9] op_sel_hi:[0,1,1] neg_lo:[1,0,0] neg_hi:[1,0,0]
	s_waitcnt vmcnt(18) lgkmcnt(2)
	v_pk_fma_f32 v[34:35], v[44:45], v[52:53], v[34:35] op_sel_hi:[0,1,1] neg_lo:[1,0,0] neg_hi:[1,0,0]
	ds_read2_b32 v[50:51], v21 offset0:23 offset1:24
	ds_read2_b32 v[52:53], v21 offset0:25 offset1:26
	s_waitcnt vmcnt(16) lgkmcnt(3)
	v_pk_fma_f32 v[30:31], v[44:45], v[54:55], v[30:31] op_sel_hi:[0,1,1] neg_lo:[1,0,0] neg_hi:[1,0,0]
	s_waitcnt vmcnt(14) lgkmcnt(2)
	v_pk_fma_f32 v[24:25], v[44:45], v[56:57], v[24:25] op_sel_hi:[0,1,1] neg_lo:[1,0,0] neg_hi:[1,0,0]
	ds_read2_b32 v[54:55], v21 offset0:27 offset1:28
	;; [unrolled: 6-line block ×3, first 2 shown]
	ds_read2_b32 v[52:53], v21 offset0:33 offset1:34
	ds_read2_b32 v[58:59], v21 offset0:35 offset1:36
	s_waitcnt vmcnt(8) lgkmcnt(4)
	v_pk_fma_f32 v[36:37], v[44:45], v[54:55], v[36:37] op_sel_hi:[0,1,1] neg_lo:[1,0,0] neg_hi:[1,0,0]
	s_waitcnt vmcnt(6) lgkmcnt(3)
	v_pk_fma_f32 v[32:33], v[44:45], v[56:57], v[32:33] op_sel_hi:[0,1,1] neg_lo:[1,0,0] neg_hi:[1,0,0]
	;; [unrolled: 2-line block ×5, first 2 shown]
	v_mov_b32_e32 v13, v44
.LBB72_250:
	s_or_b64 exec, exec, s[0:1]
	v_lshl_add_u32 v44, v47, 2, v21
	s_barrier
	s_waitcnt vmcnt(21)
	ds_write_b32 v44, v8
	s_waitcnt lgkmcnt(0)
	s_barrier
	ds_read_b32 v49, v21 offset:60
	s_cmp_lt_i32 s22, 17
	v_mov_b32_e32 v44, 15
	s_cbranch_scc1 .LBB72_253
; %bb.251:
	v_add3_u32 v46, v46, 0, 64
	v_mov_b32_e32 v44, 15
	s_mov_b32 s0, 16
.LBB72_252:                             ; =>This Inner Loop Header: Depth=1
	ds_read_b32 v50, v46
	v_mov_b32_e32 v51, s0
	s_add_i32 s0, s0, 1
	v_add_u32_e32 v46, 4, v46
	s_cmp_lg_u32 s22, s0
	s_waitcnt lgkmcnt(0)
	v_cmp_lt_f32_e64 vcc, |v49|, |v50|
	s_nop 1
	v_cndmask_b32_e32 v49, v49, v50, vcc
	v_cndmask_b32_e32 v44, v44, v51, vcc
	s_cbranch_scc1 .LBB72_252
.LBB72_253:
	s_waitcnt lgkmcnt(0)
	v_cmp_eq_f32_e32 vcc, 0, v49
	s_and_saveexec_b64 s[0:1], vcc
	s_xor_b64 s[0:1], exec, s[0:1]
; %bb.254:
	v_cmp_ne_u32_e32 vcc, 0, v48
	s_nop 1
	v_cndmask_b32_e32 v48, 16, v48, vcc
; %bb.255:
	s_andn2_saveexec_b64 s[0:1], s[0:1]
	s_cbranch_execz .LBB72_257
; %bb.256:
	v_div_scale_f32 v46, s[2:3], v49, v49, 1.0
	v_rcp_f32_e32 v50, v46
	v_div_scale_f32 v51, vcc, 1.0, v49, 1.0
	v_fma_f32 v52, -v46, v50, 1.0
	v_fmac_f32_e32 v50, v52, v50
	v_mul_f32_e32 v52, v51, v50
	v_fma_f32 v53, -v46, v52, v51
	v_fmac_f32_e32 v52, v53, v50
	v_fma_f32 v46, -v46, v52, v51
	v_div_fmas_f32 v46, v46, v50, v52
	v_div_fixup_f32 v49, v46, v49, 1.0
.LBB72_257:
	s_or_b64 exec, exec, s[0:1]
	v_cmp_ne_u32_e32 vcc, v47, v44
	s_and_saveexec_b64 s[0:1], vcc
	s_xor_b64 s[0:1], exec, s[0:1]
	s_cbranch_execz .LBB72_263
; %bb.258:
	v_cmp_eq_u32_e32 vcc, 15, v47
	s_and_saveexec_b64 s[2:3], vcc
	s_cbranch_execz .LBB72_262
; %bb.259:
	v_cmp_ne_u32_e32 vcc, 15, v44
	s_xor_b64 s[18:19], s[16:17], -1
	s_and_b64 s[20:21], s[18:19], vcc
	s_and_saveexec_b64 s[18:19], s[20:21]
	s_cbranch_execz .LBB72_261
; %bb.260:
	v_ashrrev_i32_e32 v45, 31, v44
	v_lshl_add_u64 v[46:47], v[44:45], 2, v[22:23]
	global_load_dword v45, v[46:47], off
	global_load_dword v50, v[22:23], off offset:60
	s_waitcnt vmcnt(1)
	global_store_dword v[22:23], v45, off offset:60
	s_waitcnt vmcnt(1)
	global_store_dword v[46:47], v50, off
.LBB72_261:
	s_or_b64 exec, exec, s[18:19]
	v_mov_b32_e32 v45, v44
	v_mov_b32_e32 v47, v44
.LBB72_262:
	s_or_b64 exec, exec, s[2:3]
.LBB72_263:
	s_andn2_saveexec_b64 s[0:1], s[0:1]
	s_cbranch_execz .LBB72_265
; %bb.264:
	s_waitcnt vmcnt(18)
	v_pk_mov_b32 v[46:47], v[8:9], v[34:35] op_sel:[1,0]
	ds_write2_b32 v21, v46, v47 offset0:16 offset1:17
	s_waitcnt vmcnt(16)
	v_pk_mov_b32 v[46:47], v[34:35], v[30:31] op_sel:[1,0]
	ds_write2_b32 v21, v46, v47 offset0:18 offset1:19
	;; [unrolled: 3-line block ×10, first 2 shown]
	ds_write_b32 v21, v39 offset:144
	v_mov_b32_e32 v47, 15
.LBB72_265:
	s_or_b64 exec, exec, s[0:1]
	v_cmp_lt_i32_e32 vcc, 15, v47
	s_waitcnt lgkmcnt(0)
	s_barrier
	s_and_saveexec_b64 s[0:1], vcc
	s_cbranch_execz .LBB72_267
; %bb.266:
	ds_read_b32 v44, v21 offset:64
	ds_read2_b32 v[50:51], v21 offset0:17 offset1:18
	ds_read2_b32 v[52:53], v21 offset0:19 offset1:20
	v_mul_f32_e32 v8, v49, v8
	ds_read2_b32 v[54:55], v21 offset0:21 offset1:22
	s_waitcnt vmcnt(20) lgkmcnt(3)
	v_fma_f32 v9, -v8, v44, v9
	s_waitcnt vmcnt(18) lgkmcnt(2)
	v_pk_fma_f32 v[34:35], v[8:9], v[50:51], v[34:35] op_sel_hi:[0,1,1] neg_lo:[1,0,0] neg_hi:[1,0,0]
	s_waitcnt vmcnt(16) lgkmcnt(1)
	v_pk_fma_f32 v[30:31], v[8:9], v[52:53], v[30:31] op_sel_hi:[0,1,1] neg_lo:[1,0,0] neg_hi:[1,0,0]
	ds_read2_b32 v[50:51], v21 offset0:23 offset1:24
	ds_read2_b32 v[52:53], v21 offset0:25 offset1:26
	s_waitcnt vmcnt(14) lgkmcnt(2)
	v_pk_fma_f32 v[24:25], v[8:9], v[54:55], v[24:25] op_sel_hi:[0,1,1] neg_lo:[1,0,0] neg_hi:[1,0,0]
	ds_read2_b32 v[54:55], v21 offset0:27 offset1:28
	ds_read2_b32 v[56:57], v21 offset0:29 offset1:30
	s_waitcnt vmcnt(12) lgkmcnt(3)
	v_pk_fma_f32 v[16:17], v[8:9], v[50:51], v[16:17] op_sel_hi:[0,1,1] neg_lo:[1,0,0] neg_hi:[1,0,0]
	s_waitcnt vmcnt(10) lgkmcnt(2)
	v_pk_fma_f32 v[42:43], v[8:9], v[52:53], v[42:43] op_sel_hi:[0,1,1] neg_lo:[1,0,0] neg_hi:[1,0,0]
	ds_read2_b32 v[50:51], v21 offset0:31 offset1:32
	ds_read2_b32 v[52:53], v21 offset0:33 offset1:34
	;; [unrolled: 1-line block ×3, first 2 shown]
	s_waitcnt vmcnt(8) lgkmcnt(4)
	v_pk_fma_f32 v[36:37], v[8:9], v[54:55], v[36:37] op_sel_hi:[0,1,1] neg_lo:[1,0,0] neg_hi:[1,0,0]
	s_waitcnt vmcnt(6) lgkmcnt(3)
	v_pk_fma_f32 v[32:33], v[8:9], v[56:57], v[32:33] op_sel_hi:[0,1,1] neg_lo:[1,0,0] neg_hi:[1,0,0]
	;; [unrolled: 2-line block ×5, first 2 shown]
.LBB72_267:
	s_or_b64 exec, exec, s[0:1]
	v_lshl_add_u32 v44, v47, 2, v21
	s_barrier
	s_waitcnt vmcnt(20)
	ds_write_b32 v44, v9
	s_waitcnt lgkmcnt(0)
	s_barrier
	ds_read_b32 v46, v21 offset:64
	s_cmp_lt_i32 s22, 18
	v_mov_b32_e32 v44, 16
	s_cbranch_scc1 .LBB72_270
; %bb.268:
	v_add_u32_e32 v49, 0x44, v21
	v_mov_b32_e32 v44, 16
	s_mov_b32 s0, 17
.LBB72_269:                             ; =>This Inner Loop Header: Depth=1
	ds_read_b32 v50, v49
	v_mov_b32_e32 v51, s0
	s_add_i32 s0, s0, 1
	v_add_u32_e32 v49, 4, v49
	s_cmp_lg_u32 s22, s0
	s_waitcnt lgkmcnt(0)
	v_cmp_lt_f32_e64 vcc, |v46|, |v50|
	s_nop 1
	v_cndmask_b32_e32 v46, v46, v50, vcc
	v_cndmask_b32_e32 v44, v44, v51, vcc
	s_cbranch_scc1 .LBB72_269
.LBB72_270:
	s_waitcnt lgkmcnt(0)
	v_cmp_eq_f32_e32 vcc, 0, v46
	s_and_saveexec_b64 s[0:1], vcc
	s_xor_b64 s[0:1], exec, s[0:1]
; %bb.271:
	v_cmp_ne_u32_e32 vcc, 0, v48
	s_nop 1
	v_cndmask_b32_e32 v48, 17, v48, vcc
; %bb.272:
	s_andn2_saveexec_b64 s[0:1], s[0:1]
	s_cbranch_execz .LBB72_274
; %bb.273:
	v_div_scale_f32 v49, s[2:3], v46, v46, 1.0
	v_rcp_f32_e32 v50, v49
	v_div_scale_f32 v51, vcc, 1.0, v46, 1.0
	v_fma_f32 v52, -v49, v50, 1.0
	v_fmac_f32_e32 v50, v52, v50
	v_mul_f32_e32 v52, v51, v50
	v_fma_f32 v53, -v49, v52, v51
	v_fmac_f32_e32 v52, v53, v50
	v_fma_f32 v49, -v49, v52, v51
	v_div_fmas_f32 v49, v49, v50, v52
	v_div_fixup_f32 v46, v49, v46, 1.0
.LBB72_274:
	s_or_b64 exec, exec, s[0:1]
	v_cmp_ne_u32_e32 vcc, v47, v44
	s_and_saveexec_b64 s[0:1], vcc
	s_xor_b64 s[0:1], exec, s[0:1]
	s_cbranch_execz .LBB72_280
; %bb.275:
	v_cmp_eq_u32_e32 vcc, 16, v47
	s_and_saveexec_b64 s[2:3], vcc
	s_cbranch_execz .LBB72_279
; %bb.276:
	v_cmp_ne_u32_e32 vcc, 16, v44
	s_xor_b64 s[18:19], s[16:17], -1
	s_and_b64 s[20:21], s[18:19], vcc
	s_and_saveexec_b64 s[18:19], s[20:21]
	s_cbranch_execz .LBB72_278
; %bb.277:
	v_ashrrev_i32_e32 v45, 31, v44
	v_lshl_add_u64 v[50:51], v[44:45], 2, v[22:23]
	global_load_dword v45, v[50:51], off
	global_load_dword v47, v[22:23], off offset:64
	s_waitcnt vmcnt(1)
	global_store_dword v[22:23], v45, off offset:64
	s_waitcnt vmcnt(1)
	global_store_dword v[50:51], v47, off
.LBB72_278:
	s_or_b64 exec, exec, s[18:19]
	v_mov_b32_e32 v45, v44
	v_mov_b32_e32 v47, v44
.LBB72_279:
	s_or_b64 exec, exec, s[2:3]
.LBB72_280:
	s_andn2_saveexec_b64 s[0:1], s[0:1]
	s_cbranch_execz .LBB72_282
; %bb.281:
	v_mov_b32_e32 v47, 16
	s_waitcnt vmcnt(18)
	ds_write2_b32 v21, v34, v35 offset0:17 offset1:18
	s_waitcnt vmcnt(16)
	ds_write2_b32 v21, v30, v31 offset0:19 offset1:20
	;; [unrolled: 2-line block ×10, first 2 shown]
.LBB72_282:
	s_or_b64 exec, exec, s[0:1]
	v_cmp_lt_i32_e32 vcc, 16, v47
	s_waitcnt lgkmcnt(0)
	s_barrier
	s_and_saveexec_b64 s[0:1], vcc
	s_cbranch_execz .LBB72_284
; %bb.283:
	ds_read2_b32 v[50:51], v21 offset0:17 offset1:18
	ds_read2_b32 v[52:53], v21 offset0:19 offset1:20
	;; [unrolled: 1-line block ×3, first 2 shown]
	v_mul_f32_e32 v44, v46, v9
	ds_read2_b32 v[56:57], v21 offset0:23 offset1:24
	s_waitcnt vmcnt(18) lgkmcnt(3)
	v_pk_fma_f32 v[34:35], v[44:45], v[50:51], v[34:35] op_sel_hi:[0,1,1] neg_lo:[1,0,0] neg_hi:[1,0,0]
	ds_read2_b32 v[50:51], v21 offset0:25 offset1:26
	s_waitcnt vmcnt(16) lgkmcnt(3)
	v_pk_fma_f32 v[30:31], v[44:45], v[52:53], v[30:31] op_sel_hi:[0,1,1] neg_lo:[1,0,0] neg_hi:[1,0,0]
	s_waitcnt vmcnt(14) lgkmcnt(2)
	v_pk_fma_f32 v[24:25], v[44:45], v[54:55], v[24:25] op_sel_hi:[0,1,1] neg_lo:[1,0,0] neg_hi:[1,0,0]
	;; [unrolled: 2-line block ×3, first 2 shown]
	ds_read2_b32 v[52:53], v21 offset0:27 offset1:28
	ds_read2_b32 v[54:55], v21 offset0:29 offset1:30
	ds_read2_b32 v[56:57], v21 offset0:31 offset1:32
	s_waitcnt vmcnt(10) lgkmcnt(3)
	v_pk_fma_f32 v[42:43], v[44:45], v[50:51], v[42:43] op_sel_hi:[0,1,1] neg_lo:[1,0,0] neg_hi:[1,0,0]
	ds_read2_b32 v[50:51], v21 offset0:33 offset1:34
	ds_read2_b32 v[58:59], v21 offset0:35 offset1:36
	s_waitcnt vmcnt(8) lgkmcnt(4)
	v_pk_fma_f32 v[36:37], v[44:45], v[52:53], v[36:37] op_sel_hi:[0,1,1] neg_lo:[1,0,0] neg_hi:[1,0,0]
	s_waitcnt vmcnt(6) lgkmcnt(3)
	v_pk_fma_f32 v[32:33], v[44:45], v[54:55], v[32:33] op_sel_hi:[0,1,1] neg_lo:[1,0,0] neg_hi:[1,0,0]
	;; [unrolled: 2-line block ×5, first 2 shown]
	v_mov_b32_e32 v9, v44
.LBB72_284:
	s_or_b64 exec, exec, s[0:1]
	v_lshl_add_u32 v44, v47, 2, v21
	s_barrier
	s_waitcnt vmcnt(19)
	ds_write_b32 v44, v34
	s_waitcnt lgkmcnt(0)
	s_barrier
	ds_read_b32 v46, v21 offset:68
	s_cmp_lt_i32 s22, 19
	v_mov_b32_e32 v44, 17
	s_cbranch_scc1 .LBB72_287
; %bb.285:
	v_add_u32_e32 v49, 0x48, v21
	v_mov_b32_e32 v44, 17
	s_mov_b32 s0, 18
.LBB72_286:                             ; =>This Inner Loop Header: Depth=1
	ds_read_b32 v50, v49
	v_mov_b32_e32 v51, s0
	s_add_i32 s0, s0, 1
	v_add_u32_e32 v49, 4, v49
	s_cmp_lg_u32 s22, s0
	s_waitcnt lgkmcnt(0)
	v_cmp_lt_f32_e64 vcc, |v46|, |v50|
	s_nop 1
	v_cndmask_b32_e32 v46, v46, v50, vcc
	v_cndmask_b32_e32 v44, v44, v51, vcc
	s_cbranch_scc1 .LBB72_286
.LBB72_287:
	s_waitcnt lgkmcnt(0)
	v_cmp_eq_f32_e32 vcc, 0, v46
	s_and_saveexec_b64 s[0:1], vcc
	s_xor_b64 s[0:1], exec, s[0:1]
; %bb.288:
	v_cmp_ne_u32_e32 vcc, 0, v48
	s_nop 1
	v_cndmask_b32_e32 v48, 18, v48, vcc
; %bb.289:
	s_andn2_saveexec_b64 s[0:1], s[0:1]
	s_cbranch_execz .LBB72_291
; %bb.290:
	v_div_scale_f32 v49, s[2:3], v46, v46, 1.0
	v_rcp_f32_e32 v50, v49
	v_div_scale_f32 v51, vcc, 1.0, v46, 1.0
	v_fma_f32 v52, -v49, v50, 1.0
	v_fmac_f32_e32 v50, v52, v50
	v_mul_f32_e32 v52, v51, v50
	v_fma_f32 v53, -v49, v52, v51
	v_fmac_f32_e32 v52, v53, v50
	v_fma_f32 v49, -v49, v52, v51
	v_div_fmas_f32 v49, v49, v50, v52
	v_div_fixup_f32 v46, v49, v46, 1.0
.LBB72_291:
	s_or_b64 exec, exec, s[0:1]
	v_cmp_ne_u32_e32 vcc, v47, v44
	s_and_saveexec_b64 s[0:1], vcc
	s_xor_b64 s[0:1], exec, s[0:1]
	s_cbranch_execz .LBB72_297
; %bb.292:
	v_cmp_eq_u32_e32 vcc, 17, v47
	s_and_saveexec_b64 s[2:3], vcc
	s_cbranch_execz .LBB72_296
; %bb.293:
	v_cmp_ne_u32_e32 vcc, 17, v44
	s_xor_b64 s[18:19], s[16:17], -1
	s_and_b64 s[20:21], s[18:19], vcc
	s_and_saveexec_b64 s[18:19], s[20:21]
	s_cbranch_execz .LBB72_295
; %bb.294:
	v_ashrrev_i32_e32 v45, 31, v44
	v_lshl_add_u64 v[50:51], v[44:45], 2, v[22:23]
	global_load_dword v45, v[50:51], off
	global_load_dword v47, v[22:23], off offset:68
	s_waitcnt vmcnt(1)
	global_store_dword v[22:23], v45, off offset:68
	s_waitcnt vmcnt(1)
	global_store_dword v[50:51], v47, off
.LBB72_295:
	s_or_b64 exec, exec, s[18:19]
	v_mov_b32_e32 v45, v44
	v_mov_b32_e32 v47, v44
.LBB72_296:
	s_or_b64 exec, exec, s[2:3]
.LBB72_297:
	s_andn2_saveexec_b64 s[0:1], s[0:1]
	s_cbranch_execz .LBB72_299
; %bb.298:
	s_waitcnt vmcnt(16)
	v_pk_mov_b32 v[50:51], v[34:35], v[30:31] op_sel:[1,0]
	ds_write2_b32 v21, v50, v51 offset0:18 offset1:19
	s_waitcnt vmcnt(14)
	v_pk_mov_b32 v[50:51], v[30:31], v[24:25] op_sel:[1,0]
	ds_write2_b32 v21, v50, v51 offset0:20 offset1:21
	;; [unrolled: 3-line block ×8, first 2 shown]
	s_waitcnt vmcnt(0)
	v_pk_mov_b32 v[50:51], v[40:41], v[38:39] op_sel:[1,0]
	v_mov_b32_e32 v47, 17
	ds_write2_b32 v21, v50, v51 offset0:34 offset1:35
	ds_write_b32 v21, v39 offset:144
.LBB72_299:
	s_or_b64 exec, exec, s[0:1]
	v_cmp_lt_i32_e32 vcc, 17, v47
	s_waitcnt lgkmcnt(0)
	s_barrier
	s_and_saveexec_b64 s[0:1], vcc
	s_cbranch_execz .LBB72_301
; %bb.300:
	ds_read_b32 v44, v21 offset:72
	ds_read2_b32 v[50:51], v21 offset0:19 offset1:20
	ds_read2_b32 v[52:53], v21 offset0:21 offset1:22
	v_mul_f32_e32 v34, v46, v34
	ds_read2_b32 v[54:55], v21 offset0:23 offset1:24
	s_waitcnt vmcnt(18) lgkmcnt(3)
	v_fma_f32 v35, -v34, v44, v35
	s_waitcnt vmcnt(16) lgkmcnt(2)
	v_pk_fma_f32 v[30:31], v[34:35], v[50:51], v[30:31] op_sel_hi:[0,1,1] neg_lo:[1,0,0] neg_hi:[1,0,0]
	ds_read2_b32 v[50:51], v21 offset0:25 offset1:26
	s_waitcnt vmcnt(14) lgkmcnt(2)
	v_pk_fma_f32 v[24:25], v[34:35], v[52:53], v[24:25] op_sel_hi:[0,1,1] neg_lo:[1,0,0] neg_hi:[1,0,0]
	s_waitcnt vmcnt(12) lgkmcnt(1)
	v_pk_fma_f32 v[16:17], v[34:35], v[54:55], v[16:17] op_sel_hi:[0,1,1] neg_lo:[1,0,0] neg_hi:[1,0,0]
	ds_read2_b32 v[52:53], v21 offset0:27 offset1:28
	ds_read2_b32 v[54:55], v21 offset0:29 offset1:30
	;; [unrolled: 1-line block ×3, first 2 shown]
	s_waitcnt vmcnt(10) lgkmcnt(3)
	v_pk_fma_f32 v[42:43], v[34:35], v[50:51], v[42:43] op_sel_hi:[0,1,1] neg_lo:[1,0,0] neg_hi:[1,0,0]
	ds_read2_b32 v[50:51], v21 offset0:33 offset1:34
	ds_read2_b32 v[58:59], v21 offset0:35 offset1:36
	s_waitcnt vmcnt(8) lgkmcnt(4)
	v_pk_fma_f32 v[36:37], v[34:35], v[52:53], v[36:37] op_sel_hi:[0,1,1] neg_lo:[1,0,0] neg_hi:[1,0,0]
	s_waitcnt vmcnt(6) lgkmcnt(3)
	v_pk_fma_f32 v[32:33], v[34:35], v[54:55], v[32:33] op_sel_hi:[0,1,1] neg_lo:[1,0,0] neg_hi:[1,0,0]
	;; [unrolled: 2-line block ×5, first 2 shown]
.LBB72_301:
	s_or_b64 exec, exec, s[0:1]
	v_lshl_add_u32 v44, v47, 2, v21
	s_barrier
	s_waitcnt vmcnt(18)
	ds_write_b32 v44, v35
	s_waitcnt lgkmcnt(0)
	s_barrier
	ds_read_b32 v46, v21 offset:72
	s_cmp_lt_i32 s22, 20
	v_mov_b32_e32 v44, 18
	s_cbranch_scc1 .LBB72_304
; %bb.302:
	v_add_u32_e32 v49, 0x4c, v21
	v_mov_b32_e32 v44, 18
	s_mov_b32 s0, 19
.LBB72_303:                             ; =>This Inner Loop Header: Depth=1
	ds_read_b32 v50, v49
	v_mov_b32_e32 v51, s0
	s_add_i32 s0, s0, 1
	v_add_u32_e32 v49, 4, v49
	s_cmp_lg_u32 s22, s0
	s_waitcnt lgkmcnt(0)
	v_cmp_lt_f32_e64 vcc, |v46|, |v50|
	s_nop 1
	v_cndmask_b32_e32 v46, v46, v50, vcc
	v_cndmask_b32_e32 v44, v44, v51, vcc
	s_cbranch_scc1 .LBB72_303
.LBB72_304:
	s_waitcnt lgkmcnt(0)
	v_cmp_eq_f32_e32 vcc, 0, v46
	s_and_saveexec_b64 s[0:1], vcc
	s_xor_b64 s[0:1], exec, s[0:1]
; %bb.305:
	v_cmp_ne_u32_e32 vcc, 0, v48
	s_nop 1
	v_cndmask_b32_e32 v48, 19, v48, vcc
; %bb.306:
	s_andn2_saveexec_b64 s[0:1], s[0:1]
	s_cbranch_execz .LBB72_308
; %bb.307:
	v_div_scale_f32 v49, s[2:3], v46, v46, 1.0
	v_rcp_f32_e32 v50, v49
	v_div_scale_f32 v51, vcc, 1.0, v46, 1.0
	v_fma_f32 v52, -v49, v50, 1.0
	v_fmac_f32_e32 v50, v52, v50
	v_mul_f32_e32 v52, v51, v50
	v_fma_f32 v53, -v49, v52, v51
	v_fmac_f32_e32 v52, v53, v50
	v_fma_f32 v49, -v49, v52, v51
	v_div_fmas_f32 v49, v49, v50, v52
	v_div_fixup_f32 v46, v49, v46, 1.0
.LBB72_308:
	s_or_b64 exec, exec, s[0:1]
	v_cmp_ne_u32_e32 vcc, v47, v44
	s_and_saveexec_b64 s[0:1], vcc
	s_xor_b64 s[0:1], exec, s[0:1]
	s_cbranch_execz .LBB72_314
; %bb.309:
	v_cmp_eq_u32_e32 vcc, 18, v47
	s_and_saveexec_b64 s[2:3], vcc
	s_cbranch_execz .LBB72_313
; %bb.310:
	v_cmp_ne_u32_e32 vcc, 18, v44
	s_xor_b64 s[18:19], s[16:17], -1
	s_and_b64 s[20:21], s[18:19], vcc
	s_and_saveexec_b64 s[18:19], s[20:21]
	s_cbranch_execz .LBB72_312
; %bb.311:
	v_ashrrev_i32_e32 v45, 31, v44
	v_lshl_add_u64 v[50:51], v[44:45], 2, v[22:23]
	global_load_dword v45, v[50:51], off
	global_load_dword v47, v[22:23], off offset:72
	s_waitcnt vmcnt(1)
	global_store_dword v[22:23], v45, off offset:72
	s_waitcnt vmcnt(1)
	global_store_dword v[50:51], v47, off
.LBB72_312:
	s_or_b64 exec, exec, s[18:19]
	v_mov_b32_e32 v45, v44
	v_mov_b32_e32 v47, v44
.LBB72_313:
	s_or_b64 exec, exec, s[2:3]
.LBB72_314:
	s_andn2_saveexec_b64 s[0:1], s[0:1]
	s_cbranch_execz .LBB72_316
; %bb.315:
	v_mov_b32_e32 v47, 18
	s_waitcnt vmcnt(16)
	ds_write2_b32 v21, v30, v31 offset0:19 offset1:20
	s_waitcnt vmcnt(14)
	ds_write2_b32 v21, v24, v25 offset0:21 offset1:22
	;; [unrolled: 2-line block ×9, first 2 shown]
.LBB72_316:
	s_or_b64 exec, exec, s[0:1]
	v_cmp_lt_i32_e32 vcc, 18, v47
	s_waitcnt lgkmcnt(0)
	s_barrier
	s_and_saveexec_b64 s[0:1], vcc
	s_cbranch_execz .LBB72_318
; %bb.317:
	ds_read2_b32 v[50:51], v21 offset0:19 offset1:20
	ds_read2_b32 v[52:53], v21 offset0:21 offset1:22
	;; [unrolled: 1-line block ×4, first 2 shown]
	v_mul_f32_e32 v44, v46, v35
	s_waitcnt vmcnt(16) lgkmcnt(3)
	v_pk_fma_f32 v[30:31], v[44:45], v[50:51], v[30:31] op_sel_hi:[0,1,1] neg_lo:[1,0,0] neg_hi:[1,0,0]
	s_waitcnt vmcnt(14) lgkmcnt(2)
	v_pk_fma_f32 v[24:25], v[44:45], v[52:53], v[24:25] op_sel_hi:[0,1,1] neg_lo:[1,0,0] neg_hi:[1,0,0]
	s_waitcnt vmcnt(12) lgkmcnt(1)
	v_pk_fma_f32 v[16:17], v[44:45], v[54:55], v[16:17] op_sel_hi:[0,1,1] neg_lo:[1,0,0] neg_hi:[1,0,0]
	s_waitcnt vmcnt(10) lgkmcnt(0)
	v_pk_fma_f32 v[42:43], v[44:45], v[56:57], v[42:43] op_sel_hi:[0,1,1] neg_lo:[1,0,0] neg_hi:[1,0,0]
	ds_read2_b32 v[50:51], v21 offset0:27 offset1:28
	ds_read2_b32 v[52:53], v21 offset0:29 offset1:30
	ds_read2_b32 v[54:55], v21 offset0:31 offset1:32
	ds_read2_b32 v[56:57], v21 offset0:33 offset1:34
	ds_read2_b32 v[58:59], v21 offset0:35 offset1:36
	s_waitcnt vmcnt(8) lgkmcnt(4)
	v_pk_fma_f32 v[36:37], v[44:45], v[50:51], v[36:37] op_sel_hi:[0,1,1] neg_lo:[1,0,0] neg_hi:[1,0,0]
	s_waitcnt vmcnt(6) lgkmcnt(3)
	v_pk_fma_f32 v[32:33], v[44:45], v[52:53], v[32:33] op_sel_hi:[0,1,1] neg_lo:[1,0,0] neg_hi:[1,0,0]
	;; [unrolled: 2-line block ×5, first 2 shown]
	v_mov_b32_e32 v35, v44
.LBB72_318:
	s_or_b64 exec, exec, s[0:1]
	v_lshl_add_u32 v44, v47, 2, v21
	s_barrier
	s_waitcnt vmcnt(17)
	ds_write_b32 v44, v30
	s_waitcnt lgkmcnt(0)
	s_barrier
	ds_read_b32 v46, v21 offset:76
	s_cmp_lt_i32 s22, 21
	v_mov_b32_e32 v44, 19
	s_cbranch_scc1 .LBB72_321
; %bb.319:
	v_add_u32_e32 v49, 0x50, v21
	v_mov_b32_e32 v44, 19
	s_mov_b32 s0, 20
.LBB72_320:                             ; =>This Inner Loop Header: Depth=1
	ds_read_b32 v50, v49
	v_mov_b32_e32 v51, s0
	s_add_i32 s0, s0, 1
	v_add_u32_e32 v49, 4, v49
	s_cmp_lg_u32 s22, s0
	s_waitcnt lgkmcnt(0)
	v_cmp_lt_f32_e64 vcc, |v46|, |v50|
	s_nop 1
	v_cndmask_b32_e32 v46, v46, v50, vcc
	v_cndmask_b32_e32 v44, v44, v51, vcc
	s_cbranch_scc1 .LBB72_320
.LBB72_321:
	s_waitcnt lgkmcnt(0)
	v_cmp_eq_f32_e32 vcc, 0, v46
	s_and_saveexec_b64 s[0:1], vcc
	s_xor_b64 s[0:1], exec, s[0:1]
; %bb.322:
	v_cmp_ne_u32_e32 vcc, 0, v48
	s_nop 1
	v_cndmask_b32_e32 v48, 20, v48, vcc
; %bb.323:
	s_andn2_saveexec_b64 s[0:1], s[0:1]
	s_cbranch_execz .LBB72_325
; %bb.324:
	v_div_scale_f32 v49, s[2:3], v46, v46, 1.0
	v_rcp_f32_e32 v50, v49
	v_div_scale_f32 v51, vcc, 1.0, v46, 1.0
	v_fma_f32 v52, -v49, v50, 1.0
	v_fmac_f32_e32 v50, v52, v50
	v_mul_f32_e32 v52, v51, v50
	v_fma_f32 v53, -v49, v52, v51
	v_fmac_f32_e32 v52, v53, v50
	v_fma_f32 v49, -v49, v52, v51
	v_div_fmas_f32 v49, v49, v50, v52
	v_div_fixup_f32 v46, v49, v46, 1.0
.LBB72_325:
	s_or_b64 exec, exec, s[0:1]
	v_cmp_ne_u32_e32 vcc, v47, v44
	s_and_saveexec_b64 s[0:1], vcc
	s_xor_b64 s[0:1], exec, s[0:1]
	s_cbranch_execz .LBB72_331
; %bb.326:
	v_cmp_eq_u32_e32 vcc, 19, v47
	s_and_saveexec_b64 s[2:3], vcc
	s_cbranch_execz .LBB72_330
; %bb.327:
	v_cmp_ne_u32_e32 vcc, 19, v44
	s_xor_b64 s[18:19], s[16:17], -1
	s_and_b64 s[20:21], s[18:19], vcc
	s_and_saveexec_b64 s[18:19], s[20:21]
	s_cbranch_execz .LBB72_329
; %bb.328:
	v_ashrrev_i32_e32 v45, 31, v44
	v_lshl_add_u64 v[50:51], v[44:45], 2, v[22:23]
	global_load_dword v45, v[50:51], off
	global_load_dword v47, v[22:23], off offset:76
	s_waitcnt vmcnt(1)
	global_store_dword v[22:23], v45, off offset:76
	s_waitcnt vmcnt(1)
	global_store_dword v[50:51], v47, off
.LBB72_329:
	s_or_b64 exec, exec, s[18:19]
	v_mov_b32_e32 v45, v44
	v_mov_b32_e32 v47, v44
.LBB72_330:
	s_or_b64 exec, exec, s[2:3]
.LBB72_331:
	s_andn2_saveexec_b64 s[0:1], s[0:1]
	s_cbranch_execz .LBB72_333
; %bb.332:
	s_waitcnt vmcnt(14)
	v_pk_mov_b32 v[50:51], v[30:31], v[24:25] op_sel:[1,0]
	ds_write2_b32 v21, v50, v51 offset0:20 offset1:21
	s_waitcnt vmcnt(12)
	v_pk_mov_b32 v[50:51], v[24:25], v[16:17] op_sel:[1,0]
	ds_write2_b32 v21, v50, v51 offset0:22 offset1:23
	;; [unrolled: 3-line block ×7, first 2 shown]
	s_waitcnt vmcnt(0)
	v_pk_mov_b32 v[50:51], v[40:41], v[38:39] op_sel:[1,0]
	v_mov_b32_e32 v47, 19
	ds_write2_b32 v21, v50, v51 offset0:34 offset1:35
	ds_write_b32 v21, v39 offset:144
.LBB72_333:
	s_or_b64 exec, exec, s[0:1]
	v_cmp_lt_i32_e32 vcc, 19, v47
	s_waitcnt lgkmcnt(0)
	s_barrier
	s_and_saveexec_b64 s[0:1], vcc
	s_cbranch_execz .LBB72_335
; %bb.334:
	ds_read_b32 v44, v21 offset:80
	ds_read2_b32 v[50:51], v21 offset0:21 offset1:22
	ds_read2_b32 v[52:53], v21 offset0:23 offset1:24
	;; [unrolled: 1-line block ×3, first 2 shown]
	v_mul_f32_e32 v30, v46, v30
	s_waitcnt vmcnt(16) lgkmcnt(3)
	v_fma_f32 v31, -v30, v44, v31
	s_waitcnt vmcnt(14) lgkmcnt(2)
	v_pk_fma_f32 v[24:25], v[30:31], v[50:51], v[24:25] op_sel_hi:[0,1,1] neg_lo:[1,0,0] neg_hi:[1,0,0]
	s_waitcnt vmcnt(12) lgkmcnt(1)
	v_pk_fma_f32 v[16:17], v[30:31], v[52:53], v[16:17] op_sel_hi:[0,1,1] neg_lo:[1,0,0] neg_hi:[1,0,0]
	;; [unrolled: 2-line block ×3, first 2 shown]
	ds_read2_b32 v[50:51], v21 offset0:27 offset1:28
	ds_read2_b32 v[52:53], v21 offset0:29 offset1:30
	;; [unrolled: 1-line block ×5, first 2 shown]
	s_waitcnt vmcnt(8) lgkmcnt(4)
	v_pk_fma_f32 v[36:37], v[30:31], v[50:51], v[36:37] op_sel_hi:[0,1,1] neg_lo:[1,0,0] neg_hi:[1,0,0]
	s_waitcnt vmcnt(6) lgkmcnt(3)
	v_pk_fma_f32 v[32:33], v[30:31], v[52:53], v[32:33] op_sel_hi:[0,1,1] neg_lo:[1,0,0] neg_hi:[1,0,0]
	;; [unrolled: 2-line block ×5, first 2 shown]
.LBB72_335:
	s_or_b64 exec, exec, s[0:1]
	v_lshl_add_u32 v44, v47, 2, v21
	s_barrier
	s_waitcnt vmcnt(16)
	ds_write_b32 v44, v31
	s_waitcnt lgkmcnt(0)
	s_barrier
	ds_read_b32 v46, v21 offset:80
	s_cmp_lt_i32 s22, 22
	v_mov_b32_e32 v44, 20
	s_cbranch_scc1 .LBB72_338
; %bb.336:
	v_add_u32_e32 v49, 0x54, v21
	v_mov_b32_e32 v44, 20
	s_mov_b32 s0, 21
.LBB72_337:                             ; =>This Inner Loop Header: Depth=1
	ds_read_b32 v50, v49
	v_mov_b32_e32 v51, s0
	s_add_i32 s0, s0, 1
	v_add_u32_e32 v49, 4, v49
	s_cmp_lg_u32 s22, s0
	s_waitcnt lgkmcnt(0)
	v_cmp_lt_f32_e64 vcc, |v46|, |v50|
	s_nop 1
	v_cndmask_b32_e32 v46, v46, v50, vcc
	v_cndmask_b32_e32 v44, v44, v51, vcc
	s_cbranch_scc1 .LBB72_337
.LBB72_338:
	s_waitcnt lgkmcnt(0)
	v_cmp_eq_f32_e32 vcc, 0, v46
	s_and_saveexec_b64 s[0:1], vcc
	s_xor_b64 s[0:1], exec, s[0:1]
; %bb.339:
	v_cmp_ne_u32_e32 vcc, 0, v48
	s_nop 1
	v_cndmask_b32_e32 v48, 21, v48, vcc
; %bb.340:
	s_andn2_saveexec_b64 s[0:1], s[0:1]
	s_cbranch_execz .LBB72_342
; %bb.341:
	v_div_scale_f32 v49, s[2:3], v46, v46, 1.0
	v_rcp_f32_e32 v50, v49
	v_div_scale_f32 v51, vcc, 1.0, v46, 1.0
	v_fma_f32 v52, -v49, v50, 1.0
	v_fmac_f32_e32 v50, v52, v50
	v_mul_f32_e32 v52, v51, v50
	v_fma_f32 v53, -v49, v52, v51
	v_fmac_f32_e32 v52, v53, v50
	v_fma_f32 v49, -v49, v52, v51
	v_div_fmas_f32 v49, v49, v50, v52
	v_div_fixup_f32 v46, v49, v46, 1.0
.LBB72_342:
	s_or_b64 exec, exec, s[0:1]
	v_cmp_ne_u32_e32 vcc, v47, v44
	s_and_saveexec_b64 s[0:1], vcc
	s_xor_b64 s[0:1], exec, s[0:1]
	s_cbranch_execz .LBB72_348
; %bb.343:
	v_cmp_eq_u32_e32 vcc, 20, v47
	s_and_saveexec_b64 s[2:3], vcc
	s_cbranch_execz .LBB72_347
; %bb.344:
	v_cmp_ne_u32_e32 vcc, 20, v44
	s_xor_b64 s[18:19], s[16:17], -1
	s_and_b64 s[20:21], s[18:19], vcc
	s_and_saveexec_b64 s[18:19], s[20:21]
	s_cbranch_execz .LBB72_346
; %bb.345:
	v_ashrrev_i32_e32 v45, 31, v44
	v_lshl_add_u64 v[50:51], v[44:45], 2, v[22:23]
	global_load_dword v45, v[50:51], off
	global_load_dword v47, v[22:23], off offset:80
	s_waitcnt vmcnt(1)
	global_store_dword v[22:23], v45, off offset:80
	s_waitcnt vmcnt(1)
	global_store_dword v[50:51], v47, off
.LBB72_346:
	s_or_b64 exec, exec, s[18:19]
	v_mov_b32_e32 v45, v44
	v_mov_b32_e32 v47, v44
.LBB72_347:
	s_or_b64 exec, exec, s[2:3]
.LBB72_348:
	s_andn2_saveexec_b64 s[0:1], s[0:1]
	s_cbranch_execz .LBB72_350
; %bb.349:
	v_mov_b32_e32 v47, 20
	s_waitcnt vmcnt(14)
	ds_write2_b32 v21, v24, v25 offset0:21 offset1:22
	s_waitcnt vmcnt(12)
	ds_write2_b32 v21, v16, v17 offset0:23 offset1:24
	;; [unrolled: 2-line block ×8, first 2 shown]
.LBB72_350:
	s_or_b64 exec, exec, s[0:1]
	v_cmp_lt_i32_e32 vcc, 20, v47
	s_waitcnt lgkmcnt(0)
	s_barrier
	s_and_saveexec_b64 s[0:1], vcc
	s_cbranch_execz .LBB72_352
; %bb.351:
	ds_read2_b32 v[50:51], v21 offset0:21 offset1:22
	ds_read2_b32 v[52:53], v21 offset0:23 offset1:24
	ds_read2_b32 v[54:55], v21 offset0:25 offset1:26
	v_mul_f32_e32 v44, v46, v31
	ds_read2_b32 v[56:57], v21 offset0:27 offset1:28
	s_waitcnt vmcnt(14) lgkmcnt(3)
	v_pk_fma_f32 v[24:25], v[44:45], v[50:51], v[24:25] op_sel_hi:[0,1,1] neg_lo:[1,0,0] neg_hi:[1,0,0]
	s_waitcnt vmcnt(12) lgkmcnt(2)
	v_pk_fma_f32 v[16:17], v[44:45], v[52:53], v[16:17] op_sel_hi:[0,1,1] neg_lo:[1,0,0] neg_hi:[1,0,0]
	;; [unrolled: 2-line block ×3, first 2 shown]
	ds_read2_b32 v[50:51], v21 offset0:29 offset1:30
	ds_read2_b32 v[52:53], v21 offset0:31 offset1:32
	;; [unrolled: 1-line block ×4, first 2 shown]
	s_waitcnt vmcnt(8) lgkmcnt(4)
	v_pk_fma_f32 v[36:37], v[44:45], v[56:57], v[36:37] op_sel_hi:[0,1,1] neg_lo:[1,0,0] neg_hi:[1,0,0]
	s_waitcnt vmcnt(6) lgkmcnt(3)
	v_pk_fma_f32 v[32:33], v[44:45], v[50:51], v[32:33] op_sel_hi:[0,1,1] neg_lo:[1,0,0] neg_hi:[1,0,0]
	s_waitcnt vmcnt(4) lgkmcnt(2)
	v_pk_fma_f32 v[26:27], v[44:45], v[52:53], v[26:27] op_sel_hi:[0,1,1] neg_lo:[1,0,0] neg_hi:[1,0,0]
	s_waitcnt vmcnt(2) lgkmcnt(1)
	v_pk_fma_f32 v[40:41], v[44:45], v[54:55], v[40:41] op_sel_hi:[0,1,1] neg_lo:[1,0,0] neg_hi:[1,0,0]
	s_waitcnt vmcnt(0) lgkmcnt(0)
	v_pk_fma_f32 v[38:39], v[44:45], v[58:59], v[38:39] op_sel_hi:[0,1,1] neg_lo:[1,0,0] neg_hi:[1,0,0]
	v_mov_b32_e32 v31, v44
.LBB72_352:
	s_or_b64 exec, exec, s[0:1]
	v_lshl_add_u32 v44, v47, 2, v21
	s_barrier
	s_waitcnt vmcnt(15)
	ds_write_b32 v44, v24
	s_waitcnt lgkmcnt(0)
	s_barrier
	ds_read_b32 v46, v21 offset:84
	s_cmp_lt_i32 s22, 23
	v_mov_b32_e32 v44, 21
	s_cbranch_scc1 .LBB72_355
; %bb.353:
	v_add_u32_e32 v49, 0x58, v21
	v_mov_b32_e32 v44, 21
	s_mov_b32 s0, 22
.LBB72_354:                             ; =>This Inner Loop Header: Depth=1
	ds_read_b32 v50, v49
	v_mov_b32_e32 v51, s0
	s_add_i32 s0, s0, 1
	v_add_u32_e32 v49, 4, v49
	s_cmp_lg_u32 s22, s0
	s_waitcnt lgkmcnt(0)
	v_cmp_lt_f32_e64 vcc, |v46|, |v50|
	s_nop 1
	v_cndmask_b32_e32 v46, v46, v50, vcc
	v_cndmask_b32_e32 v44, v44, v51, vcc
	s_cbranch_scc1 .LBB72_354
.LBB72_355:
	s_waitcnt lgkmcnt(0)
	v_cmp_eq_f32_e32 vcc, 0, v46
	s_and_saveexec_b64 s[0:1], vcc
	s_xor_b64 s[0:1], exec, s[0:1]
; %bb.356:
	v_cmp_ne_u32_e32 vcc, 0, v48
	s_nop 1
	v_cndmask_b32_e32 v48, 22, v48, vcc
; %bb.357:
	s_andn2_saveexec_b64 s[0:1], s[0:1]
	s_cbranch_execz .LBB72_359
; %bb.358:
	v_div_scale_f32 v49, s[2:3], v46, v46, 1.0
	v_rcp_f32_e32 v50, v49
	v_div_scale_f32 v51, vcc, 1.0, v46, 1.0
	v_fma_f32 v52, -v49, v50, 1.0
	v_fmac_f32_e32 v50, v52, v50
	v_mul_f32_e32 v52, v51, v50
	v_fma_f32 v53, -v49, v52, v51
	v_fmac_f32_e32 v52, v53, v50
	v_fma_f32 v49, -v49, v52, v51
	v_div_fmas_f32 v49, v49, v50, v52
	v_div_fixup_f32 v46, v49, v46, 1.0
.LBB72_359:
	s_or_b64 exec, exec, s[0:1]
	v_cmp_ne_u32_e32 vcc, v47, v44
	s_and_saveexec_b64 s[0:1], vcc
	s_xor_b64 s[0:1], exec, s[0:1]
	s_cbranch_execz .LBB72_365
; %bb.360:
	v_cmp_eq_u32_e32 vcc, 21, v47
	s_and_saveexec_b64 s[2:3], vcc
	s_cbranch_execz .LBB72_364
; %bb.361:
	v_cmp_ne_u32_e32 vcc, 21, v44
	s_xor_b64 s[18:19], s[16:17], -1
	s_and_b64 s[20:21], s[18:19], vcc
	s_and_saveexec_b64 s[18:19], s[20:21]
	s_cbranch_execz .LBB72_363
; %bb.362:
	v_ashrrev_i32_e32 v45, 31, v44
	v_lshl_add_u64 v[50:51], v[44:45], 2, v[22:23]
	global_load_dword v45, v[50:51], off
	global_load_dword v47, v[22:23], off offset:84
	s_waitcnt vmcnt(1)
	global_store_dword v[22:23], v45, off offset:84
	s_waitcnt vmcnt(1)
	global_store_dword v[50:51], v47, off
.LBB72_363:
	s_or_b64 exec, exec, s[18:19]
	v_mov_b32_e32 v45, v44
	v_mov_b32_e32 v47, v44
.LBB72_364:
	s_or_b64 exec, exec, s[2:3]
.LBB72_365:
	s_andn2_saveexec_b64 s[0:1], s[0:1]
	s_cbranch_execz .LBB72_367
; %bb.366:
	s_waitcnt vmcnt(12)
	v_pk_mov_b32 v[50:51], v[24:25], v[16:17] op_sel:[1,0]
	ds_write2_b32 v21, v50, v51 offset0:22 offset1:23
	s_waitcnt vmcnt(10)
	v_pk_mov_b32 v[50:51], v[16:17], v[42:43] op_sel:[1,0]
	ds_write2_b32 v21, v50, v51 offset0:24 offset1:25
	;; [unrolled: 3-line block ×6, first 2 shown]
	s_waitcnt vmcnt(0)
	v_pk_mov_b32 v[50:51], v[40:41], v[38:39] op_sel:[1,0]
	v_mov_b32_e32 v47, 21
	ds_write2_b32 v21, v50, v51 offset0:34 offset1:35
	ds_write_b32 v21, v39 offset:144
.LBB72_367:
	s_or_b64 exec, exec, s[0:1]
	v_cmp_lt_i32_e32 vcc, 21, v47
	s_waitcnt lgkmcnt(0)
	s_barrier
	s_and_saveexec_b64 s[0:1], vcc
	s_cbranch_execz .LBB72_369
; %bb.368:
	ds_read_b32 v44, v21 offset:88
	ds_read2_b32 v[50:51], v21 offset0:23 offset1:24
	ds_read2_b32 v[52:53], v21 offset0:25 offset1:26
	v_mul_f32_e32 v24, v46, v24
	ds_read2_b32 v[54:55], v21 offset0:27 offset1:28
	s_waitcnt vmcnt(14) lgkmcnt(3)
	v_fma_f32 v25, -v24, v44, v25
	s_waitcnt vmcnt(12) lgkmcnt(2)
	v_pk_fma_f32 v[16:17], v[24:25], v[50:51], v[16:17] op_sel_hi:[0,1,1] neg_lo:[1,0,0] neg_hi:[1,0,0]
	s_waitcnt vmcnt(10) lgkmcnt(1)
	v_pk_fma_f32 v[42:43], v[24:25], v[52:53], v[42:43] op_sel_hi:[0,1,1] neg_lo:[1,0,0] neg_hi:[1,0,0]
	ds_read2_b32 v[50:51], v21 offset0:29 offset1:30
	ds_read2_b32 v[52:53], v21 offset0:31 offset1:32
	ds_read2_b32 v[56:57], v21 offset0:33 offset1:34
	ds_read2_b32 v[58:59], v21 offset0:35 offset1:36
	s_waitcnt vmcnt(8) lgkmcnt(4)
	v_pk_fma_f32 v[36:37], v[24:25], v[54:55], v[36:37] op_sel_hi:[0,1,1] neg_lo:[1,0,0] neg_hi:[1,0,0]
	s_waitcnt vmcnt(6) lgkmcnt(3)
	v_pk_fma_f32 v[32:33], v[24:25], v[50:51], v[32:33] op_sel_hi:[0,1,1] neg_lo:[1,0,0] neg_hi:[1,0,0]
	;; [unrolled: 2-line block ×5, first 2 shown]
.LBB72_369:
	s_or_b64 exec, exec, s[0:1]
	v_lshl_add_u32 v44, v47, 2, v21
	s_barrier
	s_waitcnt vmcnt(14)
	ds_write_b32 v44, v25
	s_waitcnt lgkmcnt(0)
	s_barrier
	ds_read_b32 v46, v21 offset:88
	s_cmp_lt_i32 s22, 24
	v_mov_b32_e32 v44, 22
	s_cbranch_scc1 .LBB72_372
; %bb.370:
	v_add_u32_e32 v49, 0x5c, v21
	v_mov_b32_e32 v44, 22
	s_mov_b32 s0, 23
.LBB72_371:                             ; =>This Inner Loop Header: Depth=1
	ds_read_b32 v50, v49
	v_mov_b32_e32 v51, s0
	s_add_i32 s0, s0, 1
	v_add_u32_e32 v49, 4, v49
	s_cmp_lg_u32 s22, s0
	s_waitcnt lgkmcnt(0)
	v_cmp_lt_f32_e64 vcc, |v46|, |v50|
	s_nop 1
	v_cndmask_b32_e32 v46, v46, v50, vcc
	v_cndmask_b32_e32 v44, v44, v51, vcc
	s_cbranch_scc1 .LBB72_371
.LBB72_372:
	s_waitcnt lgkmcnt(0)
	v_cmp_eq_f32_e32 vcc, 0, v46
	s_and_saveexec_b64 s[0:1], vcc
	s_xor_b64 s[0:1], exec, s[0:1]
; %bb.373:
	v_cmp_ne_u32_e32 vcc, 0, v48
	s_nop 1
	v_cndmask_b32_e32 v48, 23, v48, vcc
; %bb.374:
	s_andn2_saveexec_b64 s[0:1], s[0:1]
	s_cbranch_execz .LBB72_376
; %bb.375:
	v_div_scale_f32 v49, s[2:3], v46, v46, 1.0
	v_rcp_f32_e32 v50, v49
	v_div_scale_f32 v51, vcc, 1.0, v46, 1.0
	v_fma_f32 v52, -v49, v50, 1.0
	v_fmac_f32_e32 v50, v52, v50
	v_mul_f32_e32 v52, v51, v50
	v_fma_f32 v53, -v49, v52, v51
	v_fmac_f32_e32 v52, v53, v50
	v_fma_f32 v49, -v49, v52, v51
	v_div_fmas_f32 v49, v49, v50, v52
	v_div_fixup_f32 v46, v49, v46, 1.0
.LBB72_376:
	s_or_b64 exec, exec, s[0:1]
	v_cmp_ne_u32_e32 vcc, v47, v44
	s_and_saveexec_b64 s[0:1], vcc
	s_xor_b64 s[0:1], exec, s[0:1]
	s_cbranch_execz .LBB72_382
; %bb.377:
	v_cmp_eq_u32_e32 vcc, 22, v47
	s_and_saveexec_b64 s[2:3], vcc
	s_cbranch_execz .LBB72_381
; %bb.378:
	v_cmp_ne_u32_e32 vcc, 22, v44
	s_xor_b64 s[18:19], s[16:17], -1
	s_and_b64 s[20:21], s[18:19], vcc
	s_and_saveexec_b64 s[18:19], s[20:21]
	s_cbranch_execz .LBB72_380
; %bb.379:
	v_ashrrev_i32_e32 v45, 31, v44
	v_lshl_add_u64 v[50:51], v[44:45], 2, v[22:23]
	global_load_dword v45, v[50:51], off
	global_load_dword v47, v[22:23], off offset:88
	s_waitcnt vmcnt(1)
	global_store_dword v[22:23], v45, off offset:88
	s_waitcnt vmcnt(1)
	global_store_dword v[50:51], v47, off
.LBB72_380:
	s_or_b64 exec, exec, s[18:19]
	v_mov_b32_e32 v45, v44
	v_mov_b32_e32 v47, v44
.LBB72_381:
	s_or_b64 exec, exec, s[2:3]
.LBB72_382:
	s_andn2_saveexec_b64 s[0:1], s[0:1]
	s_cbranch_execz .LBB72_384
; %bb.383:
	v_mov_b32_e32 v47, 22
	s_waitcnt vmcnt(12)
	ds_write2_b32 v21, v16, v17 offset0:23 offset1:24
	s_waitcnt vmcnt(10)
	ds_write2_b32 v21, v42, v43 offset0:25 offset1:26
	;; [unrolled: 2-line block ×7, first 2 shown]
.LBB72_384:
	s_or_b64 exec, exec, s[0:1]
	v_cmp_lt_i32_e32 vcc, 22, v47
	s_waitcnt lgkmcnt(0)
	s_barrier
	s_and_saveexec_b64 s[0:1], vcc
	s_cbranch_execz .LBB72_386
; %bb.385:
	ds_read2_b32 v[50:51], v21 offset0:23 offset1:24
	ds_read2_b32 v[52:53], v21 offset0:25 offset1:26
	v_mul_f32_e32 v44, v46, v25
	ds_read2_b32 v[54:55], v21 offset0:27 offset1:28
	ds_read2_b32 v[56:57], v21 offset0:29 offset1:30
	v_mov_b32_e32 v25, v44
	s_waitcnt vmcnt(12) lgkmcnt(3)
	v_pk_fma_f32 v[16:17], v[44:45], v[50:51], v[16:17] op_sel_hi:[0,1,1] neg_lo:[1,0,0] neg_hi:[1,0,0]
	s_waitcnt vmcnt(10) lgkmcnt(2)
	v_pk_fma_f32 v[42:43], v[44:45], v[52:53], v[42:43] op_sel_hi:[0,1,1] neg_lo:[1,0,0] neg_hi:[1,0,0]
	ds_read2_b32 v[50:51], v21 offset0:31 offset1:32
	ds_read2_b32 v[52:53], v21 offset0:33 offset1:34
	;; [unrolled: 1-line block ×3, first 2 shown]
	s_waitcnt vmcnt(8) lgkmcnt(4)
	v_pk_fma_f32 v[36:37], v[44:45], v[54:55], v[36:37] op_sel_hi:[0,1,1] neg_lo:[1,0,0] neg_hi:[1,0,0]
	s_waitcnt vmcnt(6) lgkmcnt(3)
	v_pk_fma_f32 v[32:33], v[44:45], v[56:57], v[32:33] op_sel_hi:[0,1,1] neg_lo:[1,0,0] neg_hi:[1,0,0]
	s_waitcnt vmcnt(4) lgkmcnt(2)
	v_pk_fma_f32 v[26:27], v[44:45], v[50:51], v[26:27] op_sel_hi:[0,1,1] neg_lo:[1,0,0] neg_hi:[1,0,0]
	s_waitcnt vmcnt(2) lgkmcnt(1)
	v_pk_fma_f32 v[40:41], v[44:45], v[52:53], v[40:41] op_sel_hi:[0,1,1] neg_lo:[1,0,0] neg_hi:[1,0,0]
	s_waitcnt vmcnt(0) lgkmcnt(0)
	v_pk_fma_f32 v[38:39], v[44:45], v[58:59], v[38:39] op_sel_hi:[0,1,1] neg_lo:[1,0,0] neg_hi:[1,0,0]
.LBB72_386:
	s_or_b64 exec, exec, s[0:1]
	v_lshl_add_u32 v44, v47, 2, v21
	s_barrier
	s_waitcnt vmcnt(13)
	ds_write_b32 v44, v16
	s_waitcnt lgkmcnt(0)
	s_barrier
	ds_read_b32 v46, v21 offset:92
	s_cmp_lt_i32 s22, 25
	v_mov_b32_e32 v44, 23
	s_cbranch_scc1 .LBB72_389
; %bb.387:
	v_add_u32_e32 v49, 0x60, v21
	v_mov_b32_e32 v44, 23
	s_mov_b32 s0, 24
.LBB72_388:                             ; =>This Inner Loop Header: Depth=1
	ds_read_b32 v50, v49
	v_mov_b32_e32 v51, s0
	s_add_i32 s0, s0, 1
	v_add_u32_e32 v49, 4, v49
	s_cmp_lg_u32 s22, s0
	s_waitcnt lgkmcnt(0)
	v_cmp_lt_f32_e64 vcc, |v46|, |v50|
	s_nop 1
	v_cndmask_b32_e32 v46, v46, v50, vcc
	v_cndmask_b32_e32 v44, v44, v51, vcc
	s_cbranch_scc1 .LBB72_388
.LBB72_389:
	s_waitcnt lgkmcnt(0)
	v_cmp_eq_f32_e32 vcc, 0, v46
	s_and_saveexec_b64 s[0:1], vcc
	s_xor_b64 s[0:1], exec, s[0:1]
; %bb.390:
	v_cmp_ne_u32_e32 vcc, 0, v48
	s_nop 1
	v_cndmask_b32_e32 v48, 24, v48, vcc
; %bb.391:
	s_andn2_saveexec_b64 s[0:1], s[0:1]
	s_cbranch_execz .LBB72_393
; %bb.392:
	v_div_scale_f32 v49, s[2:3], v46, v46, 1.0
	v_rcp_f32_e32 v50, v49
	v_div_scale_f32 v51, vcc, 1.0, v46, 1.0
	v_fma_f32 v52, -v49, v50, 1.0
	v_fmac_f32_e32 v50, v52, v50
	v_mul_f32_e32 v52, v51, v50
	v_fma_f32 v53, -v49, v52, v51
	v_fmac_f32_e32 v52, v53, v50
	v_fma_f32 v49, -v49, v52, v51
	v_div_fmas_f32 v49, v49, v50, v52
	v_div_fixup_f32 v46, v49, v46, 1.0
.LBB72_393:
	s_or_b64 exec, exec, s[0:1]
	v_cmp_ne_u32_e32 vcc, v47, v44
	s_and_saveexec_b64 s[0:1], vcc
	s_xor_b64 s[0:1], exec, s[0:1]
	s_cbranch_execz .LBB72_399
; %bb.394:
	v_cmp_eq_u32_e32 vcc, 23, v47
	s_and_saveexec_b64 s[2:3], vcc
	s_cbranch_execz .LBB72_398
; %bb.395:
	v_cmp_ne_u32_e32 vcc, 23, v44
	s_xor_b64 s[18:19], s[16:17], -1
	s_and_b64 s[20:21], s[18:19], vcc
	s_and_saveexec_b64 s[18:19], s[20:21]
	s_cbranch_execz .LBB72_397
; %bb.396:
	v_ashrrev_i32_e32 v45, 31, v44
	v_lshl_add_u64 v[50:51], v[44:45], 2, v[22:23]
	global_load_dword v45, v[50:51], off
	global_load_dword v47, v[22:23], off offset:92
	s_waitcnt vmcnt(1)
	global_store_dword v[22:23], v45, off offset:92
	s_waitcnt vmcnt(1)
	global_store_dword v[50:51], v47, off
.LBB72_397:
	s_or_b64 exec, exec, s[18:19]
	v_mov_b32_e32 v45, v44
	v_mov_b32_e32 v47, v44
.LBB72_398:
	s_or_b64 exec, exec, s[2:3]
.LBB72_399:
	s_andn2_saveexec_b64 s[0:1], s[0:1]
	s_cbranch_execz .LBB72_401
; %bb.400:
	s_waitcnt vmcnt(10)
	v_pk_mov_b32 v[50:51], v[16:17], v[42:43] op_sel:[1,0]
	ds_write2_b32 v21, v50, v51 offset0:24 offset1:25
	s_waitcnt vmcnt(8)
	v_pk_mov_b32 v[50:51], v[42:43], v[36:37] op_sel:[1,0]
	ds_write2_b32 v21, v50, v51 offset0:26 offset1:27
	;; [unrolled: 3-line block ×5, first 2 shown]
	s_waitcnt vmcnt(0)
	v_pk_mov_b32 v[50:51], v[40:41], v[38:39] op_sel:[1,0]
	v_mov_b32_e32 v47, 23
	ds_write2_b32 v21, v50, v51 offset0:34 offset1:35
	ds_write_b32 v21, v39 offset:144
.LBB72_401:
	s_or_b64 exec, exec, s[0:1]
	v_cmp_lt_i32_e32 vcc, 23, v47
	s_waitcnt lgkmcnt(0)
	s_barrier
	s_and_saveexec_b64 s[0:1], vcc
	s_cbranch_execz .LBB72_403
; %bb.402:
	ds_read_b32 v44, v21 offset:96
	ds_read2_b32 v[50:51], v21 offset0:25 offset1:26
	v_mul_f32_e32 v16, v46, v16
	ds_read2_b32 v[52:53], v21 offset0:27 offset1:28
	ds_read2_b32 v[54:55], v21 offset0:29 offset1:30
	s_waitcnt vmcnt(12) lgkmcnt(3)
	v_fma_f32 v17, -v16, v44, v17
	s_waitcnt vmcnt(10) lgkmcnt(2)
	v_pk_fma_f32 v[42:43], v[16:17], v[50:51], v[42:43] op_sel_hi:[0,1,1] neg_lo:[1,0,0] neg_hi:[1,0,0]
	ds_read2_b32 v[50:51], v21 offset0:31 offset1:32
	ds_read2_b32 v[56:57], v21 offset0:33 offset1:34
	;; [unrolled: 1-line block ×3, first 2 shown]
	s_waitcnt vmcnt(8) lgkmcnt(4)
	v_pk_fma_f32 v[36:37], v[16:17], v[52:53], v[36:37] op_sel_hi:[0,1,1] neg_lo:[1,0,0] neg_hi:[1,0,0]
	s_waitcnt vmcnt(6) lgkmcnt(3)
	v_pk_fma_f32 v[32:33], v[16:17], v[54:55], v[32:33] op_sel_hi:[0,1,1] neg_lo:[1,0,0] neg_hi:[1,0,0]
	;; [unrolled: 2-line block ×5, first 2 shown]
.LBB72_403:
	s_or_b64 exec, exec, s[0:1]
	v_lshl_add_u32 v44, v47, 2, v21
	s_barrier
	s_waitcnt vmcnt(12)
	ds_write_b32 v44, v17
	s_waitcnt lgkmcnt(0)
	s_barrier
	ds_read_b32 v46, v21 offset:96
	s_cmp_lt_i32 s22, 26
	v_mov_b32_e32 v44, 24
	s_cbranch_scc1 .LBB72_406
; %bb.404:
	v_add_u32_e32 v49, 0x64, v21
	v_mov_b32_e32 v44, 24
	s_mov_b32 s0, 25
.LBB72_405:                             ; =>This Inner Loop Header: Depth=1
	ds_read_b32 v50, v49
	v_mov_b32_e32 v51, s0
	s_add_i32 s0, s0, 1
	v_add_u32_e32 v49, 4, v49
	s_cmp_lg_u32 s22, s0
	s_waitcnt lgkmcnt(0)
	v_cmp_lt_f32_e64 vcc, |v46|, |v50|
	s_nop 1
	v_cndmask_b32_e32 v46, v46, v50, vcc
	v_cndmask_b32_e32 v44, v44, v51, vcc
	s_cbranch_scc1 .LBB72_405
.LBB72_406:
	s_waitcnt lgkmcnt(0)
	v_cmp_eq_f32_e32 vcc, 0, v46
	s_and_saveexec_b64 s[0:1], vcc
	s_xor_b64 s[0:1], exec, s[0:1]
; %bb.407:
	v_cmp_ne_u32_e32 vcc, 0, v48
	s_nop 1
	v_cndmask_b32_e32 v48, 25, v48, vcc
; %bb.408:
	s_andn2_saveexec_b64 s[0:1], s[0:1]
	s_cbranch_execz .LBB72_410
; %bb.409:
	v_div_scale_f32 v49, s[2:3], v46, v46, 1.0
	v_rcp_f32_e32 v50, v49
	v_div_scale_f32 v51, vcc, 1.0, v46, 1.0
	v_fma_f32 v52, -v49, v50, 1.0
	v_fmac_f32_e32 v50, v52, v50
	v_mul_f32_e32 v52, v51, v50
	v_fma_f32 v53, -v49, v52, v51
	v_fmac_f32_e32 v52, v53, v50
	v_fma_f32 v49, -v49, v52, v51
	v_div_fmas_f32 v49, v49, v50, v52
	v_div_fixup_f32 v46, v49, v46, 1.0
.LBB72_410:
	s_or_b64 exec, exec, s[0:1]
	v_cmp_ne_u32_e32 vcc, v47, v44
	s_and_saveexec_b64 s[0:1], vcc
	s_xor_b64 s[0:1], exec, s[0:1]
	s_cbranch_execz .LBB72_416
; %bb.411:
	v_cmp_eq_u32_e32 vcc, 24, v47
	s_and_saveexec_b64 s[2:3], vcc
	s_cbranch_execz .LBB72_415
; %bb.412:
	v_cmp_ne_u32_e32 vcc, 24, v44
	s_xor_b64 s[18:19], s[16:17], -1
	s_and_b64 s[20:21], s[18:19], vcc
	s_and_saveexec_b64 s[18:19], s[20:21]
	s_cbranch_execz .LBB72_414
; %bb.413:
	v_ashrrev_i32_e32 v45, 31, v44
	v_lshl_add_u64 v[50:51], v[44:45], 2, v[22:23]
	global_load_dword v45, v[50:51], off
	global_load_dword v47, v[22:23], off offset:96
	s_waitcnt vmcnt(1)
	global_store_dword v[22:23], v45, off offset:96
	s_waitcnt vmcnt(1)
	global_store_dword v[50:51], v47, off
.LBB72_414:
	s_or_b64 exec, exec, s[18:19]
	v_mov_b32_e32 v45, v44
	v_mov_b32_e32 v47, v44
.LBB72_415:
	s_or_b64 exec, exec, s[2:3]
.LBB72_416:
	s_andn2_saveexec_b64 s[0:1], s[0:1]
	s_cbranch_execz .LBB72_418
; %bb.417:
	v_mov_b32_e32 v47, 24
	s_waitcnt vmcnt(10)
	ds_write2_b32 v21, v42, v43 offset0:25 offset1:26
	s_waitcnt vmcnt(8)
	ds_write2_b32 v21, v36, v37 offset0:27 offset1:28
	;; [unrolled: 2-line block ×6, first 2 shown]
.LBB72_418:
	s_or_b64 exec, exec, s[0:1]
	v_cmp_lt_i32_e32 vcc, 24, v47
	s_waitcnt lgkmcnt(0)
	s_barrier
	s_and_saveexec_b64 s[0:1], vcc
	s_cbranch_execz .LBB72_420
; %bb.419:
	ds_read2_b32 v[50:51], v21 offset0:25 offset1:26
	v_mul_f32_e32 v44, v46, v17
	ds_read2_b32 v[52:53], v21 offset0:27 offset1:28
	ds_read2_b32 v[54:55], v21 offset0:29 offset1:30
	ds_read2_b32 v[56:57], v21 offset0:31 offset1:32
	v_mov_b32_e32 v17, v44
	s_waitcnt vmcnt(8) lgkmcnt(2)
	v_pk_fma_f32 v[36:37], v[44:45], v[52:53], v[36:37] op_sel_hi:[0,1,1] neg_lo:[1,0,0] neg_hi:[1,0,0]
	v_pk_fma_f32 v[42:43], v[44:45], v[50:51], v[42:43] op_sel_hi:[0,1,1] neg_lo:[1,0,0] neg_hi:[1,0,0]
	ds_read2_b32 v[50:51], v21 offset0:33 offset1:34
	ds_read2_b32 v[58:59], v21 offset0:35 offset1:36
	s_waitcnt vmcnt(6) lgkmcnt(3)
	v_pk_fma_f32 v[32:33], v[44:45], v[54:55], v[32:33] op_sel_hi:[0,1,1] neg_lo:[1,0,0] neg_hi:[1,0,0]
	s_waitcnt vmcnt(4) lgkmcnt(2)
	v_pk_fma_f32 v[26:27], v[44:45], v[56:57], v[26:27] op_sel_hi:[0,1,1] neg_lo:[1,0,0] neg_hi:[1,0,0]
	;; [unrolled: 2-line block ×4, first 2 shown]
.LBB72_420:
	s_or_b64 exec, exec, s[0:1]
	v_lshl_add_u32 v44, v47, 2, v21
	s_barrier
	s_waitcnt vmcnt(11)
	ds_write_b32 v44, v42
	s_waitcnt lgkmcnt(0)
	s_barrier
	ds_read_b32 v46, v21 offset:100
	s_cmp_lt_i32 s22, 27
	v_mov_b32_e32 v44, 25
	s_cbranch_scc1 .LBB72_423
; %bb.421:
	v_add_u32_e32 v49, 0x68, v21
	v_mov_b32_e32 v44, 25
	s_mov_b32 s0, 26
.LBB72_422:                             ; =>This Inner Loop Header: Depth=1
	ds_read_b32 v50, v49
	v_mov_b32_e32 v51, s0
	s_add_i32 s0, s0, 1
	v_add_u32_e32 v49, 4, v49
	s_cmp_lg_u32 s22, s0
	s_waitcnt lgkmcnt(0)
	v_cmp_lt_f32_e64 vcc, |v46|, |v50|
	s_nop 1
	v_cndmask_b32_e32 v46, v46, v50, vcc
	v_cndmask_b32_e32 v44, v44, v51, vcc
	s_cbranch_scc1 .LBB72_422
.LBB72_423:
	s_waitcnt lgkmcnt(0)
	v_cmp_eq_f32_e32 vcc, 0, v46
	s_and_saveexec_b64 s[0:1], vcc
	s_xor_b64 s[0:1], exec, s[0:1]
; %bb.424:
	v_cmp_ne_u32_e32 vcc, 0, v48
	s_nop 1
	v_cndmask_b32_e32 v48, 26, v48, vcc
; %bb.425:
	s_andn2_saveexec_b64 s[0:1], s[0:1]
	s_cbranch_execz .LBB72_427
; %bb.426:
	v_div_scale_f32 v49, s[2:3], v46, v46, 1.0
	v_rcp_f32_e32 v50, v49
	v_div_scale_f32 v51, vcc, 1.0, v46, 1.0
	v_fma_f32 v52, -v49, v50, 1.0
	v_fmac_f32_e32 v50, v52, v50
	v_mul_f32_e32 v52, v51, v50
	v_fma_f32 v53, -v49, v52, v51
	v_fmac_f32_e32 v52, v53, v50
	v_fma_f32 v49, -v49, v52, v51
	v_div_fmas_f32 v49, v49, v50, v52
	v_div_fixup_f32 v46, v49, v46, 1.0
.LBB72_427:
	s_or_b64 exec, exec, s[0:1]
	v_cmp_ne_u32_e32 vcc, v47, v44
	s_and_saveexec_b64 s[0:1], vcc
	s_xor_b64 s[0:1], exec, s[0:1]
	s_cbranch_execz .LBB72_433
; %bb.428:
	v_cmp_eq_u32_e32 vcc, 25, v47
	s_and_saveexec_b64 s[2:3], vcc
	s_cbranch_execz .LBB72_432
; %bb.429:
	v_cmp_ne_u32_e32 vcc, 25, v44
	s_xor_b64 s[18:19], s[16:17], -1
	s_and_b64 s[20:21], s[18:19], vcc
	s_and_saveexec_b64 s[18:19], s[20:21]
	s_cbranch_execz .LBB72_431
; %bb.430:
	v_ashrrev_i32_e32 v45, 31, v44
	v_lshl_add_u64 v[50:51], v[44:45], 2, v[22:23]
	global_load_dword v45, v[50:51], off
	global_load_dword v47, v[22:23], off offset:100
	s_waitcnt vmcnt(1)
	global_store_dword v[22:23], v45, off offset:100
	s_waitcnt vmcnt(1)
	global_store_dword v[50:51], v47, off
.LBB72_431:
	s_or_b64 exec, exec, s[18:19]
	v_mov_b32_e32 v45, v44
	v_mov_b32_e32 v47, v44
.LBB72_432:
	s_or_b64 exec, exec, s[2:3]
.LBB72_433:
	s_andn2_saveexec_b64 s[0:1], s[0:1]
	s_cbranch_execz .LBB72_435
; %bb.434:
	s_waitcnt vmcnt(8)
	v_pk_mov_b32 v[50:51], v[42:43], v[36:37] op_sel:[1,0]
	ds_write2_b32 v21, v50, v51 offset0:26 offset1:27
	s_waitcnt vmcnt(6)
	v_pk_mov_b32 v[50:51], v[36:37], v[32:33] op_sel:[1,0]
	ds_write2_b32 v21, v50, v51 offset0:28 offset1:29
	;; [unrolled: 3-line block ×4, first 2 shown]
	s_waitcnt vmcnt(0)
	v_pk_mov_b32 v[50:51], v[40:41], v[38:39] op_sel:[1,0]
	v_mov_b32_e32 v47, 25
	ds_write2_b32 v21, v50, v51 offset0:34 offset1:35
	ds_write_b32 v21, v39 offset:144
.LBB72_435:
	s_or_b64 exec, exec, s[0:1]
	v_cmp_lt_i32_e32 vcc, 25, v47
	s_waitcnt lgkmcnt(0)
	s_barrier
	s_and_saveexec_b64 s[0:1], vcc
	s_cbranch_execz .LBB72_437
; %bb.436:
	ds_read_b32 v44, v21 offset:104
	ds_read2_b32 v[50:51], v21 offset0:27 offset1:28
	ds_read2_b32 v[52:53], v21 offset0:29 offset1:30
	;; [unrolled: 1-line block ×5, first 2 shown]
	v_mul_f32_e32 v42, v46, v42
	s_waitcnt vmcnt(10) lgkmcnt(5)
	v_fma_f32 v43, -v42, v44, v43
	s_waitcnt vmcnt(8) lgkmcnt(4)
	v_pk_fma_f32 v[36:37], v[42:43], v[50:51], v[36:37] op_sel_hi:[0,1,1] neg_lo:[1,0,0] neg_hi:[1,0,0]
	s_waitcnt vmcnt(6) lgkmcnt(3)
	v_pk_fma_f32 v[32:33], v[42:43], v[52:53], v[32:33] op_sel_hi:[0,1,1] neg_lo:[1,0,0] neg_hi:[1,0,0]
	;; [unrolled: 2-line block ×5, first 2 shown]
.LBB72_437:
	s_or_b64 exec, exec, s[0:1]
	v_lshl_add_u32 v44, v47, 2, v21
	s_barrier
	s_waitcnt vmcnt(10)
	ds_write_b32 v44, v43
	s_waitcnt lgkmcnt(0)
	s_barrier
	ds_read_b32 v46, v21 offset:104
	s_cmp_lt_i32 s22, 28
	v_mov_b32_e32 v44, 26
	s_cbranch_scc1 .LBB72_440
; %bb.438:
	v_add_u32_e32 v49, 0x6c, v21
	v_mov_b32_e32 v44, 26
	s_mov_b32 s0, 27
.LBB72_439:                             ; =>This Inner Loop Header: Depth=1
	ds_read_b32 v50, v49
	v_mov_b32_e32 v51, s0
	s_add_i32 s0, s0, 1
	v_add_u32_e32 v49, 4, v49
	s_cmp_lg_u32 s22, s0
	s_waitcnt lgkmcnt(0)
	v_cmp_lt_f32_e64 vcc, |v46|, |v50|
	s_nop 1
	v_cndmask_b32_e32 v46, v46, v50, vcc
	v_cndmask_b32_e32 v44, v44, v51, vcc
	s_cbranch_scc1 .LBB72_439
.LBB72_440:
	s_waitcnt lgkmcnt(0)
	v_cmp_eq_f32_e32 vcc, 0, v46
	s_and_saveexec_b64 s[0:1], vcc
	s_xor_b64 s[0:1], exec, s[0:1]
; %bb.441:
	v_cmp_ne_u32_e32 vcc, 0, v48
	s_nop 1
	v_cndmask_b32_e32 v48, 27, v48, vcc
; %bb.442:
	s_andn2_saveexec_b64 s[0:1], s[0:1]
	s_cbranch_execz .LBB72_444
; %bb.443:
	v_div_scale_f32 v49, s[2:3], v46, v46, 1.0
	v_rcp_f32_e32 v50, v49
	v_div_scale_f32 v51, vcc, 1.0, v46, 1.0
	v_fma_f32 v52, -v49, v50, 1.0
	v_fmac_f32_e32 v50, v52, v50
	v_mul_f32_e32 v52, v51, v50
	v_fma_f32 v53, -v49, v52, v51
	v_fmac_f32_e32 v52, v53, v50
	v_fma_f32 v49, -v49, v52, v51
	v_div_fmas_f32 v49, v49, v50, v52
	v_div_fixup_f32 v46, v49, v46, 1.0
.LBB72_444:
	s_or_b64 exec, exec, s[0:1]
	v_cmp_ne_u32_e32 vcc, v47, v44
	s_and_saveexec_b64 s[0:1], vcc
	s_xor_b64 s[0:1], exec, s[0:1]
	s_cbranch_execz .LBB72_450
; %bb.445:
	v_cmp_eq_u32_e32 vcc, 26, v47
	s_and_saveexec_b64 s[2:3], vcc
	s_cbranch_execz .LBB72_449
; %bb.446:
	v_cmp_ne_u32_e32 vcc, 26, v44
	s_xor_b64 s[18:19], s[16:17], -1
	s_and_b64 s[20:21], s[18:19], vcc
	s_and_saveexec_b64 s[18:19], s[20:21]
	s_cbranch_execz .LBB72_448
; %bb.447:
	v_ashrrev_i32_e32 v45, 31, v44
	v_lshl_add_u64 v[50:51], v[44:45], 2, v[22:23]
	global_load_dword v45, v[50:51], off
	global_load_dword v47, v[22:23], off offset:104
	s_waitcnt vmcnt(1)
	global_store_dword v[22:23], v45, off offset:104
	s_waitcnt vmcnt(1)
	global_store_dword v[50:51], v47, off
.LBB72_448:
	s_or_b64 exec, exec, s[18:19]
	v_mov_b32_e32 v45, v44
	v_mov_b32_e32 v47, v44
.LBB72_449:
	s_or_b64 exec, exec, s[2:3]
.LBB72_450:
	s_andn2_saveexec_b64 s[0:1], s[0:1]
	s_cbranch_execz .LBB72_452
; %bb.451:
	v_mov_b32_e32 v47, 26
	s_waitcnt vmcnt(8)
	ds_write2_b32 v21, v36, v37 offset0:27 offset1:28
	s_waitcnt vmcnt(6)
	ds_write2_b32 v21, v32, v33 offset0:29 offset1:30
	;; [unrolled: 2-line block ×5, first 2 shown]
.LBB72_452:
	s_or_b64 exec, exec, s[0:1]
	v_cmp_lt_i32_e32 vcc, 26, v47
	s_waitcnt lgkmcnt(0)
	s_barrier
	s_and_saveexec_b64 s[0:1], vcc
	s_cbranch_execz .LBB72_454
; %bb.453:
	ds_read2_b32 v[50:51], v21 offset0:27 offset1:28
	ds_read2_b32 v[52:53], v21 offset0:29 offset1:30
	;; [unrolled: 1-line block ×5, first 2 shown]
	v_mul_f32_e32 v44, v46, v43
	s_waitcnt vmcnt(8) lgkmcnt(4)
	v_pk_fma_f32 v[36:37], v[44:45], v[50:51], v[36:37] op_sel_hi:[0,1,1] neg_lo:[1,0,0] neg_hi:[1,0,0]
	s_waitcnt vmcnt(6) lgkmcnt(3)
	v_pk_fma_f32 v[32:33], v[44:45], v[52:53], v[32:33] op_sel_hi:[0,1,1] neg_lo:[1,0,0] neg_hi:[1,0,0]
	;; [unrolled: 2-line block ×5, first 2 shown]
	v_mov_b32_e32 v43, v44
.LBB72_454:
	s_or_b64 exec, exec, s[0:1]
	v_lshl_add_u32 v44, v47, 2, v21
	s_barrier
	s_waitcnt vmcnt(9)
	ds_write_b32 v44, v36
	s_waitcnt lgkmcnt(0)
	s_barrier
	ds_read_b32 v46, v21 offset:108
	s_cmp_lt_i32 s22, 29
	v_mov_b32_e32 v44, 27
	s_cbranch_scc1 .LBB72_457
; %bb.455:
	v_add_u32_e32 v49, 0x70, v21
	v_mov_b32_e32 v44, 27
	s_mov_b32 s0, 28
.LBB72_456:                             ; =>This Inner Loop Header: Depth=1
	ds_read_b32 v50, v49
	v_mov_b32_e32 v51, s0
	s_add_i32 s0, s0, 1
	v_add_u32_e32 v49, 4, v49
	s_cmp_lg_u32 s22, s0
	s_waitcnt lgkmcnt(0)
	v_cmp_lt_f32_e64 vcc, |v46|, |v50|
	s_nop 1
	v_cndmask_b32_e32 v46, v46, v50, vcc
	v_cndmask_b32_e32 v44, v44, v51, vcc
	s_cbranch_scc1 .LBB72_456
.LBB72_457:
	s_waitcnt lgkmcnt(0)
	v_cmp_eq_f32_e32 vcc, 0, v46
	s_and_saveexec_b64 s[0:1], vcc
	s_xor_b64 s[0:1], exec, s[0:1]
; %bb.458:
	v_cmp_ne_u32_e32 vcc, 0, v48
	s_nop 1
	v_cndmask_b32_e32 v48, 28, v48, vcc
; %bb.459:
	s_andn2_saveexec_b64 s[0:1], s[0:1]
	s_cbranch_execz .LBB72_461
; %bb.460:
	v_div_scale_f32 v49, s[2:3], v46, v46, 1.0
	v_rcp_f32_e32 v50, v49
	v_div_scale_f32 v51, vcc, 1.0, v46, 1.0
	v_fma_f32 v52, -v49, v50, 1.0
	v_fmac_f32_e32 v50, v52, v50
	v_mul_f32_e32 v52, v51, v50
	v_fma_f32 v53, -v49, v52, v51
	v_fmac_f32_e32 v52, v53, v50
	v_fma_f32 v49, -v49, v52, v51
	v_div_fmas_f32 v49, v49, v50, v52
	v_div_fixup_f32 v46, v49, v46, 1.0
.LBB72_461:
	s_or_b64 exec, exec, s[0:1]
	v_cmp_ne_u32_e32 vcc, v47, v44
	s_and_saveexec_b64 s[0:1], vcc
	s_xor_b64 s[0:1], exec, s[0:1]
	s_cbranch_execz .LBB72_467
; %bb.462:
	v_cmp_eq_u32_e32 vcc, 27, v47
	s_and_saveexec_b64 s[2:3], vcc
	s_cbranch_execz .LBB72_466
; %bb.463:
	v_cmp_ne_u32_e32 vcc, 27, v44
	s_xor_b64 s[18:19], s[16:17], -1
	s_and_b64 s[20:21], s[18:19], vcc
	s_and_saveexec_b64 s[18:19], s[20:21]
	s_cbranch_execz .LBB72_465
; %bb.464:
	v_ashrrev_i32_e32 v45, 31, v44
	v_lshl_add_u64 v[50:51], v[44:45], 2, v[22:23]
	global_load_dword v45, v[50:51], off
	global_load_dword v47, v[22:23], off offset:108
	s_waitcnt vmcnt(1)
	global_store_dword v[22:23], v45, off offset:108
	s_waitcnt vmcnt(1)
	global_store_dword v[50:51], v47, off
.LBB72_465:
	s_or_b64 exec, exec, s[18:19]
	v_mov_b32_e32 v45, v44
	v_mov_b32_e32 v47, v44
.LBB72_466:
	s_or_b64 exec, exec, s[2:3]
.LBB72_467:
	s_andn2_saveexec_b64 s[0:1], s[0:1]
	s_cbranch_execz .LBB72_469
; %bb.468:
	s_waitcnt vmcnt(6)
	v_pk_mov_b32 v[50:51], v[36:37], v[32:33] op_sel:[1,0]
	ds_write2_b32 v21, v50, v51 offset0:28 offset1:29
	s_waitcnt vmcnt(4)
	v_pk_mov_b32 v[50:51], v[32:33], v[26:27] op_sel:[1,0]
	ds_write2_b32 v21, v50, v51 offset0:30 offset1:31
	;; [unrolled: 3-line block ×3, first 2 shown]
	s_waitcnt vmcnt(0)
	v_pk_mov_b32 v[50:51], v[40:41], v[38:39] op_sel:[1,0]
	v_mov_b32_e32 v47, 27
	ds_write2_b32 v21, v50, v51 offset0:34 offset1:35
	ds_write_b32 v21, v39 offset:144
.LBB72_469:
	s_or_b64 exec, exec, s[0:1]
	v_cmp_lt_i32_e32 vcc, 27, v47
	s_waitcnt lgkmcnt(0)
	s_barrier
	s_and_saveexec_b64 s[0:1], vcc
	s_cbranch_execz .LBB72_471
; %bb.470:
	ds_read_b32 v44, v21 offset:112
	ds_read2_b32 v[50:51], v21 offset0:29 offset1:30
	ds_read2_b32 v[52:53], v21 offset0:31 offset1:32
	ds_read2_b32 v[54:55], v21 offset0:33 offset1:34
	ds_read2_b32 v[56:57], v21 offset0:35 offset1:36
	v_mul_f32_e32 v36, v46, v36
	s_waitcnt vmcnt(8) lgkmcnt(4)
	v_fma_f32 v37, -v36, v44, v37
	s_waitcnt vmcnt(6) lgkmcnt(3)
	v_pk_fma_f32 v[32:33], v[36:37], v[50:51], v[32:33] op_sel_hi:[0,1,1] neg_lo:[1,0,0] neg_hi:[1,0,0]
	s_waitcnt vmcnt(4) lgkmcnt(2)
	v_pk_fma_f32 v[26:27], v[36:37], v[52:53], v[26:27] op_sel_hi:[0,1,1] neg_lo:[1,0,0] neg_hi:[1,0,0]
	;; [unrolled: 2-line block ×4, first 2 shown]
.LBB72_471:
	s_or_b64 exec, exec, s[0:1]
	v_lshl_add_u32 v44, v47, 2, v21
	s_barrier
	s_waitcnt vmcnt(8)
	ds_write_b32 v44, v37
	s_waitcnt lgkmcnt(0)
	s_barrier
	ds_read_b32 v46, v21 offset:112
	s_cmp_lt_i32 s22, 30
	v_mov_b32_e32 v44, 28
	s_cbranch_scc1 .LBB72_474
; %bb.472:
	v_add_u32_e32 v49, 0x74, v21
	v_mov_b32_e32 v44, 28
	s_mov_b32 s0, 29
.LBB72_473:                             ; =>This Inner Loop Header: Depth=1
	ds_read_b32 v50, v49
	v_mov_b32_e32 v51, s0
	s_add_i32 s0, s0, 1
	v_add_u32_e32 v49, 4, v49
	s_cmp_lg_u32 s22, s0
	s_waitcnt lgkmcnt(0)
	v_cmp_lt_f32_e64 vcc, |v46|, |v50|
	s_nop 1
	v_cndmask_b32_e32 v46, v46, v50, vcc
	v_cndmask_b32_e32 v44, v44, v51, vcc
	s_cbranch_scc1 .LBB72_473
.LBB72_474:
	s_waitcnt lgkmcnt(0)
	v_cmp_eq_f32_e32 vcc, 0, v46
	s_and_saveexec_b64 s[0:1], vcc
	s_xor_b64 s[0:1], exec, s[0:1]
; %bb.475:
	v_cmp_ne_u32_e32 vcc, 0, v48
	s_nop 1
	v_cndmask_b32_e32 v48, 29, v48, vcc
; %bb.476:
	s_andn2_saveexec_b64 s[0:1], s[0:1]
	s_cbranch_execz .LBB72_478
; %bb.477:
	v_div_scale_f32 v49, s[2:3], v46, v46, 1.0
	v_rcp_f32_e32 v50, v49
	v_div_scale_f32 v51, vcc, 1.0, v46, 1.0
	v_fma_f32 v52, -v49, v50, 1.0
	v_fmac_f32_e32 v50, v52, v50
	v_mul_f32_e32 v52, v51, v50
	v_fma_f32 v53, -v49, v52, v51
	v_fmac_f32_e32 v52, v53, v50
	v_fma_f32 v49, -v49, v52, v51
	v_div_fmas_f32 v49, v49, v50, v52
	v_div_fixup_f32 v46, v49, v46, 1.0
.LBB72_478:
	s_or_b64 exec, exec, s[0:1]
	v_cmp_ne_u32_e32 vcc, v47, v44
	s_and_saveexec_b64 s[0:1], vcc
	s_xor_b64 s[0:1], exec, s[0:1]
	s_cbranch_execz .LBB72_484
; %bb.479:
	v_cmp_eq_u32_e32 vcc, 28, v47
	s_and_saveexec_b64 s[2:3], vcc
	s_cbranch_execz .LBB72_483
; %bb.480:
	v_cmp_ne_u32_e32 vcc, 28, v44
	s_xor_b64 s[18:19], s[16:17], -1
	s_and_b64 s[20:21], s[18:19], vcc
	s_and_saveexec_b64 s[18:19], s[20:21]
	s_cbranch_execz .LBB72_482
; %bb.481:
	v_ashrrev_i32_e32 v45, 31, v44
	v_lshl_add_u64 v[50:51], v[44:45], 2, v[22:23]
	global_load_dword v45, v[50:51], off
	global_load_dword v47, v[22:23], off offset:112
	s_waitcnt vmcnt(1)
	global_store_dword v[22:23], v45, off offset:112
	s_waitcnt vmcnt(1)
	global_store_dword v[50:51], v47, off
.LBB72_482:
	s_or_b64 exec, exec, s[18:19]
	v_mov_b32_e32 v45, v44
	v_mov_b32_e32 v47, v44
.LBB72_483:
	s_or_b64 exec, exec, s[2:3]
.LBB72_484:
	s_andn2_saveexec_b64 s[0:1], s[0:1]
	s_cbranch_execz .LBB72_486
; %bb.485:
	v_mov_b32_e32 v47, 28
	s_waitcnt vmcnt(6)
	ds_write2_b32 v21, v32, v33 offset0:29 offset1:30
	s_waitcnt vmcnt(4)
	ds_write2_b32 v21, v26, v27 offset0:31 offset1:32
	;; [unrolled: 2-line block ×4, first 2 shown]
.LBB72_486:
	s_or_b64 exec, exec, s[0:1]
	v_cmp_lt_i32_e32 vcc, 28, v47
	s_waitcnt lgkmcnt(0)
	s_barrier
	s_and_saveexec_b64 s[0:1], vcc
	s_cbranch_execz .LBB72_488
; %bb.487:
	ds_read2_b32 v[50:51], v21 offset0:29 offset1:30
	ds_read2_b32 v[52:53], v21 offset0:31 offset1:32
	ds_read2_b32 v[54:55], v21 offset0:33 offset1:34
	ds_read2_b32 v[56:57], v21 offset0:35 offset1:36
	v_mul_f32_e32 v44, v46, v37
	s_waitcnt vmcnt(6) lgkmcnt(3)
	v_pk_fma_f32 v[32:33], v[44:45], v[50:51], v[32:33] op_sel_hi:[0,1,1] neg_lo:[1,0,0] neg_hi:[1,0,0]
	s_waitcnt vmcnt(4) lgkmcnt(2)
	v_pk_fma_f32 v[26:27], v[44:45], v[52:53], v[26:27] op_sel_hi:[0,1,1] neg_lo:[1,0,0] neg_hi:[1,0,0]
	;; [unrolled: 2-line block ×4, first 2 shown]
	v_mov_b32_e32 v37, v44
.LBB72_488:
	s_or_b64 exec, exec, s[0:1]
	v_lshl_add_u32 v44, v47, 2, v21
	s_barrier
	s_waitcnt vmcnt(7)
	ds_write_b32 v44, v32
	s_waitcnt lgkmcnt(0)
	s_barrier
	ds_read_b32 v46, v21 offset:116
	s_cmp_lt_i32 s22, 31
	v_mov_b32_e32 v44, 29
	s_cbranch_scc1 .LBB72_491
; %bb.489:
	v_add_u32_e32 v49, 0x78, v21
	v_mov_b32_e32 v44, 29
	s_mov_b32 s0, 30
.LBB72_490:                             ; =>This Inner Loop Header: Depth=1
	ds_read_b32 v50, v49
	v_mov_b32_e32 v51, s0
	s_add_i32 s0, s0, 1
	v_add_u32_e32 v49, 4, v49
	s_cmp_lg_u32 s22, s0
	s_waitcnt lgkmcnt(0)
	v_cmp_lt_f32_e64 vcc, |v46|, |v50|
	s_nop 1
	v_cndmask_b32_e32 v46, v46, v50, vcc
	v_cndmask_b32_e32 v44, v44, v51, vcc
	s_cbranch_scc1 .LBB72_490
.LBB72_491:
	s_waitcnt lgkmcnt(0)
	v_cmp_eq_f32_e32 vcc, 0, v46
	s_and_saveexec_b64 s[0:1], vcc
	s_xor_b64 s[0:1], exec, s[0:1]
; %bb.492:
	v_cmp_ne_u32_e32 vcc, 0, v48
	s_nop 1
	v_cndmask_b32_e32 v48, 30, v48, vcc
; %bb.493:
	s_andn2_saveexec_b64 s[0:1], s[0:1]
	s_cbranch_execz .LBB72_495
; %bb.494:
	v_div_scale_f32 v49, s[2:3], v46, v46, 1.0
	v_rcp_f32_e32 v50, v49
	v_div_scale_f32 v51, vcc, 1.0, v46, 1.0
	v_fma_f32 v52, -v49, v50, 1.0
	v_fmac_f32_e32 v50, v52, v50
	v_mul_f32_e32 v52, v51, v50
	v_fma_f32 v53, -v49, v52, v51
	v_fmac_f32_e32 v52, v53, v50
	v_fma_f32 v49, -v49, v52, v51
	v_div_fmas_f32 v49, v49, v50, v52
	v_div_fixup_f32 v46, v49, v46, 1.0
.LBB72_495:
	s_or_b64 exec, exec, s[0:1]
	v_cmp_ne_u32_e32 vcc, v47, v44
	s_and_saveexec_b64 s[0:1], vcc
	s_xor_b64 s[0:1], exec, s[0:1]
	s_cbranch_execz .LBB72_501
; %bb.496:
	v_cmp_eq_u32_e32 vcc, 29, v47
	s_and_saveexec_b64 s[2:3], vcc
	s_cbranch_execz .LBB72_500
; %bb.497:
	v_cmp_ne_u32_e32 vcc, 29, v44
	s_xor_b64 s[18:19], s[16:17], -1
	s_and_b64 s[20:21], s[18:19], vcc
	s_and_saveexec_b64 s[18:19], s[20:21]
	s_cbranch_execz .LBB72_499
; %bb.498:
	v_ashrrev_i32_e32 v45, 31, v44
	v_lshl_add_u64 v[50:51], v[44:45], 2, v[22:23]
	global_load_dword v45, v[50:51], off
	global_load_dword v47, v[22:23], off offset:116
	s_waitcnt vmcnt(1)
	global_store_dword v[22:23], v45, off offset:116
	s_waitcnt vmcnt(1)
	global_store_dword v[50:51], v47, off
.LBB72_499:
	s_or_b64 exec, exec, s[18:19]
	v_mov_b32_e32 v45, v44
	v_mov_b32_e32 v47, v44
.LBB72_500:
	s_or_b64 exec, exec, s[2:3]
.LBB72_501:
	s_andn2_saveexec_b64 s[0:1], s[0:1]
	s_cbranch_execz .LBB72_503
; %bb.502:
	s_waitcnt vmcnt(4)
	v_pk_mov_b32 v[50:51], v[32:33], v[26:27] op_sel:[1,0]
	ds_write2_b32 v21, v50, v51 offset0:30 offset1:31
	s_waitcnt vmcnt(2)
	v_pk_mov_b32 v[50:51], v[26:27], v[40:41] op_sel:[1,0]
	ds_write2_b32 v21, v50, v51 offset0:32 offset1:33
	s_waitcnt vmcnt(0)
	v_pk_mov_b32 v[50:51], v[40:41], v[38:39] op_sel:[1,0]
	v_mov_b32_e32 v47, 29
	ds_write2_b32 v21, v50, v51 offset0:34 offset1:35
	ds_write_b32 v21, v39 offset:144
.LBB72_503:
	s_or_b64 exec, exec, s[0:1]
	v_cmp_lt_i32_e32 vcc, 29, v47
	s_waitcnt lgkmcnt(0)
	s_barrier
	s_and_saveexec_b64 s[0:1], vcc
	s_cbranch_execz .LBB72_505
; %bb.504:
	ds_read_b32 v44, v21 offset:120
	ds_read2_b32 v[50:51], v21 offset0:31 offset1:32
	ds_read2_b32 v[52:53], v21 offset0:33 offset1:34
	;; [unrolled: 1-line block ×3, first 2 shown]
	v_mul_f32_e32 v32, v46, v32
	s_waitcnt vmcnt(6) lgkmcnt(3)
	v_fma_f32 v33, -v32, v44, v33
	s_waitcnt vmcnt(4) lgkmcnt(2)
	v_pk_fma_f32 v[26:27], v[32:33], v[50:51], v[26:27] op_sel_hi:[0,1,1] neg_lo:[1,0,0] neg_hi:[1,0,0]
	s_waitcnt vmcnt(2) lgkmcnt(1)
	v_pk_fma_f32 v[40:41], v[32:33], v[52:53], v[40:41] op_sel_hi:[0,1,1] neg_lo:[1,0,0] neg_hi:[1,0,0]
	;; [unrolled: 2-line block ×3, first 2 shown]
.LBB72_505:
	s_or_b64 exec, exec, s[0:1]
	v_lshl_add_u32 v44, v47, 2, v21
	s_barrier
	s_waitcnt vmcnt(6)
	ds_write_b32 v44, v33
	s_waitcnt lgkmcnt(0)
	s_barrier
	ds_read_b32 v46, v21 offset:120
	s_cmp_lt_i32 s22, 32
	v_mov_b32_e32 v44, 30
	s_cbranch_scc1 .LBB72_508
; %bb.506:
	v_add_u32_e32 v49, 0x7c, v21
	v_mov_b32_e32 v44, 30
	s_mov_b32 s0, 31
.LBB72_507:                             ; =>This Inner Loop Header: Depth=1
	ds_read_b32 v50, v49
	v_mov_b32_e32 v51, s0
	s_add_i32 s0, s0, 1
	v_add_u32_e32 v49, 4, v49
	s_cmp_lg_u32 s22, s0
	s_waitcnt lgkmcnt(0)
	v_cmp_lt_f32_e64 vcc, |v46|, |v50|
	s_nop 1
	v_cndmask_b32_e32 v46, v46, v50, vcc
	v_cndmask_b32_e32 v44, v44, v51, vcc
	s_cbranch_scc1 .LBB72_507
.LBB72_508:
	s_waitcnt lgkmcnt(0)
	v_cmp_eq_f32_e32 vcc, 0, v46
	s_and_saveexec_b64 s[0:1], vcc
	s_xor_b64 s[0:1], exec, s[0:1]
; %bb.509:
	v_cmp_ne_u32_e32 vcc, 0, v48
	s_nop 1
	v_cndmask_b32_e32 v48, 31, v48, vcc
; %bb.510:
	s_andn2_saveexec_b64 s[0:1], s[0:1]
	s_cbranch_execz .LBB72_512
; %bb.511:
	v_div_scale_f32 v49, s[2:3], v46, v46, 1.0
	v_rcp_f32_e32 v50, v49
	v_div_scale_f32 v51, vcc, 1.0, v46, 1.0
	v_fma_f32 v52, -v49, v50, 1.0
	v_fmac_f32_e32 v50, v52, v50
	v_mul_f32_e32 v52, v51, v50
	v_fma_f32 v53, -v49, v52, v51
	v_fmac_f32_e32 v52, v53, v50
	v_fma_f32 v49, -v49, v52, v51
	v_div_fmas_f32 v49, v49, v50, v52
	v_div_fixup_f32 v46, v49, v46, 1.0
.LBB72_512:
	s_or_b64 exec, exec, s[0:1]
	v_cmp_ne_u32_e32 vcc, v47, v44
	s_and_saveexec_b64 s[0:1], vcc
	s_xor_b64 s[0:1], exec, s[0:1]
	s_cbranch_execz .LBB72_518
; %bb.513:
	v_cmp_eq_u32_e32 vcc, 30, v47
	s_and_saveexec_b64 s[2:3], vcc
	s_cbranch_execz .LBB72_517
; %bb.514:
	v_cmp_ne_u32_e32 vcc, 30, v44
	s_xor_b64 s[18:19], s[16:17], -1
	s_and_b64 s[20:21], s[18:19], vcc
	s_and_saveexec_b64 s[18:19], s[20:21]
	s_cbranch_execz .LBB72_516
; %bb.515:
	v_ashrrev_i32_e32 v45, 31, v44
	v_lshl_add_u64 v[50:51], v[44:45], 2, v[22:23]
	global_load_dword v45, v[50:51], off
	global_load_dword v47, v[22:23], off offset:120
	s_waitcnt vmcnt(1)
	global_store_dword v[22:23], v45, off offset:120
	s_waitcnt vmcnt(1)
	global_store_dword v[50:51], v47, off
.LBB72_516:
	s_or_b64 exec, exec, s[18:19]
	v_mov_b32_e32 v45, v44
	v_mov_b32_e32 v47, v44
.LBB72_517:
	s_or_b64 exec, exec, s[2:3]
.LBB72_518:
	s_andn2_saveexec_b64 s[0:1], s[0:1]
	s_cbranch_execz .LBB72_520
; %bb.519:
	v_mov_b32_e32 v47, 30
	s_waitcnt vmcnt(4)
	ds_write2_b32 v21, v26, v27 offset0:31 offset1:32
	s_waitcnt vmcnt(2)
	ds_write2_b32 v21, v40, v41 offset0:33 offset1:34
	s_waitcnt vmcnt(0)
	ds_write2_b32 v21, v38, v39 offset0:35 offset1:36
.LBB72_520:
	s_or_b64 exec, exec, s[0:1]
	v_cmp_lt_i32_e32 vcc, 30, v47
	s_waitcnt lgkmcnt(0)
	s_barrier
	s_and_saveexec_b64 s[0:1], vcc
	s_cbranch_execz .LBB72_522
; %bb.521:
	ds_read2_b32 v[50:51], v21 offset0:31 offset1:32
	ds_read2_b32 v[52:53], v21 offset0:33 offset1:34
	ds_read2_b32 v[54:55], v21 offset0:35 offset1:36
	v_mul_f32_e32 v44, v46, v33
	v_mov_b32_e32 v33, v44
	s_waitcnt vmcnt(4) lgkmcnt(2)
	v_pk_fma_f32 v[26:27], v[44:45], v[50:51], v[26:27] op_sel_hi:[0,1,1] neg_lo:[1,0,0] neg_hi:[1,0,0]
	s_waitcnt vmcnt(2) lgkmcnt(1)
	v_pk_fma_f32 v[40:41], v[44:45], v[52:53], v[40:41] op_sel_hi:[0,1,1] neg_lo:[1,0,0] neg_hi:[1,0,0]
	;; [unrolled: 2-line block ×3, first 2 shown]
.LBB72_522:
	s_or_b64 exec, exec, s[0:1]
	v_lshl_add_u32 v44, v47, 2, v21
	s_barrier
	s_waitcnt vmcnt(5)
	ds_write_b32 v44, v26
	s_waitcnt lgkmcnt(0)
	s_barrier
	ds_read_b32 v46, v21 offset:124
	s_cmp_lt_i32 s22, 33
	v_mov_b32_e32 v44, 31
	s_cbranch_scc1 .LBB72_525
; %bb.523:
	v_add_u32_e32 v49, 0x80, v21
	v_mov_b32_e32 v44, 31
	s_mov_b32 s0, 32
.LBB72_524:                             ; =>This Inner Loop Header: Depth=1
	ds_read_b32 v50, v49
	v_mov_b32_e32 v51, s0
	s_add_i32 s0, s0, 1
	v_add_u32_e32 v49, 4, v49
	s_cmp_lg_u32 s22, s0
	s_waitcnt lgkmcnt(0)
	v_cmp_lt_f32_e64 vcc, |v46|, |v50|
	s_nop 1
	v_cndmask_b32_e32 v46, v46, v50, vcc
	v_cndmask_b32_e32 v44, v44, v51, vcc
	s_cbranch_scc1 .LBB72_524
.LBB72_525:
	s_waitcnt lgkmcnt(0)
	v_cmp_eq_f32_e32 vcc, 0, v46
	s_and_saveexec_b64 s[0:1], vcc
	s_xor_b64 s[0:1], exec, s[0:1]
; %bb.526:
	v_cmp_ne_u32_e32 vcc, 0, v48
	s_nop 1
	v_cndmask_b32_e32 v48, 32, v48, vcc
; %bb.527:
	s_andn2_saveexec_b64 s[0:1], s[0:1]
	s_cbranch_execz .LBB72_529
; %bb.528:
	v_div_scale_f32 v49, s[2:3], v46, v46, 1.0
	v_rcp_f32_e32 v50, v49
	v_div_scale_f32 v51, vcc, 1.0, v46, 1.0
	v_fma_f32 v52, -v49, v50, 1.0
	v_fmac_f32_e32 v50, v52, v50
	v_mul_f32_e32 v52, v51, v50
	v_fma_f32 v53, -v49, v52, v51
	v_fmac_f32_e32 v52, v53, v50
	v_fma_f32 v49, -v49, v52, v51
	v_div_fmas_f32 v49, v49, v50, v52
	v_div_fixup_f32 v46, v49, v46, 1.0
.LBB72_529:
	s_or_b64 exec, exec, s[0:1]
	v_cmp_ne_u32_e32 vcc, v47, v44
	s_and_saveexec_b64 s[0:1], vcc
	s_xor_b64 s[0:1], exec, s[0:1]
	s_cbranch_execz .LBB72_535
; %bb.530:
	v_cmp_eq_u32_e32 vcc, 31, v47
	s_and_saveexec_b64 s[2:3], vcc
	s_cbranch_execz .LBB72_534
; %bb.531:
	v_cmp_ne_u32_e32 vcc, 31, v44
	s_xor_b64 s[18:19], s[16:17], -1
	s_and_b64 s[20:21], s[18:19], vcc
	s_and_saveexec_b64 s[18:19], s[20:21]
	s_cbranch_execz .LBB72_533
; %bb.532:
	v_ashrrev_i32_e32 v45, 31, v44
	v_lshl_add_u64 v[50:51], v[44:45], 2, v[22:23]
	global_load_dword v45, v[50:51], off
	global_load_dword v47, v[22:23], off offset:124
	s_waitcnt vmcnt(1)
	global_store_dword v[22:23], v45, off offset:124
	s_waitcnt vmcnt(1)
	global_store_dword v[50:51], v47, off
.LBB72_533:
	s_or_b64 exec, exec, s[18:19]
	v_mov_b32_e32 v45, v44
	v_mov_b32_e32 v47, v44
.LBB72_534:
	s_or_b64 exec, exec, s[2:3]
.LBB72_535:
	s_andn2_saveexec_b64 s[0:1], s[0:1]
	s_cbranch_execz .LBB72_537
; %bb.536:
	s_waitcnt vmcnt(2)
	v_pk_mov_b32 v[50:51], v[26:27], v[40:41] op_sel:[1,0]
	ds_write2_b32 v21, v50, v51 offset0:32 offset1:33
	s_waitcnt vmcnt(0)
	v_pk_mov_b32 v[50:51], v[40:41], v[38:39] op_sel:[1,0]
	v_mov_b32_e32 v47, 31
	ds_write2_b32 v21, v50, v51 offset0:34 offset1:35
	ds_write_b32 v21, v39 offset:144
.LBB72_537:
	s_or_b64 exec, exec, s[0:1]
	v_cmp_lt_i32_e32 vcc, 31, v47
	s_waitcnt lgkmcnt(0)
	s_barrier
	s_and_saveexec_b64 s[0:1], vcc
	s_cbranch_execz .LBB72_539
; %bb.538:
	ds_read_b32 v44, v21 offset:128
	ds_read2_b32 v[50:51], v21 offset0:33 offset1:34
	ds_read2_b32 v[52:53], v21 offset0:35 offset1:36
	v_mul_f32_e32 v26, v46, v26
	s_waitcnt vmcnt(4) lgkmcnt(2)
	v_fma_f32 v27, -v26, v44, v27
	s_waitcnt vmcnt(2) lgkmcnt(1)
	v_pk_fma_f32 v[40:41], v[26:27], v[50:51], v[40:41] op_sel_hi:[0,1,1] neg_lo:[1,0,0] neg_hi:[1,0,0]
	s_waitcnt vmcnt(0) lgkmcnt(0)
	v_pk_fma_f32 v[38:39], v[26:27], v[52:53], v[38:39] op_sel_hi:[0,1,1] neg_lo:[1,0,0] neg_hi:[1,0,0]
.LBB72_539:
	s_or_b64 exec, exec, s[0:1]
	v_lshl_add_u32 v44, v47, 2, v21
	s_barrier
	s_waitcnt vmcnt(4)
	ds_write_b32 v44, v27
	s_waitcnt lgkmcnt(0)
	s_barrier
	ds_read_b32 v46, v21 offset:128
	s_cmp_lt_i32 s22, 34
	v_mov_b32_e32 v44, 32
	s_cbranch_scc1 .LBB72_542
; %bb.540:
	v_add_u32_e32 v49, 0x84, v21
	v_mov_b32_e32 v44, 32
	s_mov_b32 s0, 33
.LBB72_541:                             ; =>This Inner Loop Header: Depth=1
	ds_read_b32 v50, v49
	v_mov_b32_e32 v51, s0
	s_add_i32 s0, s0, 1
	v_add_u32_e32 v49, 4, v49
	s_cmp_lg_u32 s22, s0
	s_waitcnt lgkmcnt(0)
	v_cmp_lt_f32_e64 vcc, |v46|, |v50|
	s_nop 1
	v_cndmask_b32_e32 v46, v46, v50, vcc
	v_cndmask_b32_e32 v44, v44, v51, vcc
	s_cbranch_scc1 .LBB72_541
.LBB72_542:
	s_waitcnt lgkmcnt(0)
	v_cmp_eq_f32_e32 vcc, 0, v46
	s_and_saveexec_b64 s[0:1], vcc
	s_xor_b64 s[0:1], exec, s[0:1]
; %bb.543:
	v_cmp_ne_u32_e32 vcc, 0, v48
	s_nop 1
	v_cndmask_b32_e32 v48, 33, v48, vcc
; %bb.544:
	s_andn2_saveexec_b64 s[0:1], s[0:1]
	s_cbranch_execz .LBB72_546
; %bb.545:
	v_div_scale_f32 v49, s[2:3], v46, v46, 1.0
	v_rcp_f32_e32 v50, v49
	v_div_scale_f32 v51, vcc, 1.0, v46, 1.0
	v_fma_f32 v52, -v49, v50, 1.0
	v_fmac_f32_e32 v50, v52, v50
	v_mul_f32_e32 v52, v51, v50
	v_fma_f32 v53, -v49, v52, v51
	v_fmac_f32_e32 v52, v53, v50
	v_fma_f32 v49, -v49, v52, v51
	v_div_fmas_f32 v49, v49, v50, v52
	v_div_fixup_f32 v46, v49, v46, 1.0
.LBB72_546:
	s_or_b64 exec, exec, s[0:1]
	v_cmp_ne_u32_e32 vcc, v47, v44
	s_and_saveexec_b64 s[0:1], vcc
	s_xor_b64 s[0:1], exec, s[0:1]
	s_cbranch_execz .LBB72_552
; %bb.547:
	v_cmp_eq_u32_e32 vcc, 32, v47
	s_and_saveexec_b64 s[2:3], vcc
	s_cbranch_execz .LBB72_551
; %bb.548:
	v_cmp_ne_u32_e32 vcc, 32, v44
	s_xor_b64 s[18:19], s[16:17], -1
	s_and_b64 s[20:21], s[18:19], vcc
	s_and_saveexec_b64 s[18:19], s[20:21]
	s_cbranch_execz .LBB72_550
; %bb.549:
	v_ashrrev_i32_e32 v45, 31, v44
	v_lshl_add_u64 v[50:51], v[44:45], 2, v[22:23]
	global_load_dword v45, v[50:51], off
	global_load_dword v47, v[22:23], off offset:128
	s_waitcnt vmcnt(1)
	global_store_dword v[22:23], v45, off offset:128
	s_waitcnt vmcnt(1)
	global_store_dword v[50:51], v47, off
.LBB72_550:
	s_or_b64 exec, exec, s[18:19]
	v_mov_b32_e32 v45, v44
	v_mov_b32_e32 v47, v44
.LBB72_551:
	s_or_b64 exec, exec, s[2:3]
.LBB72_552:
	s_andn2_saveexec_b64 s[0:1], s[0:1]
	s_cbranch_execz .LBB72_554
; %bb.553:
	v_mov_b32_e32 v47, 32
	s_waitcnt vmcnt(2)
	ds_write2_b32 v21, v40, v41 offset0:33 offset1:34
	s_waitcnt vmcnt(0)
	ds_write2_b32 v21, v38, v39 offset0:35 offset1:36
.LBB72_554:
	s_or_b64 exec, exec, s[0:1]
	v_cmp_lt_i32_e32 vcc, 32, v47
	s_waitcnt lgkmcnt(0)
	s_barrier
	s_and_saveexec_b64 s[0:1], vcc
	s_cbranch_execz .LBB72_556
; %bb.555:
	ds_read2_b32 v[50:51], v21 offset0:33 offset1:34
	ds_read2_b32 v[52:53], v21 offset0:35 offset1:36
	v_mul_f32_e32 v44, v46, v27
	v_mov_b32_e32 v27, v44
	s_waitcnt vmcnt(2) lgkmcnt(1)
	v_pk_fma_f32 v[40:41], v[44:45], v[50:51], v[40:41] op_sel_hi:[0,1,1] neg_lo:[1,0,0] neg_hi:[1,0,0]
	s_waitcnt vmcnt(0) lgkmcnt(0)
	v_pk_fma_f32 v[38:39], v[44:45], v[52:53], v[38:39] op_sel_hi:[0,1,1] neg_lo:[1,0,0] neg_hi:[1,0,0]
.LBB72_556:
	s_or_b64 exec, exec, s[0:1]
	v_lshl_add_u32 v44, v47, 2, v21
	s_barrier
	s_waitcnt vmcnt(3)
	ds_write_b32 v44, v40
	s_waitcnt lgkmcnt(0)
	s_barrier
	ds_read_b32 v46, v21 offset:132
	s_cmp_lt_i32 s22, 35
	v_mov_b32_e32 v44, 33
	s_cbranch_scc1 .LBB72_559
; %bb.557:
	v_add_u32_e32 v49, 0x88, v21
	v_mov_b32_e32 v44, 33
	s_mov_b32 s0, 34
.LBB72_558:                             ; =>This Inner Loop Header: Depth=1
	ds_read_b32 v50, v49
	v_mov_b32_e32 v51, s0
	s_add_i32 s0, s0, 1
	v_add_u32_e32 v49, 4, v49
	s_cmp_lg_u32 s22, s0
	s_waitcnt lgkmcnt(0)
	v_cmp_lt_f32_e64 vcc, |v46|, |v50|
	s_nop 1
	v_cndmask_b32_e32 v46, v46, v50, vcc
	v_cndmask_b32_e32 v44, v44, v51, vcc
	s_cbranch_scc1 .LBB72_558
.LBB72_559:
	s_waitcnt lgkmcnt(0)
	v_cmp_eq_f32_e32 vcc, 0, v46
	s_and_saveexec_b64 s[0:1], vcc
	s_xor_b64 s[0:1], exec, s[0:1]
; %bb.560:
	v_cmp_ne_u32_e32 vcc, 0, v48
	s_nop 1
	v_cndmask_b32_e32 v48, 34, v48, vcc
; %bb.561:
	s_andn2_saveexec_b64 s[0:1], s[0:1]
	s_cbranch_execz .LBB72_563
; %bb.562:
	v_div_scale_f32 v49, s[2:3], v46, v46, 1.0
	v_rcp_f32_e32 v50, v49
	v_div_scale_f32 v51, vcc, 1.0, v46, 1.0
	v_fma_f32 v52, -v49, v50, 1.0
	v_fmac_f32_e32 v50, v52, v50
	v_mul_f32_e32 v52, v51, v50
	v_fma_f32 v53, -v49, v52, v51
	v_fmac_f32_e32 v52, v53, v50
	v_fma_f32 v49, -v49, v52, v51
	v_div_fmas_f32 v49, v49, v50, v52
	v_div_fixup_f32 v46, v49, v46, 1.0
.LBB72_563:
	s_or_b64 exec, exec, s[0:1]
	v_cmp_ne_u32_e32 vcc, v47, v44
	s_and_saveexec_b64 s[0:1], vcc
	s_xor_b64 s[0:1], exec, s[0:1]
	s_cbranch_execz .LBB72_569
; %bb.564:
	v_cmp_eq_u32_e32 vcc, 33, v47
	s_and_saveexec_b64 s[2:3], vcc
	s_cbranch_execz .LBB72_568
; %bb.565:
	v_cmp_ne_u32_e32 vcc, 33, v44
	s_xor_b64 s[18:19], s[16:17], -1
	s_and_b64 s[20:21], s[18:19], vcc
	s_and_saveexec_b64 s[18:19], s[20:21]
	s_cbranch_execz .LBB72_567
; %bb.566:
	v_ashrrev_i32_e32 v45, 31, v44
	v_lshl_add_u64 v[50:51], v[44:45], 2, v[22:23]
	global_load_dword v45, v[50:51], off
	global_load_dword v47, v[22:23], off offset:132
	s_waitcnt vmcnt(1)
	global_store_dword v[22:23], v45, off offset:132
	s_waitcnt vmcnt(1)
	global_store_dword v[50:51], v47, off
.LBB72_567:
	s_or_b64 exec, exec, s[18:19]
	v_mov_b32_e32 v45, v44
	v_mov_b32_e32 v47, v44
.LBB72_568:
	s_or_b64 exec, exec, s[2:3]
.LBB72_569:
	s_andn2_saveexec_b64 s[0:1], s[0:1]
	s_cbranch_execz .LBB72_571
; %bb.570:
	s_waitcnt vmcnt(0)
	v_pk_mov_b32 v[50:51], v[40:41], v[38:39] op_sel:[1,0]
	v_mov_b32_e32 v47, 33
	ds_write2_b32 v21, v50, v51 offset0:34 offset1:35
	ds_write_b32 v21, v39 offset:144
.LBB72_571:
	s_or_b64 exec, exec, s[0:1]
	v_cmp_lt_i32_e32 vcc, 33, v47
	s_waitcnt lgkmcnt(0)
	s_barrier
	s_and_saveexec_b64 s[0:1], vcc
	s_cbranch_execz .LBB72_573
; %bb.572:
	ds_read_b32 v44, v21 offset:136
	ds_read2_b32 v[50:51], v21 offset0:35 offset1:36
	v_mul_f32_e32 v40, v46, v40
	s_waitcnt vmcnt(2) lgkmcnt(1)
	v_fma_f32 v41, -v40, v44, v41
	s_waitcnt vmcnt(0) lgkmcnt(0)
	v_pk_fma_f32 v[38:39], v[40:41], v[50:51], v[38:39] op_sel_hi:[0,1,1] neg_lo:[1,0,0] neg_hi:[1,0,0]
.LBB72_573:
	s_or_b64 exec, exec, s[0:1]
	v_lshl_add_u32 v44, v47, 2, v21
	s_barrier
	s_waitcnt vmcnt(2)
	ds_write_b32 v44, v41
	s_waitcnt lgkmcnt(0)
	s_barrier
	ds_read_b32 v46, v21 offset:136
	s_cmp_lt_i32 s22, 36
	v_mov_b32_e32 v44, 34
	s_cbranch_scc1 .LBB72_576
; %bb.574:
	v_add_u32_e32 v49, 0x8c, v21
	v_mov_b32_e32 v44, 34
	s_mov_b32 s0, 35
.LBB72_575:                             ; =>This Inner Loop Header: Depth=1
	ds_read_b32 v50, v49
	v_mov_b32_e32 v51, s0
	s_add_i32 s0, s0, 1
	v_add_u32_e32 v49, 4, v49
	s_cmp_lg_u32 s22, s0
	s_waitcnt lgkmcnt(0)
	v_cmp_lt_f32_e64 vcc, |v46|, |v50|
	s_nop 1
	v_cndmask_b32_e32 v46, v46, v50, vcc
	v_cndmask_b32_e32 v44, v44, v51, vcc
	s_cbranch_scc1 .LBB72_575
.LBB72_576:
	s_waitcnt lgkmcnt(0)
	v_cmp_eq_f32_e32 vcc, 0, v46
	s_and_saveexec_b64 s[0:1], vcc
	s_xor_b64 s[0:1], exec, s[0:1]
; %bb.577:
	v_cmp_ne_u32_e32 vcc, 0, v48
	s_nop 1
	v_cndmask_b32_e32 v48, 35, v48, vcc
; %bb.578:
	s_andn2_saveexec_b64 s[0:1], s[0:1]
	s_cbranch_execz .LBB72_580
; %bb.579:
	v_div_scale_f32 v49, s[2:3], v46, v46, 1.0
	v_rcp_f32_e32 v50, v49
	v_div_scale_f32 v51, vcc, 1.0, v46, 1.0
	v_fma_f32 v52, -v49, v50, 1.0
	v_fmac_f32_e32 v50, v52, v50
	v_mul_f32_e32 v52, v51, v50
	v_fma_f32 v53, -v49, v52, v51
	v_fmac_f32_e32 v52, v53, v50
	v_fma_f32 v49, -v49, v52, v51
	v_div_fmas_f32 v49, v49, v50, v52
	v_div_fixup_f32 v46, v49, v46, 1.0
.LBB72_580:
	s_or_b64 exec, exec, s[0:1]
	v_cmp_ne_u32_e32 vcc, v47, v44
	s_and_saveexec_b64 s[0:1], vcc
	s_xor_b64 s[0:1], exec, s[0:1]
	s_cbranch_execz .LBB72_586
; %bb.581:
	v_cmp_eq_u32_e32 vcc, 34, v47
	s_and_saveexec_b64 s[2:3], vcc
	s_cbranch_execz .LBB72_585
; %bb.582:
	v_cmp_ne_u32_e32 vcc, 34, v44
	s_xor_b64 s[18:19], s[16:17], -1
	s_and_b64 s[20:21], s[18:19], vcc
	s_and_saveexec_b64 s[18:19], s[20:21]
	s_cbranch_execz .LBB72_584
; %bb.583:
	v_ashrrev_i32_e32 v45, 31, v44
	v_lshl_add_u64 v[50:51], v[44:45], 2, v[22:23]
	global_load_dword v45, v[50:51], off
	global_load_dword v47, v[22:23], off offset:136
	s_waitcnt vmcnt(1)
	global_store_dword v[22:23], v45, off offset:136
	s_waitcnt vmcnt(1)
	global_store_dword v[50:51], v47, off
.LBB72_584:
	s_or_b64 exec, exec, s[18:19]
	v_mov_b32_e32 v45, v44
	v_mov_b32_e32 v47, v44
.LBB72_585:
	s_or_b64 exec, exec, s[2:3]
.LBB72_586:
	s_andn2_saveexec_b64 s[0:1], s[0:1]
	s_cbranch_execz .LBB72_588
; %bb.587:
	v_mov_b32_e32 v47, 34
	s_waitcnt vmcnt(0)
	ds_write2_b32 v21, v38, v39 offset0:35 offset1:36
.LBB72_588:
	s_or_b64 exec, exec, s[0:1]
	v_cmp_lt_i32_e32 vcc, 34, v47
	s_waitcnt lgkmcnt(0)
	s_barrier
	s_and_saveexec_b64 s[0:1], vcc
	s_cbranch_execz .LBB72_590
; %bb.589:
	ds_read2_b32 v[50:51], v21 offset0:35 offset1:36
	v_mul_f32_e32 v44, v46, v41
	v_mov_b32_e32 v41, v44
	s_waitcnt vmcnt(0) lgkmcnt(0)
	v_pk_fma_f32 v[38:39], v[44:45], v[50:51], v[38:39] op_sel_hi:[0,1,1] neg_lo:[1,0,0] neg_hi:[1,0,0]
.LBB72_590:
	s_or_b64 exec, exec, s[0:1]
	v_lshl_add_u32 v44, v47, 2, v21
	s_barrier
	s_waitcnt vmcnt(1)
	ds_write_b32 v44, v38
	s_waitcnt lgkmcnt(0)
	s_barrier
	ds_read_b32 v46, v21 offset:140
	s_cmp_lt_i32 s22, 37
	v_mov_b32_e32 v44, 35
	s_cbranch_scc1 .LBB72_593
; %bb.591:
	v_add_u32_e32 v49, 0x90, v21
	v_mov_b32_e32 v44, 35
	s_mov_b32 s0, 36
.LBB72_592:                             ; =>This Inner Loop Header: Depth=1
	ds_read_b32 v50, v49
	v_mov_b32_e32 v51, s0
	s_add_i32 s0, s0, 1
	v_add_u32_e32 v49, 4, v49
	s_cmp_lg_u32 s22, s0
	s_waitcnt lgkmcnt(0)
	v_cmp_lt_f32_e64 vcc, |v46|, |v50|
	s_nop 1
	v_cndmask_b32_e32 v46, v46, v50, vcc
	v_cndmask_b32_e32 v44, v44, v51, vcc
	s_cbranch_scc1 .LBB72_592
.LBB72_593:
	s_waitcnt lgkmcnt(0)
	v_cmp_eq_f32_e32 vcc, 0, v46
	s_and_saveexec_b64 s[0:1], vcc
	s_xor_b64 s[0:1], exec, s[0:1]
; %bb.594:
	v_cmp_ne_u32_e32 vcc, 0, v48
	s_nop 1
	v_cndmask_b32_e32 v48, 36, v48, vcc
; %bb.595:
	s_andn2_saveexec_b64 s[0:1], s[0:1]
	s_cbranch_execz .LBB72_597
; %bb.596:
	v_div_scale_f32 v49, s[2:3], v46, v46, 1.0
	v_rcp_f32_e32 v50, v49
	v_div_scale_f32 v51, vcc, 1.0, v46, 1.0
	v_fma_f32 v52, -v49, v50, 1.0
	v_fmac_f32_e32 v50, v52, v50
	v_mul_f32_e32 v52, v51, v50
	v_fma_f32 v53, -v49, v52, v51
	v_fmac_f32_e32 v52, v53, v50
	v_fma_f32 v49, -v49, v52, v51
	v_div_fmas_f32 v49, v49, v50, v52
	v_div_fixup_f32 v46, v49, v46, 1.0
.LBB72_597:
	s_or_b64 exec, exec, s[0:1]
	v_cmp_ne_u32_e32 vcc, v47, v44
	s_and_saveexec_b64 s[0:1], vcc
	s_xor_b64 s[0:1], exec, s[0:1]
	s_cbranch_execz .LBB72_603
; %bb.598:
	v_cmp_eq_u32_e32 vcc, 35, v47
	s_and_saveexec_b64 s[2:3], vcc
	s_cbranch_execz .LBB72_602
; %bb.599:
	v_cmp_ne_u32_e32 vcc, 35, v44
	s_xor_b64 s[18:19], s[16:17], -1
	s_and_b64 s[20:21], s[18:19], vcc
	s_and_saveexec_b64 s[18:19], s[20:21]
	s_cbranch_execz .LBB72_601
; %bb.600:
	v_ashrrev_i32_e32 v45, 31, v44
	v_lshl_add_u64 v[50:51], v[44:45], 2, v[22:23]
	global_load_dword v45, v[50:51], off
	global_load_dword v47, v[22:23], off offset:140
	s_waitcnt vmcnt(1)
	global_store_dword v[22:23], v45, off offset:140
	s_waitcnt vmcnt(1)
	global_store_dword v[50:51], v47, off
.LBB72_601:
	s_or_b64 exec, exec, s[18:19]
	v_mov_b32_e32 v45, v44
	v_mov_b32_e32 v47, v44
.LBB72_602:
	s_or_b64 exec, exec, s[2:3]
.LBB72_603:
	s_andn2_saveexec_b64 s[0:1], s[0:1]
	s_cbranch_execz .LBB72_605
; %bb.604:
	v_mov_b32_e32 v47, 35
	s_waitcnt vmcnt(0)
	ds_write_b32 v21, v39 offset:144
.LBB72_605:
	s_or_b64 exec, exec, s[0:1]
	v_cmp_lt_i32_e32 vcc, 35, v47
	s_waitcnt lgkmcnt(0)
	s_barrier
	s_and_saveexec_b64 s[0:1], vcc
	s_cbranch_execz .LBB72_607
; %bb.606:
	ds_read_b32 v44, v21 offset:144
	v_mul_f32_e32 v38, v46, v38
	s_waitcnt vmcnt(0) lgkmcnt(0)
	v_fma_f32 v39, -v38, v44, v39
.LBB72_607:
	s_or_b64 exec, exec, s[0:1]
	v_lshl_add_u32 v44, v47, 2, v21
	s_barrier
	s_waitcnt vmcnt(0)
	ds_write_b32 v44, v39
	s_waitcnt lgkmcnt(0)
	s_barrier
	ds_read_b32 v49, v21 offset:144
	s_cmp_lt_i32 s22, 38
	v_mov_b32_e32 v44, 36
	s_cbranch_scc1 .LBB72_610
; %bb.608:
	v_add_u32_e32 v21, 0x94, v21
	v_mov_b32_e32 v44, 36
	s_mov_b32 s0, 37
.LBB72_609:                             ; =>This Inner Loop Header: Depth=1
	ds_read_b32 v46, v21
	v_mov_b32_e32 v50, s0
	s_add_i32 s0, s0, 1
	v_add_u32_e32 v21, 4, v21
	s_cmp_lg_u32 s22, s0
	s_waitcnt lgkmcnt(0)
	v_cmp_lt_f32_e64 vcc, |v49|, |v46|
	s_nop 1
	v_cndmask_b32_e32 v49, v49, v46, vcc
	v_cndmask_b32_e32 v44, v44, v50, vcc
	s_cbranch_scc1 .LBB72_609
.LBB72_610:
	s_waitcnt lgkmcnt(0)
	v_cmp_eq_f32_e32 vcc, 0, v49
	s_and_saveexec_b64 s[0:1], vcc
	s_xor_b64 s[0:1], exec, s[0:1]
; %bb.611:
	v_cmp_ne_u32_e32 vcc, 0, v48
	s_nop 1
	v_cndmask_b32_e32 v48, 37, v48, vcc
; %bb.612:
	s_andn2_saveexec_b64 s[0:1], s[0:1]
	s_cbranch_execz .LBB72_614
; %bb.613:
	v_div_scale_f32 v21, s[2:3], v49, v49, 1.0
	v_rcp_f32_e32 v46, v21
	v_div_scale_f32 v50, vcc, 1.0, v49, 1.0
	v_fma_f32 v51, -v21, v46, 1.0
	v_fmac_f32_e32 v46, v51, v46
	v_mul_f32_e32 v51, v50, v46
	v_fma_f32 v52, -v21, v51, v50
	v_fmac_f32_e32 v51, v52, v46
	v_fma_f32 v21, -v21, v51, v50
	v_div_fmas_f32 v21, v21, v46, v51
	v_div_fixup_f32 v49, v21, v49, 1.0
.LBB72_614:
	s_or_b64 exec, exec, s[0:1]
	v_cmp_ne_u32_e32 vcc, v47, v44
	v_mov_b32_e32 v46, 36
	s_and_saveexec_b64 s[0:1], vcc
	s_cbranch_execz .LBB72_620
; %bb.615:
	v_cmp_eq_u32_e32 vcc, 36, v47
	s_and_saveexec_b64 s[2:3], vcc
	s_cbranch_execz .LBB72_619
; %bb.616:
	v_cmp_ne_u32_e32 vcc, 36, v44
	s_xor_b64 s[16:17], s[16:17], -1
	s_and_b64 s[18:19], s[16:17], vcc
	s_and_saveexec_b64 s[16:17], s[18:19]
	s_cbranch_execz .LBB72_618
; %bb.617:
	v_ashrrev_i32_e32 v45, 31, v44
	v_lshl_add_u64 v[46:47], v[44:45], 2, v[22:23]
	global_load_dword v21, v[46:47], off
	global_load_dword v45, v[22:23], off offset:144
	s_waitcnt vmcnt(1)
	global_store_dword v[22:23], v21, off offset:144
	s_waitcnt vmcnt(1)
	global_store_dword v[46:47], v45, off
.LBB72_618:
	s_or_b64 exec, exec, s[16:17]
	v_mov_b32_e32 v45, v44
	v_mov_b32_e32 v47, v44
.LBB72_619:
	s_or_b64 exec, exec, s[2:3]
	v_mov_b32_e32 v46, v47
.LBB72_620:
	s_or_b64 exec, exec, s[0:1]
	v_cmp_gt_i32_e32 vcc, 37, v46
	v_ashrrev_i32_e32 v47, 31, v46
	s_barrier
	s_barrier
	s_and_saveexec_b64 s[0:1], vcc
	s_cbranch_execz .LBB72_622
; %bb.621:
	v_mul_lo_u32 v21, s11, v4
	v_mul_lo_u32 v44, s10, v5
	v_mad_u64_u32 v[50:51], s[2:3], s10, v4, 0
	v_mov_b32_e32 v22, s6
	v_mov_b32_e32 v23, s7
	v_add3_u32 v51, v51, v44, v21
	v_lshl_add_u64 v[22:23], v[50:51], 2, v[22:23]
	v_lshl_add_u64 v[22:23], s[8:9], 2, v[22:23]
	;; [unrolled: 1-line block ×3, first 2 shown]
	v_add3_u32 v21, v45, s15, 1
	global_store_dword v[22:23], v21, off
.LBB72_622:
	s_or_b64 exec, exec, s[0:1]
	v_cmp_eq_u32_e32 vcc, 0, v46
	s_and_saveexec_b64 s[2:3], vcc
	s_cbranch_execz .LBB72_625
; %bb.623:
	v_mov_b32_e32 v22, s4
	v_mov_b32_e32 v23, s5
	v_lshl_add_u64 v[4:5], v[4:5], 2, v[22:23]
	global_load_dword v21, v[4:5], off
	v_cmp_ne_u32_e64 s[0:1], 0, v48
	s_waitcnt vmcnt(0)
	v_cmp_eq_u32_e32 vcc, 0, v21
	s_and_b64 s[0:1], vcc, s[0:1]
	s_and_b64 exec, exec, s[0:1]
	s_cbranch_execz .LBB72_625
; %bb.624:
	v_add_u32_e32 v21, s15, v48
	global_store_dword v[4:5], v21, off
.LBB72_625:
	s_or_b64 exec, exec, s[2:3]
	v_mul_f32_e32 v4, v49, v39
	v_cmp_lt_i32_e32 vcc, 36, v46
	s_nop 1
	v_cndmask_b32_e32 v22, v39, v4, vcc
	v_lshl_add_u64 v[4:5], v[46:47], 2, v[2:3]
	global_store_dword v[4:5], v20, off
	v_lshl_add_u64 v[4:5], s[12:13], 2, v[4:5]
	global_store_dword v[4:5], v14, off
	v_add_u32_e32 v4, s14, v46
	v_ashrrev_i32_e32 v5, 31, v4
	v_lshl_add_u64 v[20:21], v[4:5], 2, v[2:3]
	v_add_u32_e32 v4, s12, v4
	v_ashrrev_i32_e32 v5, 31, v4
	global_store_dword v[20:21], v15, off
	v_lshl_add_u64 v[14:15], v[4:5], 2, v[2:3]
	v_add_u32_e32 v4, s12, v4
	v_ashrrev_i32_e32 v5, 31, v4
	global_store_dword v[14:15], v10, off
	;; [unrolled: 4-line block ×6, first 2 shown]
	v_lshl_add_u64 v[6:7], v[4:5], 2, v[2:3]
	v_add_u32_e32 v0, s12, v4
	global_store_dword v[6:7], v1, off
	v_ashrrev_i32_e32 v1, 31, v0
	v_lshl_add_u64 v[4:5], v[0:1], 2, v[2:3]
	v_add_u32_e32 v0, s12, v0
	v_ashrrev_i32_e32 v1, 31, v0
	global_store_dword v[4:5], v28, off
	v_lshl_add_u64 v[4:5], v[0:1], 2, v[2:3]
	v_add_u32_e32 v0, s12, v0
	v_ashrrev_i32_e32 v1, 31, v0
	global_store_dword v[4:5], v29, off
	;; [unrolled: 4-line block ×26, first 2 shown]
	v_lshl_add_u64 v[4:5], v[0:1], 2, v[2:3]
	v_add_u32_e32 v0, s12, v0
	v_ashrrev_i32_e32 v1, 31, v0
	v_lshl_add_u64 v[0:1], v[0:1], 2, v[2:3]
	global_store_dword v[4:5], v38, off
	global_store_dword v[0:1], v22, off
.LBB72_626:
	s_endpgm
	.section	.rodata,"a",@progbits
	.p2align	6, 0x0
	.amdhsa_kernel _ZN9rocsolver6v33100L18getf2_small_kernelILi37EfiiPfEEvT1_T3_lS3_lPS3_llPT2_S3_S3_S5_l
		.amdhsa_group_segment_fixed_size 0
		.amdhsa_private_segment_fixed_size 0
		.amdhsa_kernarg_size 352
		.amdhsa_user_sgpr_count 2
		.amdhsa_user_sgpr_dispatch_ptr 0
		.amdhsa_user_sgpr_queue_ptr 0
		.amdhsa_user_sgpr_kernarg_segment_ptr 1
		.amdhsa_user_sgpr_dispatch_id 0
		.amdhsa_user_sgpr_kernarg_preload_length 0
		.amdhsa_user_sgpr_kernarg_preload_offset 0
		.amdhsa_user_sgpr_private_segment_size 0
		.amdhsa_uses_dynamic_stack 0
		.amdhsa_enable_private_segment 0
		.amdhsa_system_sgpr_workgroup_id_x 1
		.amdhsa_system_sgpr_workgroup_id_y 1
		.amdhsa_system_sgpr_workgroup_id_z 0
		.amdhsa_system_sgpr_workgroup_info 0
		.amdhsa_system_vgpr_workitem_id 1
		.amdhsa_next_free_vgpr 62
		.amdhsa_next_free_sgpr 26
		.amdhsa_accum_offset 64
		.amdhsa_reserve_vcc 1
		.amdhsa_float_round_mode_32 0
		.amdhsa_float_round_mode_16_64 0
		.amdhsa_float_denorm_mode_32 3
		.amdhsa_float_denorm_mode_16_64 3
		.amdhsa_dx10_clamp 1
		.amdhsa_ieee_mode 1
		.amdhsa_fp16_overflow 0
		.amdhsa_tg_split 0
		.amdhsa_exception_fp_ieee_invalid_op 0
		.amdhsa_exception_fp_denorm_src 0
		.amdhsa_exception_fp_ieee_div_zero 0
		.amdhsa_exception_fp_ieee_overflow 0
		.amdhsa_exception_fp_ieee_underflow 0
		.amdhsa_exception_fp_ieee_inexact 0
		.amdhsa_exception_int_div_zero 0
	.end_amdhsa_kernel
	.section	.text._ZN9rocsolver6v33100L18getf2_small_kernelILi37EfiiPfEEvT1_T3_lS3_lPS3_llPT2_S3_S3_S5_l,"axG",@progbits,_ZN9rocsolver6v33100L18getf2_small_kernelILi37EfiiPfEEvT1_T3_lS3_lPS3_llPT2_S3_S3_S5_l,comdat
.Lfunc_end72:
	.size	_ZN9rocsolver6v33100L18getf2_small_kernelILi37EfiiPfEEvT1_T3_lS3_lPS3_llPT2_S3_S3_S5_l, .Lfunc_end72-_ZN9rocsolver6v33100L18getf2_small_kernelILi37EfiiPfEEvT1_T3_lS3_lPS3_llPT2_S3_S3_S5_l
                                        ; -- End function
	.set _ZN9rocsolver6v33100L18getf2_small_kernelILi37EfiiPfEEvT1_T3_lS3_lPS3_llPT2_S3_S3_S5_l.num_vgpr, 62
	.set _ZN9rocsolver6v33100L18getf2_small_kernelILi37EfiiPfEEvT1_T3_lS3_lPS3_llPT2_S3_S3_S5_l.num_agpr, 0
	.set _ZN9rocsolver6v33100L18getf2_small_kernelILi37EfiiPfEEvT1_T3_lS3_lPS3_llPT2_S3_S3_S5_l.numbered_sgpr, 26
	.set _ZN9rocsolver6v33100L18getf2_small_kernelILi37EfiiPfEEvT1_T3_lS3_lPS3_llPT2_S3_S3_S5_l.num_named_barrier, 0
	.set _ZN9rocsolver6v33100L18getf2_small_kernelILi37EfiiPfEEvT1_T3_lS3_lPS3_llPT2_S3_S3_S5_l.private_seg_size, 0
	.set _ZN9rocsolver6v33100L18getf2_small_kernelILi37EfiiPfEEvT1_T3_lS3_lPS3_llPT2_S3_S3_S5_l.uses_vcc, 1
	.set _ZN9rocsolver6v33100L18getf2_small_kernelILi37EfiiPfEEvT1_T3_lS3_lPS3_llPT2_S3_S3_S5_l.uses_flat_scratch, 0
	.set _ZN9rocsolver6v33100L18getf2_small_kernelILi37EfiiPfEEvT1_T3_lS3_lPS3_llPT2_S3_S3_S5_l.has_dyn_sized_stack, 0
	.set _ZN9rocsolver6v33100L18getf2_small_kernelILi37EfiiPfEEvT1_T3_lS3_lPS3_llPT2_S3_S3_S5_l.has_recursion, 0
	.set _ZN9rocsolver6v33100L18getf2_small_kernelILi37EfiiPfEEvT1_T3_lS3_lPS3_llPT2_S3_S3_S5_l.has_indirect_call, 0
	.section	.AMDGPU.csdata,"",@progbits
; Kernel info:
; codeLenInByte = 28844
; TotalNumSgprs: 32
; NumVgprs: 62
; NumAgprs: 0
; TotalNumVgprs: 62
; ScratchSize: 0
; MemoryBound: 0
; FloatMode: 240
; IeeeMode: 1
; LDSByteSize: 0 bytes/workgroup (compile time only)
; SGPRBlocks: 3
; VGPRBlocks: 7
; NumSGPRsForWavesPerEU: 32
; NumVGPRsForWavesPerEU: 62
; AccumOffset: 64
; Occupancy: 8
; WaveLimiterHint : 0
; COMPUTE_PGM_RSRC2:SCRATCH_EN: 0
; COMPUTE_PGM_RSRC2:USER_SGPR: 2
; COMPUTE_PGM_RSRC2:TRAP_HANDLER: 0
; COMPUTE_PGM_RSRC2:TGID_X_EN: 1
; COMPUTE_PGM_RSRC2:TGID_Y_EN: 1
; COMPUTE_PGM_RSRC2:TGID_Z_EN: 0
; COMPUTE_PGM_RSRC2:TIDIG_COMP_CNT: 1
; COMPUTE_PGM_RSRC3_GFX90A:ACCUM_OFFSET: 15
; COMPUTE_PGM_RSRC3_GFX90A:TG_SPLIT: 0
	.section	.text._ZN9rocsolver6v33100L23getf2_npvt_small_kernelILi37EfiiPfEEvT1_T3_lS3_lPT2_S3_S3_,"axG",@progbits,_ZN9rocsolver6v33100L23getf2_npvt_small_kernelILi37EfiiPfEEvT1_T3_lS3_lPT2_S3_S3_,comdat
	.globl	_ZN9rocsolver6v33100L23getf2_npvt_small_kernelILi37EfiiPfEEvT1_T3_lS3_lPT2_S3_S3_ ; -- Begin function _ZN9rocsolver6v33100L23getf2_npvt_small_kernelILi37EfiiPfEEvT1_T3_lS3_lPT2_S3_S3_
	.p2align	8
	.type	_ZN9rocsolver6v33100L23getf2_npvt_small_kernelILi37EfiiPfEEvT1_T3_lS3_lPT2_S3_S3_,@function
_ZN9rocsolver6v33100L23getf2_npvt_small_kernelILi37EfiiPfEEvT1_T3_lS3_lPT2_S3_S3_: ; @_ZN9rocsolver6v33100L23getf2_npvt_small_kernelILi37EfiiPfEEvT1_T3_lS3_lPT2_S3_S3_
; %bb.0:
	s_load_dword s2, s[0:1], 0x44
	s_load_dwordx2 s[8:9], s[0:1], 0x30
	v_bfe_u32 v114, v0, 10, 10
	s_waitcnt lgkmcnt(0)
	s_lshr_b32 s10, s2, 16
	s_mul_i32 s3, s3, s10
	v_add_u32_e32 v34, s3, v114
	v_cmp_gt_i32_e32 vcc, s8, v34
	s_and_saveexec_b64 s[2:3], vcc
	s_cbranch_execz .LBB73_206
; %bb.1:
	s_load_dwordx4 s[12:15], s[0:1], 0x8
	s_load_dword s2, s[0:1], 0x18
	s_load_dwordx4 s[4:7], s[0:1], 0x20
	v_and_b32_e32 v25, 0x3ff, v0
	v_ashrrev_i32_e32 v35, 31, v34
	s_waitcnt lgkmcnt(0)
	v_mov_b32_e32 v2, s12
	v_mov_b32_e32 v3, s13
	v_mad_u64_u32 v[0:1], s[0:1], s4, v34, 0
	s_add_i32 s0, s2, s2
	s_nop 0
	v_add_u32_e32 v6, s0, v25
	v_add_u32_e32 v8, s2, v6
	;; [unrolled: 1-line block ×29, first 2 shown]
	v_mul_lo_u32 v4, s5, v34
	v_mul_lo_u32 v5, s4, v35
	v_add_u32_e32 v100, s2, v90
	v_add3_u32 v1, v1, v5, v4
	v_add_u32_e32 v102, s2, v100
	v_lshl_add_u64 v[0:1], v[0:1], 2, v[2:3]
	v_add_u32_e32 v104, s2, v102
	v_lshl_add_u64 v[108:109], s[14:15], 2, v[0:1]
	v_lshlrev_b32_e32 v0, 2, v25
	v_mov_b32_e32 v1, 0
	v_ashrrev_i32_e32 v7, 31, v6
	v_ashrrev_i32_e32 v9, 31, v8
	;; [unrolled: 1-line block ×23, first 2 shown]
	v_add_u32_e32 v106, s2, v104
	s_ashr_i32 s3, s2, 31
	v_lshl_add_u64 v[0:1], v[108:109], 0, v[0:1]
	v_lshl_add_u64 v[4:5], v[6:7], 2, v[108:109]
	;; [unrolled: 1-line block ×24, first 2 shown]
	v_ashrrev_i32_e32 v81, 31, v80
	v_ashrrev_i32_e32 v83, 31, v82
	;; [unrolled: 1-line block ×7, first 2 shown]
	v_add_u32_e32 v110, s2, v106
	v_lshl_add_u64 v[2:3], s[2:3], 2, v[0:1]
	global_load_dword v24, v[0:1], off
	global_load_dword v18, v[2:3], off
	;; [unrolled: 1-line block ×24, first 2 shown]
	v_lshl_add_u64 v[78:79], v[80:81], 2, v[108:109]
	v_lshl_add_u64 v[80:81], v[82:83], 2, v[108:109]
	;; [unrolled: 1-line block ×7, first 2 shown]
	global_load_dword v73, v[76:77], off
	global_load_dword v94, v[78:79], off
	;; [unrolled: 1-line block ×8, first 2 shown]
	v_ashrrev_i32_e32 v103, 31, v102
	v_ashrrev_i32_e32 v105, 31, v104
	v_ashrrev_i32_e32 v107, 31, v106
	v_ashrrev_i32_e32 v111, 31, v110
	v_lshl_add_u64 v[100:101], v[102:103], 2, v[108:109]
	v_lshl_add_u64 v[102:103], v[104:105], 2, v[108:109]
	;; [unrolled: 1-line block ×4, first 2 shown]
	v_add_u32_e32 v110, s2, v110
	v_ashrrev_i32_e32 v111, 31, v110
	v_lshl_add_u64 v[108:109], v[110:111], 2, v[108:109]
	global_load_dword v93, v[100:101], off
	global_load_dword v110, v[102:103], off
	;; [unrolled: 1-line block ×5, first 2 shown]
	s_mulk_i32 s10, 0x94
	v_cmp_eq_u32_e64 s[0:1], 0, v25
	v_cmp_ne_u32_e64 s[2:3], 0, v25
	s_movk_i32 s11, 0x94
	s_add_i32 s8, s10, 0
	s_and_saveexec_b64 s[4:5], s[2:3]
	s_xor_b64 s[4:5], exec, s[4:5]
	s_or_saveexec_b64 s[4:5], s[4:5]
	v_mad_u32_u24 v115, v114, s11, 0
	v_lshl_add_u32 v114, v114, 2, s8
	s_xor_b64 exec, exec, s[4:5]
	s_cbranch_execz .LBB73_5
; %bb.2:
	s_waitcnt vmcnt(36)
	ds_write_b32 v114, v24
	s_waitcnt vmcnt(34)
	ds_write2_b32 v115, v18, v19 offset0:1 offset1:2
	s_waitcnt vmcnt(32)
	ds_write2_b32 v115, v20, v21 offset0:3 offset1:4
	;; [unrolled: 2-line block ×18, first 2 shown]
	ds_read_b32 v116, v114
	s_waitcnt lgkmcnt(0)
	v_cmp_neq_f32_e32 vcc, 0, v116
	s_and_saveexec_b64 s[10:11], vcc
	s_cbranch_execz .LBB73_4
; %bb.3:
	v_div_scale_f32 v117, s[12:13], v116, v116, 1.0
	v_rcp_f32_e32 v118, v117
	v_div_scale_f32 v119, vcc, 1.0, v116, 1.0
	v_fma_f32 v120, -v117, v118, 1.0
	v_fmac_f32_e32 v118, v120, v118
	v_mul_f32_e32 v120, v119, v118
	v_fma_f32 v121, -v117, v120, v119
	v_fmac_f32_e32 v120, v121, v118
	v_fma_f32 v117, -v117, v120, v119
	v_div_fmas_f32 v117, v117, v118, v120
	v_div_fixup_f32 v116, v117, v116, 1.0
	ds_write_b32 v114, v116
.LBB73_4:
	s_or_b64 exec, exec, s[10:11]
.LBB73_5:
	s_or_b64 exec, exec, s[4:5]
	s_waitcnt lgkmcnt(0)
	s_barrier
	ds_read_b32 v116, v114
	s_and_saveexec_b64 s[4:5], s[2:3]
	s_cbranch_execz .LBB73_7
; %bb.6:
	ds_read2_b32 v[118:119], v115 offset0:1 offset1:2
	ds_read2_b32 v[120:121], v115 offset0:3 offset1:4
	;; [unrolled: 1-line block ×4, first 2 shown]
	s_waitcnt vmcnt(36) lgkmcnt(4)
	v_mul_f32_e32 v24, v116, v24
	s_waitcnt vmcnt(34) lgkmcnt(3)
	v_pk_fma_f32 v[18:19], v[24:25], v[118:119], v[18:19] op_sel_hi:[0,1,1] neg_lo:[1,0,0] neg_hi:[1,0,0]
	s_waitcnt vmcnt(32) lgkmcnt(2)
	v_pk_fma_f32 v[20:21], v[24:25], v[120:121], v[20:21] op_sel_hi:[0,1,1] neg_lo:[1,0,0] neg_hi:[1,0,0]
	;; [unrolled: 2-line block ×3, first 2 shown]
	ds_read2_b32 v[118:119], v115 offset0:9 offset1:10
	ds_read2_b32 v[120:121], v115 offset0:11 offset1:12
	;; [unrolled: 1-line block ×3, first 2 shown]
	s_waitcnt vmcnt(28) lgkmcnt(3)
	v_pk_fma_f32 v[16:17], v[24:25], v[124:125], v[16:17] op_sel_hi:[0,1,1] neg_lo:[1,0,0] neg_hi:[1,0,0]
	ds_read2_b32 v[124:125], v115 offset0:15 offset1:16
	s_waitcnt vmcnt(26) lgkmcnt(3)
	v_pk_fma_f32 v[46:47], v[24:25], v[118:119], v[46:47] op_sel_hi:[0,1,1] neg_lo:[1,0,0] neg_hi:[1,0,0]
	s_waitcnt vmcnt(24) lgkmcnt(2)
	v_pk_fma_f32 v[50:51], v[24:25], v[120:121], v[50:51] op_sel_hi:[0,1,1] neg_lo:[1,0,0] neg_hi:[1,0,0]
	;; [unrolled: 2-line block ×3, first 2 shown]
	ds_read2_b32 v[118:119], v115 offset0:17 offset1:18
	ds_read2_b32 v[120:121], v115 offset0:19 offset1:20
	;; [unrolled: 1-line block ×3, first 2 shown]
	s_waitcnt vmcnt(20) lgkmcnt(3)
	v_pk_fma_f32 v[48:49], v[24:25], v[124:125], v[48:49] op_sel_hi:[0,1,1] neg_lo:[1,0,0] neg_hi:[1,0,0]
	ds_read2_b32 v[124:125], v115 offset0:23 offset1:24
	s_waitcnt vmcnt(18) lgkmcnt(3)
	v_pk_fma_f32 v[74:75], v[24:25], v[118:119], v[74:75] op_sel_hi:[0,1,1] neg_lo:[1,0,0] neg_hi:[1,0,0]
	ds_read2_b32 v[118:119], v115 offset0:25 offset1:26
	s_waitcnt vmcnt(16) lgkmcnt(3)
	v_pk_fma_f32 v[68:69], v[24:25], v[120:121], v[68:69] op_sel_hi:[0,1,1] neg_lo:[1,0,0] neg_hi:[1,0,0]
	s_waitcnt vmcnt(14) lgkmcnt(2)
	v_pk_fma_f32 v[70:71], v[24:25], v[122:123], v[70:71] op_sel_hi:[0,1,1] neg_lo:[1,0,0] neg_hi:[1,0,0]
	;; [unrolled: 2-line block ×3, first 2 shown]
	ds_read2_b32 v[120:121], v115 offset0:27 offset1:28
	ds_read2_b32 v[122:123], v115 offset0:29 offset1:30
	;; [unrolled: 1-line block ×3, first 2 shown]
	s_waitcnt vmcnt(10) lgkmcnt(3)
	v_pk_fma_f32 v[94:95], v[24:25], v[118:119], v[94:95] op_sel_hi:[0,1,1] neg_lo:[1,0,0] neg_hi:[1,0,0]
	ds_read2_b32 v[118:119], v115 offset0:33 offset1:34
	ds_read2_b32 v[126:127], v115 offset0:35 offset1:36
	s_waitcnt vmcnt(8) lgkmcnt(4)
	v_pk_fma_f32 v[96:97], v[24:25], v[120:121], v[96:97] op_sel_hi:[0,1,1] neg_lo:[1,0,0] neg_hi:[1,0,0]
	s_waitcnt vmcnt(6) lgkmcnt(3)
	v_pk_fma_f32 v[98:99], v[24:25], v[122:123], v[98:99] op_sel_hi:[0,1,1] neg_lo:[1,0,0] neg_hi:[1,0,0]
	;; [unrolled: 2-line block ×5, first 2 shown]
.LBB73_7:
	s_or_b64 exec, exec, s[4:5]
	v_cmp_eq_u32_e32 vcc, 1, v25
	s_waitcnt lgkmcnt(0)
	s_barrier
	s_and_saveexec_b64 s[2:3], vcc
	s_cbranch_execz .LBB73_10
; %bb.8:
	s_waitcnt vmcnt(32)
	v_pk_mov_b32 v[118:119], v[18:19], v[20:21] op_sel:[1,0]
	ds_write_b32 v114, v18
	ds_write2_b32 v115, v118, v119 offset0:2 offset1:3
	s_waitcnt vmcnt(30)
	v_pk_mov_b32 v[118:119], v[20:21], v[22:23] op_sel:[1,0]
	ds_write2_b32 v115, v118, v119 offset0:4 offset1:5
	s_waitcnt vmcnt(28)
	v_pk_mov_b32 v[118:119], v[22:23], v[16:17] op_sel:[1,0]
	;; [unrolled: 3-line block ×16, first 2 shown]
	ds_write2_b32 v115, v118, v119 offset0:34 offset1:35
	ds_write_b32 v115, v113 offset:144
	ds_read_b32 v117, v114
	s_waitcnt lgkmcnt(0)
	v_cmp_neq_f32_e32 vcc, 0, v117
	s_and_b64 exec, exec, vcc
	s_cbranch_execz .LBB73_10
; %bb.9:
	v_div_scale_f32 v118, s[4:5], v117, v117, 1.0
	v_rcp_f32_e32 v119, v118
	v_div_scale_f32 v120, vcc, 1.0, v117, 1.0
	v_fma_f32 v121, -v118, v119, 1.0
	v_fmac_f32_e32 v119, v121, v119
	v_mul_f32_e32 v121, v120, v119
	v_fma_f32 v122, -v118, v121, v120
	v_fmac_f32_e32 v121, v122, v119
	v_fma_f32 v118, -v118, v121, v120
	v_div_fmas_f32 v118, v118, v119, v121
	v_div_fixup_f32 v117, v118, v117, 1.0
	ds_write_b32 v114, v117
.LBB73_10:
	s_or_b64 exec, exec, s[2:3]
	s_waitcnt lgkmcnt(0)
	s_barrier
	ds_read_b32 v117, v114
	v_cmp_lt_u32_e32 vcc, 1, v25
	s_and_saveexec_b64 s[2:3], vcc
	s_cbranch_execz .LBB73_12
; %bb.11:
	ds_read_b32 v124, v115 offset:8
	ds_read2_b32 v[118:119], v115 offset0:3 offset1:4
	ds_read2_b32 v[120:121], v115 offset0:5 offset1:6
	s_waitcnt vmcnt(35) lgkmcnt(3)
	v_mul_f32_e32 v18, v117, v18
	ds_read2_b32 v[122:123], v115 offset0:7 offset1:8
	s_waitcnt vmcnt(34) lgkmcnt(3)
	v_fma_f32 v19, -v18, v124, v19
	s_waitcnt vmcnt(32) lgkmcnt(2)
	v_pk_fma_f32 v[20:21], v[18:19], v[118:119], v[20:21] op_sel_hi:[0,1,1] neg_lo:[1,0,0] neg_hi:[1,0,0]
	s_waitcnt vmcnt(30) lgkmcnt(1)
	v_pk_fma_f32 v[22:23], v[18:19], v[120:121], v[22:23] op_sel_hi:[0,1,1] neg_lo:[1,0,0] neg_hi:[1,0,0]
	ds_read2_b32 v[118:119], v115 offset0:9 offset1:10
	ds_read2_b32 v[120:121], v115 offset0:11 offset1:12
	;; [unrolled: 1-line block ×3, first 2 shown]
	s_waitcnt vmcnt(28) lgkmcnt(3)
	v_pk_fma_f32 v[16:17], v[18:19], v[122:123], v[16:17] op_sel_hi:[0,1,1] neg_lo:[1,0,0] neg_hi:[1,0,0]
	ds_read2_b32 v[122:123], v115 offset0:15 offset1:16
	s_waitcnt vmcnt(26) lgkmcnt(3)
	v_pk_fma_f32 v[46:47], v[18:19], v[118:119], v[46:47] op_sel_hi:[0,1,1] neg_lo:[1,0,0] neg_hi:[1,0,0]
	s_waitcnt vmcnt(24) lgkmcnt(2)
	v_pk_fma_f32 v[50:51], v[18:19], v[120:121], v[50:51] op_sel_hi:[0,1,1] neg_lo:[1,0,0] neg_hi:[1,0,0]
	s_waitcnt vmcnt(22) lgkmcnt(1)
	v_pk_fma_f32 v[44:45], v[18:19], v[124:125], v[44:45] op_sel_hi:[0,1,1] neg_lo:[1,0,0] neg_hi:[1,0,0]
	ds_read2_b32 v[118:119], v115 offset0:17 offset1:18
	ds_read2_b32 v[120:121], v115 offset0:19 offset1:20
	ds_read2_b32 v[124:125], v115 offset0:21 offset1:22
	s_waitcnt vmcnt(20) lgkmcnt(3)
	v_pk_fma_f32 v[48:49], v[18:19], v[122:123], v[48:49] op_sel_hi:[0,1,1] neg_lo:[1,0,0] neg_hi:[1,0,0]
	ds_read2_b32 v[122:123], v115 offset0:23 offset1:24
	s_waitcnt vmcnt(18) lgkmcnt(3)
	v_pk_fma_f32 v[74:75], v[18:19], v[118:119], v[74:75] op_sel_hi:[0,1,1] neg_lo:[1,0,0] neg_hi:[1,0,0]
	ds_read2_b32 v[118:119], v115 offset0:25 offset1:26
	s_waitcnt vmcnt(16) lgkmcnt(3)
	v_pk_fma_f32 v[68:69], v[18:19], v[120:121], v[68:69] op_sel_hi:[0,1,1] neg_lo:[1,0,0] neg_hi:[1,0,0]
	s_waitcnt vmcnt(14) lgkmcnt(2)
	v_pk_fma_f32 v[70:71], v[18:19], v[124:125], v[70:71] op_sel_hi:[0,1,1] neg_lo:[1,0,0] neg_hi:[1,0,0]
	;; [unrolled: 2-line block ×3, first 2 shown]
	ds_read2_b32 v[120:121], v115 offset0:27 offset1:28
	ds_read2_b32 v[122:123], v115 offset0:29 offset1:30
	;; [unrolled: 1-line block ×3, first 2 shown]
	s_waitcnt vmcnt(10) lgkmcnt(3)
	v_pk_fma_f32 v[94:95], v[18:19], v[118:119], v[94:95] op_sel_hi:[0,1,1] neg_lo:[1,0,0] neg_hi:[1,0,0]
	ds_read2_b32 v[118:119], v115 offset0:33 offset1:34
	ds_read2_b32 v[126:127], v115 offset0:35 offset1:36
	s_waitcnt vmcnt(8) lgkmcnt(4)
	v_pk_fma_f32 v[96:97], v[18:19], v[120:121], v[96:97] op_sel_hi:[0,1,1] neg_lo:[1,0,0] neg_hi:[1,0,0]
	s_waitcnt vmcnt(6) lgkmcnt(3)
	v_pk_fma_f32 v[98:99], v[18:19], v[122:123], v[98:99] op_sel_hi:[0,1,1] neg_lo:[1,0,0] neg_hi:[1,0,0]
	;; [unrolled: 2-line block ×5, first 2 shown]
.LBB73_12:
	s_or_b64 exec, exec, s[2:3]
	v_cmp_eq_u32_e32 vcc, 2, v25
	s_waitcnt lgkmcnt(0)
	s_barrier
	s_and_saveexec_b64 s[2:3], vcc
	s_cbranch_execz .LBB73_15
; %bb.13:
	s_waitcnt vmcnt(34)
	ds_write_b32 v114, v19
	s_waitcnt vmcnt(32)
	ds_write2_b32 v115, v20, v21 offset0:3 offset1:4
	s_waitcnt vmcnt(30)
	ds_write2_b32 v115, v22, v23 offset0:5 offset1:6
	;; [unrolled: 2-line block ×17, first 2 shown]
	ds_read_b32 v118, v114
	s_waitcnt lgkmcnt(0)
	v_cmp_neq_f32_e32 vcc, 0, v118
	s_and_b64 exec, exec, vcc
	s_cbranch_execz .LBB73_15
; %bb.14:
	v_div_scale_f32 v119, s[4:5], v118, v118, 1.0
	v_rcp_f32_e32 v120, v119
	v_div_scale_f32 v121, vcc, 1.0, v118, 1.0
	v_fma_f32 v122, -v119, v120, 1.0
	v_fmac_f32_e32 v120, v122, v120
	v_mul_f32_e32 v122, v121, v120
	v_fma_f32 v123, -v119, v122, v121
	v_fmac_f32_e32 v122, v123, v120
	v_fma_f32 v119, -v119, v122, v121
	v_div_fmas_f32 v119, v119, v120, v122
	v_div_fixup_f32 v118, v119, v118, 1.0
	ds_write_b32 v114, v118
.LBB73_15:
	s_or_b64 exec, exec, s[2:3]
	s_waitcnt lgkmcnt(0)
	s_barrier
	ds_read_b32 v118, v114
	v_cmp_lt_u32_e32 vcc, 2, v25
	s_and_saveexec_b64 s[2:3], vcc
	s_cbranch_execz .LBB73_17
; %bb.16:
	ds_read2_b32 v[122:123], v115 offset0:3 offset1:4
	s_waitcnt vmcnt(34) lgkmcnt(1)
	v_mul_f32_e32 v120, v118, v19
	v_mov_b32_e32 v19, v120
	s_waitcnt vmcnt(32) lgkmcnt(0)
	v_pk_fma_f32 v[20:21], v[120:121], v[122:123], v[20:21] op_sel_hi:[0,1,1] neg_lo:[1,0,0] neg_hi:[1,0,0]
	ds_read2_b32 v[122:123], v115 offset0:5 offset1:6
	s_waitcnt vmcnt(30) lgkmcnt(0)
	v_pk_fma_f32 v[22:23], v[120:121], v[122:123], v[22:23] op_sel_hi:[0,1,1] neg_lo:[1,0,0] neg_hi:[1,0,0]
	ds_read2_b32 v[122:123], v115 offset0:7 offset1:8
	;; [unrolled: 3-line block ×16, first 2 shown]
	s_waitcnt vmcnt(0) lgkmcnt(0)
	v_pk_fma_f32 v[112:113], v[120:121], v[122:123], v[112:113] op_sel_hi:[0,1,1] neg_lo:[1,0,0] neg_hi:[1,0,0]
.LBB73_17:
	s_or_b64 exec, exec, s[2:3]
	v_cmp_eq_u32_e32 vcc, 3, v25
	s_waitcnt lgkmcnt(0)
	s_barrier
	s_and_saveexec_b64 s[2:3], vcc
	s_cbranch_execz .LBB73_20
; %bb.18:
	s_waitcnt vmcnt(30)
	v_pk_mov_b32 v[120:121], v[20:21], v[22:23] op_sel:[1,0]
	ds_write_b32 v114, v20
	ds_write2_b32 v115, v120, v121 offset0:4 offset1:5
	s_waitcnt vmcnt(28)
	v_pk_mov_b32 v[120:121], v[22:23], v[16:17] op_sel:[1,0]
	ds_write2_b32 v115, v120, v121 offset0:6 offset1:7
	s_waitcnt vmcnt(26)
	v_pk_mov_b32 v[120:121], v[16:17], v[46:47] op_sel:[1,0]
	;; [unrolled: 3-line block ×15, first 2 shown]
	ds_write2_b32 v115, v120, v121 offset0:34 offset1:35
	ds_write_b32 v115, v113 offset:144
	ds_read_b32 v119, v114
	s_waitcnt lgkmcnt(0)
	v_cmp_neq_f32_e32 vcc, 0, v119
	s_and_b64 exec, exec, vcc
	s_cbranch_execz .LBB73_20
; %bb.19:
	v_div_scale_f32 v120, s[4:5], v119, v119, 1.0
	v_rcp_f32_e32 v121, v120
	v_div_scale_f32 v122, vcc, 1.0, v119, 1.0
	v_fma_f32 v123, -v120, v121, 1.0
	v_fmac_f32_e32 v121, v123, v121
	v_mul_f32_e32 v123, v122, v121
	v_fma_f32 v124, -v120, v123, v122
	v_fmac_f32_e32 v123, v124, v121
	v_fma_f32 v120, -v120, v123, v122
	v_div_fmas_f32 v120, v120, v121, v123
	v_div_fixup_f32 v119, v120, v119, 1.0
	ds_write_b32 v114, v119
.LBB73_20:
	s_or_b64 exec, exec, s[2:3]
	s_waitcnt lgkmcnt(0)
	s_barrier
	ds_read_b32 v119, v114
	v_cmp_lt_u32_e32 vcc, 3, v25
	s_and_saveexec_b64 s[2:3], vcc
	s_cbranch_execz .LBB73_22
; %bb.21:
	ds_read_b32 v120, v115 offset:16
	s_waitcnt vmcnt(33) lgkmcnt(1)
	v_mul_f32_e32 v20, v119, v20
	s_waitcnt vmcnt(32) lgkmcnt(0)
	v_fma_f32 v21, -v20, v120, v21
	ds_read2_b32 v[120:121], v115 offset0:5 offset1:6
	s_waitcnt vmcnt(30) lgkmcnt(0)
	v_pk_fma_f32 v[22:23], v[20:21], v[120:121], v[22:23] op_sel_hi:[0,1,1] neg_lo:[1,0,0] neg_hi:[1,0,0]
	ds_read2_b32 v[120:121], v115 offset0:7 offset1:8
	s_waitcnt vmcnt(28) lgkmcnt(0)
	v_pk_fma_f32 v[16:17], v[20:21], v[120:121], v[16:17] op_sel_hi:[0,1,1] neg_lo:[1,0,0] neg_hi:[1,0,0]
	;; [unrolled: 3-line block ×16, first 2 shown]
.LBB73_22:
	s_or_b64 exec, exec, s[2:3]
	v_cmp_ne_u32_e32 vcc, 4, v25
	s_waitcnt lgkmcnt(0)
	s_barrier
	s_and_saveexec_b64 s[2:3], vcc
	s_xor_b64 s[2:3], exec, s[2:3]
	s_andn2_saveexec_b64 s[2:3], s[2:3]
	s_cbranch_execz .LBB73_26
; %bb.23:
	s_waitcnt vmcnt(32)
	ds_write_b32 v114, v21
	s_waitcnt vmcnt(30)
	ds_write2_b32 v115, v22, v23 offset0:5 offset1:6
	s_waitcnt vmcnt(28)
	ds_write2_b32 v115, v16, v17 offset0:7 offset1:8
	;; [unrolled: 2-line block ×16, first 2 shown]
	ds_read_b32 v120, v114
	s_waitcnt lgkmcnt(0)
	v_cmp_neq_f32_e32 vcc, 0, v120
	s_and_saveexec_b64 s[4:5], vcc
	s_cbranch_execz .LBB73_25
; %bb.24:
	v_div_scale_f32 v121, s[10:11], v120, v120, 1.0
	v_rcp_f32_e32 v122, v121
	v_div_scale_f32 v123, vcc, 1.0, v120, 1.0
	v_fma_f32 v124, -v121, v122, 1.0
	v_fmac_f32_e32 v122, v124, v122
	v_mul_f32_e32 v124, v123, v122
	v_fma_f32 v125, -v121, v124, v123
	v_fmac_f32_e32 v124, v125, v122
	v_fma_f32 v121, -v121, v124, v123
	v_div_fmas_f32 v121, v121, v122, v124
	v_div_fixup_f32 v120, v121, v120, 1.0
	ds_write_b32 v114, v120
.LBB73_25:
	s_or_b64 exec, exec, s[4:5]
.LBB73_26:
	s_or_b64 exec, exec, s[2:3]
	s_waitcnt lgkmcnt(0)
	s_barrier
	ds_read_b32 v120, v114
	v_cmp_lt_u32_e32 vcc, 4, v25
	s_and_saveexec_b64 s[2:3], vcc
	s_cbranch_execz .LBB73_28
; %bb.27:
	ds_read2_b32 v[124:125], v115 offset0:5 offset1:6
	s_waitcnt vmcnt(32) lgkmcnt(1)
	v_mul_f32_e32 v122, v120, v21
	v_mov_b32_e32 v21, v122
	s_waitcnt vmcnt(30) lgkmcnt(0)
	v_pk_fma_f32 v[22:23], v[122:123], v[124:125], v[22:23] op_sel_hi:[0,1,1] neg_lo:[1,0,0] neg_hi:[1,0,0]
	ds_read2_b32 v[124:125], v115 offset0:7 offset1:8
	s_waitcnt vmcnt(28) lgkmcnt(0)
	v_pk_fma_f32 v[16:17], v[122:123], v[124:125], v[16:17] op_sel_hi:[0,1,1] neg_lo:[1,0,0] neg_hi:[1,0,0]
	ds_read2_b32 v[124:125], v115 offset0:9 offset1:10
	;; [unrolled: 3-line block ×15, first 2 shown]
	s_waitcnt vmcnt(0) lgkmcnt(0)
	v_pk_fma_f32 v[112:113], v[122:123], v[124:125], v[112:113] op_sel_hi:[0,1,1] neg_lo:[1,0,0] neg_hi:[1,0,0]
.LBB73_28:
	s_or_b64 exec, exec, s[2:3]
	v_cmp_eq_u32_e32 vcc, 5, v25
	s_waitcnt lgkmcnt(0)
	s_barrier
	s_and_saveexec_b64 s[2:3], vcc
	s_cbranch_execz .LBB73_31
; %bb.29:
	s_waitcnt vmcnt(28)
	v_pk_mov_b32 v[122:123], v[22:23], v[16:17] op_sel:[1,0]
	ds_write_b32 v114, v22
	ds_write2_b32 v115, v122, v123 offset0:6 offset1:7
	s_waitcnt vmcnt(26)
	v_pk_mov_b32 v[122:123], v[16:17], v[46:47] op_sel:[1,0]
	ds_write2_b32 v115, v122, v123 offset0:8 offset1:9
	s_waitcnt vmcnt(24)
	v_pk_mov_b32 v[122:123], v[46:47], v[50:51] op_sel:[1,0]
	;; [unrolled: 3-line block ×14, first 2 shown]
	ds_write2_b32 v115, v122, v123 offset0:34 offset1:35
	ds_write_b32 v115, v113 offset:144
	ds_read_b32 v121, v114
	s_waitcnt lgkmcnt(0)
	v_cmp_neq_f32_e32 vcc, 0, v121
	s_and_b64 exec, exec, vcc
	s_cbranch_execz .LBB73_31
; %bb.30:
	v_div_scale_f32 v122, s[4:5], v121, v121, 1.0
	v_rcp_f32_e32 v123, v122
	v_div_scale_f32 v124, vcc, 1.0, v121, 1.0
	v_fma_f32 v125, -v122, v123, 1.0
	v_fmac_f32_e32 v123, v125, v123
	v_mul_f32_e32 v125, v124, v123
	v_fma_f32 v126, -v122, v125, v124
	v_fmac_f32_e32 v125, v126, v123
	v_fma_f32 v122, -v122, v125, v124
	v_div_fmas_f32 v122, v122, v123, v125
	v_div_fixup_f32 v121, v122, v121, 1.0
	ds_write_b32 v114, v121
.LBB73_31:
	s_or_b64 exec, exec, s[2:3]
	s_waitcnt lgkmcnt(0)
	s_barrier
	ds_read_b32 v121, v114
	v_cmp_lt_u32_e32 vcc, 5, v25
	s_and_saveexec_b64 s[2:3], vcc
	s_cbranch_execz .LBB73_33
; %bb.32:
	ds_read_b32 v122, v115 offset:24
	s_waitcnt vmcnt(31) lgkmcnt(1)
	v_mul_f32_e32 v22, v121, v22
	s_waitcnt vmcnt(30) lgkmcnt(0)
	v_fma_f32 v23, -v22, v122, v23
	ds_read2_b32 v[122:123], v115 offset0:7 offset1:8
	s_waitcnt vmcnt(28) lgkmcnt(0)
	v_pk_fma_f32 v[16:17], v[22:23], v[122:123], v[16:17] op_sel_hi:[0,1,1] neg_lo:[1,0,0] neg_hi:[1,0,0]
	ds_read2_b32 v[122:123], v115 offset0:9 offset1:10
	s_waitcnt vmcnt(26) lgkmcnt(0)
	v_pk_fma_f32 v[46:47], v[22:23], v[122:123], v[46:47] op_sel_hi:[0,1,1] neg_lo:[1,0,0] neg_hi:[1,0,0]
	;; [unrolled: 3-line block ×15, first 2 shown]
.LBB73_33:
	s_or_b64 exec, exec, s[2:3]
	v_cmp_ne_u32_e32 vcc, 6, v25
	s_waitcnt lgkmcnt(0)
	s_barrier
	s_and_saveexec_b64 s[2:3], vcc
	s_xor_b64 s[2:3], exec, s[2:3]
	s_andn2_saveexec_b64 s[2:3], s[2:3]
	s_cbranch_execz .LBB73_37
; %bb.34:
	s_waitcnt vmcnt(30)
	ds_write_b32 v114, v23
	s_waitcnt vmcnt(28)
	ds_write2_b32 v115, v16, v17 offset0:7 offset1:8
	s_waitcnt vmcnt(26)
	ds_write2_b32 v115, v46, v47 offset0:9 offset1:10
	;; [unrolled: 2-line block ×15, first 2 shown]
	ds_read_b32 v122, v114
	s_waitcnt lgkmcnt(0)
	v_cmp_neq_f32_e32 vcc, 0, v122
	s_and_saveexec_b64 s[4:5], vcc
	s_cbranch_execz .LBB73_36
; %bb.35:
	v_div_scale_f32 v123, s[10:11], v122, v122, 1.0
	v_rcp_f32_e32 v124, v123
	v_div_scale_f32 v125, vcc, 1.0, v122, 1.0
	v_fma_f32 v126, -v123, v124, 1.0
	v_fmac_f32_e32 v124, v126, v124
	v_mul_f32_e32 v126, v125, v124
	v_fma_f32 v127, -v123, v126, v125
	v_fmac_f32_e32 v126, v127, v124
	v_fma_f32 v123, -v123, v126, v125
	v_div_fmas_f32 v123, v123, v124, v126
	v_div_fixup_f32 v122, v123, v122, 1.0
	ds_write_b32 v114, v122
.LBB73_36:
	s_or_b64 exec, exec, s[4:5]
.LBB73_37:
	s_or_b64 exec, exec, s[2:3]
	s_waitcnt lgkmcnt(0)
	s_barrier
	ds_read_b32 v122, v114
	v_cmp_lt_u32_e32 vcc, 6, v25
	s_and_saveexec_b64 s[2:3], vcc
	s_cbranch_execz .LBB73_39
; %bb.38:
	ds_read2_b32 v[126:127], v115 offset0:7 offset1:8
	s_waitcnt vmcnt(30) lgkmcnt(1)
	v_mul_f32_e32 v124, v122, v23
	v_mov_b32_e32 v23, v124
	s_waitcnt vmcnt(28) lgkmcnt(0)
	v_pk_fma_f32 v[16:17], v[124:125], v[126:127], v[16:17] op_sel_hi:[0,1,1] neg_lo:[1,0,0] neg_hi:[1,0,0]
	ds_read2_b32 v[126:127], v115 offset0:9 offset1:10
	s_waitcnt vmcnt(26) lgkmcnt(0)
	v_pk_fma_f32 v[46:47], v[124:125], v[126:127], v[46:47] op_sel_hi:[0,1,1] neg_lo:[1,0,0] neg_hi:[1,0,0]
	ds_read2_b32 v[126:127], v115 offset0:11 offset1:12
	;; [unrolled: 3-line block ×14, first 2 shown]
	s_waitcnt vmcnt(0) lgkmcnt(0)
	v_pk_fma_f32 v[112:113], v[124:125], v[126:127], v[112:113] op_sel_hi:[0,1,1] neg_lo:[1,0,0] neg_hi:[1,0,0]
.LBB73_39:
	s_or_b64 exec, exec, s[2:3]
	v_cmp_eq_u32_e32 vcc, 7, v25
	s_waitcnt lgkmcnt(0)
	s_barrier
	s_and_saveexec_b64 s[2:3], vcc
	s_cbranch_execz .LBB73_42
; %bb.40:
	s_waitcnt vmcnt(26)
	v_pk_mov_b32 v[124:125], v[16:17], v[46:47] op_sel:[1,0]
	ds_write_b32 v114, v16
	ds_write2_b32 v115, v124, v125 offset0:8 offset1:9
	s_waitcnt vmcnt(24)
	v_pk_mov_b32 v[124:125], v[46:47], v[50:51] op_sel:[1,0]
	ds_write2_b32 v115, v124, v125 offset0:10 offset1:11
	s_waitcnt vmcnt(22)
	v_pk_mov_b32 v[124:125], v[50:51], v[44:45] op_sel:[1,0]
	;; [unrolled: 3-line block ×13, first 2 shown]
	ds_write2_b32 v115, v124, v125 offset0:34 offset1:35
	ds_write_b32 v115, v113 offset:144
	ds_read_b32 v123, v114
	s_waitcnt lgkmcnt(0)
	v_cmp_neq_f32_e32 vcc, 0, v123
	s_and_b64 exec, exec, vcc
	s_cbranch_execz .LBB73_42
; %bb.41:
	v_div_scale_f32 v124, s[4:5], v123, v123, 1.0
	v_rcp_f32_e32 v125, v124
	v_div_scale_f32 v126, vcc, 1.0, v123, 1.0
	v_fma_f32 v127, -v124, v125, 1.0
	v_fmac_f32_e32 v125, v127, v125
	v_mul_f32_e32 v127, v126, v125
	v_fma_f32 v128, -v124, v127, v126
	v_fmac_f32_e32 v127, v128, v125
	v_fma_f32 v124, -v124, v127, v126
	v_div_fmas_f32 v124, v124, v125, v127
	v_div_fixup_f32 v123, v124, v123, 1.0
	ds_write_b32 v114, v123
.LBB73_42:
	s_or_b64 exec, exec, s[2:3]
	s_waitcnt lgkmcnt(0)
	s_barrier
	ds_read_b32 v123, v114
	v_cmp_lt_u32_e32 vcc, 7, v25
	s_and_saveexec_b64 s[2:3], vcc
	s_cbranch_execz .LBB73_44
; %bb.43:
	ds_read_b32 v130, v115 offset:32
	ds_read2_b32 v[124:125], v115 offset0:9 offset1:10
	ds_read2_b32 v[126:127], v115 offset0:11 offset1:12
	s_waitcnt vmcnt(29) lgkmcnt(3)
	v_mul_f32_e32 v16, v123, v16
	ds_read2_b32 v[128:129], v115 offset0:13 offset1:14
	s_waitcnt vmcnt(28) lgkmcnt(3)
	v_fma_f32 v17, -v16, v130, v17
	s_waitcnt vmcnt(26) lgkmcnt(2)
	v_pk_fma_f32 v[46:47], v[16:17], v[124:125], v[46:47] op_sel_hi:[0,1,1] neg_lo:[1,0,0] neg_hi:[1,0,0]
	s_waitcnt vmcnt(24) lgkmcnt(1)
	v_pk_fma_f32 v[50:51], v[16:17], v[126:127], v[50:51] op_sel_hi:[0,1,1] neg_lo:[1,0,0] neg_hi:[1,0,0]
	ds_read2_b32 v[124:125], v115 offset0:15 offset1:16
	ds_read2_b32 v[126:127], v115 offset0:17 offset1:18
	;; [unrolled: 1-line block ×3, first 2 shown]
	s_waitcnt vmcnt(22) lgkmcnt(3)
	v_pk_fma_f32 v[44:45], v[16:17], v[128:129], v[44:45] op_sel_hi:[0,1,1] neg_lo:[1,0,0] neg_hi:[1,0,0]
	ds_read2_b32 v[128:129], v115 offset0:21 offset1:22
	s_waitcnt vmcnt(20) lgkmcnt(3)
	v_pk_fma_f32 v[48:49], v[16:17], v[124:125], v[48:49] op_sel_hi:[0,1,1] neg_lo:[1,0,0] neg_hi:[1,0,0]
	s_waitcnt vmcnt(18) lgkmcnt(2)
	v_pk_fma_f32 v[74:75], v[16:17], v[126:127], v[74:75] op_sel_hi:[0,1,1] neg_lo:[1,0,0] neg_hi:[1,0,0]
	ds_read2_b32 v[124:125], v115 offset0:23 offset1:24
	ds_read2_b32 v[126:127], v115 offset0:25 offset1:26
	s_waitcnt vmcnt(16) lgkmcnt(3)
	v_pk_fma_f32 v[68:69], v[16:17], v[130:131], v[68:69] op_sel_hi:[0,1,1] neg_lo:[1,0,0] neg_hi:[1,0,0]
	s_waitcnt vmcnt(14) lgkmcnt(2)
	v_pk_fma_f32 v[70:71], v[16:17], v[128:129], v[70:71] op_sel_hi:[0,1,1] neg_lo:[1,0,0] neg_hi:[1,0,0]
	ds_read2_b32 v[128:129], v115 offset0:27 offset1:28
	;; [unrolled: 6-line block ×3, first 2 shown]
	ds_read2_b32 v[126:127], v115 offset0:33 offset1:34
	ds_read2_b32 v[132:133], v115 offset0:35 offset1:36
	s_waitcnt vmcnt(8) lgkmcnt(4)
	v_pk_fma_f32 v[96:97], v[16:17], v[128:129], v[96:97] op_sel_hi:[0,1,1] neg_lo:[1,0,0] neg_hi:[1,0,0]
	s_waitcnt vmcnt(6) lgkmcnt(3)
	v_pk_fma_f32 v[98:99], v[16:17], v[130:131], v[98:99] op_sel_hi:[0,1,1] neg_lo:[1,0,0] neg_hi:[1,0,0]
	;; [unrolled: 2-line block ×5, first 2 shown]
.LBB73_44:
	s_or_b64 exec, exec, s[2:3]
	v_cmp_ne_u32_e32 vcc, 8, v25
	s_waitcnt lgkmcnt(0)
	s_barrier
	s_and_saveexec_b64 s[2:3], vcc
	s_xor_b64 s[2:3], exec, s[2:3]
	s_andn2_saveexec_b64 s[2:3], s[2:3]
	s_cbranch_execz .LBB73_48
; %bb.45:
	s_waitcnt vmcnt(28)
	ds_write_b32 v114, v17
	s_waitcnt vmcnt(26)
	ds_write2_b32 v115, v46, v47 offset0:9 offset1:10
	s_waitcnt vmcnt(24)
	ds_write2_b32 v115, v50, v51 offset0:11 offset1:12
	s_waitcnt vmcnt(22)
	ds_write2_b32 v115, v44, v45 offset0:13 offset1:14
	s_waitcnt vmcnt(20)
	ds_write2_b32 v115, v48, v49 offset0:15 offset1:16
	s_waitcnt vmcnt(18)
	ds_write2_b32 v115, v74, v75 offset0:17 offset1:18
	s_waitcnt vmcnt(16)
	ds_write2_b32 v115, v68, v69 offset0:19 offset1:20
	s_waitcnt vmcnt(14)
	ds_write2_b32 v115, v70, v71 offset0:21 offset1:22
	s_waitcnt vmcnt(12)
	ds_write2_b32 v115, v72, v73 offset0:23 offset1:24
	s_waitcnt vmcnt(10)
	ds_write2_b32 v115, v94, v95 offset0:25 offset1:26
	s_waitcnt vmcnt(8)
	ds_write2_b32 v115, v96, v97 offset0:27 offset1:28
	s_waitcnt vmcnt(6)
	ds_write2_b32 v115, v98, v99 offset0:29 offset1:30
	s_waitcnt vmcnt(4)
	ds_write2_b32 v115, v92, v93 offset0:31 offset1:32
	s_waitcnt vmcnt(2)
	ds_write2_b32 v115, v110, v111 offset0:33 offset1:34
	s_waitcnt vmcnt(0)
	ds_write2_b32 v115, v112, v113 offset0:35 offset1:36
	ds_read_b32 v124, v114
	s_waitcnt lgkmcnt(0)
	v_cmp_neq_f32_e32 vcc, 0, v124
	s_and_saveexec_b64 s[4:5], vcc
	s_cbranch_execz .LBB73_47
; %bb.46:
	v_div_scale_f32 v125, s[10:11], v124, v124, 1.0
	v_rcp_f32_e32 v126, v125
	v_div_scale_f32 v127, vcc, 1.0, v124, 1.0
	v_fma_f32 v128, -v125, v126, 1.0
	v_fmac_f32_e32 v126, v128, v126
	v_mul_f32_e32 v128, v127, v126
	v_fma_f32 v129, -v125, v128, v127
	v_fmac_f32_e32 v128, v129, v126
	v_fma_f32 v125, -v125, v128, v127
	v_div_fmas_f32 v125, v125, v126, v128
	v_div_fixup_f32 v124, v125, v124, 1.0
	ds_write_b32 v114, v124
.LBB73_47:
	s_or_b64 exec, exec, s[4:5]
.LBB73_48:
	s_or_b64 exec, exec, s[2:3]
	s_waitcnt lgkmcnt(0)
	s_barrier
	ds_read_b32 v124, v114
	v_cmp_lt_u32_e32 vcc, 8, v25
	s_and_saveexec_b64 s[2:3], vcc
	s_cbranch_execz .LBB73_50
; %bb.49:
	ds_read2_b32 v[126:127], v115 offset0:9 offset1:10
	ds_read2_b32 v[128:129], v115 offset0:11 offset1:12
	;; [unrolled: 1-line block ×4, first 2 shown]
	s_waitcnt vmcnt(28) lgkmcnt(4)
	v_mul_f32_e32 v132, v124, v17
	s_waitcnt vmcnt(26) lgkmcnt(3)
	v_pk_fma_f32 v[46:47], v[132:133], v[126:127], v[46:47] op_sel_hi:[0,1,1] neg_lo:[1,0,0] neg_hi:[1,0,0]
	s_waitcnt vmcnt(24) lgkmcnt(2)
	v_pk_fma_f32 v[50:51], v[132:133], v[128:129], v[50:51] op_sel_hi:[0,1,1] neg_lo:[1,0,0] neg_hi:[1,0,0]
	;; [unrolled: 2-line block ×3, first 2 shown]
	ds_read2_b32 v[126:127], v115 offset0:17 offset1:18
	ds_read2_b32 v[128:129], v115 offset0:19 offset1:20
	;; [unrolled: 1-line block ×3, first 2 shown]
	s_waitcnt vmcnt(20) lgkmcnt(3)
	v_pk_fma_f32 v[48:49], v[132:133], v[134:135], v[48:49] op_sel_hi:[0,1,1] neg_lo:[1,0,0] neg_hi:[1,0,0]
	ds_read2_b32 v[134:135], v115 offset0:23 offset1:24
	s_waitcnt vmcnt(18) lgkmcnt(3)
	v_pk_fma_f32 v[74:75], v[132:133], v[126:127], v[74:75] op_sel_hi:[0,1,1] neg_lo:[1,0,0] neg_hi:[1,0,0]
	ds_read2_b32 v[126:127], v115 offset0:25 offset1:26
	s_waitcnt vmcnt(16) lgkmcnt(3)
	v_pk_fma_f32 v[68:69], v[132:133], v[128:129], v[68:69] op_sel_hi:[0,1,1] neg_lo:[1,0,0] neg_hi:[1,0,0]
	s_waitcnt vmcnt(14) lgkmcnt(2)
	v_pk_fma_f32 v[70:71], v[132:133], v[130:131], v[70:71] op_sel_hi:[0,1,1] neg_lo:[1,0,0] neg_hi:[1,0,0]
	;; [unrolled: 2-line block ×3, first 2 shown]
	ds_read2_b32 v[128:129], v115 offset0:27 offset1:28
	ds_read2_b32 v[130:131], v115 offset0:29 offset1:30
	;; [unrolled: 1-line block ×3, first 2 shown]
	s_waitcnt vmcnt(10) lgkmcnt(3)
	v_pk_fma_f32 v[94:95], v[132:133], v[126:127], v[94:95] op_sel_hi:[0,1,1] neg_lo:[1,0,0] neg_hi:[1,0,0]
	ds_read2_b32 v[126:127], v115 offset0:33 offset1:34
	ds_read2_b32 v[136:137], v115 offset0:35 offset1:36
	s_waitcnt vmcnt(8) lgkmcnt(4)
	v_pk_fma_f32 v[96:97], v[132:133], v[128:129], v[96:97] op_sel_hi:[0,1,1] neg_lo:[1,0,0] neg_hi:[1,0,0]
	s_waitcnt vmcnt(6) lgkmcnt(3)
	v_pk_fma_f32 v[98:99], v[132:133], v[130:131], v[98:99] op_sel_hi:[0,1,1] neg_lo:[1,0,0] neg_hi:[1,0,0]
	;; [unrolled: 2-line block ×5, first 2 shown]
	v_mov_b32_e32 v17, v132
.LBB73_50:
	s_or_b64 exec, exec, s[2:3]
	v_cmp_eq_u32_e32 vcc, 9, v25
	s_waitcnt lgkmcnt(0)
	s_barrier
	s_and_saveexec_b64 s[2:3], vcc
	s_cbranch_execz .LBB73_53
; %bb.51:
	s_waitcnt vmcnt(24)
	v_pk_mov_b32 v[126:127], v[46:47], v[50:51] op_sel:[1,0]
	ds_write_b32 v114, v46
	ds_write2_b32 v115, v126, v127 offset0:10 offset1:11
	s_waitcnt vmcnt(22)
	v_pk_mov_b32 v[126:127], v[50:51], v[44:45] op_sel:[1,0]
	ds_write2_b32 v115, v126, v127 offset0:12 offset1:13
	s_waitcnt vmcnt(20)
	v_pk_mov_b32 v[126:127], v[44:45], v[48:49] op_sel:[1,0]
	;; [unrolled: 3-line block ×12, first 2 shown]
	ds_write2_b32 v115, v126, v127 offset0:34 offset1:35
	ds_write_b32 v115, v113 offset:144
	ds_read_b32 v125, v114
	s_waitcnt lgkmcnt(0)
	v_cmp_neq_f32_e32 vcc, 0, v125
	s_and_b64 exec, exec, vcc
	s_cbranch_execz .LBB73_53
; %bb.52:
	v_div_scale_f32 v126, s[4:5], v125, v125, 1.0
	v_rcp_f32_e32 v127, v126
	v_div_scale_f32 v128, vcc, 1.0, v125, 1.0
	v_fma_f32 v129, -v126, v127, 1.0
	v_fmac_f32_e32 v127, v129, v127
	v_mul_f32_e32 v129, v128, v127
	v_fma_f32 v130, -v126, v129, v128
	v_fmac_f32_e32 v129, v130, v127
	v_fma_f32 v126, -v126, v129, v128
	v_div_fmas_f32 v126, v126, v127, v129
	v_div_fixup_f32 v125, v126, v125, 1.0
	ds_write_b32 v114, v125
.LBB73_53:
	s_or_b64 exec, exec, s[2:3]
	s_waitcnt lgkmcnt(0)
	s_barrier
	ds_read_b32 v125, v114
	v_cmp_lt_u32_e32 vcc, 9, v25
	s_and_saveexec_b64 s[2:3], vcc
	s_cbranch_execz .LBB73_55
; %bb.54:
	ds_read_b32 v132, v115 offset:40
	ds_read2_b32 v[126:127], v115 offset0:11 offset1:12
	ds_read2_b32 v[128:129], v115 offset0:13 offset1:14
	s_waitcnt vmcnt(27) lgkmcnt(3)
	v_mul_f32_e32 v46, v125, v46
	ds_read2_b32 v[130:131], v115 offset0:15 offset1:16
	s_waitcnt vmcnt(26) lgkmcnt(3)
	v_fma_f32 v47, -v46, v132, v47
	s_waitcnt vmcnt(24) lgkmcnt(2)
	v_pk_fma_f32 v[50:51], v[46:47], v[126:127], v[50:51] op_sel_hi:[0,1,1] neg_lo:[1,0,0] neg_hi:[1,0,0]
	s_waitcnt vmcnt(22) lgkmcnt(1)
	v_pk_fma_f32 v[44:45], v[46:47], v[128:129], v[44:45] op_sel_hi:[0,1,1] neg_lo:[1,0,0] neg_hi:[1,0,0]
	ds_read2_b32 v[126:127], v115 offset0:17 offset1:18
	ds_read2_b32 v[128:129], v115 offset0:19 offset1:20
	ds_read2_b32 v[132:133], v115 offset0:21 offset1:22
	s_waitcnt vmcnt(20) lgkmcnt(3)
	v_pk_fma_f32 v[48:49], v[46:47], v[130:131], v[48:49] op_sel_hi:[0,1,1] neg_lo:[1,0,0] neg_hi:[1,0,0]
	ds_read2_b32 v[130:131], v115 offset0:23 offset1:24
	s_waitcnt vmcnt(18) lgkmcnt(3)
	v_pk_fma_f32 v[74:75], v[46:47], v[126:127], v[74:75] op_sel_hi:[0,1,1] neg_lo:[1,0,0] neg_hi:[1,0,0]
	ds_read2_b32 v[126:127], v115 offset0:25 offset1:26
	s_waitcnt vmcnt(16) lgkmcnt(3)
	v_pk_fma_f32 v[68:69], v[46:47], v[128:129], v[68:69] op_sel_hi:[0,1,1] neg_lo:[1,0,0] neg_hi:[1,0,0]
	s_waitcnt vmcnt(14) lgkmcnt(2)
	v_pk_fma_f32 v[70:71], v[46:47], v[132:133], v[70:71] op_sel_hi:[0,1,1] neg_lo:[1,0,0] neg_hi:[1,0,0]
	;; [unrolled: 2-line block ×3, first 2 shown]
	ds_read2_b32 v[128:129], v115 offset0:27 offset1:28
	ds_read2_b32 v[130:131], v115 offset0:29 offset1:30
	;; [unrolled: 1-line block ×3, first 2 shown]
	s_waitcnt vmcnt(10) lgkmcnt(3)
	v_pk_fma_f32 v[94:95], v[46:47], v[126:127], v[94:95] op_sel_hi:[0,1,1] neg_lo:[1,0,0] neg_hi:[1,0,0]
	ds_read2_b32 v[126:127], v115 offset0:33 offset1:34
	ds_read2_b32 v[134:135], v115 offset0:35 offset1:36
	s_waitcnt vmcnt(8) lgkmcnt(4)
	v_pk_fma_f32 v[96:97], v[46:47], v[128:129], v[96:97] op_sel_hi:[0,1,1] neg_lo:[1,0,0] neg_hi:[1,0,0]
	s_waitcnt vmcnt(6) lgkmcnt(3)
	v_pk_fma_f32 v[98:99], v[46:47], v[130:131], v[98:99] op_sel_hi:[0,1,1] neg_lo:[1,0,0] neg_hi:[1,0,0]
	;; [unrolled: 2-line block ×5, first 2 shown]
.LBB73_55:
	s_or_b64 exec, exec, s[2:3]
	v_cmp_ne_u32_e32 vcc, 10, v25
	s_waitcnt lgkmcnt(0)
	s_barrier
	s_and_saveexec_b64 s[2:3], vcc
	s_xor_b64 s[2:3], exec, s[2:3]
	s_andn2_saveexec_b64 s[2:3], s[2:3]
	s_cbranch_execz .LBB73_59
; %bb.56:
	s_waitcnt vmcnt(26)
	ds_write_b32 v114, v47
	s_waitcnt vmcnt(24)
	ds_write2_b32 v115, v50, v51 offset0:11 offset1:12
	s_waitcnt vmcnt(22)
	ds_write2_b32 v115, v44, v45 offset0:13 offset1:14
	;; [unrolled: 2-line block ×13, first 2 shown]
	ds_read_b32 v126, v114
	s_waitcnt lgkmcnt(0)
	v_cmp_neq_f32_e32 vcc, 0, v126
	s_and_saveexec_b64 s[4:5], vcc
	s_cbranch_execz .LBB73_58
; %bb.57:
	v_div_scale_f32 v127, s[10:11], v126, v126, 1.0
	v_rcp_f32_e32 v128, v127
	v_div_scale_f32 v129, vcc, 1.0, v126, 1.0
	v_fma_f32 v130, -v127, v128, 1.0
	v_fmac_f32_e32 v128, v130, v128
	v_mul_f32_e32 v130, v129, v128
	v_fma_f32 v131, -v127, v130, v129
	v_fmac_f32_e32 v130, v131, v128
	v_fma_f32 v127, -v127, v130, v129
	v_div_fmas_f32 v127, v127, v128, v130
	v_div_fixup_f32 v126, v127, v126, 1.0
	ds_write_b32 v114, v126
.LBB73_58:
	s_or_b64 exec, exec, s[4:5]
.LBB73_59:
	s_or_b64 exec, exec, s[2:3]
	s_waitcnt lgkmcnt(0)
	s_barrier
	ds_read_b32 v126, v114
	v_cmp_lt_u32_e32 vcc, 10, v25
	s_and_saveexec_b64 s[2:3], vcc
	s_cbranch_execz .LBB73_61
; %bb.60:
	ds_read2_b32 v[128:129], v115 offset0:11 offset1:12
	ds_read2_b32 v[130:131], v115 offset0:13 offset1:14
	;; [unrolled: 1-line block ×3, first 2 shown]
	s_waitcnt vmcnt(26) lgkmcnt(3)
	v_mul_f32_e32 v134, v126, v47
	ds_read2_b32 v[136:137], v115 offset0:17 offset1:18
	s_waitcnt vmcnt(24) lgkmcnt(3)
	v_pk_fma_f32 v[50:51], v[134:135], v[128:129], v[50:51] op_sel_hi:[0,1,1] neg_lo:[1,0,0] neg_hi:[1,0,0]
	s_waitcnt vmcnt(22) lgkmcnt(2)
	v_pk_fma_f32 v[44:45], v[134:135], v[130:131], v[44:45] op_sel_hi:[0,1,1] neg_lo:[1,0,0] neg_hi:[1,0,0]
	;; [unrolled: 2-line block ×3, first 2 shown]
	ds_read2_b32 v[128:129], v115 offset0:19 offset1:20
	ds_read2_b32 v[130:131], v115 offset0:21 offset1:22
	;; [unrolled: 1-line block ×4, first 2 shown]
	s_waitcnt vmcnt(18) lgkmcnt(4)
	v_pk_fma_f32 v[74:75], v[134:135], v[136:137], v[74:75] op_sel_hi:[0,1,1] neg_lo:[1,0,0] neg_hi:[1,0,0]
	s_waitcnt vmcnt(16) lgkmcnt(3)
	v_pk_fma_f32 v[68:69], v[134:135], v[128:129], v[68:69] op_sel_hi:[0,1,1] neg_lo:[1,0,0] neg_hi:[1,0,0]
	;; [unrolled: 2-line block ×5, first 2 shown]
	ds_read2_b32 v[128:129], v115 offset0:27 offset1:28
	ds_read2_b32 v[130:131], v115 offset0:29 offset1:30
	;; [unrolled: 1-line block ×5, first 2 shown]
	s_waitcnt vmcnt(8) lgkmcnt(4)
	v_pk_fma_f32 v[96:97], v[134:135], v[128:129], v[96:97] op_sel_hi:[0,1,1] neg_lo:[1,0,0] neg_hi:[1,0,0]
	s_waitcnt vmcnt(6) lgkmcnt(3)
	v_pk_fma_f32 v[98:99], v[134:135], v[130:131], v[98:99] op_sel_hi:[0,1,1] neg_lo:[1,0,0] neg_hi:[1,0,0]
	;; [unrolled: 2-line block ×5, first 2 shown]
	v_mov_b32_e32 v47, v134
.LBB73_61:
	s_or_b64 exec, exec, s[2:3]
	v_cmp_eq_u32_e32 vcc, 11, v25
	s_waitcnt lgkmcnt(0)
	s_barrier
	s_and_saveexec_b64 s[2:3], vcc
	s_cbranch_execz .LBB73_64
; %bb.62:
	s_waitcnt vmcnt(22)
	v_pk_mov_b32 v[128:129], v[50:51], v[44:45] op_sel:[1,0]
	ds_write_b32 v114, v50
	ds_write2_b32 v115, v128, v129 offset0:12 offset1:13
	s_waitcnt vmcnt(20)
	v_pk_mov_b32 v[128:129], v[44:45], v[48:49] op_sel:[1,0]
	ds_write2_b32 v115, v128, v129 offset0:14 offset1:15
	s_waitcnt vmcnt(18)
	v_pk_mov_b32 v[128:129], v[48:49], v[74:75] op_sel:[1,0]
	;; [unrolled: 3-line block ×11, first 2 shown]
	ds_write2_b32 v115, v128, v129 offset0:34 offset1:35
	ds_write_b32 v115, v113 offset:144
	ds_read_b32 v127, v114
	s_waitcnt lgkmcnt(0)
	v_cmp_neq_f32_e32 vcc, 0, v127
	s_and_b64 exec, exec, vcc
	s_cbranch_execz .LBB73_64
; %bb.63:
	v_div_scale_f32 v128, s[4:5], v127, v127, 1.0
	v_rcp_f32_e32 v129, v128
	v_div_scale_f32 v130, vcc, 1.0, v127, 1.0
	v_fma_f32 v131, -v128, v129, 1.0
	v_fmac_f32_e32 v129, v131, v129
	v_mul_f32_e32 v131, v130, v129
	v_fma_f32 v132, -v128, v131, v130
	v_fmac_f32_e32 v131, v132, v129
	v_fma_f32 v128, -v128, v131, v130
	v_div_fmas_f32 v128, v128, v129, v131
	v_div_fixup_f32 v127, v128, v127, 1.0
	ds_write_b32 v114, v127
.LBB73_64:
	s_or_b64 exec, exec, s[2:3]
	s_waitcnt lgkmcnt(0)
	s_barrier
	ds_read_b32 v127, v114
	v_cmp_lt_u32_e32 vcc, 11, v25
	s_and_saveexec_b64 s[2:3], vcc
	s_cbranch_execz .LBB73_66
; %bb.65:
	ds_read_b32 v134, v115 offset:48
	ds_read2_b32 v[128:129], v115 offset0:13 offset1:14
	ds_read2_b32 v[130:131], v115 offset0:15 offset1:16
	s_waitcnt vmcnt(25) lgkmcnt(3)
	v_mul_f32_e32 v50, v127, v50
	ds_read2_b32 v[132:133], v115 offset0:17 offset1:18
	s_waitcnt vmcnt(24) lgkmcnt(3)
	v_fma_f32 v51, -v50, v134, v51
	s_waitcnt vmcnt(22) lgkmcnt(2)
	v_pk_fma_f32 v[44:45], v[50:51], v[128:129], v[44:45] op_sel_hi:[0,1,1] neg_lo:[1,0,0] neg_hi:[1,0,0]
	s_waitcnt vmcnt(20) lgkmcnt(1)
	v_pk_fma_f32 v[48:49], v[50:51], v[130:131], v[48:49] op_sel_hi:[0,1,1] neg_lo:[1,0,0] neg_hi:[1,0,0]
	ds_read2_b32 v[128:129], v115 offset0:19 offset1:20
	ds_read2_b32 v[130:131], v115 offset0:21 offset1:22
	ds_read2_b32 v[134:135], v115 offset0:23 offset1:24
	ds_read2_b32 v[136:137], v115 offset0:25 offset1:26
	s_waitcnt vmcnt(18) lgkmcnt(4)
	v_pk_fma_f32 v[74:75], v[50:51], v[132:133], v[74:75] op_sel_hi:[0,1,1] neg_lo:[1,0,0] neg_hi:[1,0,0]
	s_waitcnt vmcnt(16) lgkmcnt(3)
	v_pk_fma_f32 v[68:69], v[50:51], v[128:129], v[68:69] op_sel_hi:[0,1,1] neg_lo:[1,0,0] neg_hi:[1,0,0]
	s_waitcnt vmcnt(14) lgkmcnt(2)
	v_pk_fma_f32 v[70:71], v[50:51], v[130:131], v[70:71] op_sel_hi:[0,1,1] neg_lo:[1,0,0] neg_hi:[1,0,0]
	s_waitcnt vmcnt(12) lgkmcnt(1)
	v_pk_fma_f32 v[72:73], v[50:51], v[134:135], v[72:73] op_sel_hi:[0,1,1] neg_lo:[1,0,0] neg_hi:[1,0,0]
	s_waitcnt vmcnt(10) lgkmcnt(0)
	v_pk_fma_f32 v[94:95], v[50:51], v[136:137], v[94:95] op_sel_hi:[0,1,1] neg_lo:[1,0,0] neg_hi:[1,0,0]
	ds_read2_b32 v[128:129], v115 offset0:27 offset1:28
	ds_read2_b32 v[130:131], v115 offset0:29 offset1:30
	;; [unrolled: 1-line block ×5, first 2 shown]
	s_waitcnt vmcnt(8) lgkmcnt(4)
	v_pk_fma_f32 v[96:97], v[50:51], v[128:129], v[96:97] op_sel_hi:[0,1,1] neg_lo:[1,0,0] neg_hi:[1,0,0]
	s_waitcnt vmcnt(6) lgkmcnt(3)
	v_pk_fma_f32 v[98:99], v[50:51], v[130:131], v[98:99] op_sel_hi:[0,1,1] neg_lo:[1,0,0] neg_hi:[1,0,0]
	s_waitcnt vmcnt(4) lgkmcnt(2)
	v_pk_fma_f32 v[92:93], v[50:51], v[132:133], v[92:93] op_sel_hi:[0,1,1] neg_lo:[1,0,0] neg_hi:[1,0,0]
	s_waitcnt vmcnt(2) lgkmcnt(1)
	v_pk_fma_f32 v[110:111], v[50:51], v[134:135], v[110:111] op_sel_hi:[0,1,1] neg_lo:[1,0,0] neg_hi:[1,0,0]
	s_waitcnt vmcnt(0) lgkmcnt(0)
	v_pk_fma_f32 v[112:113], v[50:51], v[136:137], v[112:113] op_sel_hi:[0,1,1] neg_lo:[1,0,0] neg_hi:[1,0,0]
.LBB73_66:
	s_or_b64 exec, exec, s[2:3]
	v_cmp_ne_u32_e32 vcc, 12, v25
	s_waitcnt lgkmcnt(0)
	s_barrier
	s_and_saveexec_b64 s[2:3], vcc
	s_xor_b64 s[2:3], exec, s[2:3]
	s_andn2_saveexec_b64 s[2:3], s[2:3]
	s_cbranch_execz .LBB73_70
; %bb.67:
	s_waitcnt vmcnt(24)
	ds_write_b32 v114, v51
	s_waitcnt vmcnt(22)
	ds_write2_b32 v115, v44, v45 offset0:13 offset1:14
	s_waitcnt vmcnt(20)
	ds_write2_b32 v115, v48, v49 offset0:15 offset1:16
	;; [unrolled: 2-line block ×12, first 2 shown]
	ds_read_b32 v128, v114
	s_waitcnt lgkmcnt(0)
	v_cmp_neq_f32_e32 vcc, 0, v128
	s_and_saveexec_b64 s[4:5], vcc
	s_cbranch_execz .LBB73_69
; %bb.68:
	v_div_scale_f32 v129, s[10:11], v128, v128, 1.0
	v_rcp_f32_e32 v130, v129
	v_div_scale_f32 v131, vcc, 1.0, v128, 1.0
	v_fma_f32 v132, -v129, v130, 1.0
	v_fmac_f32_e32 v130, v132, v130
	v_mul_f32_e32 v132, v131, v130
	v_fma_f32 v133, -v129, v132, v131
	v_fmac_f32_e32 v132, v133, v130
	v_fma_f32 v129, -v129, v132, v131
	v_div_fmas_f32 v129, v129, v130, v132
	v_div_fixup_f32 v128, v129, v128, 1.0
	ds_write_b32 v114, v128
.LBB73_69:
	s_or_b64 exec, exec, s[4:5]
.LBB73_70:
	s_or_b64 exec, exec, s[2:3]
	s_waitcnt lgkmcnt(0)
	s_barrier
	ds_read_b32 v128, v114
	v_cmp_lt_u32_e32 vcc, 12, v25
	s_and_saveexec_b64 s[2:3], vcc
	s_cbranch_execz .LBB73_72
; %bb.71:
	ds_read2_b32 v[130:131], v115 offset0:13 offset1:14
	ds_read2_b32 v[132:133], v115 offset0:15 offset1:16
	;; [unrolled: 1-line block ×3, first 2 shown]
	s_waitcnt vmcnt(24) lgkmcnt(3)
	v_mul_f32_e32 v136, v128, v51
	ds_read2_b32 v[138:139], v115 offset0:19 offset1:20
	s_waitcnt vmcnt(22) lgkmcnt(3)
	v_pk_fma_f32 v[44:45], v[136:137], v[130:131], v[44:45] op_sel_hi:[0,1,1] neg_lo:[1,0,0] neg_hi:[1,0,0]
	s_waitcnt vmcnt(20) lgkmcnt(2)
	v_pk_fma_f32 v[48:49], v[136:137], v[132:133], v[48:49] op_sel_hi:[0,1,1] neg_lo:[1,0,0] neg_hi:[1,0,0]
	;; [unrolled: 2-line block ×3, first 2 shown]
	ds_read2_b32 v[130:131], v115 offset0:21 offset1:22
	ds_read2_b32 v[132:133], v115 offset0:23 offset1:24
	;; [unrolled: 1-line block ×3, first 2 shown]
	s_waitcnt vmcnt(16) lgkmcnt(3)
	v_pk_fma_f32 v[68:69], v[136:137], v[138:139], v[68:69] op_sel_hi:[0,1,1] neg_lo:[1,0,0] neg_hi:[1,0,0]
	ds_read2_b32 v[138:139], v115 offset0:27 offset1:28
	s_waitcnt vmcnt(14) lgkmcnt(3)
	v_pk_fma_f32 v[70:71], v[136:137], v[130:131], v[70:71] op_sel_hi:[0,1,1] neg_lo:[1,0,0] neg_hi:[1,0,0]
	s_waitcnt vmcnt(12) lgkmcnt(2)
	v_pk_fma_f32 v[72:73], v[136:137], v[132:133], v[72:73] op_sel_hi:[0,1,1] neg_lo:[1,0,0] neg_hi:[1,0,0]
	;; [unrolled: 2-line block ×3, first 2 shown]
	ds_read2_b32 v[130:131], v115 offset0:29 offset1:30
	ds_read2_b32 v[132:133], v115 offset0:31 offset1:32
	;; [unrolled: 1-line block ×4, first 2 shown]
	s_waitcnt vmcnt(8) lgkmcnt(4)
	v_pk_fma_f32 v[96:97], v[136:137], v[138:139], v[96:97] op_sel_hi:[0,1,1] neg_lo:[1,0,0] neg_hi:[1,0,0]
	s_waitcnt vmcnt(6) lgkmcnt(3)
	v_pk_fma_f32 v[98:99], v[136:137], v[130:131], v[98:99] op_sel_hi:[0,1,1] neg_lo:[1,0,0] neg_hi:[1,0,0]
	;; [unrolled: 2-line block ×5, first 2 shown]
	v_mov_b32_e32 v51, v136
.LBB73_72:
	s_or_b64 exec, exec, s[2:3]
	v_cmp_eq_u32_e32 vcc, 13, v25
	s_waitcnt lgkmcnt(0)
	s_barrier
	s_and_saveexec_b64 s[2:3], vcc
	s_cbranch_execz .LBB73_75
; %bb.73:
	s_waitcnt vmcnt(20)
	v_pk_mov_b32 v[130:131], v[44:45], v[48:49] op_sel:[1,0]
	ds_write_b32 v114, v44
	ds_write2_b32 v115, v130, v131 offset0:14 offset1:15
	s_waitcnt vmcnt(18)
	v_pk_mov_b32 v[130:131], v[48:49], v[74:75] op_sel:[1,0]
	ds_write2_b32 v115, v130, v131 offset0:16 offset1:17
	s_waitcnt vmcnt(16)
	v_pk_mov_b32 v[130:131], v[74:75], v[68:69] op_sel:[1,0]
	;; [unrolled: 3-line block ×10, first 2 shown]
	ds_write2_b32 v115, v130, v131 offset0:34 offset1:35
	ds_write_b32 v115, v113 offset:144
	ds_read_b32 v129, v114
	s_waitcnt lgkmcnt(0)
	v_cmp_neq_f32_e32 vcc, 0, v129
	s_and_b64 exec, exec, vcc
	s_cbranch_execz .LBB73_75
; %bb.74:
	v_div_scale_f32 v130, s[4:5], v129, v129, 1.0
	v_rcp_f32_e32 v131, v130
	v_div_scale_f32 v132, vcc, 1.0, v129, 1.0
	v_fma_f32 v133, -v130, v131, 1.0
	v_fmac_f32_e32 v131, v133, v131
	v_mul_f32_e32 v133, v132, v131
	v_fma_f32 v134, -v130, v133, v132
	v_fmac_f32_e32 v133, v134, v131
	v_fma_f32 v130, -v130, v133, v132
	v_div_fmas_f32 v130, v130, v131, v133
	v_div_fixup_f32 v129, v130, v129, 1.0
	ds_write_b32 v114, v129
.LBB73_75:
	s_or_b64 exec, exec, s[2:3]
	s_waitcnt lgkmcnt(0)
	s_barrier
	ds_read_b32 v129, v114
	v_cmp_lt_u32_e32 vcc, 13, v25
	s_and_saveexec_b64 s[2:3], vcc
	s_cbranch_execz .LBB73_77
; %bb.76:
	ds_read_b32 v136, v115 offset:56
	ds_read2_b32 v[130:131], v115 offset0:15 offset1:16
	ds_read2_b32 v[132:133], v115 offset0:17 offset1:18
	s_waitcnt vmcnt(23) lgkmcnt(3)
	v_mul_f32_e32 v44, v129, v44
	ds_read2_b32 v[134:135], v115 offset0:19 offset1:20
	s_waitcnt vmcnt(22) lgkmcnt(3)
	v_fma_f32 v45, -v44, v136, v45
	s_waitcnt vmcnt(20) lgkmcnt(2)
	v_pk_fma_f32 v[48:49], v[44:45], v[130:131], v[48:49] op_sel_hi:[0,1,1] neg_lo:[1,0,0] neg_hi:[1,0,0]
	s_waitcnt vmcnt(18) lgkmcnt(1)
	v_pk_fma_f32 v[74:75], v[44:45], v[132:133], v[74:75] op_sel_hi:[0,1,1] neg_lo:[1,0,0] neg_hi:[1,0,0]
	ds_read2_b32 v[130:131], v115 offset0:21 offset1:22
	ds_read2_b32 v[132:133], v115 offset0:23 offset1:24
	;; [unrolled: 1-line block ×3, first 2 shown]
	s_waitcnt vmcnt(16) lgkmcnt(3)
	v_pk_fma_f32 v[68:69], v[44:45], v[134:135], v[68:69] op_sel_hi:[0,1,1] neg_lo:[1,0,0] neg_hi:[1,0,0]
	ds_read2_b32 v[134:135], v115 offset0:27 offset1:28
	s_waitcnt vmcnt(14) lgkmcnt(3)
	v_pk_fma_f32 v[70:71], v[44:45], v[130:131], v[70:71] op_sel_hi:[0,1,1] neg_lo:[1,0,0] neg_hi:[1,0,0]
	s_waitcnt vmcnt(12) lgkmcnt(2)
	v_pk_fma_f32 v[72:73], v[44:45], v[132:133], v[72:73] op_sel_hi:[0,1,1] neg_lo:[1,0,0] neg_hi:[1,0,0]
	;; [unrolled: 2-line block ×3, first 2 shown]
	ds_read2_b32 v[130:131], v115 offset0:29 offset1:30
	ds_read2_b32 v[132:133], v115 offset0:31 offset1:32
	;; [unrolled: 1-line block ×4, first 2 shown]
	s_waitcnt vmcnt(8) lgkmcnt(4)
	v_pk_fma_f32 v[96:97], v[44:45], v[134:135], v[96:97] op_sel_hi:[0,1,1] neg_lo:[1,0,0] neg_hi:[1,0,0]
	s_waitcnt vmcnt(6) lgkmcnt(3)
	v_pk_fma_f32 v[98:99], v[44:45], v[130:131], v[98:99] op_sel_hi:[0,1,1] neg_lo:[1,0,0] neg_hi:[1,0,0]
	;; [unrolled: 2-line block ×5, first 2 shown]
.LBB73_77:
	s_or_b64 exec, exec, s[2:3]
	v_cmp_ne_u32_e32 vcc, 14, v25
	s_waitcnt lgkmcnt(0)
	s_barrier
	s_and_saveexec_b64 s[2:3], vcc
	s_xor_b64 s[2:3], exec, s[2:3]
	s_andn2_saveexec_b64 s[2:3], s[2:3]
	s_cbranch_execz .LBB73_81
; %bb.78:
	s_waitcnt vmcnt(22)
	ds_write_b32 v114, v45
	s_waitcnt vmcnt(20)
	ds_write2_b32 v115, v48, v49 offset0:15 offset1:16
	s_waitcnt vmcnt(18)
	ds_write2_b32 v115, v74, v75 offset0:17 offset1:18
	;; [unrolled: 2-line block ×11, first 2 shown]
	ds_read_b32 v130, v114
	s_waitcnt lgkmcnt(0)
	v_cmp_neq_f32_e32 vcc, 0, v130
	s_and_saveexec_b64 s[4:5], vcc
	s_cbranch_execz .LBB73_80
; %bb.79:
	v_div_scale_f32 v131, s[10:11], v130, v130, 1.0
	v_rcp_f32_e32 v132, v131
	v_div_scale_f32 v133, vcc, 1.0, v130, 1.0
	v_fma_f32 v134, -v131, v132, 1.0
	v_fmac_f32_e32 v132, v134, v132
	v_mul_f32_e32 v134, v133, v132
	v_fma_f32 v135, -v131, v134, v133
	v_fmac_f32_e32 v134, v135, v132
	v_fma_f32 v131, -v131, v134, v133
	v_div_fmas_f32 v131, v131, v132, v134
	v_div_fixup_f32 v130, v131, v130, 1.0
	ds_write_b32 v114, v130
.LBB73_80:
	s_or_b64 exec, exec, s[4:5]
.LBB73_81:
	s_or_b64 exec, exec, s[2:3]
	s_waitcnt lgkmcnt(0)
	s_barrier
	ds_read_b32 v130, v114
	v_cmp_lt_u32_e32 vcc, 14, v25
	s_and_saveexec_b64 s[2:3], vcc
	s_cbranch_execz .LBB73_83
; %bb.82:
	ds_read2_b32 v[132:133], v115 offset0:15 offset1:16
	ds_read2_b32 v[134:135], v115 offset0:17 offset1:18
	;; [unrolled: 1-line block ×3, first 2 shown]
	s_waitcnt vmcnt(22) lgkmcnt(3)
	v_mul_f32_e32 v138, v130, v45
	ds_read2_b32 v[140:141], v115 offset0:21 offset1:22
	s_waitcnt vmcnt(20) lgkmcnt(3)
	v_pk_fma_f32 v[48:49], v[138:139], v[132:133], v[48:49] op_sel_hi:[0,1,1] neg_lo:[1,0,0] neg_hi:[1,0,0]
	s_waitcnt vmcnt(18) lgkmcnt(2)
	v_pk_fma_f32 v[74:75], v[138:139], v[134:135], v[74:75] op_sel_hi:[0,1,1] neg_lo:[1,0,0] neg_hi:[1,0,0]
	ds_read2_b32 v[132:133], v115 offset0:23 offset1:24
	ds_read2_b32 v[134:135], v115 offset0:25 offset1:26
	s_waitcnt vmcnt(16) lgkmcnt(3)
	v_pk_fma_f32 v[68:69], v[138:139], v[136:137], v[68:69] op_sel_hi:[0,1,1] neg_lo:[1,0,0] neg_hi:[1,0,0]
	s_waitcnt vmcnt(14) lgkmcnt(2)
	v_pk_fma_f32 v[70:71], v[138:139], v[140:141], v[70:71] op_sel_hi:[0,1,1] neg_lo:[1,0,0] neg_hi:[1,0,0]
	ds_read2_b32 v[136:137], v115 offset0:27 offset1:28
	;; [unrolled: 6-line block ×3, first 2 shown]
	ds_read2_b32 v[134:135], v115 offset0:33 offset1:34
	ds_read2_b32 v[142:143], v115 offset0:35 offset1:36
	s_waitcnt vmcnt(8) lgkmcnt(4)
	v_pk_fma_f32 v[96:97], v[138:139], v[136:137], v[96:97] op_sel_hi:[0,1,1] neg_lo:[1,0,0] neg_hi:[1,0,0]
	s_waitcnt vmcnt(6) lgkmcnt(3)
	v_pk_fma_f32 v[98:99], v[138:139], v[140:141], v[98:99] op_sel_hi:[0,1,1] neg_lo:[1,0,0] neg_hi:[1,0,0]
	;; [unrolled: 2-line block ×5, first 2 shown]
	v_mov_b32_e32 v45, v138
.LBB73_83:
	s_or_b64 exec, exec, s[2:3]
	v_cmp_eq_u32_e32 vcc, 15, v25
	s_waitcnt lgkmcnt(0)
	s_barrier
	s_and_saveexec_b64 s[2:3], vcc
	s_cbranch_execz .LBB73_86
; %bb.84:
	s_waitcnt vmcnt(18)
	v_pk_mov_b32 v[132:133], v[48:49], v[74:75] op_sel:[1,0]
	ds_write_b32 v114, v48
	ds_write2_b32 v115, v132, v133 offset0:16 offset1:17
	s_waitcnt vmcnt(16)
	v_pk_mov_b32 v[132:133], v[74:75], v[68:69] op_sel:[1,0]
	ds_write2_b32 v115, v132, v133 offset0:18 offset1:19
	s_waitcnt vmcnt(14)
	v_pk_mov_b32 v[132:133], v[68:69], v[70:71] op_sel:[1,0]
	;; [unrolled: 3-line block ×9, first 2 shown]
	ds_write2_b32 v115, v132, v133 offset0:34 offset1:35
	ds_write_b32 v115, v113 offset:144
	ds_read_b32 v131, v114
	s_waitcnt lgkmcnt(0)
	v_cmp_neq_f32_e32 vcc, 0, v131
	s_and_b64 exec, exec, vcc
	s_cbranch_execz .LBB73_86
; %bb.85:
	v_div_scale_f32 v132, s[4:5], v131, v131, 1.0
	v_rcp_f32_e32 v133, v132
	v_div_scale_f32 v134, vcc, 1.0, v131, 1.0
	v_fma_f32 v135, -v132, v133, 1.0
	v_fmac_f32_e32 v133, v135, v133
	v_mul_f32_e32 v135, v134, v133
	v_fma_f32 v136, -v132, v135, v134
	v_fmac_f32_e32 v135, v136, v133
	v_fma_f32 v132, -v132, v135, v134
	v_div_fmas_f32 v132, v132, v133, v135
	v_div_fixup_f32 v131, v132, v131, 1.0
	ds_write_b32 v114, v131
.LBB73_86:
	s_or_b64 exec, exec, s[2:3]
	s_waitcnt lgkmcnt(0)
	s_barrier
	ds_read_b32 v131, v114
	v_cmp_lt_u32_e32 vcc, 15, v25
	s_and_saveexec_b64 s[2:3], vcc
	s_cbranch_execz .LBB73_88
; %bb.87:
	ds_read_b32 v138, v115 offset:64
	ds_read2_b32 v[132:133], v115 offset0:17 offset1:18
	ds_read2_b32 v[134:135], v115 offset0:19 offset1:20
	s_waitcnt vmcnt(21) lgkmcnt(3)
	v_mul_f32_e32 v48, v131, v48
	ds_read2_b32 v[136:137], v115 offset0:21 offset1:22
	s_waitcnt vmcnt(20) lgkmcnt(3)
	v_fma_f32 v49, -v48, v138, v49
	s_waitcnt vmcnt(18) lgkmcnt(2)
	v_pk_fma_f32 v[74:75], v[48:49], v[132:133], v[74:75] op_sel_hi:[0,1,1] neg_lo:[1,0,0] neg_hi:[1,0,0]
	s_waitcnt vmcnt(16) lgkmcnt(1)
	v_pk_fma_f32 v[68:69], v[48:49], v[134:135], v[68:69] op_sel_hi:[0,1,1] neg_lo:[1,0,0] neg_hi:[1,0,0]
	ds_read2_b32 v[132:133], v115 offset0:23 offset1:24
	ds_read2_b32 v[134:135], v115 offset0:25 offset1:26
	s_waitcnt vmcnt(14) lgkmcnt(2)
	v_pk_fma_f32 v[70:71], v[48:49], v[136:137], v[70:71] op_sel_hi:[0,1,1] neg_lo:[1,0,0] neg_hi:[1,0,0]
	ds_read2_b32 v[136:137], v115 offset0:27 offset1:28
	ds_read2_b32 v[138:139], v115 offset0:29 offset1:30
	s_waitcnt vmcnt(12) lgkmcnt(3)
	v_pk_fma_f32 v[72:73], v[48:49], v[132:133], v[72:73] op_sel_hi:[0,1,1] neg_lo:[1,0,0] neg_hi:[1,0,0]
	s_waitcnt vmcnt(10) lgkmcnt(2)
	v_pk_fma_f32 v[94:95], v[48:49], v[134:135], v[94:95] op_sel_hi:[0,1,1] neg_lo:[1,0,0] neg_hi:[1,0,0]
	ds_read2_b32 v[132:133], v115 offset0:31 offset1:32
	ds_read2_b32 v[134:135], v115 offset0:33 offset1:34
	;; [unrolled: 1-line block ×3, first 2 shown]
	s_waitcnt vmcnt(8) lgkmcnt(4)
	v_pk_fma_f32 v[96:97], v[48:49], v[136:137], v[96:97] op_sel_hi:[0,1,1] neg_lo:[1,0,0] neg_hi:[1,0,0]
	s_waitcnt vmcnt(6) lgkmcnt(3)
	v_pk_fma_f32 v[98:99], v[48:49], v[138:139], v[98:99] op_sel_hi:[0,1,1] neg_lo:[1,0,0] neg_hi:[1,0,0]
	;; [unrolled: 2-line block ×5, first 2 shown]
.LBB73_88:
	s_or_b64 exec, exec, s[2:3]
	v_cmp_ne_u32_e32 vcc, 16, v25
	s_waitcnt lgkmcnt(0)
	s_barrier
	s_and_saveexec_b64 s[2:3], vcc
	s_xor_b64 s[2:3], exec, s[2:3]
	s_andn2_saveexec_b64 s[2:3], s[2:3]
	s_cbranch_execz .LBB73_92
; %bb.89:
	s_waitcnt vmcnt(20)
	ds_write_b32 v114, v49
	s_waitcnt vmcnt(18)
	ds_write2_b32 v115, v74, v75 offset0:17 offset1:18
	s_waitcnt vmcnt(16)
	ds_write2_b32 v115, v68, v69 offset0:19 offset1:20
	s_waitcnt vmcnt(14)
	ds_write2_b32 v115, v70, v71 offset0:21 offset1:22
	s_waitcnt vmcnt(12)
	ds_write2_b32 v115, v72, v73 offset0:23 offset1:24
	s_waitcnt vmcnt(10)
	ds_write2_b32 v115, v94, v95 offset0:25 offset1:26
	s_waitcnt vmcnt(8)
	ds_write2_b32 v115, v96, v97 offset0:27 offset1:28
	s_waitcnt vmcnt(6)
	ds_write2_b32 v115, v98, v99 offset0:29 offset1:30
	s_waitcnt vmcnt(4)
	ds_write2_b32 v115, v92, v93 offset0:31 offset1:32
	s_waitcnt vmcnt(2)
	ds_write2_b32 v115, v110, v111 offset0:33 offset1:34
	s_waitcnt vmcnt(0)
	ds_write2_b32 v115, v112, v113 offset0:35 offset1:36
	ds_read_b32 v132, v114
	s_waitcnt lgkmcnt(0)
	v_cmp_neq_f32_e32 vcc, 0, v132
	s_and_saveexec_b64 s[4:5], vcc
	s_cbranch_execz .LBB73_91
; %bb.90:
	v_div_scale_f32 v133, s[10:11], v132, v132, 1.0
	v_rcp_f32_e32 v134, v133
	v_div_scale_f32 v135, vcc, 1.0, v132, 1.0
	v_fma_f32 v136, -v133, v134, 1.0
	v_fmac_f32_e32 v134, v136, v134
	v_mul_f32_e32 v136, v135, v134
	v_fma_f32 v137, -v133, v136, v135
	v_fmac_f32_e32 v136, v137, v134
	v_fma_f32 v133, -v133, v136, v135
	v_div_fmas_f32 v133, v133, v134, v136
	v_div_fixup_f32 v132, v133, v132, 1.0
	ds_write_b32 v114, v132
.LBB73_91:
	s_or_b64 exec, exec, s[4:5]
.LBB73_92:
	s_or_b64 exec, exec, s[2:3]
	s_waitcnt lgkmcnt(0)
	s_barrier
	ds_read_b32 v132, v114
	v_cmp_lt_u32_e32 vcc, 16, v25
	s_and_saveexec_b64 s[2:3], vcc
	s_cbranch_execz .LBB73_94
; %bb.93:
	ds_read2_b32 v[134:135], v115 offset0:17 offset1:18
	ds_read2_b32 v[136:137], v115 offset0:19 offset1:20
	;; [unrolled: 1-line block ×3, first 2 shown]
	s_waitcnt vmcnt(20) lgkmcnt(3)
	v_mul_f32_e32 v140, v132, v49
	ds_read2_b32 v[142:143], v115 offset0:23 offset1:24
	s_waitcnt vmcnt(18) lgkmcnt(3)
	v_pk_fma_f32 v[74:75], v[140:141], v[134:135], v[74:75] op_sel_hi:[0,1,1] neg_lo:[1,0,0] neg_hi:[1,0,0]
	ds_read2_b32 v[134:135], v115 offset0:25 offset1:26
	s_waitcnt vmcnt(16) lgkmcnt(3)
	v_pk_fma_f32 v[68:69], v[140:141], v[136:137], v[68:69] op_sel_hi:[0,1,1] neg_lo:[1,0,0] neg_hi:[1,0,0]
	s_waitcnt vmcnt(14) lgkmcnt(2)
	v_pk_fma_f32 v[70:71], v[140:141], v[138:139], v[70:71] op_sel_hi:[0,1,1] neg_lo:[1,0,0] neg_hi:[1,0,0]
	;; [unrolled: 2-line block ×3, first 2 shown]
	ds_read2_b32 v[136:137], v115 offset0:27 offset1:28
	ds_read2_b32 v[138:139], v115 offset0:29 offset1:30
	;; [unrolled: 1-line block ×3, first 2 shown]
	s_waitcnt vmcnt(10) lgkmcnt(3)
	v_pk_fma_f32 v[94:95], v[140:141], v[134:135], v[94:95] op_sel_hi:[0,1,1] neg_lo:[1,0,0] neg_hi:[1,0,0]
	ds_read2_b32 v[134:135], v115 offset0:33 offset1:34
	ds_read2_b32 v[144:145], v115 offset0:35 offset1:36
	s_waitcnt vmcnt(8) lgkmcnt(4)
	v_pk_fma_f32 v[96:97], v[140:141], v[136:137], v[96:97] op_sel_hi:[0,1,1] neg_lo:[1,0,0] neg_hi:[1,0,0]
	s_waitcnt vmcnt(6) lgkmcnt(3)
	v_pk_fma_f32 v[98:99], v[140:141], v[138:139], v[98:99] op_sel_hi:[0,1,1] neg_lo:[1,0,0] neg_hi:[1,0,0]
	s_waitcnt vmcnt(4) lgkmcnt(2)
	v_pk_fma_f32 v[92:93], v[140:141], v[142:143], v[92:93] op_sel_hi:[0,1,1] neg_lo:[1,0,0] neg_hi:[1,0,0]
	s_waitcnt vmcnt(2) lgkmcnt(1)
	v_pk_fma_f32 v[110:111], v[140:141], v[134:135], v[110:111] op_sel_hi:[0,1,1] neg_lo:[1,0,0] neg_hi:[1,0,0]
	s_waitcnt vmcnt(0) lgkmcnt(0)
	v_pk_fma_f32 v[112:113], v[140:141], v[144:145], v[112:113] op_sel_hi:[0,1,1] neg_lo:[1,0,0] neg_hi:[1,0,0]
	v_mov_b32_e32 v49, v140
.LBB73_94:
	s_or_b64 exec, exec, s[2:3]
	v_cmp_eq_u32_e32 vcc, 17, v25
	s_waitcnt lgkmcnt(0)
	s_barrier
	s_and_saveexec_b64 s[2:3], vcc
	s_cbranch_execz .LBB73_97
; %bb.95:
	s_waitcnt vmcnt(16)
	v_pk_mov_b32 v[134:135], v[74:75], v[68:69] op_sel:[1,0]
	ds_write_b32 v114, v74
	ds_write2_b32 v115, v134, v135 offset0:18 offset1:19
	s_waitcnt vmcnt(14)
	v_pk_mov_b32 v[134:135], v[68:69], v[70:71] op_sel:[1,0]
	ds_write2_b32 v115, v134, v135 offset0:20 offset1:21
	s_waitcnt vmcnt(12)
	v_pk_mov_b32 v[134:135], v[70:71], v[72:73] op_sel:[1,0]
	;; [unrolled: 3-line block ×8, first 2 shown]
	ds_write2_b32 v115, v134, v135 offset0:34 offset1:35
	ds_write_b32 v115, v113 offset:144
	ds_read_b32 v133, v114
	s_waitcnt lgkmcnt(0)
	v_cmp_neq_f32_e32 vcc, 0, v133
	s_and_b64 exec, exec, vcc
	s_cbranch_execz .LBB73_97
; %bb.96:
	v_div_scale_f32 v134, s[4:5], v133, v133, 1.0
	v_rcp_f32_e32 v135, v134
	v_div_scale_f32 v136, vcc, 1.0, v133, 1.0
	v_fma_f32 v137, -v134, v135, 1.0
	v_fmac_f32_e32 v135, v137, v135
	v_mul_f32_e32 v137, v136, v135
	v_fma_f32 v138, -v134, v137, v136
	v_fmac_f32_e32 v137, v138, v135
	v_fma_f32 v134, -v134, v137, v136
	v_div_fmas_f32 v134, v134, v135, v137
	v_div_fixup_f32 v133, v134, v133, 1.0
	ds_write_b32 v114, v133
.LBB73_97:
	s_or_b64 exec, exec, s[2:3]
	s_waitcnt lgkmcnt(0)
	s_barrier
	ds_read_b32 v133, v114
	v_cmp_lt_u32_e32 vcc, 17, v25
	s_and_saveexec_b64 s[2:3], vcc
	s_cbranch_execz .LBB73_99
; %bb.98:
	ds_read_b32 v140, v115 offset:72
	ds_read2_b32 v[134:135], v115 offset0:19 offset1:20
	ds_read2_b32 v[136:137], v115 offset0:21 offset1:22
	s_waitcnt vmcnt(19) lgkmcnt(3)
	v_mul_f32_e32 v74, v133, v74
	ds_read2_b32 v[138:139], v115 offset0:23 offset1:24
	s_waitcnt vmcnt(18) lgkmcnt(3)
	v_fma_f32 v75, -v74, v140, v75
	s_waitcnt vmcnt(16) lgkmcnt(2)
	v_pk_fma_f32 v[68:69], v[74:75], v[134:135], v[68:69] op_sel_hi:[0,1,1] neg_lo:[1,0,0] neg_hi:[1,0,0]
	ds_read2_b32 v[134:135], v115 offset0:25 offset1:26
	s_waitcnt vmcnt(14) lgkmcnt(2)
	v_pk_fma_f32 v[70:71], v[74:75], v[136:137], v[70:71] op_sel_hi:[0,1,1] neg_lo:[1,0,0] neg_hi:[1,0,0]
	s_waitcnt vmcnt(12) lgkmcnt(1)
	v_pk_fma_f32 v[72:73], v[74:75], v[138:139], v[72:73] op_sel_hi:[0,1,1] neg_lo:[1,0,0] neg_hi:[1,0,0]
	ds_read2_b32 v[136:137], v115 offset0:27 offset1:28
	ds_read2_b32 v[138:139], v115 offset0:29 offset1:30
	;; [unrolled: 1-line block ×3, first 2 shown]
	s_waitcnt vmcnt(10) lgkmcnt(3)
	v_pk_fma_f32 v[94:95], v[74:75], v[134:135], v[94:95] op_sel_hi:[0,1,1] neg_lo:[1,0,0] neg_hi:[1,0,0]
	ds_read2_b32 v[134:135], v115 offset0:33 offset1:34
	ds_read2_b32 v[142:143], v115 offset0:35 offset1:36
	s_waitcnt vmcnt(8) lgkmcnt(4)
	v_pk_fma_f32 v[96:97], v[74:75], v[136:137], v[96:97] op_sel_hi:[0,1,1] neg_lo:[1,0,0] neg_hi:[1,0,0]
	s_waitcnt vmcnt(6) lgkmcnt(3)
	v_pk_fma_f32 v[98:99], v[74:75], v[138:139], v[98:99] op_sel_hi:[0,1,1] neg_lo:[1,0,0] neg_hi:[1,0,0]
	;; [unrolled: 2-line block ×5, first 2 shown]
.LBB73_99:
	s_or_b64 exec, exec, s[2:3]
	v_cmp_ne_u32_e32 vcc, 18, v25
	s_waitcnt lgkmcnt(0)
	s_barrier
	s_and_saveexec_b64 s[2:3], vcc
	s_xor_b64 s[2:3], exec, s[2:3]
	s_andn2_saveexec_b64 s[2:3], s[2:3]
	s_cbranch_execz .LBB73_103
; %bb.100:
	s_waitcnt vmcnt(18)
	ds_write_b32 v114, v75
	s_waitcnt vmcnt(16)
	ds_write2_b32 v115, v68, v69 offset0:19 offset1:20
	s_waitcnt vmcnt(14)
	ds_write2_b32 v115, v70, v71 offset0:21 offset1:22
	;; [unrolled: 2-line block ×9, first 2 shown]
	ds_read_b32 v134, v114
	s_waitcnt lgkmcnt(0)
	v_cmp_neq_f32_e32 vcc, 0, v134
	s_and_saveexec_b64 s[4:5], vcc
	s_cbranch_execz .LBB73_102
; %bb.101:
	v_div_scale_f32 v135, s[10:11], v134, v134, 1.0
	v_rcp_f32_e32 v136, v135
	v_div_scale_f32 v137, vcc, 1.0, v134, 1.0
	v_fma_f32 v138, -v135, v136, 1.0
	v_fmac_f32_e32 v136, v138, v136
	v_mul_f32_e32 v138, v137, v136
	v_fma_f32 v139, -v135, v138, v137
	v_fmac_f32_e32 v138, v139, v136
	v_fma_f32 v135, -v135, v138, v137
	v_div_fmas_f32 v135, v135, v136, v138
	v_div_fixup_f32 v134, v135, v134, 1.0
	ds_write_b32 v114, v134
.LBB73_102:
	s_or_b64 exec, exec, s[4:5]
.LBB73_103:
	s_or_b64 exec, exec, s[2:3]
	s_waitcnt lgkmcnt(0)
	s_barrier
	ds_read_b32 v134, v114
	v_cmp_lt_u32_e32 vcc, 18, v25
	s_and_saveexec_b64 s[2:3], vcc
	s_cbranch_execz .LBB73_105
; %bb.104:
	ds_read2_b32 v[136:137], v115 offset0:19 offset1:20
	ds_read2_b32 v[138:139], v115 offset0:21 offset1:22
	;; [unrolled: 1-line block ×4, first 2 shown]
	s_waitcnt vmcnt(18) lgkmcnt(4)
	v_mul_f32_e32 v144, v134, v75
	s_waitcnt vmcnt(16) lgkmcnt(3)
	v_pk_fma_f32 v[68:69], v[144:145], v[136:137], v[68:69] op_sel_hi:[0,1,1] neg_lo:[1,0,0] neg_hi:[1,0,0]
	s_waitcnt vmcnt(14) lgkmcnt(2)
	v_pk_fma_f32 v[70:71], v[144:145], v[138:139], v[70:71] op_sel_hi:[0,1,1] neg_lo:[1,0,0] neg_hi:[1,0,0]
	;; [unrolled: 2-line block ×4, first 2 shown]
	ds_read2_b32 v[136:137], v115 offset0:27 offset1:28
	ds_read2_b32 v[138:139], v115 offset0:29 offset1:30
	;; [unrolled: 1-line block ×5, first 2 shown]
	s_waitcnt vmcnt(8) lgkmcnt(4)
	v_pk_fma_f32 v[96:97], v[144:145], v[136:137], v[96:97] op_sel_hi:[0,1,1] neg_lo:[1,0,0] neg_hi:[1,0,0]
	s_waitcnt vmcnt(6) lgkmcnt(3)
	v_pk_fma_f32 v[98:99], v[144:145], v[138:139], v[98:99] op_sel_hi:[0,1,1] neg_lo:[1,0,0] neg_hi:[1,0,0]
	;; [unrolled: 2-line block ×5, first 2 shown]
	v_mov_b32_e32 v75, v144
.LBB73_105:
	s_or_b64 exec, exec, s[2:3]
	v_cmp_eq_u32_e32 vcc, 19, v25
	s_waitcnt lgkmcnt(0)
	s_barrier
	s_and_saveexec_b64 s[2:3], vcc
	s_cbranch_execz .LBB73_108
; %bb.106:
	s_waitcnt vmcnt(14)
	v_pk_mov_b32 v[136:137], v[68:69], v[70:71] op_sel:[1,0]
	ds_write_b32 v114, v68
	ds_write2_b32 v115, v136, v137 offset0:20 offset1:21
	s_waitcnt vmcnt(12)
	v_pk_mov_b32 v[136:137], v[70:71], v[72:73] op_sel:[1,0]
	ds_write2_b32 v115, v136, v137 offset0:22 offset1:23
	s_waitcnt vmcnt(10)
	v_pk_mov_b32 v[136:137], v[72:73], v[94:95] op_sel:[1,0]
	;; [unrolled: 3-line block ×7, first 2 shown]
	ds_write2_b32 v115, v136, v137 offset0:34 offset1:35
	ds_write_b32 v115, v113 offset:144
	ds_read_b32 v135, v114
	s_waitcnt lgkmcnt(0)
	v_cmp_neq_f32_e32 vcc, 0, v135
	s_and_b64 exec, exec, vcc
	s_cbranch_execz .LBB73_108
; %bb.107:
	v_div_scale_f32 v136, s[4:5], v135, v135, 1.0
	v_rcp_f32_e32 v137, v136
	v_div_scale_f32 v138, vcc, 1.0, v135, 1.0
	v_fma_f32 v139, -v136, v137, 1.0
	v_fmac_f32_e32 v137, v139, v137
	v_mul_f32_e32 v139, v138, v137
	v_fma_f32 v140, -v136, v139, v138
	v_fmac_f32_e32 v139, v140, v137
	v_fma_f32 v136, -v136, v139, v138
	v_div_fmas_f32 v136, v136, v137, v139
	v_div_fixup_f32 v135, v136, v135, 1.0
	ds_write_b32 v114, v135
.LBB73_108:
	s_or_b64 exec, exec, s[2:3]
	s_waitcnt lgkmcnt(0)
	s_barrier
	ds_read_b32 v135, v114
	v_cmp_lt_u32_e32 vcc, 19, v25
	s_and_saveexec_b64 s[2:3], vcc
	s_cbranch_execz .LBB73_110
; %bb.109:
	ds_read_b32 v142, v115 offset:80
	ds_read2_b32 v[136:137], v115 offset0:21 offset1:22
	ds_read2_b32 v[138:139], v115 offset0:23 offset1:24
	;; [unrolled: 1-line block ×3, first 2 shown]
	s_waitcnt vmcnt(17) lgkmcnt(4)
	v_mul_f32_e32 v68, v135, v68
	s_waitcnt vmcnt(16) lgkmcnt(3)
	v_fma_f32 v69, -v68, v142, v69
	s_waitcnt vmcnt(14) lgkmcnt(2)
	v_pk_fma_f32 v[70:71], v[68:69], v[136:137], v[70:71] op_sel_hi:[0,1,1] neg_lo:[1,0,0] neg_hi:[1,0,0]
	s_waitcnt vmcnt(12) lgkmcnt(1)
	v_pk_fma_f32 v[72:73], v[68:69], v[138:139], v[72:73] op_sel_hi:[0,1,1] neg_lo:[1,0,0] neg_hi:[1,0,0]
	;; [unrolled: 2-line block ×3, first 2 shown]
	ds_read2_b32 v[136:137], v115 offset0:27 offset1:28
	ds_read2_b32 v[138:139], v115 offset0:29 offset1:30
	;; [unrolled: 1-line block ×5, first 2 shown]
	s_waitcnt vmcnt(8) lgkmcnt(4)
	v_pk_fma_f32 v[96:97], v[68:69], v[136:137], v[96:97] op_sel_hi:[0,1,1] neg_lo:[1,0,0] neg_hi:[1,0,0]
	s_waitcnt vmcnt(6) lgkmcnt(3)
	v_pk_fma_f32 v[98:99], v[68:69], v[138:139], v[98:99] op_sel_hi:[0,1,1] neg_lo:[1,0,0] neg_hi:[1,0,0]
	;; [unrolled: 2-line block ×5, first 2 shown]
.LBB73_110:
	s_or_b64 exec, exec, s[2:3]
	v_cmp_ne_u32_e32 vcc, 20, v25
	s_waitcnt lgkmcnt(0)
	s_barrier
	s_and_saveexec_b64 s[2:3], vcc
	s_xor_b64 s[2:3], exec, s[2:3]
	s_andn2_saveexec_b64 s[2:3], s[2:3]
	s_cbranch_execz .LBB73_114
; %bb.111:
	s_waitcnt vmcnt(16)
	ds_write_b32 v114, v69
	s_waitcnt vmcnt(14)
	ds_write2_b32 v115, v70, v71 offset0:21 offset1:22
	s_waitcnt vmcnt(12)
	ds_write2_b32 v115, v72, v73 offset0:23 offset1:24
	;; [unrolled: 2-line block ×8, first 2 shown]
	ds_read_b32 v136, v114
	s_waitcnt lgkmcnt(0)
	v_cmp_neq_f32_e32 vcc, 0, v136
	s_and_saveexec_b64 s[4:5], vcc
	s_cbranch_execz .LBB73_113
; %bb.112:
	v_div_scale_f32 v137, s[10:11], v136, v136, 1.0
	v_rcp_f32_e32 v138, v137
	v_div_scale_f32 v139, vcc, 1.0, v136, 1.0
	v_fma_f32 v140, -v137, v138, 1.0
	v_fmac_f32_e32 v138, v140, v138
	v_mul_f32_e32 v140, v139, v138
	v_fma_f32 v141, -v137, v140, v139
	v_fmac_f32_e32 v140, v141, v138
	v_fma_f32 v137, -v137, v140, v139
	v_div_fmas_f32 v137, v137, v138, v140
	v_div_fixup_f32 v136, v137, v136, 1.0
	ds_write_b32 v114, v136
.LBB73_113:
	s_or_b64 exec, exec, s[4:5]
.LBB73_114:
	s_or_b64 exec, exec, s[2:3]
	s_waitcnt lgkmcnt(0)
	s_barrier
	ds_read_b32 v136, v114
	v_cmp_lt_u32_e32 vcc, 20, v25
	s_and_saveexec_b64 s[2:3], vcc
	s_cbranch_execz .LBB73_116
; %bb.115:
	ds_read2_b32 v[138:139], v115 offset0:21 offset1:22
	ds_read2_b32 v[140:141], v115 offset0:23 offset1:24
	;; [unrolled: 1-line block ×3, first 2 shown]
	s_waitcnt vmcnt(16) lgkmcnt(3)
	v_mul_f32_e32 v144, v136, v69
	ds_read2_b32 v[146:147], v115 offset0:27 offset1:28
	s_waitcnt vmcnt(14) lgkmcnt(3)
	v_pk_fma_f32 v[70:71], v[144:145], v[138:139], v[70:71] op_sel_hi:[0,1,1] neg_lo:[1,0,0] neg_hi:[1,0,0]
	s_waitcnt vmcnt(12) lgkmcnt(2)
	v_pk_fma_f32 v[72:73], v[144:145], v[140:141], v[72:73] op_sel_hi:[0,1,1] neg_lo:[1,0,0] neg_hi:[1,0,0]
	;; [unrolled: 2-line block ×3, first 2 shown]
	ds_read2_b32 v[138:139], v115 offset0:29 offset1:30
	ds_read2_b32 v[140:141], v115 offset0:31 offset1:32
	;; [unrolled: 1-line block ×4, first 2 shown]
	s_waitcnt vmcnt(8) lgkmcnt(4)
	v_pk_fma_f32 v[96:97], v[144:145], v[146:147], v[96:97] op_sel_hi:[0,1,1] neg_lo:[1,0,0] neg_hi:[1,0,0]
	s_waitcnt vmcnt(6) lgkmcnt(3)
	v_pk_fma_f32 v[98:99], v[144:145], v[138:139], v[98:99] op_sel_hi:[0,1,1] neg_lo:[1,0,0] neg_hi:[1,0,0]
	;; [unrolled: 2-line block ×5, first 2 shown]
	v_mov_b32_e32 v69, v144
.LBB73_116:
	s_or_b64 exec, exec, s[2:3]
	v_cmp_eq_u32_e32 vcc, 21, v25
	s_waitcnt lgkmcnt(0)
	s_barrier
	s_and_saveexec_b64 s[2:3], vcc
	s_cbranch_execz .LBB73_119
; %bb.117:
	s_waitcnt vmcnt(12)
	v_pk_mov_b32 v[138:139], v[70:71], v[72:73] op_sel:[1,0]
	ds_write_b32 v114, v70
	ds_write2_b32 v115, v138, v139 offset0:22 offset1:23
	s_waitcnt vmcnt(10)
	v_pk_mov_b32 v[138:139], v[72:73], v[94:95] op_sel:[1,0]
	ds_write2_b32 v115, v138, v139 offset0:24 offset1:25
	s_waitcnt vmcnt(8)
	v_pk_mov_b32 v[138:139], v[94:95], v[96:97] op_sel:[1,0]
	ds_write2_b32 v115, v138, v139 offset0:26 offset1:27
	s_waitcnt vmcnt(6)
	v_pk_mov_b32 v[138:139], v[96:97], v[98:99] op_sel:[1,0]
	ds_write2_b32 v115, v138, v139 offset0:28 offset1:29
	s_waitcnt vmcnt(4)
	v_pk_mov_b32 v[138:139], v[98:99], v[92:93] op_sel:[1,0]
	ds_write2_b32 v115, v138, v139 offset0:30 offset1:31
	s_waitcnt vmcnt(2)
	v_pk_mov_b32 v[138:139], v[92:93], v[110:111] op_sel:[1,0]
	ds_write2_b32 v115, v138, v139 offset0:32 offset1:33
	s_waitcnt vmcnt(0)
	v_pk_mov_b32 v[138:139], v[110:111], v[112:113] op_sel:[1,0]
	ds_write2_b32 v115, v138, v139 offset0:34 offset1:35
	ds_write_b32 v115, v113 offset:144
	ds_read_b32 v137, v114
	s_waitcnt lgkmcnt(0)
	v_cmp_neq_f32_e32 vcc, 0, v137
	s_and_b64 exec, exec, vcc
	s_cbranch_execz .LBB73_119
; %bb.118:
	v_div_scale_f32 v138, s[4:5], v137, v137, 1.0
	v_rcp_f32_e32 v139, v138
	v_div_scale_f32 v140, vcc, 1.0, v137, 1.0
	v_fma_f32 v141, -v138, v139, 1.0
	v_fmac_f32_e32 v139, v141, v139
	v_mul_f32_e32 v141, v140, v139
	v_fma_f32 v142, -v138, v141, v140
	v_fmac_f32_e32 v141, v142, v139
	v_fma_f32 v138, -v138, v141, v140
	v_div_fmas_f32 v138, v138, v139, v141
	v_div_fixup_f32 v137, v138, v137, 1.0
	ds_write_b32 v114, v137
.LBB73_119:
	s_or_b64 exec, exec, s[2:3]
	s_waitcnt lgkmcnt(0)
	s_barrier
	ds_read_b32 v137, v114
	v_cmp_lt_u32_e32 vcc, 21, v25
	s_and_saveexec_b64 s[2:3], vcc
	s_cbranch_execz .LBB73_121
; %bb.120:
	ds_read_b32 v144, v115 offset:88
	ds_read2_b32 v[138:139], v115 offset0:23 offset1:24
	ds_read2_b32 v[140:141], v115 offset0:25 offset1:26
	s_waitcnt vmcnt(15) lgkmcnt(3)
	v_mul_f32_e32 v70, v137, v70
	ds_read2_b32 v[142:143], v115 offset0:27 offset1:28
	s_waitcnt vmcnt(14) lgkmcnt(3)
	v_fma_f32 v71, -v70, v144, v71
	s_waitcnt vmcnt(12) lgkmcnt(2)
	v_pk_fma_f32 v[72:73], v[70:71], v[138:139], v[72:73] op_sel_hi:[0,1,1] neg_lo:[1,0,0] neg_hi:[1,0,0]
	s_waitcnt vmcnt(10) lgkmcnt(1)
	v_pk_fma_f32 v[94:95], v[70:71], v[140:141], v[94:95] op_sel_hi:[0,1,1] neg_lo:[1,0,0] neg_hi:[1,0,0]
	ds_read2_b32 v[138:139], v115 offset0:29 offset1:30
	ds_read2_b32 v[140:141], v115 offset0:31 offset1:32
	;; [unrolled: 1-line block ×4, first 2 shown]
	s_waitcnt vmcnt(8) lgkmcnt(4)
	v_pk_fma_f32 v[96:97], v[70:71], v[142:143], v[96:97] op_sel_hi:[0,1,1] neg_lo:[1,0,0] neg_hi:[1,0,0]
	s_waitcnt vmcnt(6) lgkmcnt(3)
	v_pk_fma_f32 v[98:99], v[70:71], v[138:139], v[98:99] op_sel_hi:[0,1,1] neg_lo:[1,0,0] neg_hi:[1,0,0]
	;; [unrolled: 2-line block ×5, first 2 shown]
.LBB73_121:
	s_or_b64 exec, exec, s[2:3]
	v_cmp_ne_u32_e32 vcc, 22, v25
	s_waitcnt lgkmcnt(0)
	s_barrier
	s_and_saveexec_b64 s[2:3], vcc
	s_xor_b64 s[2:3], exec, s[2:3]
	s_andn2_saveexec_b64 s[2:3], s[2:3]
	s_cbranch_execz .LBB73_125
; %bb.122:
	s_waitcnt vmcnt(14)
	ds_write_b32 v114, v71
	s_waitcnt vmcnt(12)
	ds_write2_b32 v115, v72, v73 offset0:23 offset1:24
	s_waitcnt vmcnt(10)
	ds_write2_b32 v115, v94, v95 offset0:25 offset1:26
	;; [unrolled: 2-line block ×7, first 2 shown]
	ds_read_b32 v138, v114
	s_waitcnt lgkmcnt(0)
	v_cmp_neq_f32_e32 vcc, 0, v138
	s_and_saveexec_b64 s[4:5], vcc
	s_cbranch_execz .LBB73_124
; %bb.123:
	v_div_scale_f32 v139, s[10:11], v138, v138, 1.0
	v_rcp_f32_e32 v140, v139
	v_div_scale_f32 v141, vcc, 1.0, v138, 1.0
	v_fma_f32 v142, -v139, v140, 1.0
	v_fmac_f32_e32 v140, v142, v140
	v_mul_f32_e32 v142, v141, v140
	v_fma_f32 v143, -v139, v142, v141
	v_fmac_f32_e32 v142, v143, v140
	v_fma_f32 v139, -v139, v142, v141
	v_div_fmas_f32 v139, v139, v140, v142
	v_div_fixup_f32 v138, v139, v138, 1.0
	ds_write_b32 v114, v138
.LBB73_124:
	s_or_b64 exec, exec, s[4:5]
.LBB73_125:
	s_or_b64 exec, exec, s[2:3]
	s_waitcnt lgkmcnt(0)
	s_barrier
	ds_read_b32 v138, v114
	v_cmp_lt_u32_e32 vcc, 22, v25
	s_and_saveexec_b64 s[2:3], vcc
	s_cbranch_execz .LBB73_127
; %bb.126:
	ds_read2_b32 v[140:141], v115 offset0:23 offset1:24
	ds_read2_b32 v[142:143], v115 offset0:25 offset1:26
	s_waitcnt vmcnt(14) lgkmcnt(2)
	v_mul_f32_e32 v144, v138, v71
	ds_read2_b32 v[146:147], v115 offset0:27 offset1:28
	ds_read2_b32 v[148:149], v115 offset0:29 offset1:30
	v_mov_b32_e32 v71, v144
	s_waitcnt vmcnt(12) lgkmcnt(3)
	v_pk_fma_f32 v[72:73], v[144:145], v[140:141], v[72:73] op_sel_hi:[0,1,1] neg_lo:[1,0,0] neg_hi:[1,0,0]
	s_waitcnt vmcnt(10) lgkmcnt(2)
	v_pk_fma_f32 v[94:95], v[144:145], v[142:143], v[94:95] op_sel_hi:[0,1,1] neg_lo:[1,0,0] neg_hi:[1,0,0]
	ds_read2_b32 v[140:141], v115 offset0:31 offset1:32
	ds_read2_b32 v[142:143], v115 offset0:33 offset1:34
	ds_read2_b32 v[150:151], v115 offset0:35 offset1:36
	s_waitcnt vmcnt(8) lgkmcnt(4)
	v_pk_fma_f32 v[96:97], v[144:145], v[146:147], v[96:97] op_sel_hi:[0,1,1] neg_lo:[1,0,0] neg_hi:[1,0,0]
	s_waitcnt vmcnt(6) lgkmcnt(3)
	v_pk_fma_f32 v[98:99], v[144:145], v[148:149], v[98:99] op_sel_hi:[0,1,1] neg_lo:[1,0,0] neg_hi:[1,0,0]
	;; [unrolled: 2-line block ×5, first 2 shown]
.LBB73_127:
	s_or_b64 exec, exec, s[2:3]
	v_cmp_eq_u32_e32 vcc, 23, v25
	s_waitcnt lgkmcnt(0)
	s_barrier
	s_and_saveexec_b64 s[2:3], vcc
	s_cbranch_execz .LBB73_130
; %bb.128:
	s_waitcnt vmcnt(10)
	v_pk_mov_b32 v[140:141], v[72:73], v[94:95] op_sel:[1,0]
	ds_write_b32 v114, v72
	ds_write2_b32 v115, v140, v141 offset0:24 offset1:25
	s_waitcnt vmcnt(8)
	v_pk_mov_b32 v[140:141], v[94:95], v[96:97] op_sel:[1,0]
	ds_write2_b32 v115, v140, v141 offset0:26 offset1:27
	s_waitcnt vmcnt(6)
	v_pk_mov_b32 v[140:141], v[96:97], v[98:99] op_sel:[1,0]
	;; [unrolled: 3-line block ×5, first 2 shown]
	ds_write2_b32 v115, v140, v141 offset0:34 offset1:35
	ds_write_b32 v115, v113 offset:144
	ds_read_b32 v139, v114
	s_waitcnt lgkmcnt(0)
	v_cmp_neq_f32_e32 vcc, 0, v139
	s_and_b64 exec, exec, vcc
	s_cbranch_execz .LBB73_130
; %bb.129:
	v_div_scale_f32 v140, s[4:5], v139, v139, 1.0
	v_rcp_f32_e32 v141, v140
	v_div_scale_f32 v142, vcc, 1.0, v139, 1.0
	v_fma_f32 v143, -v140, v141, 1.0
	v_fmac_f32_e32 v141, v143, v141
	v_mul_f32_e32 v143, v142, v141
	v_fma_f32 v144, -v140, v143, v142
	v_fmac_f32_e32 v143, v144, v141
	v_fma_f32 v140, -v140, v143, v142
	v_div_fmas_f32 v140, v140, v141, v143
	v_div_fixup_f32 v139, v140, v139, 1.0
	ds_write_b32 v114, v139
.LBB73_130:
	s_or_b64 exec, exec, s[2:3]
	s_waitcnt lgkmcnt(0)
	s_barrier
	ds_read_b32 v139, v114
	v_cmp_lt_u32_e32 vcc, 23, v25
	s_and_saveexec_b64 s[2:3], vcc
	s_cbranch_execz .LBB73_132
; %bb.131:
	ds_read_b32 v146, v115 offset:96
	ds_read2_b32 v[140:141], v115 offset0:25 offset1:26
	s_waitcnt vmcnt(13) lgkmcnt(2)
	v_mul_f32_e32 v72, v139, v72
	ds_read2_b32 v[142:143], v115 offset0:27 offset1:28
	ds_read2_b32 v[144:145], v115 offset0:29 offset1:30
	s_waitcnt vmcnt(12) lgkmcnt(3)
	v_fma_f32 v73, -v72, v146, v73
	s_waitcnt vmcnt(10) lgkmcnt(2)
	v_pk_fma_f32 v[94:95], v[72:73], v[140:141], v[94:95] op_sel_hi:[0,1,1] neg_lo:[1,0,0] neg_hi:[1,0,0]
	ds_read2_b32 v[140:141], v115 offset0:31 offset1:32
	ds_read2_b32 v[146:147], v115 offset0:33 offset1:34
	;; [unrolled: 1-line block ×3, first 2 shown]
	s_waitcnt vmcnt(8) lgkmcnt(4)
	v_pk_fma_f32 v[96:97], v[72:73], v[142:143], v[96:97] op_sel_hi:[0,1,1] neg_lo:[1,0,0] neg_hi:[1,0,0]
	s_waitcnt vmcnt(6) lgkmcnt(3)
	v_pk_fma_f32 v[98:99], v[72:73], v[144:145], v[98:99] op_sel_hi:[0,1,1] neg_lo:[1,0,0] neg_hi:[1,0,0]
	;; [unrolled: 2-line block ×5, first 2 shown]
.LBB73_132:
	s_or_b64 exec, exec, s[2:3]
	v_cmp_ne_u32_e32 vcc, 24, v25
	s_waitcnt lgkmcnt(0)
	s_barrier
	s_and_saveexec_b64 s[2:3], vcc
	s_xor_b64 s[2:3], exec, s[2:3]
	s_andn2_saveexec_b64 s[2:3], s[2:3]
	s_cbranch_execz .LBB73_136
; %bb.133:
	s_waitcnt vmcnt(12)
	ds_write_b32 v114, v73
	s_waitcnt vmcnt(10)
	ds_write2_b32 v115, v94, v95 offset0:25 offset1:26
	s_waitcnt vmcnt(8)
	ds_write2_b32 v115, v96, v97 offset0:27 offset1:28
	s_waitcnt vmcnt(6)
	ds_write2_b32 v115, v98, v99 offset0:29 offset1:30
	s_waitcnt vmcnt(4)
	ds_write2_b32 v115, v92, v93 offset0:31 offset1:32
	s_waitcnt vmcnt(2)
	ds_write2_b32 v115, v110, v111 offset0:33 offset1:34
	s_waitcnt vmcnt(0)
	ds_write2_b32 v115, v112, v113 offset0:35 offset1:36
	ds_read_b32 v140, v114
	s_waitcnt lgkmcnt(0)
	v_cmp_neq_f32_e32 vcc, 0, v140
	s_and_saveexec_b64 s[4:5], vcc
	s_cbranch_execz .LBB73_135
; %bb.134:
	v_div_scale_f32 v141, s[10:11], v140, v140, 1.0
	v_rcp_f32_e32 v142, v141
	v_div_scale_f32 v143, vcc, 1.0, v140, 1.0
	v_fma_f32 v144, -v141, v142, 1.0
	v_fmac_f32_e32 v142, v144, v142
	v_mul_f32_e32 v144, v143, v142
	v_fma_f32 v145, -v141, v144, v143
	v_fmac_f32_e32 v144, v145, v142
	v_fma_f32 v141, -v141, v144, v143
	v_div_fmas_f32 v141, v141, v142, v144
	v_div_fixup_f32 v140, v141, v140, 1.0
	ds_write_b32 v114, v140
.LBB73_135:
	s_or_b64 exec, exec, s[4:5]
.LBB73_136:
	s_or_b64 exec, exec, s[2:3]
	s_waitcnt lgkmcnt(0)
	s_barrier
	ds_read_b32 v140, v114
	v_cmp_lt_u32_e32 vcc, 24, v25
	s_and_saveexec_b64 s[2:3], vcc
	s_cbranch_execz .LBB73_138
; %bb.137:
	ds_read2_b32 v[142:143], v115 offset0:25 offset1:26
	s_waitcnt vmcnt(12) lgkmcnt(1)
	v_mul_f32_e32 v144, v140, v73
	ds_read2_b32 v[146:147], v115 offset0:27 offset1:28
	ds_read2_b32 v[148:149], v115 offset0:29 offset1:30
	;; [unrolled: 1-line block ×3, first 2 shown]
	v_mov_b32_e32 v73, v144
	s_waitcnt vmcnt(8) lgkmcnt(2)
	v_pk_fma_f32 v[96:97], v[144:145], v[146:147], v[96:97] op_sel_hi:[0,1,1] neg_lo:[1,0,0] neg_hi:[1,0,0]
	v_pk_fma_f32 v[94:95], v[144:145], v[142:143], v[94:95] op_sel_hi:[0,1,1] neg_lo:[1,0,0] neg_hi:[1,0,0]
	ds_read2_b32 v[142:143], v115 offset0:33 offset1:34
	ds_read2_b32 v[152:153], v115 offset0:35 offset1:36
	s_waitcnt vmcnt(6) lgkmcnt(3)
	v_pk_fma_f32 v[98:99], v[144:145], v[148:149], v[98:99] op_sel_hi:[0,1,1] neg_lo:[1,0,0] neg_hi:[1,0,0]
	s_waitcnt vmcnt(4) lgkmcnt(2)
	v_pk_fma_f32 v[92:93], v[144:145], v[150:151], v[92:93] op_sel_hi:[0,1,1] neg_lo:[1,0,0] neg_hi:[1,0,0]
	s_waitcnt vmcnt(2) lgkmcnt(1)
	v_pk_fma_f32 v[110:111], v[144:145], v[142:143], v[110:111] op_sel_hi:[0,1,1] neg_lo:[1,0,0] neg_hi:[1,0,0]
	s_waitcnt vmcnt(0) lgkmcnt(0)
	v_pk_fma_f32 v[112:113], v[144:145], v[152:153], v[112:113] op_sel_hi:[0,1,1] neg_lo:[1,0,0] neg_hi:[1,0,0]
.LBB73_138:
	s_or_b64 exec, exec, s[2:3]
	v_cmp_eq_u32_e32 vcc, 25, v25
	s_waitcnt lgkmcnt(0)
	s_barrier
	s_and_saveexec_b64 s[2:3], vcc
	s_cbranch_execz .LBB73_141
; %bb.139:
	s_waitcnt vmcnt(8)
	v_pk_mov_b32 v[142:143], v[94:95], v[96:97] op_sel:[1,0]
	ds_write_b32 v114, v94
	ds_write2_b32 v115, v142, v143 offset0:26 offset1:27
	s_waitcnt vmcnt(6)
	v_pk_mov_b32 v[142:143], v[96:97], v[98:99] op_sel:[1,0]
	ds_write2_b32 v115, v142, v143 offset0:28 offset1:29
	s_waitcnt vmcnt(4)
	v_pk_mov_b32 v[142:143], v[98:99], v[92:93] op_sel:[1,0]
	;; [unrolled: 3-line block ×4, first 2 shown]
	ds_write2_b32 v115, v142, v143 offset0:34 offset1:35
	ds_write_b32 v115, v113 offset:144
	ds_read_b32 v141, v114
	s_waitcnt lgkmcnt(0)
	v_cmp_neq_f32_e32 vcc, 0, v141
	s_and_b64 exec, exec, vcc
	s_cbranch_execz .LBB73_141
; %bb.140:
	v_div_scale_f32 v142, s[4:5], v141, v141, 1.0
	v_rcp_f32_e32 v143, v142
	v_div_scale_f32 v144, vcc, 1.0, v141, 1.0
	v_fma_f32 v145, -v142, v143, 1.0
	v_fmac_f32_e32 v143, v145, v143
	v_mul_f32_e32 v145, v144, v143
	v_fma_f32 v146, -v142, v145, v144
	v_fmac_f32_e32 v145, v146, v143
	v_fma_f32 v142, -v142, v145, v144
	v_div_fmas_f32 v142, v142, v143, v145
	v_div_fixup_f32 v141, v142, v141, 1.0
	ds_write_b32 v114, v141
.LBB73_141:
	s_or_b64 exec, exec, s[2:3]
	s_waitcnt lgkmcnt(0)
	s_barrier
	ds_read_b32 v141, v114
	v_cmp_lt_u32_e32 vcc, 25, v25
	s_and_saveexec_b64 s[2:3], vcc
	s_cbranch_execz .LBB73_143
; %bb.142:
	ds_read_b32 v148, v115 offset:104
	s_waitcnt vmcnt(11) lgkmcnt(1)
	v_mul_f32_e32 v94, v141, v94
	ds_read2_b32 v[142:143], v115 offset0:27 offset1:28
	ds_read2_b32 v[144:145], v115 offset0:29 offset1:30
	;; [unrolled: 1-line block ×3, first 2 shown]
	s_waitcnt vmcnt(10) lgkmcnt(3)
	v_fma_f32 v95, -v94, v148, v95
	ds_read2_b32 v[148:149], v115 offset0:33 offset1:34
	ds_read2_b32 v[150:151], v115 offset0:35 offset1:36
	s_waitcnt vmcnt(8) lgkmcnt(4)
	v_pk_fma_f32 v[96:97], v[94:95], v[142:143], v[96:97] op_sel_hi:[0,1,1] neg_lo:[1,0,0] neg_hi:[1,0,0]
	s_waitcnt vmcnt(6) lgkmcnt(3)
	v_pk_fma_f32 v[98:99], v[94:95], v[144:145], v[98:99] op_sel_hi:[0,1,1] neg_lo:[1,0,0] neg_hi:[1,0,0]
	;; [unrolled: 2-line block ×5, first 2 shown]
.LBB73_143:
	s_or_b64 exec, exec, s[2:3]
	v_cmp_ne_u32_e32 vcc, 26, v25
	s_waitcnt lgkmcnt(0)
	s_barrier
	s_and_saveexec_b64 s[2:3], vcc
	s_xor_b64 s[2:3], exec, s[2:3]
	s_andn2_saveexec_b64 s[2:3], s[2:3]
	s_cbranch_execz .LBB73_147
; %bb.144:
	s_waitcnt vmcnt(10)
	ds_write_b32 v114, v95
	s_waitcnt vmcnt(8)
	ds_write2_b32 v115, v96, v97 offset0:27 offset1:28
	s_waitcnt vmcnt(6)
	ds_write2_b32 v115, v98, v99 offset0:29 offset1:30
	;; [unrolled: 2-line block ×5, first 2 shown]
	ds_read_b32 v142, v114
	s_waitcnt lgkmcnt(0)
	v_cmp_neq_f32_e32 vcc, 0, v142
	s_and_saveexec_b64 s[4:5], vcc
	s_cbranch_execz .LBB73_146
; %bb.145:
	v_div_scale_f32 v143, s[10:11], v142, v142, 1.0
	v_rcp_f32_e32 v144, v143
	v_div_scale_f32 v145, vcc, 1.0, v142, 1.0
	v_fma_f32 v146, -v143, v144, 1.0
	v_fmac_f32_e32 v144, v146, v144
	v_mul_f32_e32 v146, v145, v144
	v_fma_f32 v147, -v143, v146, v145
	v_fmac_f32_e32 v146, v147, v144
	v_fma_f32 v143, -v143, v146, v145
	v_div_fmas_f32 v143, v143, v144, v146
	v_div_fixup_f32 v142, v143, v142, 1.0
	ds_write_b32 v114, v142
.LBB73_146:
	s_or_b64 exec, exec, s[4:5]
.LBB73_147:
	s_or_b64 exec, exec, s[2:3]
	s_waitcnt lgkmcnt(0)
	s_barrier
	ds_read_b32 v142, v114
	v_cmp_lt_u32_e32 vcc, 26, v25
	s_and_saveexec_b64 s[2:3], vcc
	s_cbranch_execz .LBB73_149
; %bb.148:
	ds_read2_b32 v[146:147], v115 offset0:27 offset1:28
	ds_read2_b32 v[148:149], v115 offset0:29 offset1:30
	;; [unrolled: 1-line block ×5, first 2 shown]
	s_waitcnt vmcnt(10) lgkmcnt(5)
	v_mul_f32_e32 v144, v142, v95
	s_waitcnt vmcnt(8) lgkmcnt(4)
	v_pk_fma_f32 v[96:97], v[144:145], v[146:147], v[96:97] op_sel_hi:[0,1,1] neg_lo:[1,0,0] neg_hi:[1,0,0]
	s_waitcnt vmcnt(6) lgkmcnt(3)
	v_pk_fma_f32 v[98:99], v[144:145], v[148:149], v[98:99] op_sel_hi:[0,1,1] neg_lo:[1,0,0] neg_hi:[1,0,0]
	;; [unrolled: 2-line block ×5, first 2 shown]
	v_mov_b32_e32 v95, v144
.LBB73_149:
	s_or_b64 exec, exec, s[2:3]
	v_cmp_eq_u32_e32 vcc, 27, v25
	s_waitcnt lgkmcnt(0)
	s_barrier
	s_and_saveexec_b64 s[2:3], vcc
	s_cbranch_execz .LBB73_152
; %bb.150:
	s_waitcnt vmcnt(6)
	v_pk_mov_b32 v[144:145], v[96:97], v[98:99] op_sel:[1,0]
	ds_write_b32 v114, v96
	ds_write2_b32 v115, v144, v145 offset0:28 offset1:29
	s_waitcnt vmcnt(4)
	v_pk_mov_b32 v[144:145], v[98:99], v[92:93] op_sel:[1,0]
	ds_write2_b32 v115, v144, v145 offset0:30 offset1:31
	s_waitcnt vmcnt(2)
	v_pk_mov_b32 v[144:145], v[92:93], v[110:111] op_sel:[1,0]
	;; [unrolled: 3-line block ×3, first 2 shown]
	ds_write2_b32 v115, v144, v145 offset0:34 offset1:35
	ds_write_b32 v115, v113 offset:144
	ds_read_b32 v143, v114
	s_waitcnt lgkmcnt(0)
	v_cmp_neq_f32_e32 vcc, 0, v143
	s_and_b64 exec, exec, vcc
	s_cbranch_execz .LBB73_152
; %bb.151:
	v_div_scale_f32 v144, s[4:5], v143, v143, 1.0
	v_rcp_f32_e32 v145, v144
	v_div_scale_f32 v146, vcc, 1.0, v143, 1.0
	v_fma_f32 v147, -v144, v145, 1.0
	v_fmac_f32_e32 v145, v147, v145
	v_mul_f32_e32 v147, v146, v145
	v_fma_f32 v148, -v144, v147, v146
	v_fmac_f32_e32 v147, v148, v145
	v_fma_f32 v144, -v144, v147, v146
	v_div_fmas_f32 v144, v144, v145, v147
	v_div_fixup_f32 v143, v144, v143, 1.0
	ds_write_b32 v114, v143
.LBB73_152:
	s_or_b64 exec, exec, s[2:3]
	s_waitcnt lgkmcnt(0)
	s_barrier
	ds_read_b32 v143, v114
	v_cmp_lt_u32_e32 vcc, 27, v25
	s_and_saveexec_b64 s[2:3], vcc
	s_cbranch_execz .LBB73_154
; %bb.153:
	ds_read_b32 v152, v115 offset:112
	ds_read2_b32 v[144:145], v115 offset0:29 offset1:30
	ds_read2_b32 v[146:147], v115 offset0:31 offset1:32
	;; [unrolled: 1-line block ×4, first 2 shown]
	s_waitcnt vmcnt(9) lgkmcnt(5)
	v_mul_f32_e32 v96, v143, v96
	s_waitcnt vmcnt(8) lgkmcnt(4)
	v_fma_f32 v97, -v96, v152, v97
	s_waitcnt vmcnt(6) lgkmcnt(3)
	v_pk_fma_f32 v[98:99], v[96:97], v[144:145], v[98:99] op_sel_hi:[0,1,1] neg_lo:[1,0,0] neg_hi:[1,0,0]
	s_waitcnt vmcnt(4) lgkmcnt(2)
	v_pk_fma_f32 v[92:93], v[96:97], v[146:147], v[92:93] op_sel_hi:[0,1,1] neg_lo:[1,0,0] neg_hi:[1,0,0]
	;; [unrolled: 2-line block ×4, first 2 shown]
.LBB73_154:
	s_or_b64 exec, exec, s[2:3]
	v_cmp_ne_u32_e32 vcc, 28, v25
	s_waitcnt lgkmcnt(0)
	s_barrier
	s_and_saveexec_b64 s[2:3], vcc
	s_xor_b64 s[2:3], exec, s[2:3]
	s_andn2_saveexec_b64 s[2:3], s[2:3]
	s_cbranch_execz .LBB73_158
; %bb.155:
	s_waitcnt vmcnt(8)
	ds_write_b32 v114, v97
	s_waitcnt vmcnt(6)
	ds_write2_b32 v115, v98, v99 offset0:29 offset1:30
	s_waitcnt vmcnt(4)
	ds_write2_b32 v115, v92, v93 offset0:31 offset1:32
	s_waitcnt vmcnt(2)
	ds_write2_b32 v115, v110, v111 offset0:33 offset1:34
	s_waitcnt vmcnt(0)
	ds_write2_b32 v115, v112, v113 offset0:35 offset1:36
	ds_read_b32 v144, v114
	s_waitcnt lgkmcnt(0)
	v_cmp_neq_f32_e32 vcc, 0, v144
	s_and_saveexec_b64 s[4:5], vcc
	s_cbranch_execz .LBB73_157
; %bb.156:
	v_div_scale_f32 v145, s[10:11], v144, v144, 1.0
	v_rcp_f32_e32 v146, v145
	v_div_scale_f32 v147, vcc, 1.0, v144, 1.0
	v_fma_f32 v148, -v145, v146, 1.0
	v_fmac_f32_e32 v146, v148, v146
	v_mul_f32_e32 v148, v147, v146
	v_fma_f32 v149, -v145, v148, v147
	v_fmac_f32_e32 v148, v149, v146
	v_fma_f32 v145, -v145, v148, v147
	v_div_fmas_f32 v145, v145, v146, v148
	v_div_fixup_f32 v144, v145, v144, 1.0
	ds_write_b32 v114, v144
.LBB73_157:
	s_or_b64 exec, exec, s[4:5]
.LBB73_158:
	s_or_b64 exec, exec, s[2:3]
	s_waitcnt lgkmcnt(0)
	s_barrier
	ds_read_b32 v144, v114
	v_cmp_lt_u32_e32 vcc, 28, v25
	s_and_saveexec_b64 s[2:3], vcc
	s_cbranch_execz .LBB73_160
; %bb.159:
	ds_read2_b32 v[146:147], v115 offset0:29 offset1:30
	ds_read2_b32 v[148:149], v115 offset0:31 offset1:32
	ds_read2_b32 v[150:151], v115 offset0:33 offset1:34
	ds_read2_b32 v[152:153], v115 offset0:35 offset1:36
	s_waitcnt vmcnt(8) lgkmcnt(4)
	v_mul_f32_e32 v154, v144, v97
	s_waitcnt vmcnt(6) lgkmcnt(3)
	v_pk_fma_f32 v[98:99], v[154:155], v[146:147], v[98:99] op_sel_hi:[0,1,1] neg_lo:[1,0,0] neg_hi:[1,0,0]
	s_waitcnt vmcnt(4) lgkmcnt(2)
	v_pk_fma_f32 v[92:93], v[154:155], v[148:149], v[92:93] op_sel_hi:[0,1,1] neg_lo:[1,0,0] neg_hi:[1,0,0]
	;; [unrolled: 2-line block ×4, first 2 shown]
	v_mov_b32_e32 v97, v154
.LBB73_160:
	s_or_b64 exec, exec, s[2:3]
	v_cmp_eq_u32_e32 vcc, 29, v25
	s_waitcnt lgkmcnt(0)
	s_barrier
	s_and_saveexec_b64 s[2:3], vcc
	s_cbranch_execz .LBB73_163
; %bb.161:
	s_waitcnt vmcnt(4)
	v_pk_mov_b32 v[146:147], v[98:99], v[92:93] op_sel:[1,0]
	ds_write_b32 v114, v98
	ds_write2_b32 v115, v146, v147 offset0:30 offset1:31
	s_waitcnt vmcnt(2)
	v_pk_mov_b32 v[146:147], v[92:93], v[110:111] op_sel:[1,0]
	ds_write2_b32 v115, v146, v147 offset0:32 offset1:33
	s_waitcnt vmcnt(0)
	v_pk_mov_b32 v[146:147], v[110:111], v[112:113] op_sel:[1,0]
	ds_write2_b32 v115, v146, v147 offset0:34 offset1:35
	ds_write_b32 v115, v113 offset:144
	ds_read_b32 v145, v114
	s_waitcnt lgkmcnt(0)
	v_cmp_neq_f32_e32 vcc, 0, v145
	s_and_b64 exec, exec, vcc
	s_cbranch_execz .LBB73_163
; %bb.162:
	v_div_scale_f32 v146, s[4:5], v145, v145, 1.0
	v_rcp_f32_e32 v147, v146
	v_div_scale_f32 v148, vcc, 1.0, v145, 1.0
	v_fma_f32 v149, -v146, v147, 1.0
	v_fmac_f32_e32 v147, v149, v147
	v_mul_f32_e32 v149, v148, v147
	v_fma_f32 v150, -v146, v149, v148
	v_fmac_f32_e32 v149, v150, v147
	v_fma_f32 v146, -v146, v149, v148
	v_div_fmas_f32 v146, v146, v147, v149
	v_div_fixup_f32 v145, v146, v145, 1.0
	ds_write_b32 v114, v145
.LBB73_163:
	s_or_b64 exec, exec, s[2:3]
	s_waitcnt lgkmcnt(0)
	s_barrier
	ds_read_b32 v145, v114
	v_cmp_lt_u32_e32 vcc, 29, v25
	s_and_saveexec_b64 s[2:3], vcc
	s_cbranch_execz .LBB73_165
; %bb.164:
	ds_read_b32 v152, v115 offset:120
	ds_read2_b32 v[146:147], v115 offset0:31 offset1:32
	ds_read2_b32 v[148:149], v115 offset0:33 offset1:34
	;; [unrolled: 1-line block ×3, first 2 shown]
	s_waitcnt vmcnt(7) lgkmcnt(4)
	v_mul_f32_e32 v98, v145, v98
	s_waitcnt vmcnt(6) lgkmcnt(3)
	v_fma_f32 v99, -v98, v152, v99
	s_waitcnt vmcnt(4) lgkmcnt(2)
	v_pk_fma_f32 v[92:93], v[98:99], v[146:147], v[92:93] op_sel_hi:[0,1,1] neg_lo:[1,0,0] neg_hi:[1,0,0]
	s_waitcnt vmcnt(2) lgkmcnt(1)
	v_pk_fma_f32 v[110:111], v[98:99], v[148:149], v[110:111] op_sel_hi:[0,1,1] neg_lo:[1,0,0] neg_hi:[1,0,0]
	;; [unrolled: 2-line block ×3, first 2 shown]
.LBB73_165:
	s_or_b64 exec, exec, s[2:3]
	v_cmp_ne_u32_e32 vcc, 30, v25
	s_waitcnt lgkmcnt(0)
	s_barrier
	s_and_saveexec_b64 s[2:3], vcc
	s_xor_b64 s[2:3], exec, s[2:3]
	s_andn2_saveexec_b64 s[2:3], s[2:3]
	s_cbranch_execz .LBB73_169
; %bb.166:
	s_waitcnt vmcnt(6)
	ds_write_b32 v114, v99
	s_waitcnt vmcnt(4)
	ds_write2_b32 v115, v92, v93 offset0:31 offset1:32
	s_waitcnt vmcnt(2)
	ds_write2_b32 v115, v110, v111 offset0:33 offset1:34
	;; [unrolled: 2-line block ×3, first 2 shown]
	ds_read_b32 v146, v114
	s_waitcnt lgkmcnt(0)
	v_cmp_neq_f32_e32 vcc, 0, v146
	s_and_saveexec_b64 s[4:5], vcc
	s_cbranch_execz .LBB73_168
; %bb.167:
	v_div_scale_f32 v147, s[10:11], v146, v146, 1.0
	v_rcp_f32_e32 v148, v147
	v_div_scale_f32 v149, vcc, 1.0, v146, 1.0
	v_fma_f32 v150, -v147, v148, 1.0
	v_fmac_f32_e32 v148, v150, v148
	v_mul_f32_e32 v150, v149, v148
	v_fma_f32 v151, -v147, v150, v149
	v_fmac_f32_e32 v150, v151, v148
	v_fma_f32 v147, -v147, v150, v149
	v_div_fmas_f32 v147, v147, v148, v150
	v_div_fixup_f32 v146, v147, v146, 1.0
	ds_write_b32 v114, v146
.LBB73_168:
	s_or_b64 exec, exec, s[4:5]
.LBB73_169:
	s_or_b64 exec, exec, s[2:3]
	s_waitcnt lgkmcnt(0)
	s_barrier
	ds_read_b32 v146, v114
	v_cmp_lt_u32_e32 vcc, 30, v25
	s_and_saveexec_b64 s[2:3], vcc
	s_cbranch_execz .LBB73_171
; %bb.170:
	ds_read2_b32 v[148:149], v115 offset0:31 offset1:32
	ds_read2_b32 v[150:151], v115 offset0:33 offset1:34
	;; [unrolled: 1-line block ×3, first 2 shown]
	s_waitcnt vmcnt(6) lgkmcnt(3)
	v_mul_f32_e32 v154, v146, v99
	v_mov_b32_e32 v99, v154
	s_waitcnt vmcnt(4) lgkmcnt(2)
	v_pk_fma_f32 v[92:93], v[154:155], v[148:149], v[92:93] op_sel_hi:[0,1,1] neg_lo:[1,0,0] neg_hi:[1,0,0]
	s_waitcnt vmcnt(2) lgkmcnt(1)
	v_pk_fma_f32 v[110:111], v[154:155], v[150:151], v[110:111] op_sel_hi:[0,1,1] neg_lo:[1,0,0] neg_hi:[1,0,0]
	s_waitcnt vmcnt(0) lgkmcnt(0)
	v_pk_fma_f32 v[112:113], v[154:155], v[152:153], v[112:113] op_sel_hi:[0,1,1] neg_lo:[1,0,0] neg_hi:[1,0,0]
.LBB73_171:
	s_or_b64 exec, exec, s[2:3]
	v_cmp_eq_u32_e32 vcc, 31, v25
	s_waitcnt lgkmcnt(0)
	s_barrier
	s_and_saveexec_b64 s[2:3], vcc
	s_cbranch_execz .LBB73_174
; %bb.172:
	s_waitcnt vmcnt(2)
	v_pk_mov_b32 v[148:149], v[92:93], v[110:111] op_sel:[1,0]
	ds_write_b32 v114, v92
	ds_write2_b32 v115, v148, v149 offset0:32 offset1:33
	s_waitcnt vmcnt(0)
	v_pk_mov_b32 v[148:149], v[110:111], v[112:113] op_sel:[1,0]
	ds_write2_b32 v115, v148, v149 offset0:34 offset1:35
	ds_write_b32 v115, v113 offset:144
	ds_read_b32 v147, v114
	s_waitcnt lgkmcnt(0)
	v_cmp_neq_f32_e32 vcc, 0, v147
	s_and_b64 exec, exec, vcc
	s_cbranch_execz .LBB73_174
; %bb.173:
	v_div_scale_f32 v148, s[4:5], v147, v147, 1.0
	v_rcp_f32_e32 v149, v148
	v_div_scale_f32 v150, vcc, 1.0, v147, 1.0
	v_fma_f32 v151, -v148, v149, 1.0
	v_fmac_f32_e32 v149, v151, v149
	v_mul_f32_e32 v151, v150, v149
	v_fma_f32 v152, -v148, v151, v150
	v_fmac_f32_e32 v151, v152, v149
	v_fma_f32 v148, -v148, v151, v150
	v_div_fmas_f32 v148, v148, v149, v151
	v_div_fixup_f32 v147, v148, v147, 1.0
	ds_write_b32 v114, v147
.LBB73_174:
	s_or_b64 exec, exec, s[2:3]
	s_waitcnt lgkmcnt(0)
	s_barrier
	ds_read_b32 v147, v114
	v_cmp_lt_u32_e32 vcc, 31, v25
	s_and_saveexec_b64 s[2:3], vcc
	s_cbranch_execz .LBB73_176
; %bb.175:
	ds_read_b32 v152, v115 offset:128
	ds_read2_b32 v[148:149], v115 offset0:33 offset1:34
	ds_read2_b32 v[150:151], v115 offset0:35 offset1:36
	s_waitcnt vmcnt(5) lgkmcnt(3)
	v_mul_f32_e32 v92, v147, v92
	s_waitcnt vmcnt(4) lgkmcnt(2)
	v_fma_f32 v93, -v92, v152, v93
	s_waitcnt vmcnt(2) lgkmcnt(1)
	v_pk_fma_f32 v[110:111], v[92:93], v[148:149], v[110:111] op_sel_hi:[0,1,1] neg_lo:[1,0,0] neg_hi:[1,0,0]
	s_waitcnt vmcnt(0) lgkmcnt(0)
	v_pk_fma_f32 v[112:113], v[92:93], v[150:151], v[112:113] op_sel_hi:[0,1,1] neg_lo:[1,0,0] neg_hi:[1,0,0]
.LBB73_176:
	s_or_b64 exec, exec, s[2:3]
	v_cmp_ne_u32_e32 vcc, 32, v25
	s_waitcnt lgkmcnt(0)
	s_barrier
	s_and_saveexec_b64 s[2:3], vcc
	s_xor_b64 s[2:3], exec, s[2:3]
	s_andn2_saveexec_b64 s[2:3], s[2:3]
	s_cbranch_execz .LBB73_180
; %bb.177:
	s_waitcnt vmcnt(4)
	ds_write_b32 v114, v93
	s_waitcnt vmcnt(2)
	ds_write2_b32 v115, v110, v111 offset0:33 offset1:34
	s_waitcnt vmcnt(0)
	ds_write2_b32 v115, v112, v113 offset0:35 offset1:36
	ds_read_b32 v148, v114
	s_waitcnt lgkmcnt(0)
	v_cmp_neq_f32_e32 vcc, 0, v148
	s_and_saveexec_b64 s[4:5], vcc
	s_cbranch_execz .LBB73_179
; %bb.178:
	v_div_scale_f32 v149, s[10:11], v148, v148, 1.0
	v_rcp_f32_e32 v150, v149
	v_div_scale_f32 v151, vcc, 1.0, v148, 1.0
	v_fma_f32 v152, -v149, v150, 1.0
	v_fmac_f32_e32 v150, v152, v150
	v_mul_f32_e32 v152, v151, v150
	v_fma_f32 v153, -v149, v152, v151
	v_fmac_f32_e32 v152, v153, v150
	v_fma_f32 v149, -v149, v152, v151
	v_div_fmas_f32 v149, v149, v150, v152
	v_div_fixup_f32 v148, v149, v148, 1.0
	ds_write_b32 v114, v148
.LBB73_179:
	s_or_b64 exec, exec, s[4:5]
.LBB73_180:
	s_or_b64 exec, exec, s[2:3]
	s_waitcnt lgkmcnt(0)
	s_barrier
	ds_read_b32 v148, v114
	v_cmp_lt_u32_e32 vcc, 32, v25
	s_and_saveexec_b64 s[2:3], vcc
	s_cbranch_execz .LBB73_182
; %bb.181:
	ds_read2_b32 v[150:151], v115 offset0:33 offset1:34
	ds_read2_b32 v[152:153], v115 offset0:35 offset1:36
	s_waitcnt vmcnt(4) lgkmcnt(2)
	v_mul_f32_e32 v154, v148, v93
	v_mov_b32_e32 v93, v154
	s_waitcnt vmcnt(2) lgkmcnt(1)
	v_pk_fma_f32 v[110:111], v[154:155], v[150:151], v[110:111] op_sel_hi:[0,1,1] neg_lo:[1,0,0] neg_hi:[1,0,0]
	s_waitcnt vmcnt(0) lgkmcnt(0)
	v_pk_fma_f32 v[112:113], v[154:155], v[152:153], v[112:113] op_sel_hi:[0,1,1] neg_lo:[1,0,0] neg_hi:[1,0,0]
.LBB73_182:
	s_or_b64 exec, exec, s[2:3]
	v_cmp_eq_u32_e32 vcc, 33, v25
	s_waitcnt lgkmcnt(0)
	s_barrier
	s_and_saveexec_b64 s[2:3], vcc
	s_cbranch_execz .LBB73_185
; %bb.183:
	s_waitcnt vmcnt(0)
	v_pk_mov_b32 v[150:151], v[110:111], v[112:113] op_sel:[1,0]
	ds_write_b32 v114, v110
	ds_write2_b32 v115, v150, v151 offset0:34 offset1:35
	ds_write_b32 v115, v113 offset:144
	ds_read_b32 v149, v114
	s_waitcnt lgkmcnt(0)
	v_cmp_neq_f32_e32 vcc, 0, v149
	s_and_b64 exec, exec, vcc
	s_cbranch_execz .LBB73_185
; %bb.184:
	v_div_scale_f32 v150, s[4:5], v149, v149, 1.0
	v_rcp_f32_e32 v151, v150
	v_div_scale_f32 v152, vcc, 1.0, v149, 1.0
	v_fma_f32 v153, -v150, v151, 1.0
	v_fmac_f32_e32 v151, v153, v151
	v_mul_f32_e32 v153, v152, v151
	v_fma_f32 v154, -v150, v153, v152
	v_fmac_f32_e32 v153, v154, v151
	v_fma_f32 v150, -v150, v153, v152
	v_div_fmas_f32 v150, v150, v151, v153
	v_div_fixup_f32 v149, v150, v149, 1.0
	ds_write_b32 v114, v149
.LBB73_185:
	s_or_b64 exec, exec, s[2:3]
	s_waitcnt lgkmcnt(0)
	s_barrier
	ds_read_b32 v149, v114
	v_cmp_lt_u32_e32 vcc, 33, v25
	s_and_saveexec_b64 s[2:3], vcc
	s_cbranch_execz .LBB73_187
; %bb.186:
	ds_read_b32 v152, v115 offset:136
	ds_read2_b32 v[150:151], v115 offset0:35 offset1:36
	s_waitcnt vmcnt(3) lgkmcnt(2)
	v_mul_f32_e32 v110, v149, v110
	s_waitcnt vmcnt(2) lgkmcnt(1)
	v_fma_f32 v111, -v110, v152, v111
	s_waitcnt vmcnt(0) lgkmcnt(0)
	v_pk_fma_f32 v[112:113], v[110:111], v[150:151], v[112:113] op_sel_hi:[0,1,1] neg_lo:[1,0,0] neg_hi:[1,0,0]
.LBB73_187:
	s_or_b64 exec, exec, s[2:3]
	v_cmp_ne_u32_e32 vcc, 34, v25
	s_waitcnt lgkmcnt(0)
	s_barrier
	s_and_saveexec_b64 s[2:3], vcc
	s_xor_b64 s[2:3], exec, s[2:3]
	s_andn2_saveexec_b64 s[2:3], s[2:3]
	s_cbranch_execz .LBB73_191
; %bb.188:
	s_waitcnt vmcnt(2)
	ds_write_b32 v114, v111
	s_waitcnt vmcnt(0)
	ds_write2_b32 v115, v112, v113 offset0:35 offset1:36
	ds_read_b32 v150, v114
	s_waitcnt lgkmcnt(0)
	v_cmp_neq_f32_e32 vcc, 0, v150
	s_and_saveexec_b64 s[4:5], vcc
	s_cbranch_execz .LBB73_190
; %bb.189:
	v_div_scale_f32 v151, s[10:11], v150, v150, 1.0
	v_rcp_f32_e32 v152, v151
	v_div_scale_f32 v153, vcc, 1.0, v150, 1.0
	v_fma_f32 v154, -v151, v152, 1.0
	v_fmac_f32_e32 v152, v154, v152
	v_mul_f32_e32 v154, v153, v152
	v_fma_f32 v155, -v151, v154, v153
	v_fmac_f32_e32 v154, v155, v152
	v_fma_f32 v151, -v151, v154, v153
	v_div_fmas_f32 v151, v151, v152, v154
	v_div_fixup_f32 v150, v151, v150, 1.0
	ds_write_b32 v114, v150
.LBB73_190:
	s_or_b64 exec, exec, s[4:5]
.LBB73_191:
	s_or_b64 exec, exec, s[2:3]
	s_waitcnt lgkmcnt(0)
	s_barrier
	ds_read_b32 v150, v114
	v_cmp_lt_u32_e32 vcc, 34, v25
	s_and_saveexec_b64 s[2:3], vcc
	s_cbranch_execz .LBB73_193
; %bb.192:
	ds_read2_b32 v[152:153], v115 offset0:35 offset1:36
	s_waitcnt vmcnt(2) lgkmcnt(1)
	v_mul_f32_e32 v154, v150, v111
	v_mov_b32_e32 v111, v154
	s_waitcnt vmcnt(0) lgkmcnt(0)
	v_pk_fma_f32 v[112:113], v[154:155], v[152:153], v[112:113] op_sel_hi:[0,1,1] neg_lo:[1,0,0] neg_hi:[1,0,0]
.LBB73_193:
	s_or_b64 exec, exec, s[2:3]
	v_cmp_eq_u32_e32 vcc, 35, v25
	s_waitcnt lgkmcnt(0)
	s_barrier
	s_and_saveexec_b64 s[2:3], vcc
	s_cbranch_execz .LBB73_196
; %bb.194:
	s_waitcnt vmcnt(1)
	ds_write_b32 v114, v112
	s_waitcnt vmcnt(0)
	ds_write_b32 v115, v113 offset:144
	ds_read_b32 v151, v114
	s_waitcnt lgkmcnt(0)
	v_cmp_neq_f32_e32 vcc, 0, v151
	s_and_b64 exec, exec, vcc
	s_cbranch_execz .LBB73_196
; %bb.195:
	v_div_scale_f32 v152, s[4:5], v151, v151, 1.0
	v_rcp_f32_e32 v153, v152
	v_div_scale_f32 v154, vcc, 1.0, v151, 1.0
	v_fma_f32 v155, -v152, v153, 1.0
	v_fmac_f32_e32 v153, v155, v153
	v_mul_f32_e32 v155, v154, v153
	v_fma_f32 v156, -v152, v155, v154
	v_fmac_f32_e32 v155, v156, v153
	v_fma_f32 v152, -v152, v155, v154
	v_div_fmas_f32 v152, v152, v153, v155
	v_div_fixup_f32 v151, v152, v151, 1.0
	ds_write_b32 v114, v151
.LBB73_196:
	s_or_b64 exec, exec, s[2:3]
	s_waitcnt lgkmcnt(0)
	s_barrier
	ds_read_b32 v151, v114
	v_cmp_lt_u32_e32 vcc, 35, v25
	s_and_saveexec_b64 s[2:3], vcc
	s_cbranch_execz .LBB73_198
; %bb.197:
	ds_read_b32 v115, v115 offset:144
	s_waitcnt vmcnt(1) lgkmcnt(1)
	v_mul_f32_e32 v112, v151, v112
	s_waitcnt vmcnt(0) lgkmcnt(0)
	v_fma_f32 v113, -v112, v115, v113
.LBB73_198:
	s_or_b64 exec, exec, s[2:3]
	v_cmp_ne_u32_e32 vcc, 36, v25
	s_waitcnt lgkmcnt(0)
	s_barrier
	s_and_saveexec_b64 s[2:3], vcc
	s_xor_b64 s[2:3], exec, s[2:3]
	s_andn2_saveexec_b64 s[2:3], s[2:3]
	s_cbranch_execz .LBB73_202
; %bb.199:
	s_waitcnt vmcnt(0)
	v_cmp_neq_f32_e32 vcc, 0, v113
	ds_write_b32 v114, v113
	s_and_saveexec_b64 s[4:5], vcc
	s_cbranch_execz .LBB73_201
; %bb.200:
	v_div_scale_f32 v115, s[10:11], v113, v113, 1.0
	v_rcp_f32_e32 v152, v115
	v_div_scale_f32 v153, vcc, 1.0, v113, 1.0
	v_fma_f32 v154, -v115, v152, 1.0
	v_fmac_f32_e32 v152, v154, v152
	v_mul_f32_e32 v154, v153, v152
	v_fma_f32 v155, -v115, v154, v153
	v_fmac_f32_e32 v154, v155, v152
	v_fma_f32 v115, -v115, v154, v153
	v_div_fmas_f32 v115, v115, v152, v154
	v_div_fixup_f32 v115, v115, v113, 1.0
	ds_write_b32 v114, v115
.LBB73_201:
	s_or_b64 exec, exec, s[4:5]
.LBB73_202:
	s_or_b64 exec, exec, s[2:3]
	s_waitcnt lgkmcnt(0)
	s_barrier
	ds_read_b32 v114, v114
	s_waitcnt lgkmcnt(0)
	s_barrier
	s_and_saveexec_b64 s[2:3], s[0:1]
	s_cbranch_execz .LBB73_205
; %bb.203:
	v_cmp_eq_f32_e32 vcc, 0, v116
	v_cmp_neq_f32_e64 s[0:1], 0, v117
	v_mov_b32_e32 v116, s6
	v_cndmask_b32_e64 v115, 0, 1, vcc
	s_or_b64 vcc, s[0:1], vcc
	v_cndmask_b32_e32 v115, 2, v115, vcc
	v_cmp_eq_f32_e32 vcc, 0, v118
	v_cmp_eq_u32_e64 s[0:1], 0, v115
	s_and_b64 s[0:1], vcc, s[0:1]
	v_cmp_eq_f32_e32 vcc, 0, v119
	v_cndmask_b32_e64 v115, v115, 3, s[0:1]
	v_cmp_eq_u32_e64 s[0:1], 0, v115
	s_and_b64 s[0:1], vcc, s[0:1]
	v_cmp_eq_f32_e32 vcc, 0, v120
	v_cndmask_b32_e64 v115, v115, 4, s[0:1]
	;; [unrolled: 4-line block ×7, first 2 shown]
	v_cmp_eq_u32_e64 s[0:1], 0, v115
	s_and_b64 s[0:1], vcc, s[0:1]
	v_mov_b32_e32 v117, s7
	v_cndmask_b32_e64 v115, v115, 10, s[0:1]
	v_cmp_eq_f32_e32 vcc, 0, v126
	v_cmp_eq_u32_e64 s[0:1], 0, v115
	v_lshl_add_u64 v[34:35], v[34:35], 2, v[116:117]
	s_and_b64 s[0:1], vcc, s[0:1]
	global_load_dword v116, v[34:35], off
	v_cndmask_b32_e64 v115, v115, 11, s[0:1]
	v_cmp_eq_f32_e32 vcc, 0, v127
	v_cmp_eq_u32_e64 s[0:1], 0, v115
	s_and_b64 s[0:1], vcc, s[0:1]
	v_cmp_eq_f32_e32 vcc, 0, v128
	v_cndmask_b32_e64 v115, v115, 12, s[0:1]
	v_cmp_eq_u32_e64 s[0:1], 0, v115
	s_and_b64 s[0:1], vcc, s[0:1]
	v_cmp_eq_f32_e32 vcc, 0, v129
	v_cndmask_b32_e64 v115, v115, 13, s[0:1]
	;; [unrolled: 4-line block ×25, first 2 shown]
	v_cmp_eq_u32_e64 s[0:1], 0, v115
	s_and_b64 s[0:1], vcc, s[0:1]
	s_waitcnt vmcnt(0)
	v_cmp_eq_u32_e32 vcc, 0, v116
	v_cndmask_b32_e64 v115, v115, 37, s[0:1]
	v_cmp_ne_u32_e64 s[0:1], 0, v115
	s_and_b64 s[0:1], vcc, s[0:1]
	s_and_b64 exec, exec, s[0:1]
	s_cbranch_execz .LBB73_205
; %bb.204:
	v_add_u32_e32 v115, s9, v115
	global_store_dword v[34:35], v115, off
.LBB73_205:
	s_or_b64 exec, exec, s[2:3]
	s_waitcnt vmcnt(0)
	v_mul_f32_e32 v34, v114, v113
	v_cmp_lt_u32_e32 vcc, 36, v25
	s_nop 1
	v_cndmask_b32_e32 v25, v113, v34, vcc
	global_store_dword v[0:1], v24, off
	global_store_dword v[2:3], v18, off
	;; [unrolled: 1-line block ×37, first 2 shown]
.LBB73_206:
	s_endpgm
	.section	.rodata,"a",@progbits
	.p2align	6, 0x0
	.amdhsa_kernel _ZN9rocsolver6v33100L23getf2_npvt_small_kernelILi37EfiiPfEEvT1_T3_lS3_lPT2_S3_S3_
		.amdhsa_group_segment_fixed_size 0
		.amdhsa_private_segment_fixed_size 0
		.amdhsa_kernarg_size 312
		.amdhsa_user_sgpr_count 2
		.amdhsa_user_sgpr_dispatch_ptr 0
		.amdhsa_user_sgpr_queue_ptr 0
		.amdhsa_user_sgpr_kernarg_segment_ptr 1
		.amdhsa_user_sgpr_dispatch_id 0
		.amdhsa_user_sgpr_kernarg_preload_length 0
		.amdhsa_user_sgpr_kernarg_preload_offset 0
		.amdhsa_user_sgpr_private_segment_size 0
		.amdhsa_uses_dynamic_stack 0
		.amdhsa_enable_private_segment 0
		.amdhsa_system_sgpr_workgroup_id_x 1
		.amdhsa_system_sgpr_workgroup_id_y 1
		.amdhsa_system_sgpr_workgroup_id_z 0
		.amdhsa_system_sgpr_workgroup_info 0
		.amdhsa_system_vgpr_workitem_id 1
		.amdhsa_next_free_vgpr 157
		.amdhsa_next_free_sgpr 16
		.amdhsa_accum_offset 160
		.amdhsa_reserve_vcc 1
		.amdhsa_float_round_mode_32 0
		.amdhsa_float_round_mode_16_64 0
		.amdhsa_float_denorm_mode_32 3
		.amdhsa_float_denorm_mode_16_64 3
		.amdhsa_dx10_clamp 1
		.amdhsa_ieee_mode 1
		.amdhsa_fp16_overflow 0
		.amdhsa_tg_split 0
		.amdhsa_exception_fp_ieee_invalid_op 0
		.amdhsa_exception_fp_denorm_src 0
		.amdhsa_exception_fp_ieee_div_zero 0
		.amdhsa_exception_fp_ieee_overflow 0
		.amdhsa_exception_fp_ieee_underflow 0
		.amdhsa_exception_fp_ieee_inexact 0
		.amdhsa_exception_int_div_zero 0
	.end_amdhsa_kernel
	.section	.text._ZN9rocsolver6v33100L23getf2_npvt_small_kernelILi37EfiiPfEEvT1_T3_lS3_lPT2_S3_S3_,"axG",@progbits,_ZN9rocsolver6v33100L23getf2_npvt_small_kernelILi37EfiiPfEEvT1_T3_lS3_lPT2_S3_S3_,comdat
.Lfunc_end73:
	.size	_ZN9rocsolver6v33100L23getf2_npvt_small_kernelILi37EfiiPfEEvT1_T3_lS3_lPT2_S3_S3_, .Lfunc_end73-_ZN9rocsolver6v33100L23getf2_npvt_small_kernelILi37EfiiPfEEvT1_T3_lS3_lPT2_S3_S3_
                                        ; -- End function
	.set _ZN9rocsolver6v33100L23getf2_npvt_small_kernelILi37EfiiPfEEvT1_T3_lS3_lPT2_S3_S3_.num_vgpr, 157
	.set _ZN9rocsolver6v33100L23getf2_npvt_small_kernelILi37EfiiPfEEvT1_T3_lS3_lPT2_S3_S3_.num_agpr, 0
	.set _ZN9rocsolver6v33100L23getf2_npvt_small_kernelILi37EfiiPfEEvT1_T3_lS3_lPT2_S3_S3_.numbered_sgpr, 16
	.set _ZN9rocsolver6v33100L23getf2_npvt_small_kernelILi37EfiiPfEEvT1_T3_lS3_lPT2_S3_S3_.num_named_barrier, 0
	.set _ZN9rocsolver6v33100L23getf2_npvt_small_kernelILi37EfiiPfEEvT1_T3_lS3_lPT2_S3_S3_.private_seg_size, 0
	.set _ZN9rocsolver6v33100L23getf2_npvt_small_kernelILi37EfiiPfEEvT1_T3_lS3_lPT2_S3_S3_.uses_vcc, 1
	.set _ZN9rocsolver6v33100L23getf2_npvt_small_kernelILi37EfiiPfEEvT1_T3_lS3_lPT2_S3_S3_.uses_flat_scratch, 0
	.set _ZN9rocsolver6v33100L23getf2_npvt_small_kernelILi37EfiiPfEEvT1_T3_lS3_lPT2_S3_S3_.has_dyn_sized_stack, 0
	.set _ZN9rocsolver6v33100L23getf2_npvt_small_kernelILi37EfiiPfEEvT1_T3_lS3_lPT2_S3_S3_.has_recursion, 0
	.set _ZN9rocsolver6v33100L23getf2_npvt_small_kernelILi37EfiiPfEEvT1_T3_lS3_lPT2_S3_S3_.has_indirect_call, 0
	.section	.AMDGPU.csdata,"",@progbits
; Kernel info:
; codeLenInByte = 21280
; TotalNumSgprs: 22
; NumVgprs: 157
; NumAgprs: 0
; TotalNumVgprs: 157
; ScratchSize: 0
; MemoryBound: 0
; FloatMode: 240
; IeeeMode: 1
; LDSByteSize: 0 bytes/workgroup (compile time only)
; SGPRBlocks: 2
; VGPRBlocks: 19
; NumSGPRsForWavesPerEU: 22
; NumVGPRsForWavesPerEU: 157
; AccumOffset: 160
; Occupancy: 3
; WaveLimiterHint : 0
; COMPUTE_PGM_RSRC2:SCRATCH_EN: 0
; COMPUTE_PGM_RSRC2:USER_SGPR: 2
; COMPUTE_PGM_RSRC2:TRAP_HANDLER: 0
; COMPUTE_PGM_RSRC2:TGID_X_EN: 1
; COMPUTE_PGM_RSRC2:TGID_Y_EN: 1
; COMPUTE_PGM_RSRC2:TGID_Z_EN: 0
; COMPUTE_PGM_RSRC2:TIDIG_COMP_CNT: 1
; COMPUTE_PGM_RSRC3_GFX90A:ACCUM_OFFSET: 39
; COMPUTE_PGM_RSRC3_GFX90A:TG_SPLIT: 0
	.section	.text._ZN9rocsolver6v33100L18getf2_small_kernelILi38EfiiPfEEvT1_T3_lS3_lPS3_llPT2_S3_S3_S5_l,"axG",@progbits,_ZN9rocsolver6v33100L18getf2_small_kernelILi38EfiiPfEEvT1_T3_lS3_lPS3_llPT2_S3_S3_S5_l,comdat
	.globl	_ZN9rocsolver6v33100L18getf2_small_kernelILi38EfiiPfEEvT1_T3_lS3_lPS3_llPT2_S3_S3_S5_l ; -- Begin function _ZN9rocsolver6v33100L18getf2_small_kernelILi38EfiiPfEEvT1_T3_lS3_lPS3_llPT2_S3_S3_S5_l
	.p2align	8
	.type	_ZN9rocsolver6v33100L18getf2_small_kernelILi38EfiiPfEEvT1_T3_lS3_lPS3_llPT2_S3_S3_S5_l,@function
_ZN9rocsolver6v33100L18getf2_small_kernelILi38EfiiPfEEvT1_T3_lS3_lPS3_llPT2_S3_S3_S5_l: ; @_ZN9rocsolver6v33100L18getf2_small_kernelILi38EfiiPfEEvT1_T3_lS3_lPS3_llPT2_S3_S3_S5_l
; %bb.0:
	s_load_dword s2, s[0:1], 0x6c
	s_load_dwordx2 s[14:15], s[0:1], 0x48
	v_bfe_u32 v17, v0, 10, 10
	s_waitcnt lgkmcnt(0)
	s_lshr_b32 s2, s2, 16
	s_mul_i32 s3, s3, s2
	v_add_u32_e32 v4, s3, v17
	v_cmp_gt_i32_e32 vcc, s14, v4
	s_and_saveexec_b64 s[2:3], vcc
	s_cbranch_execz .LBB74_643
; %bb.1:
	s_load_dwordx4 s[4:7], s[0:1], 0x50
	v_ashrrev_i32_e32 v5, 31, v4
	v_mov_b64_e32 v[20:21], 0
	s_waitcnt lgkmcnt(0)
	s_cmp_eq_u64 s[4:5], 0
	s_cselect_b64 s[16:17], -1, 0
	s_and_b64 vcc, exec, s[16:17]
	s_cbranch_vccnz .LBB74_3
; %bb.2:
	v_mul_lo_u32 v1, s7, v4
	v_mul_lo_u32 v6, s6, v5
	v_mad_u64_u32 v[2:3], s[2:3], s6, v4, 0
	v_add3_u32 v3, v3, v6, v1
	v_lshl_add_u64 v[20:21], v[2:3], 2, s[4:5]
.LBB74_3:
	s_load_dwordx4 s[20:23], s[0:1], 0x8
	s_load_dwordx8 s[4:11], s[0:1], 0x20
	s_load_dword s12, s[0:1], 0x18
	v_and_b32_e32 v19, 0x3ff, v0
	v_lshlrev_b32_e32 v46, 2, v19
	s_waitcnt lgkmcnt(0)
	v_mov_b32_e32 v2, s20
	v_mul_lo_u32 v1, s5, v4
	v_mul_lo_u32 v8, s4, v5
	v_mad_u64_u32 v[6:7], s[2:3], s4, v4, 0
	v_mov_b32_e32 v3, s21
	v_add3_u32 v7, v7, v8, v1
	s_add_i32 s14, s12, s12
	v_lshl_add_u64 v[2:3], v[6:7], 2, v[2:3]
	v_add_u32_e32 v0, s14, v19
	v_lshl_add_u64 v[2:3], s[22:23], 2, v[2:3]
	v_ashrrev_i32_e32 v1, 31, v0
	v_lshl_add_u64 v[14:15], v[0:1], 2, v[2:3]
	v_add_u32_e32 v0, s12, v0
	v_ashrrev_i32_e32 v1, 31, v0
	v_lshl_add_u64 v[22:23], v[0:1], 2, v[2:3]
	v_add_u32_e32 v0, s12, v0
	;; [unrolled: 3-line block ×4, first 2 shown]
	v_mov_b32_e32 v47, 0
	v_add_u32_e32 v30, s12, v0
	v_lshl_add_u64 v[8:9], v[2:3], 0, v[46:47]
	s_ashr_i32 s13, s12, 31
	v_ashrrev_i32_e32 v1, 31, v0
	v_ashrrev_i32_e32 v31, 31, v30
	v_lshl_add_u64 v[12:13], s[12:13], 2, v[8:9]
	v_lshl_add_u64 v[28:29], v[0:1], 2, v[2:3]
	;; [unrolled: 1-line block ×3, first 2 shown]
	global_load_dword v18, v[8:9], off
	global_load_dword v16, v[12:13], off
	global_load_dword v10, v[14:15], off
	global_load_dword v11, v[22:23], off
	global_load_dword v6, v[24:25], off
	global_load_dword v7, v[26:27], off
	global_load_dword v0, v[28:29], off
	global_load_dword v1, v[32:33], off
	v_add_u32_e32 v8, s12, v30
	v_ashrrev_i32_e32 v9, 31, v8
	v_lshl_add_u64 v[14:15], v[8:9], 2, v[2:3]
	v_add_u32_e32 v8, s12, v8
	v_ashrrev_i32_e32 v9, 31, v8
	v_lshl_add_u64 v[24:25], v[8:9], 2, v[2:3]
	v_add_u32_e32 v8, s12, v8
	v_ashrrev_i32_e32 v9, 31, v8
	v_lshl_add_u64 v[26:27], v[8:9], 2, v[2:3]
	v_add_u32_e32 v8, s12, v8
	v_ashrrev_i32_e32 v9, 31, v8
	v_lshl_add_u64 v[30:31], v[8:9], 2, v[2:3]
	v_add_u32_e32 v8, s12, v8
	v_ashrrev_i32_e32 v9, 31, v8
	v_lshl_add_u64 v[32:33], v[8:9], 2, v[2:3]
	v_add_u32_e32 v8, s12, v8
	v_ashrrev_i32_e32 v9, 31, v8
	v_lshl_add_u64 v[34:35], v[8:9], 2, v[2:3]
	v_add_u32_e32 v8, s12, v8
	v_add_u32_e32 v38, s12, v8
	v_ashrrev_i32_e32 v9, 31, v8
	v_ashrrev_i32_e32 v39, 31, v38
	v_lshl_add_u64 v[36:37], v[8:9], 2, v[2:3]
	v_lshl_add_u64 v[40:41], v[38:39], 2, v[2:3]
	global_load_dword v28, v[14:15], off
	global_load_dword v29, v[24:25], off
	global_load_dword v22, v[26:27], off
	global_load_dword v23, v[30:31], off
	global_load_dword v12, v[32:33], off
	global_load_dword v13, v[34:35], off
	global_load_dword v8, v[36:37], off
	global_load_dword v9, v[40:41], off
	v_add_u32_e32 v14, s12, v38
	v_ashrrev_i32_e32 v15, 31, v14
	v_lshl_add_u64 v[26:27], v[14:15], 2, v[2:3]
	v_add_u32_e32 v14, s12, v14
	v_ashrrev_i32_e32 v15, 31, v14
	v_lshl_add_u64 v[32:33], v[14:15], 2, v[2:3]
	v_add_u32_e32 v14, s12, v14
	v_ashrrev_i32_e32 v15, 31, v14
	v_lshl_add_u64 v[36:37], v[14:15], 2, v[2:3]
	v_add_u32_e32 v14, s12, v14
	v_ashrrev_i32_e32 v15, 31, v14
	v_lshl_add_u64 v[38:39], v[14:15], 2, v[2:3]
	v_add_u32_e32 v14, s12, v14
	v_ashrrev_i32_e32 v15, 31, v14
	v_lshl_add_u64 v[40:41], v[14:15], 2, v[2:3]
	v_add_u32_e32 v14, s12, v14
	v_ashrrev_i32_e32 v15, 31, v14
	v_lshl_add_u64 v[42:43], v[14:15], 2, v[2:3]
	v_add_u32_e32 v14, s12, v14
	v_add_u32_e32 v48, s12, v14
	v_ashrrev_i32_e32 v15, 31, v14
	v_ashrrev_i32_e32 v49, 31, v48
	v_lshl_add_u64 v[44:45], v[14:15], 2, v[2:3]
	v_lshl_add_u64 v[50:51], v[48:49], 2, v[2:3]
	;; [unrolled: 32-line block ×3, first 2 shown]
	global_load_dword v42, v[36:37], off
	global_load_dword v43, v[40:41], off
	;; [unrolled: 1-line block ×8, first 2 shown]
	v_add_u32_e32 v36, s12, v56
	v_ashrrev_i32_e32 v37, 31, v36
	v_lshl_add_u64 v[48:49], v[36:37], 2, v[2:3]
	v_add_u32_e32 v36, s12, v36
	v_ashrrev_i32_e32 v37, 31, v36
	v_lshl_add_u64 v[50:51], v[36:37], 2, v[2:3]
	;; [unrolled: 3-line block ×6, first 2 shown]
	global_load_dword v44, v[48:49], off
	global_load_dword v45, v[50:51], off
	;; [unrolled: 1-line block ×6, first 2 shown]
	s_load_dword s22, s[0:1], 0x0
	s_load_dwordx2 s[4:5], s[0:1], 0x40
	s_waitcnt lgkmcnt(0)
	s_max_i32 s0, s22, 38
	v_mul_lo_u32 v48, s0, v17
	v_lshl_add_u32 v17, v48, 2, 0
	v_add_u32_e32 v46, v17, v46
	s_waitcnt vmcnt(37)
	ds_write_b32 v46, v18
	s_waitcnt lgkmcnt(0)
	s_barrier
	ds_read_b32 v46, v17
	s_cmp_lt_i32 s22, 2
	v_lshlrev_b32_e32 v48, 2, v48
	s_cbranch_scc1 .LBB74_6
; %bb.4:
	v_add3_u32 v49, v48, 0, 4
	v_mov_b32_e32 v47, 0
	s_mov_b32 s0, 1
.LBB74_5:                               ; =>This Inner Loop Header: Depth=1
	ds_read_b32 v50, v49
	v_mov_b32_e32 v51, s0
	s_add_i32 s0, s0, 1
	v_add_u32_e32 v49, 4, v49
	s_cmp_eq_u32 s22, s0
	s_waitcnt lgkmcnt(0)
	v_cmp_lt_f32_e64 vcc, |v46|, |v50|
	s_nop 1
	v_cndmask_b32_e32 v46, v46, v50, vcc
	v_cndmask_b32_e32 v47, v47, v51, vcc
	s_cbranch_scc0 .LBB74_5
.LBB74_6:
	v_cmp_ne_u32_e32 vcc, v19, v47
                                        ; implicit-def: $vgpr49
	s_and_saveexec_b64 s[0:1], vcc
	s_xor_b64 s[0:1], exec, s[0:1]
	s_cbranch_execz .LBB74_12
; %bb.7:
	v_cmp_eq_u32_e32 vcc, 0, v19
	s_and_saveexec_b64 s[2:3], vcc
	s_cbranch_execz .LBB74_11
; %bb.8:
	v_cmp_ne_u32_e32 vcc, 0, v47
	s_xor_b64 s[18:19], s[16:17], -1
	s_and_b64 s[20:21], s[18:19], vcc
	s_and_saveexec_b64 s[18:19], s[20:21]
	s_cbranch_execz .LBB74_10
; %bb.9:
	v_ashrrev_i32_e32 v51, 31, v47
	v_mov_b32_e32 v50, v47
	v_lshl_add_u64 v[50:51], v[50:51], 2, v[20:21]
	global_load_dword v19, v[50:51], off
	global_load_dword v49, v[20:21], off
	s_waitcnt vmcnt(1)
	global_store_dword v[20:21], v19, off
	s_waitcnt vmcnt(1)
	global_store_dword v[50:51], v49, off
.LBB74_10:
	s_or_b64 exec, exec, s[18:19]
	v_mov_b32_e32 v19, v47
.LBB74_11:
	s_or_b64 exec, exec, s[2:3]
	v_mov_b32_e32 v49, v19
                                        ; implicit-def: $vgpr19
.LBB74_12:
	s_or_saveexec_b64 s[0:1], s[0:1]
	v_mov_b32_e32 v47, v49
	s_xor_b64 exec, exec, s[0:1]
	s_cbranch_execz .LBB74_14
; %bb.13:
	v_mov_b32_e32 v49, 0
	v_mov_b32_e32 v47, v19
	s_waitcnt vmcnt(35)
	ds_write2_b32 v17, v16, v10 offset0:1 offset1:2
	s_waitcnt vmcnt(33)
	ds_write2_b32 v17, v11, v6 offset0:3 offset1:4
	;; [unrolled: 2-line block ×18, first 2 shown]
	s_waitcnt vmcnt(0)
	ds_write_b32 v17, v37 offset:148
.LBB74_14:
	s_or_b64 exec, exec, s[0:1]
	s_waitcnt lgkmcnt(0)
	v_cmp_eq_f32_e64 s[0:1], 0, v46
	v_cmp_lt_i32_e32 vcc, 0, v49
	s_barrier
	s_and_saveexec_b64 s[2:3], vcc
	s_cbranch_execz .LBB74_16
; %bb.15:
	v_div_scale_f32 v19, s[18:19], v46, v46, 1.0
	v_rcp_f32_e32 v50, v19
	v_div_scale_f32 v51, vcc, 1.0, v46, 1.0
	v_fma_f32 v52, -v19, v50, 1.0
	v_fmac_f32_e32 v50, v52, v50
	v_mul_f32_e32 v52, v51, v50
	v_fma_f32 v53, -v19, v52, v51
	v_fmac_f32_e32 v52, v53, v50
	v_fma_f32 v19, -v19, v52, v51
	v_div_fmas_f32 v19, v19, v50, v52
	v_div_fixup_f32 v19, v19, v46, 1.0
	v_cndmask_b32_e64 v19, v19, v46, s[0:1]
	ds_read_b32 v46, v17 offset:4
	ds_read2_b32 v[50:51], v17 offset0:2 offset1:3
	ds_read2_b32 v[52:53], v17 offset0:4 offset1:5
	v_mul_f32_e32 v18, v19, v18
	ds_read2_b32 v[54:55], v17 offset0:6 offset1:7
	s_waitcnt vmcnt(36) lgkmcnt(3)
	v_fma_f32 v16, -v18, v46, v16
	s_waitcnt vmcnt(34) lgkmcnt(2)
	v_pk_fma_f32 v[10:11], v[18:19], v[50:51], v[10:11] op_sel_hi:[0,1,1] neg_lo:[1,0,0] neg_hi:[1,0,0]
	s_waitcnt vmcnt(32) lgkmcnt(1)
	v_pk_fma_f32 v[6:7], v[18:19], v[52:53], v[6:7] op_sel_hi:[0,1,1] neg_lo:[1,0,0] neg_hi:[1,0,0]
	ds_read2_b32 v[50:51], v17 offset0:8 offset1:9
	ds_read2_b32 v[52:53], v17 offset0:10 offset1:11
	;; [unrolled: 1-line block ×3, first 2 shown]
	s_waitcnt vmcnt(30) lgkmcnt(3)
	v_pk_fma_f32 v[0:1], v[18:19], v[54:55], v[0:1] op_sel_hi:[0,1,1] neg_lo:[1,0,0] neg_hi:[1,0,0]
	ds_read2_b32 v[54:55], v17 offset0:14 offset1:15
	s_waitcnt vmcnt(28) lgkmcnt(3)
	v_pk_fma_f32 v[28:29], v[18:19], v[50:51], v[28:29] op_sel_hi:[0,1,1] neg_lo:[1,0,0] neg_hi:[1,0,0]
	s_waitcnt vmcnt(26) lgkmcnt(2)
	v_pk_fma_f32 v[22:23], v[18:19], v[52:53], v[22:23] op_sel_hi:[0,1,1] neg_lo:[1,0,0] neg_hi:[1,0,0]
	;; [unrolled: 2-line block ×3, first 2 shown]
	ds_read2_b32 v[50:51], v17 offset0:16 offset1:17
	ds_read2_b32 v[52:53], v17 offset0:18 offset1:19
	ds_read2_b32 v[56:57], v17 offset0:20 offset1:21
	s_waitcnt vmcnt(22) lgkmcnt(3)
	v_pk_fma_f32 v[8:9], v[18:19], v[54:55], v[8:9] op_sel_hi:[0,1,1] neg_lo:[1,0,0] neg_hi:[1,0,0]
	ds_read2_b32 v[54:55], v17 offset0:22 offset1:23
	s_waitcnt vmcnt(20) lgkmcnt(3)
	v_pk_fma_f32 v[34:35], v[18:19], v[50:51], v[34:35] op_sel_hi:[0,1,1] neg_lo:[1,0,0] neg_hi:[1,0,0]
	s_waitcnt vmcnt(18) lgkmcnt(2)
	v_pk_fma_f32 v[30:31], v[18:19], v[52:53], v[30:31] op_sel_hi:[0,1,1] neg_lo:[1,0,0] neg_hi:[1,0,0]
	ds_read2_b32 v[50:51], v17 offset0:24 offset1:25
	ds_read2_b32 v[52:53], v17 offset0:26 offset1:27
	s_waitcnt vmcnt(16) lgkmcnt(3)
	v_pk_fma_f32 v[24:25], v[18:19], v[56:57], v[24:25] op_sel_hi:[0,1,1] neg_lo:[1,0,0] neg_hi:[1,0,0]
	s_waitcnt vmcnt(14) lgkmcnt(2)
	v_pk_fma_f32 v[14:15], v[18:19], v[54:55], v[14:15] op_sel_hi:[0,1,1] neg_lo:[1,0,0] neg_hi:[1,0,0]
	ds_read2_b32 v[54:55], v17 offset0:28 offset1:29
	;; [unrolled: 6-line block ×3, first 2 shown]
	ds_read2_b32 v[52:53], v17 offset0:34 offset1:35
	ds_read2_b32 v[58:59], v17 offset0:36 offset1:37
	s_waitcnt vmcnt(8) lgkmcnt(4)
	v_pk_fma_f32 v[32:33], v[18:19], v[54:55], v[32:33] op_sel_hi:[0,1,1] neg_lo:[1,0,0] neg_hi:[1,0,0]
	s_waitcnt vmcnt(6) lgkmcnt(3)
	v_pk_fma_f32 v[26:27], v[18:19], v[56:57], v[26:27] op_sel_hi:[0,1,1] neg_lo:[1,0,0] neg_hi:[1,0,0]
	;; [unrolled: 2-line block ×5, first 2 shown]
.LBB74_16:
	s_or_b64 exec, exec, s[2:3]
	v_lshl_add_u32 v19, v49, 2, v17
	s_barrier
	s_waitcnt vmcnt(36)
	ds_write_b32 v19, v16
	s_waitcnt lgkmcnt(0)
	s_barrier
	ds_read_b32 v19, v17 offset:4
	s_mov_b32 s2, 2
	s_cmp_lt_i32 s22, 3
	v_mov_b32_e32 v46, 1
	s_cbranch_scc1 .LBB74_19
; %bb.17:
	v_add3_u32 v50, v48, 0, 8
	v_mov_b32_e32 v46, 1
.LBB74_18:                              ; =>This Inner Loop Header: Depth=1
	ds_read_b32 v51, v50
	v_mov_b32_e32 v52, s2
	s_add_i32 s2, s2, 1
	v_add_u32_e32 v50, 4, v50
	s_cmp_lg_u32 s22, s2
	s_waitcnt lgkmcnt(0)
	v_cmp_lt_f32_e64 vcc, |v19|, |v51|
	s_nop 1
	v_cndmask_b32_e32 v19, v19, v51, vcc
	v_cndmask_b32_e32 v46, v46, v52, vcc
	s_cbranch_scc1 .LBB74_18
.LBB74_19:
	v_cmp_ne_u32_e32 vcc, v49, v46
	s_and_saveexec_b64 s[2:3], vcc
	s_xor_b64 s[2:3], exec, s[2:3]
	s_cbranch_execz .LBB74_25
; %bb.20:
	v_cmp_eq_u32_e32 vcc, 1, v49
	s_and_saveexec_b64 s[18:19], vcc
	s_cbranch_execz .LBB74_24
; %bb.21:
	v_cmp_ne_u32_e32 vcc, 1, v46
	s_xor_b64 s[20:21], s[16:17], -1
	s_and_b64 s[24:25], s[20:21], vcc
	s_and_saveexec_b64 s[20:21], s[24:25]
	s_cbranch_execz .LBB74_23
; %bb.22:
	v_ashrrev_i32_e32 v47, 31, v46
	v_lshl_add_u64 v[50:51], v[46:47], 2, v[20:21]
	global_load_dword v47, v[50:51], off
	global_load_dword v49, v[20:21], off offset:4
	s_waitcnt vmcnt(1)
	global_store_dword v[20:21], v47, off offset:4
	s_waitcnt vmcnt(1)
	global_store_dword v[50:51], v49, off
.LBB74_23:
	s_or_b64 exec, exec, s[20:21]
	v_mov_b32_e32 v47, v46
	v_mov_b32_e32 v49, v46
.LBB74_24:
	s_or_b64 exec, exec, s[18:19]
.LBB74_25:
	s_andn2_saveexec_b64 s[2:3], s[2:3]
	s_cbranch_execz .LBB74_27
; %bb.26:
	v_mov_b32_e32 v49, 1
	s_waitcnt vmcnt(34)
	ds_write2_b32 v17, v10, v11 offset0:2 offset1:3
	s_waitcnt vmcnt(32)
	ds_write2_b32 v17, v6, v7 offset0:4 offset1:5
	;; [unrolled: 2-line block ×18, first 2 shown]
.LBB74_27:
	s_or_b64 exec, exec, s[2:3]
	s_waitcnt lgkmcnt(0)
	v_cmp_neq_f32_e64 s[2:3], 0, v19
	v_cmp_lt_i32_e32 vcc, 1, v49
	s_barrier
	s_and_saveexec_b64 s[18:19], vcc
	s_cbranch_execz .LBB74_29
; %bb.28:
	v_div_scale_f32 v46, s[20:21], v19, v19, 1.0
	v_rcp_f32_e32 v50, v46
	v_div_scale_f32 v51, vcc, 1.0, v19, 1.0
	v_fma_f32 v52, -v46, v50, 1.0
	v_fmac_f32_e32 v50, v52, v50
	v_mul_f32_e32 v52, v51, v50
	v_fma_f32 v53, -v46, v52, v51
	v_fmac_f32_e32 v52, v53, v50
	v_fma_f32 v46, -v46, v52, v51
	v_div_fmas_f32 v46, v46, v50, v52
	ds_read2_b32 v[50:51], v17 offset0:2 offset1:3
	ds_read2_b32 v[52:53], v17 offset0:4 offset1:5
	;; [unrolled: 1-line block ×3, first 2 shown]
	v_div_fixup_f32 v46, v46, v19, 1.0
	v_cndmask_b32_e64 v19, v19, v46, s[2:3]
	ds_read2_b32 v[56:57], v17 offset0:8 offset1:9
	v_mul_f32_e32 v16, v19, v16
	s_waitcnt vmcnt(34) lgkmcnt(3)
	v_pk_fma_f32 v[10:11], v[16:17], v[50:51], v[10:11] op_sel_hi:[0,1,1] neg_lo:[1,0,0] neg_hi:[1,0,0]
	s_waitcnt vmcnt(32) lgkmcnt(2)
	v_pk_fma_f32 v[6:7], v[16:17], v[52:53], v[6:7] op_sel_hi:[0,1,1] neg_lo:[1,0,0] neg_hi:[1,0,0]
	;; [unrolled: 2-line block ×3, first 2 shown]
	ds_read2_b32 v[50:51], v17 offset0:10 offset1:11
	ds_read2_b32 v[52:53], v17 offset0:12 offset1:13
	;; [unrolled: 1-line block ×3, first 2 shown]
	s_waitcnt vmcnt(28) lgkmcnt(3)
	v_pk_fma_f32 v[28:29], v[16:17], v[56:57], v[28:29] op_sel_hi:[0,1,1] neg_lo:[1,0,0] neg_hi:[1,0,0]
	ds_read2_b32 v[56:57], v17 offset0:16 offset1:17
	s_waitcnt vmcnt(26) lgkmcnt(3)
	v_pk_fma_f32 v[22:23], v[16:17], v[50:51], v[22:23] op_sel_hi:[0,1,1] neg_lo:[1,0,0] neg_hi:[1,0,0]
	s_waitcnt vmcnt(24) lgkmcnt(2)
	v_pk_fma_f32 v[12:13], v[16:17], v[52:53], v[12:13] op_sel_hi:[0,1,1] neg_lo:[1,0,0] neg_hi:[1,0,0]
	;; [unrolled: 2-line block ×3, first 2 shown]
	ds_read2_b32 v[50:51], v17 offset0:18 offset1:19
	ds_read2_b32 v[52:53], v17 offset0:20 offset1:21
	;; [unrolled: 1-line block ×3, first 2 shown]
	s_waitcnt vmcnt(20) lgkmcnt(3)
	v_pk_fma_f32 v[34:35], v[16:17], v[56:57], v[34:35] op_sel_hi:[0,1,1] neg_lo:[1,0,0] neg_hi:[1,0,0]
	ds_read2_b32 v[56:57], v17 offset0:24 offset1:25
	s_waitcnt vmcnt(18) lgkmcnt(3)
	v_pk_fma_f32 v[30:31], v[16:17], v[50:51], v[30:31] op_sel_hi:[0,1,1] neg_lo:[1,0,0] neg_hi:[1,0,0]
	ds_read2_b32 v[50:51], v17 offset0:26 offset1:27
	s_waitcnt vmcnt(16) lgkmcnt(3)
	v_pk_fma_f32 v[24:25], v[16:17], v[52:53], v[24:25] op_sel_hi:[0,1,1] neg_lo:[1,0,0] neg_hi:[1,0,0]
	s_waitcnt vmcnt(14) lgkmcnt(2)
	v_pk_fma_f32 v[14:15], v[16:17], v[54:55], v[14:15] op_sel_hi:[0,1,1] neg_lo:[1,0,0] neg_hi:[1,0,0]
	;; [unrolled: 2-line block ×3, first 2 shown]
	ds_read2_b32 v[52:53], v17 offset0:28 offset1:29
	ds_read2_b32 v[54:55], v17 offset0:30 offset1:31
	;; [unrolled: 1-line block ×3, first 2 shown]
	s_waitcnt vmcnt(10) lgkmcnt(3)
	v_pk_fma_f32 v[38:39], v[16:17], v[50:51], v[38:39] op_sel_hi:[0,1,1] neg_lo:[1,0,0] neg_hi:[1,0,0]
	ds_read2_b32 v[50:51], v17 offset0:34 offset1:35
	ds_read2_b32 v[58:59], v17 offset0:36 offset1:37
	s_waitcnt vmcnt(8) lgkmcnt(4)
	v_pk_fma_f32 v[32:33], v[16:17], v[52:53], v[32:33] op_sel_hi:[0,1,1] neg_lo:[1,0,0] neg_hi:[1,0,0]
	s_waitcnt vmcnt(6) lgkmcnt(3)
	v_pk_fma_f32 v[26:27], v[16:17], v[54:55], v[26:27] op_sel_hi:[0,1,1] neg_lo:[1,0,0] neg_hi:[1,0,0]
	;; [unrolled: 2-line block ×5, first 2 shown]
.LBB74_29:
	s_or_b64 exec, exec, s[18:19]
	v_lshl_add_u32 v19, v49, 2, v17
	s_barrier
	s_waitcnt vmcnt(35)
	ds_write_b32 v19, v10
	s_waitcnt lgkmcnt(0)
	s_barrier
	ds_read_b32 v50, v17 offset:8
	s_cmp_lt_i32 s22, 4
	v_mov_b32_e32 v46, 2
	s_cbranch_scc1 .LBB74_32
; %bb.30:
	v_mov_b32_e32 v46, 2
	v_add3_u32 v19, v48, 0, 12
	s_mov_b32 s18, 3
.LBB74_31:                              ; =>This Inner Loop Header: Depth=1
	ds_read_b32 v51, v19
	v_mov_b32_e32 v52, s18
	s_add_i32 s18, s18, 1
	v_add_u32_e32 v19, 4, v19
	s_cmp_lg_u32 s22, s18
	s_waitcnt lgkmcnt(0)
	v_cmp_lt_f32_e64 vcc, |v50|, |v51|
	s_nop 1
	v_cndmask_b32_e32 v50, v50, v51, vcc
	v_cndmask_b32_e32 v46, v46, v52, vcc
	s_cbranch_scc1 .LBB74_31
.LBB74_32:
	v_cndmask_b32_e64 v19, 2, 1, s[0:1]
	v_cndmask_b32_e64 v51, 0, 1, s[0:1]
	v_cndmask_b32_e64 v19, v19, v51, s[2:3]
	s_waitcnt lgkmcnt(0)
	v_cmp_eq_f32_e32 vcc, 0, v50
	s_and_saveexec_b64 s[0:1], vcc
	s_xor_b64 s[0:1], exec, s[0:1]
; %bb.33:
	v_cmp_ne_u32_e32 vcc, 0, v19
	s_nop 1
	v_cndmask_b32_e32 v19, 3, v19, vcc
; %bb.34:
	s_andn2_saveexec_b64 s[0:1], s[0:1]
	s_cbranch_execz .LBB74_36
; %bb.35:
	v_div_scale_f32 v51, s[2:3], v50, v50, 1.0
	v_rcp_f32_e32 v52, v51
	v_div_scale_f32 v53, vcc, 1.0, v50, 1.0
	v_fma_f32 v54, -v51, v52, 1.0
	v_fmac_f32_e32 v52, v54, v52
	v_mul_f32_e32 v54, v53, v52
	v_fma_f32 v55, -v51, v54, v53
	v_fmac_f32_e32 v54, v55, v52
	v_fma_f32 v51, -v51, v54, v53
	v_div_fmas_f32 v51, v51, v52, v54
	v_div_fixup_f32 v50, v51, v50, 1.0
.LBB74_36:
	s_or_b64 exec, exec, s[0:1]
	v_cmp_ne_u32_e32 vcc, v49, v46
	s_and_saveexec_b64 s[0:1], vcc
	s_xor_b64 s[0:1], exec, s[0:1]
	s_cbranch_execz .LBB74_42
; %bb.37:
	v_cmp_eq_u32_e32 vcc, 2, v49
	s_and_saveexec_b64 s[2:3], vcc
	s_cbranch_execz .LBB74_41
; %bb.38:
	v_cmp_ne_u32_e32 vcc, 2, v46
	s_xor_b64 s[18:19], s[16:17], -1
	s_and_b64 s[20:21], s[18:19], vcc
	s_and_saveexec_b64 s[18:19], s[20:21]
	s_cbranch_execz .LBB74_40
; %bb.39:
	v_ashrrev_i32_e32 v47, 31, v46
	v_lshl_add_u64 v[52:53], v[46:47], 2, v[20:21]
	global_load_dword v47, v[52:53], off
	global_load_dword v49, v[20:21], off offset:8
	s_waitcnt vmcnt(1)
	global_store_dword v[20:21], v47, off offset:8
	s_waitcnt vmcnt(1)
	global_store_dword v[52:53], v49, off
.LBB74_40:
	s_or_b64 exec, exec, s[18:19]
	v_mov_b32_e32 v47, v46
	v_mov_b32_e32 v49, v46
.LBB74_41:
	s_or_b64 exec, exec, s[2:3]
.LBB74_42:
	s_andn2_saveexec_b64 s[0:1], s[0:1]
	s_cbranch_execz .LBB74_44
; %bb.43:
	s_waitcnt vmcnt(32)
	v_pk_mov_b32 v[52:53], v[10:11], v[6:7] op_sel:[1,0]
	ds_write2_b32 v17, v52, v53 offset0:3 offset1:4
	s_waitcnt vmcnt(30)
	v_pk_mov_b32 v[52:53], v[6:7], v[0:1] op_sel:[1,0]
	ds_write2_b32 v17, v52, v53 offset0:5 offset1:6
	;; [unrolled: 3-line block ×16, first 2 shown]
	s_waitcnt vmcnt(0)
	v_pk_mov_b32 v[52:53], v[40:41], v[36:37] op_sel:[1,0]
	v_mov_b32_e32 v49, 2
	ds_write2_b32 v17, v52, v53 offset0:35 offset1:36
	ds_write_b32 v17, v37 offset:148
.LBB74_44:
	s_or_b64 exec, exec, s[0:1]
	v_cmp_lt_i32_e32 vcc, 2, v49
	s_waitcnt lgkmcnt(0)
	s_barrier
	s_and_saveexec_b64 s[0:1], vcc
	s_cbranch_execz .LBB74_46
; %bb.45:
	ds_read_b32 v46, v17 offset:12
	ds_read2_b32 v[52:53], v17 offset0:4 offset1:5
	ds_read2_b32 v[54:55], v17 offset0:6 offset1:7
	v_mul_f32_e32 v10, v50, v10
	ds_read2_b32 v[50:51], v17 offset0:8 offset1:9
	s_waitcnt vmcnt(34) lgkmcnt(3)
	v_fma_f32 v11, -v10, v46, v11
	s_waitcnt vmcnt(32) lgkmcnt(2)
	v_pk_fma_f32 v[6:7], v[10:11], v[52:53], v[6:7] op_sel_hi:[0,1,1] neg_lo:[1,0,0] neg_hi:[1,0,0]
	s_waitcnt vmcnt(30) lgkmcnt(1)
	v_pk_fma_f32 v[0:1], v[10:11], v[54:55], v[0:1] op_sel_hi:[0,1,1] neg_lo:[1,0,0] neg_hi:[1,0,0]
	ds_read2_b32 v[52:53], v17 offset0:10 offset1:11
	ds_read2_b32 v[54:55], v17 offset0:12 offset1:13
	ds_read2_b32 v[56:57], v17 offset0:14 offset1:15
	s_waitcnt vmcnt(28) lgkmcnt(3)
	v_pk_fma_f32 v[28:29], v[10:11], v[50:51], v[28:29] op_sel_hi:[0,1,1] neg_lo:[1,0,0] neg_hi:[1,0,0]
	ds_read2_b32 v[50:51], v17 offset0:16 offset1:17
	s_waitcnt vmcnt(26) lgkmcnt(3)
	v_pk_fma_f32 v[22:23], v[10:11], v[52:53], v[22:23] op_sel_hi:[0,1,1] neg_lo:[1,0,0] neg_hi:[1,0,0]
	s_waitcnt vmcnt(24) lgkmcnt(2)
	v_pk_fma_f32 v[12:13], v[10:11], v[54:55], v[12:13] op_sel_hi:[0,1,1] neg_lo:[1,0,0] neg_hi:[1,0,0]
	;; [unrolled: 2-line block ×3, first 2 shown]
	ds_read2_b32 v[52:53], v17 offset0:18 offset1:19
	ds_read2_b32 v[54:55], v17 offset0:20 offset1:21
	;; [unrolled: 1-line block ×3, first 2 shown]
	s_waitcnt vmcnt(20) lgkmcnt(3)
	v_pk_fma_f32 v[34:35], v[10:11], v[50:51], v[34:35] op_sel_hi:[0,1,1] neg_lo:[1,0,0] neg_hi:[1,0,0]
	ds_read2_b32 v[50:51], v17 offset0:24 offset1:25
	s_waitcnt vmcnt(18) lgkmcnt(3)
	v_pk_fma_f32 v[30:31], v[10:11], v[52:53], v[30:31] op_sel_hi:[0,1,1] neg_lo:[1,0,0] neg_hi:[1,0,0]
	ds_read2_b32 v[52:53], v17 offset0:26 offset1:27
	s_waitcnt vmcnt(16) lgkmcnt(3)
	v_pk_fma_f32 v[24:25], v[10:11], v[54:55], v[24:25] op_sel_hi:[0,1,1] neg_lo:[1,0,0] neg_hi:[1,0,0]
	s_waitcnt vmcnt(14) lgkmcnt(2)
	v_pk_fma_f32 v[14:15], v[10:11], v[56:57], v[14:15] op_sel_hi:[0,1,1] neg_lo:[1,0,0] neg_hi:[1,0,0]
	;; [unrolled: 2-line block ×3, first 2 shown]
	ds_read2_b32 v[50:51], v17 offset0:28 offset1:29
	ds_read2_b32 v[54:55], v17 offset0:30 offset1:31
	;; [unrolled: 1-line block ×3, first 2 shown]
	s_waitcnt vmcnt(10) lgkmcnt(3)
	v_pk_fma_f32 v[38:39], v[10:11], v[52:53], v[38:39] op_sel_hi:[0,1,1] neg_lo:[1,0,0] neg_hi:[1,0,0]
	ds_read2_b32 v[52:53], v17 offset0:34 offset1:35
	ds_read2_b32 v[58:59], v17 offset0:36 offset1:37
	s_waitcnt vmcnt(8) lgkmcnt(4)
	v_pk_fma_f32 v[32:33], v[10:11], v[50:51], v[32:33] op_sel_hi:[0,1,1] neg_lo:[1,0,0] neg_hi:[1,0,0]
	s_waitcnt vmcnt(6) lgkmcnt(3)
	v_pk_fma_f32 v[26:27], v[10:11], v[54:55], v[26:27] op_sel_hi:[0,1,1] neg_lo:[1,0,0] neg_hi:[1,0,0]
	;; [unrolled: 2-line block ×5, first 2 shown]
.LBB74_46:
	s_or_b64 exec, exec, s[0:1]
	v_lshl_add_u32 v46, v49, 2, v17
	s_barrier
	s_waitcnt vmcnt(34)
	ds_write_b32 v46, v11
	s_waitcnt lgkmcnt(0)
	s_barrier
	ds_read_b32 v50, v17 offset:12
	s_cmp_lt_i32 s22, 5
	v_mov_b32_e32 v46, 3
	s_cbranch_scc1 .LBB74_49
; %bb.47:
	v_add3_u32 v51, v48, 0, 16
	v_mov_b32_e32 v46, 3
	s_mov_b32 s0, 4
.LBB74_48:                              ; =>This Inner Loop Header: Depth=1
	ds_read_b32 v52, v51
	v_mov_b32_e32 v53, s0
	s_add_i32 s0, s0, 1
	v_add_u32_e32 v51, 4, v51
	s_cmp_lg_u32 s22, s0
	s_waitcnt lgkmcnt(0)
	v_cmp_lt_f32_e64 vcc, |v50|, |v52|
	s_nop 1
	v_cndmask_b32_e32 v50, v50, v52, vcc
	v_cndmask_b32_e32 v46, v46, v53, vcc
	s_cbranch_scc1 .LBB74_48
.LBB74_49:
	s_waitcnt lgkmcnt(0)
	v_cmp_eq_f32_e32 vcc, 0, v50
	s_and_saveexec_b64 s[0:1], vcc
	s_xor_b64 s[0:1], exec, s[0:1]
; %bb.50:
	v_cmp_ne_u32_e32 vcc, 0, v19
	s_nop 1
	v_cndmask_b32_e32 v19, 4, v19, vcc
; %bb.51:
	s_andn2_saveexec_b64 s[0:1], s[0:1]
	s_cbranch_execz .LBB74_53
; %bb.52:
	v_div_scale_f32 v51, s[2:3], v50, v50, 1.0
	v_rcp_f32_e32 v52, v51
	v_div_scale_f32 v53, vcc, 1.0, v50, 1.0
	v_fma_f32 v54, -v51, v52, 1.0
	v_fmac_f32_e32 v52, v54, v52
	v_mul_f32_e32 v54, v53, v52
	v_fma_f32 v55, -v51, v54, v53
	v_fmac_f32_e32 v54, v55, v52
	v_fma_f32 v51, -v51, v54, v53
	v_div_fmas_f32 v51, v51, v52, v54
	v_div_fixup_f32 v50, v51, v50, 1.0
.LBB74_53:
	s_or_b64 exec, exec, s[0:1]
	v_cmp_ne_u32_e32 vcc, v49, v46
	s_and_saveexec_b64 s[0:1], vcc
	s_xor_b64 s[0:1], exec, s[0:1]
	s_cbranch_execz .LBB74_59
; %bb.54:
	v_cmp_eq_u32_e32 vcc, 3, v49
	s_and_saveexec_b64 s[2:3], vcc
	s_cbranch_execz .LBB74_58
; %bb.55:
	v_cmp_ne_u32_e32 vcc, 3, v46
	s_xor_b64 s[18:19], s[16:17], -1
	s_and_b64 s[20:21], s[18:19], vcc
	s_and_saveexec_b64 s[18:19], s[20:21]
	s_cbranch_execz .LBB74_57
; %bb.56:
	v_ashrrev_i32_e32 v47, 31, v46
	v_lshl_add_u64 v[52:53], v[46:47], 2, v[20:21]
	global_load_dword v47, v[52:53], off
	global_load_dword v49, v[20:21], off offset:12
	s_waitcnt vmcnt(1)
	global_store_dword v[20:21], v47, off offset:12
	s_waitcnt vmcnt(1)
	global_store_dword v[52:53], v49, off
.LBB74_57:
	s_or_b64 exec, exec, s[18:19]
	v_mov_b32_e32 v47, v46
	v_mov_b32_e32 v49, v46
.LBB74_58:
	s_or_b64 exec, exec, s[2:3]
.LBB74_59:
	s_andn2_saveexec_b64 s[0:1], s[0:1]
	s_cbranch_execz .LBB74_61
; %bb.60:
	v_mov_b32_e32 v49, 3
	s_waitcnt vmcnt(32)
	ds_write2_b32 v17, v6, v7 offset0:4 offset1:5
	s_waitcnt vmcnt(30)
	ds_write2_b32 v17, v0, v1 offset0:6 offset1:7
	;; [unrolled: 2-line block ×17, first 2 shown]
.LBB74_61:
	s_or_b64 exec, exec, s[0:1]
	v_cmp_lt_i32_e32 vcc, 3, v49
	s_waitcnt lgkmcnt(0)
	s_barrier
	s_and_saveexec_b64 s[0:1], vcc
	s_cbranch_execz .LBB74_63
; %bb.62:
	ds_read2_b32 v[52:53], v17 offset0:4 offset1:5
	ds_read2_b32 v[54:55], v17 offset0:6 offset1:7
	;; [unrolled: 1-line block ×3, first 2 shown]
	v_mul_f32_e32 v46, v50, v11
	ds_read2_b32 v[50:51], v17 offset0:10 offset1:11
	s_waitcnt vmcnt(32) lgkmcnt(3)
	v_pk_fma_f32 v[6:7], v[46:47], v[52:53], v[6:7] op_sel_hi:[0,1,1] neg_lo:[1,0,0] neg_hi:[1,0,0]
	s_waitcnt vmcnt(30) lgkmcnt(2)
	v_pk_fma_f32 v[0:1], v[46:47], v[54:55], v[0:1] op_sel_hi:[0,1,1] neg_lo:[1,0,0] neg_hi:[1,0,0]
	;; [unrolled: 2-line block ×3, first 2 shown]
	ds_read2_b32 v[52:53], v17 offset0:12 offset1:13
	ds_read2_b32 v[54:55], v17 offset0:14 offset1:15
	;; [unrolled: 1-line block ×3, first 2 shown]
	s_waitcnt vmcnt(26) lgkmcnt(3)
	v_pk_fma_f32 v[22:23], v[46:47], v[50:51], v[22:23] op_sel_hi:[0,1,1] neg_lo:[1,0,0] neg_hi:[1,0,0]
	ds_read2_b32 v[50:51], v17 offset0:18 offset1:19
	s_waitcnt vmcnt(24) lgkmcnt(3)
	v_pk_fma_f32 v[12:13], v[46:47], v[52:53], v[12:13] op_sel_hi:[0,1,1] neg_lo:[1,0,0] neg_hi:[1,0,0]
	s_waitcnt vmcnt(22) lgkmcnt(2)
	v_pk_fma_f32 v[8:9], v[46:47], v[54:55], v[8:9] op_sel_hi:[0,1,1] neg_lo:[1,0,0] neg_hi:[1,0,0]
	;; [unrolled: 2-line block ×3, first 2 shown]
	ds_read2_b32 v[52:53], v17 offset0:20 offset1:21
	ds_read2_b32 v[54:55], v17 offset0:22 offset1:23
	;; [unrolled: 1-line block ×4, first 2 shown]
	s_waitcnt vmcnt(18) lgkmcnt(4)
	v_pk_fma_f32 v[30:31], v[46:47], v[50:51], v[30:31] op_sel_hi:[0,1,1] neg_lo:[1,0,0] neg_hi:[1,0,0]
	s_waitcnt vmcnt(16) lgkmcnt(3)
	v_pk_fma_f32 v[24:25], v[46:47], v[52:53], v[24:25] op_sel_hi:[0,1,1] neg_lo:[1,0,0] neg_hi:[1,0,0]
	;; [unrolled: 2-line block ×5, first 2 shown]
	ds_read2_b32 v[50:51], v17 offset0:28 offset1:29
	ds_read2_b32 v[52:53], v17 offset0:30 offset1:31
	;; [unrolled: 1-line block ×5, first 2 shown]
	s_waitcnt vmcnt(8) lgkmcnt(4)
	v_pk_fma_f32 v[32:33], v[46:47], v[50:51], v[32:33] op_sel_hi:[0,1,1] neg_lo:[1,0,0] neg_hi:[1,0,0]
	s_waitcnt vmcnt(6) lgkmcnt(3)
	v_pk_fma_f32 v[26:27], v[46:47], v[52:53], v[26:27] op_sel_hi:[0,1,1] neg_lo:[1,0,0] neg_hi:[1,0,0]
	;; [unrolled: 2-line block ×5, first 2 shown]
	v_mov_b32_e32 v11, v46
.LBB74_63:
	s_or_b64 exec, exec, s[0:1]
	v_lshl_add_u32 v46, v49, 2, v17
	s_barrier
	s_waitcnt vmcnt(33)
	ds_write_b32 v46, v6
	s_waitcnt lgkmcnt(0)
	s_barrier
	ds_read_b32 v50, v17 offset:16
	s_cmp_lt_i32 s22, 6
	v_mov_b32_e32 v46, 4
	s_cbranch_scc1 .LBB74_66
; %bb.64:
	v_add3_u32 v51, v48, 0, 20
	v_mov_b32_e32 v46, 4
	s_mov_b32 s0, 5
.LBB74_65:                              ; =>This Inner Loop Header: Depth=1
	ds_read_b32 v52, v51
	v_mov_b32_e32 v53, s0
	s_add_i32 s0, s0, 1
	v_add_u32_e32 v51, 4, v51
	s_cmp_lg_u32 s22, s0
	s_waitcnt lgkmcnt(0)
	v_cmp_lt_f32_e64 vcc, |v50|, |v52|
	s_nop 1
	v_cndmask_b32_e32 v50, v50, v52, vcc
	v_cndmask_b32_e32 v46, v46, v53, vcc
	s_cbranch_scc1 .LBB74_65
.LBB74_66:
	s_waitcnt lgkmcnt(0)
	v_cmp_eq_f32_e32 vcc, 0, v50
	s_and_saveexec_b64 s[0:1], vcc
	s_xor_b64 s[0:1], exec, s[0:1]
; %bb.67:
	v_cmp_ne_u32_e32 vcc, 0, v19
	s_nop 1
	v_cndmask_b32_e32 v19, 5, v19, vcc
; %bb.68:
	s_andn2_saveexec_b64 s[0:1], s[0:1]
	s_cbranch_execz .LBB74_70
; %bb.69:
	v_div_scale_f32 v51, s[2:3], v50, v50, 1.0
	v_rcp_f32_e32 v52, v51
	v_div_scale_f32 v53, vcc, 1.0, v50, 1.0
	v_fma_f32 v54, -v51, v52, 1.0
	v_fmac_f32_e32 v52, v54, v52
	v_mul_f32_e32 v54, v53, v52
	v_fma_f32 v55, -v51, v54, v53
	v_fmac_f32_e32 v54, v55, v52
	v_fma_f32 v51, -v51, v54, v53
	v_div_fmas_f32 v51, v51, v52, v54
	v_div_fixup_f32 v50, v51, v50, 1.0
.LBB74_70:
	s_or_b64 exec, exec, s[0:1]
	v_cmp_ne_u32_e32 vcc, v49, v46
	s_and_saveexec_b64 s[0:1], vcc
	s_xor_b64 s[0:1], exec, s[0:1]
	s_cbranch_execz .LBB74_76
; %bb.71:
	v_cmp_eq_u32_e32 vcc, 4, v49
	s_and_saveexec_b64 s[2:3], vcc
	s_cbranch_execz .LBB74_75
; %bb.72:
	v_cmp_ne_u32_e32 vcc, 4, v46
	s_xor_b64 s[18:19], s[16:17], -1
	s_and_b64 s[20:21], s[18:19], vcc
	s_and_saveexec_b64 s[18:19], s[20:21]
	s_cbranch_execz .LBB74_74
; %bb.73:
	v_ashrrev_i32_e32 v47, 31, v46
	v_lshl_add_u64 v[52:53], v[46:47], 2, v[20:21]
	global_load_dword v47, v[52:53], off
	global_load_dword v49, v[20:21], off offset:16
	s_waitcnt vmcnt(1)
	global_store_dword v[20:21], v47, off offset:16
	s_waitcnt vmcnt(1)
	global_store_dword v[52:53], v49, off
.LBB74_74:
	s_or_b64 exec, exec, s[18:19]
	v_mov_b32_e32 v47, v46
	v_mov_b32_e32 v49, v46
.LBB74_75:
	s_or_b64 exec, exec, s[2:3]
.LBB74_76:
	s_andn2_saveexec_b64 s[0:1], s[0:1]
	s_cbranch_execz .LBB74_78
; %bb.77:
	s_waitcnt vmcnt(30)
	v_pk_mov_b32 v[52:53], v[6:7], v[0:1] op_sel:[1,0]
	ds_write2_b32 v17, v52, v53 offset0:5 offset1:6
	s_waitcnt vmcnt(28)
	v_pk_mov_b32 v[52:53], v[0:1], v[28:29] op_sel:[1,0]
	ds_write2_b32 v17, v52, v53 offset0:7 offset1:8
	;; [unrolled: 3-line block ×15, first 2 shown]
	s_waitcnt vmcnt(0)
	v_pk_mov_b32 v[52:53], v[40:41], v[36:37] op_sel:[1,0]
	v_mov_b32_e32 v49, 4
	ds_write2_b32 v17, v52, v53 offset0:35 offset1:36
	ds_write_b32 v17, v37 offset:148
.LBB74_78:
	s_or_b64 exec, exec, s[0:1]
	v_cmp_lt_i32_e32 vcc, 4, v49
	s_waitcnt lgkmcnt(0)
	s_barrier
	s_and_saveexec_b64 s[0:1], vcc
	s_cbranch_execz .LBB74_80
; %bb.79:
	ds_read_b32 v46, v17 offset:20
	ds_read2_b32 v[52:53], v17 offset0:6 offset1:7
	ds_read2_b32 v[54:55], v17 offset0:8 offset1:9
	v_mul_f32_e32 v6, v50, v6
	ds_read2_b32 v[50:51], v17 offset0:10 offset1:11
	s_waitcnt vmcnt(32) lgkmcnt(3)
	v_fma_f32 v7, -v6, v46, v7
	s_waitcnt vmcnt(30) lgkmcnt(2)
	v_pk_fma_f32 v[0:1], v[6:7], v[52:53], v[0:1] op_sel_hi:[0,1,1] neg_lo:[1,0,0] neg_hi:[1,0,0]
	s_waitcnt vmcnt(28) lgkmcnt(1)
	v_pk_fma_f32 v[28:29], v[6:7], v[54:55], v[28:29] op_sel_hi:[0,1,1] neg_lo:[1,0,0] neg_hi:[1,0,0]
	ds_read2_b32 v[52:53], v17 offset0:12 offset1:13
	ds_read2_b32 v[54:55], v17 offset0:14 offset1:15
	;; [unrolled: 1-line block ×3, first 2 shown]
	s_waitcnt vmcnt(26) lgkmcnt(3)
	v_pk_fma_f32 v[22:23], v[6:7], v[50:51], v[22:23] op_sel_hi:[0,1,1] neg_lo:[1,0,0] neg_hi:[1,0,0]
	ds_read2_b32 v[50:51], v17 offset0:18 offset1:19
	s_waitcnt vmcnt(24) lgkmcnt(3)
	v_pk_fma_f32 v[12:13], v[6:7], v[52:53], v[12:13] op_sel_hi:[0,1,1] neg_lo:[1,0,0] neg_hi:[1,0,0]
	s_waitcnt vmcnt(22) lgkmcnt(2)
	v_pk_fma_f32 v[8:9], v[6:7], v[54:55], v[8:9] op_sel_hi:[0,1,1] neg_lo:[1,0,0] neg_hi:[1,0,0]
	;; [unrolled: 2-line block ×3, first 2 shown]
	ds_read2_b32 v[52:53], v17 offset0:20 offset1:21
	ds_read2_b32 v[54:55], v17 offset0:22 offset1:23
	;; [unrolled: 1-line block ×4, first 2 shown]
	s_waitcnt vmcnt(18) lgkmcnt(4)
	v_pk_fma_f32 v[30:31], v[6:7], v[50:51], v[30:31] op_sel_hi:[0,1,1] neg_lo:[1,0,0] neg_hi:[1,0,0]
	s_waitcnt vmcnt(16) lgkmcnt(3)
	v_pk_fma_f32 v[24:25], v[6:7], v[52:53], v[24:25] op_sel_hi:[0,1,1] neg_lo:[1,0,0] neg_hi:[1,0,0]
	;; [unrolled: 2-line block ×5, first 2 shown]
	ds_read2_b32 v[50:51], v17 offset0:28 offset1:29
	ds_read2_b32 v[52:53], v17 offset0:30 offset1:31
	;; [unrolled: 1-line block ×5, first 2 shown]
	s_waitcnt vmcnt(8) lgkmcnt(4)
	v_pk_fma_f32 v[32:33], v[6:7], v[50:51], v[32:33] op_sel_hi:[0,1,1] neg_lo:[1,0,0] neg_hi:[1,0,0]
	s_waitcnt vmcnt(6) lgkmcnt(3)
	v_pk_fma_f32 v[26:27], v[6:7], v[52:53], v[26:27] op_sel_hi:[0,1,1] neg_lo:[1,0,0] neg_hi:[1,0,0]
	;; [unrolled: 2-line block ×5, first 2 shown]
.LBB74_80:
	s_or_b64 exec, exec, s[0:1]
	v_lshl_add_u32 v46, v49, 2, v17
	s_barrier
	s_waitcnt vmcnt(32)
	ds_write_b32 v46, v7
	s_waitcnt lgkmcnt(0)
	s_barrier
	ds_read_b32 v50, v17 offset:20
	s_cmp_lt_i32 s22, 7
	v_mov_b32_e32 v46, 5
	s_cbranch_scc1 .LBB74_83
; %bb.81:
	v_add3_u32 v51, v48, 0, 24
	v_mov_b32_e32 v46, 5
	s_mov_b32 s0, 6
.LBB74_82:                              ; =>This Inner Loop Header: Depth=1
	ds_read_b32 v52, v51
	v_mov_b32_e32 v53, s0
	s_add_i32 s0, s0, 1
	v_add_u32_e32 v51, 4, v51
	s_cmp_lg_u32 s22, s0
	s_waitcnt lgkmcnt(0)
	v_cmp_lt_f32_e64 vcc, |v50|, |v52|
	s_nop 1
	v_cndmask_b32_e32 v50, v50, v52, vcc
	v_cndmask_b32_e32 v46, v46, v53, vcc
	s_cbranch_scc1 .LBB74_82
.LBB74_83:
	s_waitcnt lgkmcnt(0)
	v_cmp_eq_f32_e32 vcc, 0, v50
	s_and_saveexec_b64 s[0:1], vcc
	s_xor_b64 s[0:1], exec, s[0:1]
; %bb.84:
	v_cmp_ne_u32_e32 vcc, 0, v19
	s_nop 1
	v_cndmask_b32_e32 v19, 6, v19, vcc
; %bb.85:
	s_andn2_saveexec_b64 s[0:1], s[0:1]
	s_cbranch_execz .LBB74_87
; %bb.86:
	v_div_scale_f32 v51, s[2:3], v50, v50, 1.0
	v_rcp_f32_e32 v52, v51
	v_div_scale_f32 v53, vcc, 1.0, v50, 1.0
	v_fma_f32 v54, -v51, v52, 1.0
	v_fmac_f32_e32 v52, v54, v52
	v_mul_f32_e32 v54, v53, v52
	v_fma_f32 v55, -v51, v54, v53
	v_fmac_f32_e32 v54, v55, v52
	v_fma_f32 v51, -v51, v54, v53
	v_div_fmas_f32 v51, v51, v52, v54
	v_div_fixup_f32 v50, v51, v50, 1.0
.LBB74_87:
	s_or_b64 exec, exec, s[0:1]
	v_cmp_ne_u32_e32 vcc, v49, v46
	s_and_saveexec_b64 s[0:1], vcc
	s_xor_b64 s[0:1], exec, s[0:1]
	s_cbranch_execz .LBB74_93
; %bb.88:
	v_cmp_eq_u32_e32 vcc, 5, v49
	s_and_saveexec_b64 s[2:3], vcc
	s_cbranch_execz .LBB74_92
; %bb.89:
	v_cmp_ne_u32_e32 vcc, 5, v46
	s_xor_b64 s[18:19], s[16:17], -1
	s_and_b64 s[20:21], s[18:19], vcc
	s_and_saveexec_b64 s[18:19], s[20:21]
	s_cbranch_execz .LBB74_91
; %bb.90:
	v_ashrrev_i32_e32 v47, 31, v46
	v_lshl_add_u64 v[52:53], v[46:47], 2, v[20:21]
	global_load_dword v47, v[52:53], off
	global_load_dword v49, v[20:21], off offset:20
	s_waitcnt vmcnt(1)
	global_store_dword v[20:21], v47, off offset:20
	s_waitcnt vmcnt(1)
	global_store_dword v[52:53], v49, off
.LBB74_91:
	s_or_b64 exec, exec, s[18:19]
	v_mov_b32_e32 v47, v46
	v_mov_b32_e32 v49, v46
.LBB74_92:
	s_or_b64 exec, exec, s[2:3]
.LBB74_93:
	s_andn2_saveexec_b64 s[0:1], s[0:1]
	s_cbranch_execz .LBB74_95
; %bb.94:
	v_mov_b32_e32 v49, 5
	s_waitcnt vmcnt(30)
	ds_write2_b32 v17, v0, v1 offset0:6 offset1:7
	s_waitcnt vmcnt(28)
	ds_write2_b32 v17, v28, v29 offset0:8 offset1:9
	;; [unrolled: 2-line block ×16, first 2 shown]
.LBB74_95:
	s_or_b64 exec, exec, s[0:1]
	v_cmp_lt_i32_e32 vcc, 5, v49
	s_waitcnt lgkmcnt(0)
	s_barrier
	s_and_saveexec_b64 s[0:1], vcc
	s_cbranch_execz .LBB74_97
; %bb.96:
	ds_read2_b32 v[52:53], v17 offset0:6 offset1:7
	ds_read2_b32 v[54:55], v17 offset0:8 offset1:9
	;; [unrolled: 1-line block ×3, first 2 shown]
	v_mul_f32_e32 v46, v50, v7
	ds_read2_b32 v[50:51], v17 offset0:12 offset1:13
	s_waitcnt vmcnt(30) lgkmcnt(3)
	v_pk_fma_f32 v[0:1], v[46:47], v[52:53], v[0:1] op_sel_hi:[0,1,1] neg_lo:[1,0,0] neg_hi:[1,0,0]
	s_waitcnt vmcnt(28) lgkmcnt(2)
	v_pk_fma_f32 v[28:29], v[46:47], v[54:55], v[28:29] op_sel_hi:[0,1,1] neg_lo:[1,0,0] neg_hi:[1,0,0]
	s_waitcnt vmcnt(26) lgkmcnt(1)
	v_pk_fma_f32 v[22:23], v[46:47], v[56:57], v[22:23] op_sel_hi:[0,1,1] neg_lo:[1,0,0] neg_hi:[1,0,0]
	ds_read2_b32 v[52:53], v17 offset0:14 offset1:15
	ds_read2_b32 v[54:55], v17 offset0:16 offset1:17
	;; [unrolled: 1-line block ×3, first 2 shown]
	s_waitcnt vmcnt(24) lgkmcnt(3)
	v_pk_fma_f32 v[12:13], v[46:47], v[50:51], v[12:13] op_sel_hi:[0,1,1] neg_lo:[1,0,0] neg_hi:[1,0,0]
	ds_read2_b32 v[50:51], v17 offset0:20 offset1:21
	s_waitcnt vmcnt(22) lgkmcnt(3)
	v_pk_fma_f32 v[8:9], v[46:47], v[52:53], v[8:9] op_sel_hi:[0,1,1] neg_lo:[1,0,0] neg_hi:[1,0,0]
	s_waitcnt vmcnt(20) lgkmcnt(2)
	v_pk_fma_f32 v[34:35], v[46:47], v[54:55], v[34:35] op_sel_hi:[0,1,1] neg_lo:[1,0,0] neg_hi:[1,0,0]
	;; [unrolled: 2-line block ×3, first 2 shown]
	ds_read2_b32 v[52:53], v17 offset0:22 offset1:23
	ds_read2_b32 v[54:55], v17 offset0:24 offset1:25
	;; [unrolled: 1-line block ×3, first 2 shown]
	s_waitcnt vmcnt(16) lgkmcnt(3)
	v_pk_fma_f32 v[24:25], v[46:47], v[50:51], v[24:25] op_sel_hi:[0,1,1] neg_lo:[1,0,0] neg_hi:[1,0,0]
	ds_read2_b32 v[50:51], v17 offset0:28 offset1:29
	s_waitcnt vmcnt(14) lgkmcnt(3)
	v_pk_fma_f32 v[14:15], v[46:47], v[52:53], v[14:15] op_sel_hi:[0,1,1] neg_lo:[1,0,0] neg_hi:[1,0,0]
	s_waitcnt vmcnt(12) lgkmcnt(2)
	v_pk_fma_f32 v[42:43], v[46:47], v[54:55], v[42:43] op_sel_hi:[0,1,1] neg_lo:[1,0,0] neg_hi:[1,0,0]
	;; [unrolled: 2-line block ×3, first 2 shown]
	ds_read2_b32 v[52:53], v17 offset0:30 offset1:31
	ds_read2_b32 v[54:55], v17 offset0:32 offset1:33
	;; [unrolled: 1-line block ×4, first 2 shown]
	s_waitcnt vmcnt(8) lgkmcnt(4)
	v_pk_fma_f32 v[32:33], v[46:47], v[50:51], v[32:33] op_sel_hi:[0,1,1] neg_lo:[1,0,0] neg_hi:[1,0,0]
	s_waitcnt vmcnt(6) lgkmcnt(3)
	v_pk_fma_f32 v[26:27], v[46:47], v[52:53], v[26:27] op_sel_hi:[0,1,1] neg_lo:[1,0,0] neg_hi:[1,0,0]
	;; [unrolled: 2-line block ×5, first 2 shown]
	v_mov_b32_e32 v7, v46
.LBB74_97:
	s_or_b64 exec, exec, s[0:1]
	v_lshl_add_u32 v46, v49, 2, v17
	s_barrier
	s_waitcnt vmcnt(31)
	ds_write_b32 v46, v0
	s_waitcnt lgkmcnt(0)
	s_barrier
	ds_read_b32 v50, v17 offset:24
	s_cmp_lt_i32 s22, 8
	v_mov_b32_e32 v46, 6
	s_cbranch_scc1 .LBB74_100
; %bb.98:
	v_add3_u32 v51, v48, 0, 28
	v_mov_b32_e32 v46, 6
	s_mov_b32 s0, 7
.LBB74_99:                              ; =>This Inner Loop Header: Depth=1
	ds_read_b32 v52, v51
	v_mov_b32_e32 v53, s0
	s_add_i32 s0, s0, 1
	v_add_u32_e32 v51, 4, v51
	s_cmp_lg_u32 s22, s0
	s_waitcnt lgkmcnt(0)
	v_cmp_lt_f32_e64 vcc, |v50|, |v52|
	s_nop 1
	v_cndmask_b32_e32 v50, v50, v52, vcc
	v_cndmask_b32_e32 v46, v46, v53, vcc
	s_cbranch_scc1 .LBB74_99
.LBB74_100:
	s_waitcnt lgkmcnt(0)
	v_cmp_eq_f32_e32 vcc, 0, v50
	s_and_saveexec_b64 s[0:1], vcc
	s_xor_b64 s[0:1], exec, s[0:1]
; %bb.101:
	v_cmp_ne_u32_e32 vcc, 0, v19
	s_nop 1
	v_cndmask_b32_e32 v19, 7, v19, vcc
; %bb.102:
	s_andn2_saveexec_b64 s[0:1], s[0:1]
	s_cbranch_execz .LBB74_104
; %bb.103:
	v_div_scale_f32 v51, s[2:3], v50, v50, 1.0
	v_rcp_f32_e32 v52, v51
	v_div_scale_f32 v53, vcc, 1.0, v50, 1.0
	v_fma_f32 v54, -v51, v52, 1.0
	v_fmac_f32_e32 v52, v54, v52
	v_mul_f32_e32 v54, v53, v52
	v_fma_f32 v55, -v51, v54, v53
	v_fmac_f32_e32 v54, v55, v52
	v_fma_f32 v51, -v51, v54, v53
	v_div_fmas_f32 v51, v51, v52, v54
	v_div_fixup_f32 v50, v51, v50, 1.0
.LBB74_104:
	s_or_b64 exec, exec, s[0:1]
	v_cmp_ne_u32_e32 vcc, v49, v46
	s_and_saveexec_b64 s[0:1], vcc
	s_xor_b64 s[0:1], exec, s[0:1]
	s_cbranch_execz .LBB74_110
; %bb.105:
	v_cmp_eq_u32_e32 vcc, 6, v49
	s_and_saveexec_b64 s[2:3], vcc
	s_cbranch_execz .LBB74_109
; %bb.106:
	v_cmp_ne_u32_e32 vcc, 6, v46
	s_xor_b64 s[18:19], s[16:17], -1
	s_and_b64 s[20:21], s[18:19], vcc
	s_and_saveexec_b64 s[18:19], s[20:21]
	s_cbranch_execz .LBB74_108
; %bb.107:
	v_ashrrev_i32_e32 v47, 31, v46
	v_lshl_add_u64 v[52:53], v[46:47], 2, v[20:21]
	global_load_dword v47, v[52:53], off
	global_load_dword v49, v[20:21], off offset:24
	s_waitcnt vmcnt(1)
	global_store_dword v[20:21], v47, off offset:24
	s_waitcnt vmcnt(1)
	global_store_dword v[52:53], v49, off
.LBB74_108:
	s_or_b64 exec, exec, s[18:19]
	v_mov_b32_e32 v47, v46
	v_mov_b32_e32 v49, v46
.LBB74_109:
	s_or_b64 exec, exec, s[2:3]
.LBB74_110:
	s_andn2_saveexec_b64 s[0:1], s[0:1]
	s_cbranch_execz .LBB74_112
; %bb.111:
	s_waitcnt vmcnt(28)
	v_pk_mov_b32 v[52:53], v[0:1], v[28:29] op_sel:[1,0]
	ds_write2_b32 v17, v52, v53 offset0:7 offset1:8
	s_waitcnt vmcnt(26)
	v_pk_mov_b32 v[52:53], v[28:29], v[22:23] op_sel:[1,0]
	ds_write2_b32 v17, v52, v53 offset0:9 offset1:10
	;; [unrolled: 3-line block ×14, first 2 shown]
	s_waitcnt vmcnt(0)
	v_pk_mov_b32 v[52:53], v[40:41], v[36:37] op_sel:[1,0]
	v_mov_b32_e32 v49, 6
	ds_write2_b32 v17, v52, v53 offset0:35 offset1:36
	ds_write_b32 v17, v37 offset:148
.LBB74_112:
	s_or_b64 exec, exec, s[0:1]
	v_cmp_lt_i32_e32 vcc, 6, v49
	s_waitcnt lgkmcnt(0)
	s_barrier
	s_and_saveexec_b64 s[0:1], vcc
	s_cbranch_execz .LBB74_114
; %bb.113:
	ds_read_b32 v46, v17 offset:28
	ds_read2_b32 v[52:53], v17 offset0:8 offset1:9
	ds_read2_b32 v[54:55], v17 offset0:10 offset1:11
	v_mul_f32_e32 v0, v50, v0
	ds_read2_b32 v[50:51], v17 offset0:12 offset1:13
	s_waitcnt vmcnt(30) lgkmcnt(3)
	v_fma_f32 v1, -v0, v46, v1
	s_waitcnt vmcnt(28) lgkmcnt(2)
	v_pk_fma_f32 v[28:29], v[0:1], v[52:53], v[28:29] op_sel_hi:[0,1,1] neg_lo:[1,0,0] neg_hi:[1,0,0]
	s_waitcnt vmcnt(26) lgkmcnt(1)
	v_pk_fma_f32 v[22:23], v[0:1], v[54:55], v[22:23] op_sel_hi:[0,1,1] neg_lo:[1,0,0] neg_hi:[1,0,0]
	ds_read2_b32 v[52:53], v17 offset0:14 offset1:15
	ds_read2_b32 v[54:55], v17 offset0:16 offset1:17
	;; [unrolled: 1-line block ×3, first 2 shown]
	s_waitcnt vmcnt(24) lgkmcnt(3)
	v_pk_fma_f32 v[12:13], v[0:1], v[50:51], v[12:13] op_sel_hi:[0,1,1] neg_lo:[1,0,0] neg_hi:[1,0,0]
	ds_read2_b32 v[50:51], v17 offset0:20 offset1:21
	s_waitcnt vmcnt(22) lgkmcnt(3)
	v_pk_fma_f32 v[8:9], v[0:1], v[52:53], v[8:9] op_sel_hi:[0,1,1] neg_lo:[1,0,0] neg_hi:[1,0,0]
	s_waitcnt vmcnt(20) lgkmcnt(2)
	v_pk_fma_f32 v[34:35], v[0:1], v[54:55], v[34:35] op_sel_hi:[0,1,1] neg_lo:[1,0,0] neg_hi:[1,0,0]
	;; [unrolled: 2-line block ×3, first 2 shown]
	ds_read2_b32 v[52:53], v17 offset0:22 offset1:23
	ds_read2_b32 v[54:55], v17 offset0:24 offset1:25
	;; [unrolled: 1-line block ×3, first 2 shown]
	s_waitcnt vmcnt(16) lgkmcnt(3)
	v_pk_fma_f32 v[24:25], v[0:1], v[50:51], v[24:25] op_sel_hi:[0,1,1] neg_lo:[1,0,0] neg_hi:[1,0,0]
	ds_read2_b32 v[50:51], v17 offset0:28 offset1:29
	s_waitcnt vmcnt(14) lgkmcnt(3)
	v_pk_fma_f32 v[14:15], v[0:1], v[52:53], v[14:15] op_sel_hi:[0,1,1] neg_lo:[1,0,0] neg_hi:[1,0,0]
	s_waitcnt vmcnt(12) lgkmcnt(2)
	v_pk_fma_f32 v[42:43], v[0:1], v[54:55], v[42:43] op_sel_hi:[0,1,1] neg_lo:[1,0,0] neg_hi:[1,0,0]
	;; [unrolled: 2-line block ×3, first 2 shown]
	ds_read2_b32 v[52:53], v17 offset0:30 offset1:31
	ds_read2_b32 v[54:55], v17 offset0:32 offset1:33
	;; [unrolled: 1-line block ×4, first 2 shown]
	s_waitcnt vmcnt(8) lgkmcnt(4)
	v_pk_fma_f32 v[32:33], v[0:1], v[50:51], v[32:33] op_sel_hi:[0,1,1] neg_lo:[1,0,0] neg_hi:[1,0,0]
	s_waitcnt vmcnt(6) lgkmcnt(3)
	v_pk_fma_f32 v[26:27], v[0:1], v[52:53], v[26:27] op_sel_hi:[0,1,1] neg_lo:[1,0,0] neg_hi:[1,0,0]
	;; [unrolled: 2-line block ×5, first 2 shown]
.LBB74_114:
	s_or_b64 exec, exec, s[0:1]
	v_lshl_add_u32 v46, v49, 2, v17
	s_barrier
	s_waitcnt vmcnt(30)
	ds_write_b32 v46, v1
	s_waitcnt lgkmcnt(0)
	s_barrier
	ds_read_b32 v50, v17 offset:28
	s_cmp_lt_i32 s22, 9
	v_mov_b32_e32 v46, 7
	s_cbranch_scc1 .LBB74_117
; %bb.115:
	v_add3_u32 v51, v48, 0, 32
	v_mov_b32_e32 v46, 7
	s_mov_b32 s0, 8
.LBB74_116:                             ; =>This Inner Loop Header: Depth=1
	ds_read_b32 v52, v51
	v_mov_b32_e32 v53, s0
	s_add_i32 s0, s0, 1
	v_add_u32_e32 v51, 4, v51
	s_cmp_lg_u32 s22, s0
	s_waitcnt lgkmcnt(0)
	v_cmp_lt_f32_e64 vcc, |v50|, |v52|
	s_nop 1
	v_cndmask_b32_e32 v50, v50, v52, vcc
	v_cndmask_b32_e32 v46, v46, v53, vcc
	s_cbranch_scc1 .LBB74_116
.LBB74_117:
	s_waitcnt lgkmcnt(0)
	v_cmp_eq_f32_e32 vcc, 0, v50
	s_and_saveexec_b64 s[0:1], vcc
	s_xor_b64 s[0:1], exec, s[0:1]
; %bb.118:
	v_cmp_ne_u32_e32 vcc, 0, v19
	s_nop 1
	v_cndmask_b32_e32 v19, 8, v19, vcc
; %bb.119:
	s_andn2_saveexec_b64 s[0:1], s[0:1]
	s_cbranch_execz .LBB74_121
; %bb.120:
	v_div_scale_f32 v51, s[2:3], v50, v50, 1.0
	v_rcp_f32_e32 v52, v51
	v_div_scale_f32 v53, vcc, 1.0, v50, 1.0
	v_fma_f32 v54, -v51, v52, 1.0
	v_fmac_f32_e32 v52, v54, v52
	v_mul_f32_e32 v54, v53, v52
	v_fma_f32 v55, -v51, v54, v53
	v_fmac_f32_e32 v54, v55, v52
	v_fma_f32 v51, -v51, v54, v53
	v_div_fmas_f32 v51, v51, v52, v54
	v_div_fixup_f32 v50, v51, v50, 1.0
.LBB74_121:
	s_or_b64 exec, exec, s[0:1]
	v_cmp_ne_u32_e32 vcc, v49, v46
	s_and_saveexec_b64 s[0:1], vcc
	s_xor_b64 s[0:1], exec, s[0:1]
	s_cbranch_execz .LBB74_127
; %bb.122:
	v_cmp_eq_u32_e32 vcc, 7, v49
	s_and_saveexec_b64 s[2:3], vcc
	s_cbranch_execz .LBB74_126
; %bb.123:
	v_cmp_ne_u32_e32 vcc, 7, v46
	s_xor_b64 s[18:19], s[16:17], -1
	s_and_b64 s[20:21], s[18:19], vcc
	s_and_saveexec_b64 s[18:19], s[20:21]
	s_cbranch_execz .LBB74_125
; %bb.124:
	v_ashrrev_i32_e32 v47, 31, v46
	v_lshl_add_u64 v[52:53], v[46:47], 2, v[20:21]
	global_load_dword v47, v[52:53], off
	global_load_dword v49, v[20:21], off offset:28
	s_waitcnt vmcnt(1)
	global_store_dword v[20:21], v47, off offset:28
	s_waitcnt vmcnt(1)
	global_store_dword v[52:53], v49, off
.LBB74_125:
	s_or_b64 exec, exec, s[18:19]
	v_mov_b32_e32 v47, v46
	v_mov_b32_e32 v49, v46
.LBB74_126:
	s_or_b64 exec, exec, s[2:3]
.LBB74_127:
	s_andn2_saveexec_b64 s[0:1], s[0:1]
	s_cbranch_execz .LBB74_129
; %bb.128:
	v_mov_b32_e32 v49, 7
	s_waitcnt vmcnt(28)
	ds_write2_b32 v17, v28, v29 offset0:8 offset1:9
	s_waitcnt vmcnt(26)
	ds_write2_b32 v17, v22, v23 offset0:10 offset1:11
	;; [unrolled: 2-line block ×15, first 2 shown]
.LBB74_129:
	s_or_b64 exec, exec, s[0:1]
	v_cmp_lt_i32_e32 vcc, 7, v49
	s_waitcnt lgkmcnt(0)
	s_barrier
	s_and_saveexec_b64 s[0:1], vcc
	s_cbranch_execz .LBB74_131
; %bb.130:
	ds_read2_b32 v[52:53], v17 offset0:8 offset1:9
	ds_read2_b32 v[54:55], v17 offset0:10 offset1:11
	;; [unrolled: 1-line block ×3, first 2 shown]
	v_mul_f32_e32 v46, v50, v1
	ds_read2_b32 v[50:51], v17 offset0:14 offset1:15
	s_waitcnt vmcnt(28) lgkmcnt(3)
	v_pk_fma_f32 v[28:29], v[46:47], v[52:53], v[28:29] op_sel_hi:[0,1,1] neg_lo:[1,0,0] neg_hi:[1,0,0]
	s_waitcnt vmcnt(26) lgkmcnt(2)
	v_pk_fma_f32 v[22:23], v[46:47], v[54:55], v[22:23] op_sel_hi:[0,1,1] neg_lo:[1,0,0] neg_hi:[1,0,0]
	;; [unrolled: 2-line block ×3, first 2 shown]
	ds_read2_b32 v[52:53], v17 offset0:16 offset1:17
	ds_read2_b32 v[54:55], v17 offset0:18 offset1:19
	;; [unrolled: 1-line block ×3, first 2 shown]
	s_waitcnt vmcnt(22) lgkmcnt(3)
	v_pk_fma_f32 v[8:9], v[46:47], v[50:51], v[8:9] op_sel_hi:[0,1,1] neg_lo:[1,0,0] neg_hi:[1,0,0]
	ds_read2_b32 v[50:51], v17 offset0:22 offset1:23
	s_waitcnt vmcnt(20) lgkmcnt(3)
	v_pk_fma_f32 v[34:35], v[46:47], v[52:53], v[34:35] op_sel_hi:[0,1,1] neg_lo:[1,0,0] neg_hi:[1,0,0]
	s_waitcnt vmcnt(18) lgkmcnt(2)
	v_pk_fma_f32 v[30:31], v[46:47], v[54:55], v[30:31] op_sel_hi:[0,1,1] neg_lo:[1,0,0] neg_hi:[1,0,0]
	ds_read2_b32 v[52:53], v17 offset0:24 offset1:25
	ds_read2_b32 v[54:55], v17 offset0:26 offset1:27
	s_waitcnt vmcnt(16) lgkmcnt(3)
	v_pk_fma_f32 v[24:25], v[46:47], v[56:57], v[24:25] op_sel_hi:[0,1,1] neg_lo:[1,0,0] neg_hi:[1,0,0]
	s_waitcnt vmcnt(14) lgkmcnt(2)
	v_pk_fma_f32 v[14:15], v[46:47], v[50:51], v[14:15] op_sel_hi:[0,1,1] neg_lo:[1,0,0] neg_hi:[1,0,0]
	ds_read2_b32 v[50:51], v17 offset0:28 offset1:29
	ds_read2_b32 v[56:57], v17 offset0:30 offset1:31
	s_waitcnt vmcnt(12) lgkmcnt(3)
	v_pk_fma_f32 v[42:43], v[46:47], v[52:53], v[42:43] op_sel_hi:[0,1,1] neg_lo:[1,0,0] neg_hi:[1,0,0]
	s_waitcnt vmcnt(10) lgkmcnt(2)
	v_pk_fma_f32 v[38:39], v[46:47], v[54:55], v[38:39] op_sel_hi:[0,1,1] neg_lo:[1,0,0] neg_hi:[1,0,0]
	ds_read2_b32 v[52:53], v17 offset0:32 offset1:33
	ds_read2_b32 v[54:55], v17 offset0:34 offset1:35
	ds_read2_b32 v[58:59], v17 offset0:36 offset1:37
	s_waitcnt vmcnt(8) lgkmcnt(4)
	v_pk_fma_f32 v[32:33], v[46:47], v[50:51], v[32:33] op_sel_hi:[0,1,1] neg_lo:[1,0,0] neg_hi:[1,0,0]
	s_waitcnt vmcnt(6) lgkmcnt(3)
	v_pk_fma_f32 v[26:27], v[46:47], v[56:57], v[26:27] op_sel_hi:[0,1,1] neg_lo:[1,0,0] neg_hi:[1,0,0]
	;; [unrolled: 2-line block ×5, first 2 shown]
	v_mov_b32_e32 v1, v46
.LBB74_131:
	s_or_b64 exec, exec, s[0:1]
	v_lshl_add_u32 v46, v49, 2, v17
	s_barrier
	s_waitcnt vmcnt(29)
	ds_write_b32 v46, v28
	s_waitcnt lgkmcnt(0)
	s_barrier
	ds_read_b32 v50, v17 offset:32
	s_cmp_lt_i32 s22, 10
	v_mov_b32_e32 v46, 8
	s_cbranch_scc1 .LBB74_134
; %bb.132:
	v_add3_u32 v51, v48, 0, 36
	v_mov_b32_e32 v46, 8
	s_mov_b32 s0, 9
.LBB74_133:                             ; =>This Inner Loop Header: Depth=1
	ds_read_b32 v52, v51
	v_mov_b32_e32 v53, s0
	s_add_i32 s0, s0, 1
	v_add_u32_e32 v51, 4, v51
	s_cmp_lg_u32 s22, s0
	s_waitcnt lgkmcnt(0)
	v_cmp_lt_f32_e64 vcc, |v50|, |v52|
	s_nop 1
	v_cndmask_b32_e32 v50, v50, v52, vcc
	v_cndmask_b32_e32 v46, v46, v53, vcc
	s_cbranch_scc1 .LBB74_133
.LBB74_134:
	s_waitcnt lgkmcnt(0)
	v_cmp_eq_f32_e32 vcc, 0, v50
	s_and_saveexec_b64 s[0:1], vcc
	s_xor_b64 s[0:1], exec, s[0:1]
; %bb.135:
	v_cmp_ne_u32_e32 vcc, 0, v19
	s_nop 1
	v_cndmask_b32_e32 v19, 9, v19, vcc
; %bb.136:
	s_andn2_saveexec_b64 s[0:1], s[0:1]
	s_cbranch_execz .LBB74_138
; %bb.137:
	v_div_scale_f32 v51, s[2:3], v50, v50, 1.0
	v_rcp_f32_e32 v52, v51
	v_div_scale_f32 v53, vcc, 1.0, v50, 1.0
	v_fma_f32 v54, -v51, v52, 1.0
	v_fmac_f32_e32 v52, v54, v52
	v_mul_f32_e32 v54, v53, v52
	v_fma_f32 v55, -v51, v54, v53
	v_fmac_f32_e32 v54, v55, v52
	v_fma_f32 v51, -v51, v54, v53
	v_div_fmas_f32 v51, v51, v52, v54
	v_div_fixup_f32 v50, v51, v50, 1.0
.LBB74_138:
	s_or_b64 exec, exec, s[0:1]
	v_cmp_ne_u32_e32 vcc, v49, v46
	s_and_saveexec_b64 s[0:1], vcc
	s_xor_b64 s[0:1], exec, s[0:1]
	s_cbranch_execz .LBB74_144
; %bb.139:
	v_cmp_eq_u32_e32 vcc, 8, v49
	s_and_saveexec_b64 s[2:3], vcc
	s_cbranch_execz .LBB74_143
; %bb.140:
	v_cmp_ne_u32_e32 vcc, 8, v46
	s_xor_b64 s[18:19], s[16:17], -1
	s_and_b64 s[20:21], s[18:19], vcc
	s_and_saveexec_b64 s[18:19], s[20:21]
	s_cbranch_execz .LBB74_142
; %bb.141:
	v_ashrrev_i32_e32 v47, 31, v46
	v_lshl_add_u64 v[52:53], v[46:47], 2, v[20:21]
	global_load_dword v47, v[52:53], off
	global_load_dword v49, v[20:21], off offset:32
	s_waitcnt vmcnt(1)
	global_store_dword v[20:21], v47, off offset:32
	s_waitcnt vmcnt(1)
	global_store_dword v[52:53], v49, off
.LBB74_142:
	s_or_b64 exec, exec, s[18:19]
	v_mov_b32_e32 v47, v46
	v_mov_b32_e32 v49, v46
.LBB74_143:
	s_or_b64 exec, exec, s[2:3]
.LBB74_144:
	s_andn2_saveexec_b64 s[0:1], s[0:1]
	s_cbranch_execz .LBB74_146
; %bb.145:
	s_waitcnt vmcnt(26)
	v_pk_mov_b32 v[52:53], v[28:29], v[22:23] op_sel:[1,0]
	ds_write2_b32 v17, v52, v53 offset0:9 offset1:10
	s_waitcnt vmcnt(24)
	v_pk_mov_b32 v[52:53], v[22:23], v[12:13] op_sel:[1,0]
	ds_write2_b32 v17, v52, v53 offset0:11 offset1:12
	;; [unrolled: 3-line block ×13, first 2 shown]
	s_waitcnt vmcnt(0)
	v_pk_mov_b32 v[52:53], v[40:41], v[36:37] op_sel:[1,0]
	v_mov_b32_e32 v49, 8
	ds_write2_b32 v17, v52, v53 offset0:35 offset1:36
	ds_write_b32 v17, v37 offset:148
.LBB74_146:
	s_or_b64 exec, exec, s[0:1]
	v_cmp_lt_i32_e32 vcc, 8, v49
	s_waitcnt lgkmcnt(0)
	s_barrier
	s_and_saveexec_b64 s[0:1], vcc
	s_cbranch_execz .LBB74_148
; %bb.147:
	ds_read_b32 v46, v17 offset:36
	ds_read2_b32 v[52:53], v17 offset0:10 offset1:11
	ds_read2_b32 v[54:55], v17 offset0:12 offset1:13
	v_mul_f32_e32 v28, v50, v28
	ds_read2_b32 v[50:51], v17 offset0:14 offset1:15
	s_waitcnt vmcnt(28) lgkmcnt(3)
	v_fma_f32 v29, -v28, v46, v29
	s_waitcnt vmcnt(26) lgkmcnt(2)
	v_pk_fma_f32 v[22:23], v[28:29], v[52:53], v[22:23] op_sel_hi:[0,1,1] neg_lo:[1,0,0] neg_hi:[1,0,0]
	s_waitcnt vmcnt(24) lgkmcnt(1)
	v_pk_fma_f32 v[12:13], v[28:29], v[54:55], v[12:13] op_sel_hi:[0,1,1] neg_lo:[1,0,0] neg_hi:[1,0,0]
	ds_read2_b32 v[52:53], v17 offset0:16 offset1:17
	ds_read2_b32 v[54:55], v17 offset0:18 offset1:19
	;; [unrolled: 1-line block ×3, first 2 shown]
	s_waitcnt vmcnt(22) lgkmcnt(3)
	v_pk_fma_f32 v[8:9], v[28:29], v[50:51], v[8:9] op_sel_hi:[0,1,1] neg_lo:[1,0,0] neg_hi:[1,0,0]
	ds_read2_b32 v[50:51], v17 offset0:22 offset1:23
	s_waitcnt vmcnt(20) lgkmcnt(3)
	v_pk_fma_f32 v[34:35], v[28:29], v[52:53], v[34:35] op_sel_hi:[0,1,1] neg_lo:[1,0,0] neg_hi:[1,0,0]
	s_waitcnt vmcnt(18) lgkmcnt(2)
	v_pk_fma_f32 v[30:31], v[28:29], v[54:55], v[30:31] op_sel_hi:[0,1,1] neg_lo:[1,0,0] neg_hi:[1,0,0]
	ds_read2_b32 v[52:53], v17 offset0:24 offset1:25
	ds_read2_b32 v[54:55], v17 offset0:26 offset1:27
	s_waitcnt vmcnt(16) lgkmcnt(3)
	v_pk_fma_f32 v[24:25], v[28:29], v[56:57], v[24:25] op_sel_hi:[0,1,1] neg_lo:[1,0,0] neg_hi:[1,0,0]
	s_waitcnt vmcnt(14) lgkmcnt(2)
	v_pk_fma_f32 v[14:15], v[28:29], v[50:51], v[14:15] op_sel_hi:[0,1,1] neg_lo:[1,0,0] neg_hi:[1,0,0]
	ds_read2_b32 v[50:51], v17 offset0:28 offset1:29
	;; [unrolled: 6-line block ×3, first 2 shown]
	ds_read2_b32 v[54:55], v17 offset0:34 offset1:35
	ds_read2_b32 v[58:59], v17 offset0:36 offset1:37
	s_waitcnt vmcnt(8) lgkmcnt(4)
	v_pk_fma_f32 v[32:33], v[28:29], v[50:51], v[32:33] op_sel_hi:[0,1,1] neg_lo:[1,0,0] neg_hi:[1,0,0]
	s_waitcnt vmcnt(6) lgkmcnt(3)
	v_pk_fma_f32 v[26:27], v[28:29], v[56:57], v[26:27] op_sel_hi:[0,1,1] neg_lo:[1,0,0] neg_hi:[1,0,0]
	s_waitcnt vmcnt(4) lgkmcnt(2)
	v_pk_fma_f32 v[44:45], v[28:29], v[52:53], v[44:45] op_sel_hi:[0,1,1] neg_lo:[1,0,0] neg_hi:[1,0,0]
	s_waitcnt vmcnt(2) lgkmcnt(1)
	v_pk_fma_f32 v[40:41], v[28:29], v[54:55], v[40:41] op_sel_hi:[0,1,1] neg_lo:[1,0,0] neg_hi:[1,0,0]
	s_waitcnt vmcnt(0) lgkmcnt(0)
	v_pk_fma_f32 v[36:37], v[28:29], v[58:59], v[36:37] op_sel_hi:[0,1,1] neg_lo:[1,0,0] neg_hi:[1,0,0]
.LBB74_148:
	s_or_b64 exec, exec, s[0:1]
	v_lshl_add_u32 v46, v49, 2, v17
	s_barrier
	s_waitcnt vmcnt(28)
	ds_write_b32 v46, v29
	s_waitcnt lgkmcnt(0)
	s_barrier
	ds_read_b32 v50, v17 offset:36
	s_cmp_lt_i32 s22, 11
	v_mov_b32_e32 v46, 9
	s_cbranch_scc1 .LBB74_151
; %bb.149:
	v_add3_u32 v51, v48, 0, 40
	v_mov_b32_e32 v46, 9
	s_mov_b32 s0, 10
.LBB74_150:                             ; =>This Inner Loop Header: Depth=1
	ds_read_b32 v52, v51
	v_mov_b32_e32 v53, s0
	s_add_i32 s0, s0, 1
	v_add_u32_e32 v51, 4, v51
	s_cmp_lg_u32 s22, s0
	s_waitcnt lgkmcnt(0)
	v_cmp_lt_f32_e64 vcc, |v50|, |v52|
	s_nop 1
	v_cndmask_b32_e32 v50, v50, v52, vcc
	v_cndmask_b32_e32 v46, v46, v53, vcc
	s_cbranch_scc1 .LBB74_150
.LBB74_151:
	s_waitcnt lgkmcnt(0)
	v_cmp_eq_f32_e32 vcc, 0, v50
	s_and_saveexec_b64 s[0:1], vcc
	s_xor_b64 s[0:1], exec, s[0:1]
; %bb.152:
	v_cmp_ne_u32_e32 vcc, 0, v19
	s_nop 1
	v_cndmask_b32_e32 v19, 10, v19, vcc
; %bb.153:
	s_andn2_saveexec_b64 s[0:1], s[0:1]
	s_cbranch_execz .LBB74_155
; %bb.154:
	v_div_scale_f32 v51, s[2:3], v50, v50, 1.0
	v_rcp_f32_e32 v52, v51
	v_div_scale_f32 v53, vcc, 1.0, v50, 1.0
	v_fma_f32 v54, -v51, v52, 1.0
	v_fmac_f32_e32 v52, v54, v52
	v_mul_f32_e32 v54, v53, v52
	v_fma_f32 v55, -v51, v54, v53
	v_fmac_f32_e32 v54, v55, v52
	v_fma_f32 v51, -v51, v54, v53
	v_div_fmas_f32 v51, v51, v52, v54
	v_div_fixup_f32 v50, v51, v50, 1.0
.LBB74_155:
	s_or_b64 exec, exec, s[0:1]
	v_cmp_ne_u32_e32 vcc, v49, v46
	s_and_saveexec_b64 s[0:1], vcc
	s_xor_b64 s[0:1], exec, s[0:1]
	s_cbranch_execz .LBB74_161
; %bb.156:
	v_cmp_eq_u32_e32 vcc, 9, v49
	s_and_saveexec_b64 s[2:3], vcc
	s_cbranch_execz .LBB74_160
; %bb.157:
	v_cmp_ne_u32_e32 vcc, 9, v46
	s_xor_b64 s[18:19], s[16:17], -1
	s_and_b64 s[20:21], s[18:19], vcc
	s_and_saveexec_b64 s[18:19], s[20:21]
	s_cbranch_execz .LBB74_159
; %bb.158:
	v_ashrrev_i32_e32 v47, 31, v46
	v_lshl_add_u64 v[52:53], v[46:47], 2, v[20:21]
	global_load_dword v47, v[52:53], off
	global_load_dword v49, v[20:21], off offset:36
	s_waitcnt vmcnt(1)
	global_store_dword v[20:21], v47, off offset:36
	s_waitcnt vmcnt(1)
	global_store_dword v[52:53], v49, off
.LBB74_159:
	s_or_b64 exec, exec, s[18:19]
	v_mov_b32_e32 v47, v46
	v_mov_b32_e32 v49, v46
.LBB74_160:
	s_or_b64 exec, exec, s[2:3]
.LBB74_161:
	s_andn2_saveexec_b64 s[0:1], s[0:1]
	s_cbranch_execz .LBB74_163
; %bb.162:
	v_mov_b32_e32 v49, 9
	s_waitcnt vmcnt(26)
	ds_write2_b32 v17, v22, v23 offset0:10 offset1:11
	s_waitcnt vmcnt(24)
	ds_write2_b32 v17, v12, v13 offset0:12 offset1:13
	;; [unrolled: 2-line block ×14, first 2 shown]
.LBB74_163:
	s_or_b64 exec, exec, s[0:1]
	v_cmp_lt_i32_e32 vcc, 9, v49
	s_waitcnt lgkmcnt(0)
	s_barrier
	s_and_saveexec_b64 s[0:1], vcc
	s_cbranch_execz .LBB74_165
; %bb.164:
	ds_read2_b32 v[52:53], v17 offset0:10 offset1:11
	ds_read2_b32 v[54:55], v17 offset0:12 offset1:13
	;; [unrolled: 1-line block ×3, first 2 shown]
	v_mul_f32_e32 v46, v50, v29
	ds_read2_b32 v[50:51], v17 offset0:16 offset1:17
	s_waitcnt vmcnt(26) lgkmcnt(3)
	v_pk_fma_f32 v[22:23], v[46:47], v[52:53], v[22:23] op_sel_hi:[0,1,1] neg_lo:[1,0,0] neg_hi:[1,0,0]
	s_waitcnt vmcnt(24) lgkmcnt(2)
	v_pk_fma_f32 v[12:13], v[46:47], v[54:55], v[12:13] op_sel_hi:[0,1,1] neg_lo:[1,0,0] neg_hi:[1,0,0]
	;; [unrolled: 2-line block ×3, first 2 shown]
	ds_read2_b32 v[52:53], v17 offset0:18 offset1:19
	ds_read2_b32 v[54:55], v17 offset0:20 offset1:21
	;; [unrolled: 1-line block ×3, first 2 shown]
	s_waitcnt vmcnt(20) lgkmcnt(3)
	v_pk_fma_f32 v[34:35], v[46:47], v[50:51], v[34:35] op_sel_hi:[0,1,1] neg_lo:[1,0,0] neg_hi:[1,0,0]
	ds_read2_b32 v[50:51], v17 offset0:24 offset1:25
	s_waitcnt vmcnt(18) lgkmcnt(3)
	v_pk_fma_f32 v[30:31], v[46:47], v[52:53], v[30:31] op_sel_hi:[0,1,1] neg_lo:[1,0,0] neg_hi:[1,0,0]
	ds_read2_b32 v[52:53], v17 offset0:26 offset1:27
	s_waitcnt vmcnt(16) lgkmcnt(3)
	v_pk_fma_f32 v[24:25], v[46:47], v[54:55], v[24:25] op_sel_hi:[0,1,1] neg_lo:[1,0,0] neg_hi:[1,0,0]
	s_waitcnt vmcnt(14) lgkmcnt(2)
	v_pk_fma_f32 v[14:15], v[46:47], v[56:57], v[14:15] op_sel_hi:[0,1,1] neg_lo:[1,0,0] neg_hi:[1,0,0]
	;; [unrolled: 2-line block ×3, first 2 shown]
	ds_read2_b32 v[50:51], v17 offset0:28 offset1:29
	ds_read2_b32 v[54:55], v17 offset0:30 offset1:31
	;; [unrolled: 1-line block ×3, first 2 shown]
	s_waitcnt vmcnt(10) lgkmcnt(3)
	v_pk_fma_f32 v[38:39], v[46:47], v[52:53], v[38:39] op_sel_hi:[0,1,1] neg_lo:[1,0,0] neg_hi:[1,0,0]
	ds_read2_b32 v[52:53], v17 offset0:34 offset1:35
	ds_read2_b32 v[58:59], v17 offset0:36 offset1:37
	s_waitcnt vmcnt(8) lgkmcnt(4)
	v_pk_fma_f32 v[32:33], v[46:47], v[50:51], v[32:33] op_sel_hi:[0,1,1] neg_lo:[1,0,0] neg_hi:[1,0,0]
	s_waitcnt vmcnt(6) lgkmcnt(3)
	v_pk_fma_f32 v[26:27], v[46:47], v[54:55], v[26:27] op_sel_hi:[0,1,1] neg_lo:[1,0,0] neg_hi:[1,0,0]
	;; [unrolled: 2-line block ×5, first 2 shown]
	v_mov_b32_e32 v29, v46
.LBB74_165:
	s_or_b64 exec, exec, s[0:1]
	v_lshl_add_u32 v46, v49, 2, v17
	s_barrier
	s_waitcnt vmcnt(27)
	ds_write_b32 v46, v22
	s_waitcnt lgkmcnt(0)
	s_barrier
	ds_read_b32 v50, v17 offset:40
	s_cmp_lt_i32 s22, 12
	v_mov_b32_e32 v46, 10
	s_cbranch_scc1 .LBB74_168
; %bb.166:
	v_add3_u32 v51, v48, 0, 44
	v_mov_b32_e32 v46, 10
	s_mov_b32 s0, 11
.LBB74_167:                             ; =>This Inner Loop Header: Depth=1
	ds_read_b32 v52, v51
	v_mov_b32_e32 v53, s0
	s_add_i32 s0, s0, 1
	v_add_u32_e32 v51, 4, v51
	s_cmp_lg_u32 s22, s0
	s_waitcnt lgkmcnt(0)
	v_cmp_lt_f32_e64 vcc, |v50|, |v52|
	s_nop 1
	v_cndmask_b32_e32 v50, v50, v52, vcc
	v_cndmask_b32_e32 v46, v46, v53, vcc
	s_cbranch_scc1 .LBB74_167
.LBB74_168:
	s_waitcnt lgkmcnt(0)
	v_cmp_eq_f32_e32 vcc, 0, v50
	s_and_saveexec_b64 s[0:1], vcc
	s_xor_b64 s[0:1], exec, s[0:1]
; %bb.169:
	v_cmp_ne_u32_e32 vcc, 0, v19
	s_nop 1
	v_cndmask_b32_e32 v19, 11, v19, vcc
; %bb.170:
	s_andn2_saveexec_b64 s[0:1], s[0:1]
	s_cbranch_execz .LBB74_172
; %bb.171:
	v_div_scale_f32 v51, s[2:3], v50, v50, 1.0
	v_rcp_f32_e32 v52, v51
	v_div_scale_f32 v53, vcc, 1.0, v50, 1.0
	v_fma_f32 v54, -v51, v52, 1.0
	v_fmac_f32_e32 v52, v54, v52
	v_mul_f32_e32 v54, v53, v52
	v_fma_f32 v55, -v51, v54, v53
	v_fmac_f32_e32 v54, v55, v52
	v_fma_f32 v51, -v51, v54, v53
	v_div_fmas_f32 v51, v51, v52, v54
	v_div_fixup_f32 v50, v51, v50, 1.0
.LBB74_172:
	s_or_b64 exec, exec, s[0:1]
	v_cmp_ne_u32_e32 vcc, v49, v46
	s_and_saveexec_b64 s[0:1], vcc
	s_xor_b64 s[0:1], exec, s[0:1]
	s_cbranch_execz .LBB74_178
; %bb.173:
	v_cmp_eq_u32_e32 vcc, 10, v49
	s_and_saveexec_b64 s[2:3], vcc
	s_cbranch_execz .LBB74_177
; %bb.174:
	v_cmp_ne_u32_e32 vcc, 10, v46
	s_xor_b64 s[18:19], s[16:17], -1
	s_and_b64 s[20:21], s[18:19], vcc
	s_and_saveexec_b64 s[18:19], s[20:21]
	s_cbranch_execz .LBB74_176
; %bb.175:
	v_ashrrev_i32_e32 v47, 31, v46
	v_lshl_add_u64 v[52:53], v[46:47], 2, v[20:21]
	global_load_dword v47, v[52:53], off
	global_load_dword v49, v[20:21], off offset:40
	s_waitcnt vmcnt(1)
	global_store_dword v[20:21], v47, off offset:40
	s_waitcnt vmcnt(1)
	global_store_dword v[52:53], v49, off
.LBB74_176:
	s_or_b64 exec, exec, s[18:19]
	v_mov_b32_e32 v47, v46
	v_mov_b32_e32 v49, v46
.LBB74_177:
	s_or_b64 exec, exec, s[2:3]
.LBB74_178:
	s_andn2_saveexec_b64 s[0:1], s[0:1]
	s_cbranch_execz .LBB74_180
; %bb.179:
	s_waitcnt vmcnt(24)
	v_pk_mov_b32 v[52:53], v[22:23], v[12:13] op_sel:[1,0]
	ds_write2_b32 v17, v52, v53 offset0:11 offset1:12
	s_waitcnt vmcnt(22)
	v_pk_mov_b32 v[52:53], v[12:13], v[8:9] op_sel:[1,0]
	ds_write2_b32 v17, v52, v53 offset0:13 offset1:14
	;; [unrolled: 3-line block ×12, first 2 shown]
	s_waitcnt vmcnt(0)
	v_pk_mov_b32 v[52:53], v[40:41], v[36:37] op_sel:[1,0]
	v_mov_b32_e32 v49, 10
	ds_write2_b32 v17, v52, v53 offset0:35 offset1:36
	ds_write_b32 v17, v37 offset:148
.LBB74_180:
	s_or_b64 exec, exec, s[0:1]
	v_cmp_lt_i32_e32 vcc, 10, v49
	s_waitcnt lgkmcnt(0)
	s_barrier
	s_and_saveexec_b64 s[0:1], vcc
	s_cbranch_execz .LBB74_182
; %bb.181:
	ds_read_b32 v46, v17 offset:44
	ds_read2_b32 v[52:53], v17 offset0:12 offset1:13
	ds_read2_b32 v[54:55], v17 offset0:14 offset1:15
	v_mul_f32_e32 v22, v50, v22
	ds_read2_b32 v[50:51], v17 offset0:16 offset1:17
	s_waitcnt vmcnt(26) lgkmcnt(3)
	v_fma_f32 v23, -v22, v46, v23
	s_waitcnt vmcnt(24) lgkmcnt(2)
	v_pk_fma_f32 v[12:13], v[22:23], v[52:53], v[12:13] op_sel_hi:[0,1,1] neg_lo:[1,0,0] neg_hi:[1,0,0]
	s_waitcnt vmcnt(22) lgkmcnt(1)
	v_pk_fma_f32 v[8:9], v[22:23], v[54:55], v[8:9] op_sel_hi:[0,1,1] neg_lo:[1,0,0] neg_hi:[1,0,0]
	ds_read2_b32 v[52:53], v17 offset0:18 offset1:19
	ds_read2_b32 v[54:55], v17 offset0:20 offset1:21
	;; [unrolled: 1-line block ×3, first 2 shown]
	s_waitcnt vmcnt(20) lgkmcnt(3)
	v_pk_fma_f32 v[34:35], v[22:23], v[50:51], v[34:35] op_sel_hi:[0,1,1] neg_lo:[1,0,0] neg_hi:[1,0,0]
	ds_read2_b32 v[50:51], v17 offset0:24 offset1:25
	s_waitcnt vmcnt(18) lgkmcnt(3)
	v_pk_fma_f32 v[30:31], v[22:23], v[52:53], v[30:31] op_sel_hi:[0,1,1] neg_lo:[1,0,0] neg_hi:[1,0,0]
	ds_read2_b32 v[52:53], v17 offset0:26 offset1:27
	s_waitcnt vmcnt(16) lgkmcnt(3)
	v_pk_fma_f32 v[24:25], v[22:23], v[54:55], v[24:25] op_sel_hi:[0,1,1] neg_lo:[1,0,0] neg_hi:[1,0,0]
	s_waitcnt vmcnt(14) lgkmcnt(2)
	v_pk_fma_f32 v[14:15], v[22:23], v[56:57], v[14:15] op_sel_hi:[0,1,1] neg_lo:[1,0,0] neg_hi:[1,0,0]
	;; [unrolled: 2-line block ×3, first 2 shown]
	ds_read2_b32 v[50:51], v17 offset0:28 offset1:29
	ds_read2_b32 v[54:55], v17 offset0:30 offset1:31
	;; [unrolled: 1-line block ×3, first 2 shown]
	s_waitcnt vmcnt(10) lgkmcnt(3)
	v_pk_fma_f32 v[38:39], v[22:23], v[52:53], v[38:39] op_sel_hi:[0,1,1] neg_lo:[1,0,0] neg_hi:[1,0,0]
	ds_read2_b32 v[52:53], v17 offset0:34 offset1:35
	ds_read2_b32 v[58:59], v17 offset0:36 offset1:37
	s_waitcnt vmcnt(8) lgkmcnt(4)
	v_pk_fma_f32 v[32:33], v[22:23], v[50:51], v[32:33] op_sel_hi:[0,1,1] neg_lo:[1,0,0] neg_hi:[1,0,0]
	s_waitcnt vmcnt(6) lgkmcnt(3)
	v_pk_fma_f32 v[26:27], v[22:23], v[54:55], v[26:27] op_sel_hi:[0,1,1] neg_lo:[1,0,0] neg_hi:[1,0,0]
	;; [unrolled: 2-line block ×5, first 2 shown]
.LBB74_182:
	s_or_b64 exec, exec, s[0:1]
	v_lshl_add_u32 v46, v49, 2, v17
	s_barrier
	s_waitcnt vmcnt(26)
	ds_write_b32 v46, v23
	s_waitcnt lgkmcnt(0)
	s_barrier
	ds_read_b32 v50, v17 offset:44
	s_cmp_lt_i32 s22, 13
	v_mov_b32_e32 v46, 11
	s_cbranch_scc1 .LBB74_185
; %bb.183:
	v_add3_u32 v51, v48, 0, 48
	v_mov_b32_e32 v46, 11
	s_mov_b32 s0, 12
.LBB74_184:                             ; =>This Inner Loop Header: Depth=1
	ds_read_b32 v52, v51
	v_mov_b32_e32 v53, s0
	s_add_i32 s0, s0, 1
	v_add_u32_e32 v51, 4, v51
	s_cmp_lg_u32 s22, s0
	s_waitcnt lgkmcnt(0)
	v_cmp_lt_f32_e64 vcc, |v50|, |v52|
	s_nop 1
	v_cndmask_b32_e32 v50, v50, v52, vcc
	v_cndmask_b32_e32 v46, v46, v53, vcc
	s_cbranch_scc1 .LBB74_184
.LBB74_185:
	s_waitcnt lgkmcnt(0)
	v_cmp_eq_f32_e32 vcc, 0, v50
	s_and_saveexec_b64 s[0:1], vcc
	s_xor_b64 s[0:1], exec, s[0:1]
; %bb.186:
	v_cmp_ne_u32_e32 vcc, 0, v19
	s_nop 1
	v_cndmask_b32_e32 v19, 12, v19, vcc
; %bb.187:
	s_andn2_saveexec_b64 s[0:1], s[0:1]
	s_cbranch_execz .LBB74_189
; %bb.188:
	v_div_scale_f32 v51, s[2:3], v50, v50, 1.0
	v_rcp_f32_e32 v52, v51
	v_div_scale_f32 v53, vcc, 1.0, v50, 1.0
	v_fma_f32 v54, -v51, v52, 1.0
	v_fmac_f32_e32 v52, v54, v52
	v_mul_f32_e32 v54, v53, v52
	v_fma_f32 v55, -v51, v54, v53
	v_fmac_f32_e32 v54, v55, v52
	v_fma_f32 v51, -v51, v54, v53
	v_div_fmas_f32 v51, v51, v52, v54
	v_div_fixup_f32 v50, v51, v50, 1.0
.LBB74_189:
	s_or_b64 exec, exec, s[0:1]
	v_cmp_ne_u32_e32 vcc, v49, v46
	s_and_saveexec_b64 s[0:1], vcc
	s_xor_b64 s[0:1], exec, s[0:1]
	s_cbranch_execz .LBB74_195
; %bb.190:
	v_cmp_eq_u32_e32 vcc, 11, v49
	s_and_saveexec_b64 s[2:3], vcc
	s_cbranch_execz .LBB74_194
; %bb.191:
	v_cmp_ne_u32_e32 vcc, 11, v46
	s_xor_b64 s[18:19], s[16:17], -1
	s_and_b64 s[20:21], s[18:19], vcc
	s_and_saveexec_b64 s[18:19], s[20:21]
	s_cbranch_execz .LBB74_193
; %bb.192:
	v_ashrrev_i32_e32 v47, 31, v46
	v_lshl_add_u64 v[52:53], v[46:47], 2, v[20:21]
	global_load_dword v47, v[52:53], off
	global_load_dword v49, v[20:21], off offset:44
	s_waitcnt vmcnt(1)
	global_store_dword v[20:21], v47, off offset:44
	s_waitcnt vmcnt(1)
	global_store_dword v[52:53], v49, off
.LBB74_193:
	s_or_b64 exec, exec, s[18:19]
	v_mov_b32_e32 v47, v46
	v_mov_b32_e32 v49, v46
.LBB74_194:
	s_or_b64 exec, exec, s[2:3]
.LBB74_195:
	s_andn2_saveexec_b64 s[0:1], s[0:1]
	s_cbranch_execz .LBB74_197
; %bb.196:
	v_mov_b32_e32 v49, 11
	s_waitcnt vmcnt(24)
	ds_write2_b32 v17, v12, v13 offset0:12 offset1:13
	s_waitcnt vmcnt(22)
	ds_write2_b32 v17, v8, v9 offset0:14 offset1:15
	;; [unrolled: 2-line block ×13, first 2 shown]
.LBB74_197:
	s_or_b64 exec, exec, s[0:1]
	v_cmp_lt_i32_e32 vcc, 11, v49
	s_waitcnt lgkmcnt(0)
	s_barrier
	s_and_saveexec_b64 s[0:1], vcc
	s_cbranch_execz .LBB74_199
; %bb.198:
	ds_read2_b32 v[52:53], v17 offset0:12 offset1:13
	ds_read2_b32 v[54:55], v17 offset0:14 offset1:15
	;; [unrolled: 1-line block ×3, first 2 shown]
	v_mul_f32_e32 v46, v50, v23
	ds_read2_b32 v[50:51], v17 offset0:18 offset1:19
	s_waitcnt vmcnt(24) lgkmcnt(3)
	v_pk_fma_f32 v[12:13], v[46:47], v[52:53], v[12:13] op_sel_hi:[0,1,1] neg_lo:[1,0,0] neg_hi:[1,0,0]
	s_waitcnt vmcnt(22) lgkmcnt(2)
	v_pk_fma_f32 v[8:9], v[46:47], v[54:55], v[8:9] op_sel_hi:[0,1,1] neg_lo:[1,0,0] neg_hi:[1,0,0]
	s_waitcnt vmcnt(20) lgkmcnt(1)
	v_pk_fma_f32 v[34:35], v[46:47], v[56:57], v[34:35] op_sel_hi:[0,1,1] neg_lo:[1,0,0] neg_hi:[1,0,0]
	ds_read2_b32 v[52:53], v17 offset0:20 offset1:21
	ds_read2_b32 v[54:55], v17 offset0:22 offset1:23
	;; [unrolled: 1-line block ×4, first 2 shown]
	s_waitcnt vmcnt(18) lgkmcnt(4)
	v_pk_fma_f32 v[30:31], v[46:47], v[50:51], v[30:31] op_sel_hi:[0,1,1] neg_lo:[1,0,0] neg_hi:[1,0,0]
	s_waitcnt vmcnt(16) lgkmcnt(3)
	v_pk_fma_f32 v[24:25], v[46:47], v[52:53], v[24:25] op_sel_hi:[0,1,1] neg_lo:[1,0,0] neg_hi:[1,0,0]
	;; [unrolled: 2-line block ×5, first 2 shown]
	ds_read2_b32 v[50:51], v17 offset0:28 offset1:29
	ds_read2_b32 v[52:53], v17 offset0:30 offset1:31
	;; [unrolled: 1-line block ×5, first 2 shown]
	s_waitcnt vmcnt(8) lgkmcnt(4)
	v_pk_fma_f32 v[32:33], v[46:47], v[50:51], v[32:33] op_sel_hi:[0,1,1] neg_lo:[1,0,0] neg_hi:[1,0,0]
	s_waitcnt vmcnt(6) lgkmcnt(3)
	v_pk_fma_f32 v[26:27], v[46:47], v[52:53], v[26:27] op_sel_hi:[0,1,1] neg_lo:[1,0,0] neg_hi:[1,0,0]
	;; [unrolled: 2-line block ×5, first 2 shown]
	v_mov_b32_e32 v23, v46
.LBB74_199:
	s_or_b64 exec, exec, s[0:1]
	v_lshl_add_u32 v46, v49, 2, v17
	s_barrier
	s_waitcnt vmcnt(25)
	ds_write_b32 v46, v12
	s_waitcnt lgkmcnt(0)
	s_barrier
	ds_read_b32 v50, v17 offset:48
	s_cmp_lt_i32 s22, 14
	v_mov_b32_e32 v46, 12
	s_cbranch_scc1 .LBB74_202
; %bb.200:
	v_add3_u32 v51, v48, 0, 52
	v_mov_b32_e32 v46, 12
	s_mov_b32 s0, 13
.LBB74_201:                             ; =>This Inner Loop Header: Depth=1
	ds_read_b32 v52, v51
	v_mov_b32_e32 v53, s0
	s_add_i32 s0, s0, 1
	v_add_u32_e32 v51, 4, v51
	s_cmp_lg_u32 s22, s0
	s_waitcnt lgkmcnt(0)
	v_cmp_lt_f32_e64 vcc, |v50|, |v52|
	s_nop 1
	v_cndmask_b32_e32 v50, v50, v52, vcc
	v_cndmask_b32_e32 v46, v46, v53, vcc
	s_cbranch_scc1 .LBB74_201
.LBB74_202:
	s_waitcnt lgkmcnt(0)
	v_cmp_eq_f32_e32 vcc, 0, v50
	s_and_saveexec_b64 s[0:1], vcc
	s_xor_b64 s[0:1], exec, s[0:1]
; %bb.203:
	v_cmp_ne_u32_e32 vcc, 0, v19
	s_nop 1
	v_cndmask_b32_e32 v19, 13, v19, vcc
; %bb.204:
	s_andn2_saveexec_b64 s[0:1], s[0:1]
	s_cbranch_execz .LBB74_206
; %bb.205:
	v_div_scale_f32 v51, s[2:3], v50, v50, 1.0
	v_rcp_f32_e32 v52, v51
	v_div_scale_f32 v53, vcc, 1.0, v50, 1.0
	v_fma_f32 v54, -v51, v52, 1.0
	v_fmac_f32_e32 v52, v54, v52
	v_mul_f32_e32 v54, v53, v52
	v_fma_f32 v55, -v51, v54, v53
	v_fmac_f32_e32 v54, v55, v52
	v_fma_f32 v51, -v51, v54, v53
	v_div_fmas_f32 v51, v51, v52, v54
	v_div_fixup_f32 v50, v51, v50, 1.0
.LBB74_206:
	s_or_b64 exec, exec, s[0:1]
	v_cmp_ne_u32_e32 vcc, v49, v46
	s_and_saveexec_b64 s[0:1], vcc
	s_xor_b64 s[0:1], exec, s[0:1]
	s_cbranch_execz .LBB74_212
; %bb.207:
	v_cmp_eq_u32_e32 vcc, 12, v49
	s_and_saveexec_b64 s[2:3], vcc
	s_cbranch_execz .LBB74_211
; %bb.208:
	v_cmp_ne_u32_e32 vcc, 12, v46
	s_xor_b64 s[18:19], s[16:17], -1
	s_and_b64 s[20:21], s[18:19], vcc
	s_and_saveexec_b64 s[18:19], s[20:21]
	s_cbranch_execz .LBB74_210
; %bb.209:
	v_ashrrev_i32_e32 v47, 31, v46
	v_lshl_add_u64 v[52:53], v[46:47], 2, v[20:21]
	global_load_dword v47, v[52:53], off
	global_load_dword v49, v[20:21], off offset:48
	s_waitcnt vmcnt(1)
	global_store_dword v[20:21], v47, off offset:48
	s_waitcnt vmcnt(1)
	global_store_dword v[52:53], v49, off
.LBB74_210:
	s_or_b64 exec, exec, s[18:19]
	v_mov_b32_e32 v47, v46
	v_mov_b32_e32 v49, v46
.LBB74_211:
	s_or_b64 exec, exec, s[2:3]
.LBB74_212:
	s_andn2_saveexec_b64 s[0:1], s[0:1]
	s_cbranch_execz .LBB74_214
; %bb.213:
	s_waitcnt vmcnt(22)
	v_pk_mov_b32 v[52:53], v[12:13], v[8:9] op_sel:[1,0]
	ds_write2_b32 v17, v52, v53 offset0:13 offset1:14
	s_waitcnt vmcnt(20)
	v_pk_mov_b32 v[52:53], v[8:9], v[34:35] op_sel:[1,0]
	ds_write2_b32 v17, v52, v53 offset0:15 offset1:16
	;; [unrolled: 3-line block ×11, first 2 shown]
	s_waitcnt vmcnt(0)
	v_pk_mov_b32 v[52:53], v[40:41], v[36:37] op_sel:[1,0]
	v_mov_b32_e32 v49, 12
	ds_write2_b32 v17, v52, v53 offset0:35 offset1:36
	ds_write_b32 v17, v37 offset:148
.LBB74_214:
	s_or_b64 exec, exec, s[0:1]
	v_cmp_lt_i32_e32 vcc, 12, v49
	s_waitcnt lgkmcnt(0)
	s_barrier
	s_and_saveexec_b64 s[0:1], vcc
	s_cbranch_execz .LBB74_216
; %bb.215:
	ds_read_b32 v46, v17 offset:52
	ds_read2_b32 v[52:53], v17 offset0:14 offset1:15
	ds_read2_b32 v[54:55], v17 offset0:16 offset1:17
	v_mul_f32_e32 v12, v50, v12
	ds_read2_b32 v[50:51], v17 offset0:18 offset1:19
	s_waitcnt vmcnt(24) lgkmcnt(3)
	v_fma_f32 v13, -v12, v46, v13
	s_waitcnt vmcnt(22) lgkmcnt(2)
	v_pk_fma_f32 v[8:9], v[12:13], v[52:53], v[8:9] op_sel_hi:[0,1,1] neg_lo:[1,0,0] neg_hi:[1,0,0]
	s_waitcnt vmcnt(20) lgkmcnt(1)
	v_pk_fma_f32 v[34:35], v[12:13], v[54:55], v[34:35] op_sel_hi:[0,1,1] neg_lo:[1,0,0] neg_hi:[1,0,0]
	ds_read2_b32 v[52:53], v17 offset0:20 offset1:21
	ds_read2_b32 v[54:55], v17 offset0:22 offset1:23
	;; [unrolled: 1-line block ×4, first 2 shown]
	s_waitcnt vmcnt(18) lgkmcnt(4)
	v_pk_fma_f32 v[30:31], v[12:13], v[50:51], v[30:31] op_sel_hi:[0,1,1] neg_lo:[1,0,0] neg_hi:[1,0,0]
	s_waitcnt vmcnt(16) lgkmcnt(3)
	v_pk_fma_f32 v[24:25], v[12:13], v[52:53], v[24:25] op_sel_hi:[0,1,1] neg_lo:[1,0,0] neg_hi:[1,0,0]
	;; [unrolled: 2-line block ×5, first 2 shown]
	ds_read2_b32 v[50:51], v17 offset0:28 offset1:29
	ds_read2_b32 v[52:53], v17 offset0:30 offset1:31
	;; [unrolled: 1-line block ×5, first 2 shown]
	s_waitcnt vmcnt(8) lgkmcnt(4)
	v_pk_fma_f32 v[32:33], v[12:13], v[50:51], v[32:33] op_sel_hi:[0,1,1] neg_lo:[1,0,0] neg_hi:[1,0,0]
	s_waitcnt vmcnt(6) lgkmcnt(3)
	v_pk_fma_f32 v[26:27], v[12:13], v[52:53], v[26:27] op_sel_hi:[0,1,1] neg_lo:[1,0,0] neg_hi:[1,0,0]
	s_waitcnt vmcnt(4) lgkmcnt(2)
	v_pk_fma_f32 v[44:45], v[12:13], v[54:55], v[44:45] op_sel_hi:[0,1,1] neg_lo:[1,0,0] neg_hi:[1,0,0]
	s_waitcnt vmcnt(2) lgkmcnt(1)
	v_pk_fma_f32 v[40:41], v[12:13], v[56:57], v[40:41] op_sel_hi:[0,1,1] neg_lo:[1,0,0] neg_hi:[1,0,0]
	s_waitcnt vmcnt(0) lgkmcnt(0)
	v_pk_fma_f32 v[36:37], v[12:13], v[58:59], v[36:37] op_sel_hi:[0,1,1] neg_lo:[1,0,0] neg_hi:[1,0,0]
.LBB74_216:
	s_or_b64 exec, exec, s[0:1]
	v_lshl_add_u32 v46, v49, 2, v17
	s_barrier
	s_waitcnt vmcnt(24)
	ds_write_b32 v46, v13
	s_waitcnt lgkmcnt(0)
	s_barrier
	ds_read_b32 v50, v17 offset:52
	s_cmp_lt_i32 s22, 15
	v_mov_b32_e32 v46, 13
	s_cbranch_scc1 .LBB74_219
; %bb.217:
	v_add3_u32 v51, v48, 0, 56
	v_mov_b32_e32 v46, 13
	s_mov_b32 s0, 14
.LBB74_218:                             ; =>This Inner Loop Header: Depth=1
	ds_read_b32 v52, v51
	v_mov_b32_e32 v53, s0
	s_add_i32 s0, s0, 1
	v_add_u32_e32 v51, 4, v51
	s_cmp_lg_u32 s22, s0
	s_waitcnt lgkmcnt(0)
	v_cmp_lt_f32_e64 vcc, |v50|, |v52|
	s_nop 1
	v_cndmask_b32_e32 v50, v50, v52, vcc
	v_cndmask_b32_e32 v46, v46, v53, vcc
	s_cbranch_scc1 .LBB74_218
.LBB74_219:
	s_waitcnt lgkmcnt(0)
	v_cmp_eq_f32_e32 vcc, 0, v50
	s_and_saveexec_b64 s[0:1], vcc
	s_xor_b64 s[0:1], exec, s[0:1]
; %bb.220:
	v_cmp_ne_u32_e32 vcc, 0, v19
	s_nop 1
	v_cndmask_b32_e32 v19, 14, v19, vcc
; %bb.221:
	s_andn2_saveexec_b64 s[0:1], s[0:1]
	s_cbranch_execz .LBB74_223
; %bb.222:
	v_div_scale_f32 v51, s[2:3], v50, v50, 1.0
	v_rcp_f32_e32 v52, v51
	v_div_scale_f32 v53, vcc, 1.0, v50, 1.0
	v_fma_f32 v54, -v51, v52, 1.0
	v_fmac_f32_e32 v52, v54, v52
	v_mul_f32_e32 v54, v53, v52
	v_fma_f32 v55, -v51, v54, v53
	v_fmac_f32_e32 v54, v55, v52
	v_fma_f32 v51, -v51, v54, v53
	v_div_fmas_f32 v51, v51, v52, v54
	v_div_fixup_f32 v50, v51, v50, 1.0
.LBB74_223:
	s_or_b64 exec, exec, s[0:1]
	v_cmp_ne_u32_e32 vcc, v49, v46
	s_and_saveexec_b64 s[0:1], vcc
	s_xor_b64 s[0:1], exec, s[0:1]
	s_cbranch_execz .LBB74_229
; %bb.224:
	v_cmp_eq_u32_e32 vcc, 13, v49
	s_and_saveexec_b64 s[2:3], vcc
	s_cbranch_execz .LBB74_228
; %bb.225:
	v_cmp_ne_u32_e32 vcc, 13, v46
	s_xor_b64 s[18:19], s[16:17], -1
	s_and_b64 s[20:21], s[18:19], vcc
	s_and_saveexec_b64 s[18:19], s[20:21]
	s_cbranch_execz .LBB74_227
; %bb.226:
	v_ashrrev_i32_e32 v47, 31, v46
	v_lshl_add_u64 v[52:53], v[46:47], 2, v[20:21]
	global_load_dword v47, v[52:53], off
	global_load_dword v49, v[20:21], off offset:52
	s_waitcnt vmcnt(1)
	global_store_dword v[20:21], v47, off offset:52
	s_waitcnt vmcnt(1)
	global_store_dword v[52:53], v49, off
.LBB74_227:
	s_or_b64 exec, exec, s[18:19]
	v_mov_b32_e32 v47, v46
	v_mov_b32_e32 v49, v46
.LBB74_228:
	s_or_b64 exec, exec, s[2:3]
.LBB74_229:
	s_andn2_saveexec_b64 s[0:1], s[0:1]
	s_cbranch_execz .LBB74_231
; %bb.230:
	v_mov_b32_e32 v49, 13
	s_waitcnt vmcnt(22)
	ds_write2_b32 v17, v8, v9 offset0:14 offset1:15
	s_waitcnt vmcnt(20)
	ds_write2_b32 v17, v34, v35 offset0:16 offset1:17
	;; [unrolled: 2-line block ×12, first 2 shown]
.LBB74_231:
	s_or_b64 exec, exec, s[0:1]
	v_cmp_lt_i32_e32 vcc, 13, v49
	s_waitcnt lgkmcnt(0)
	s_barrier
	s_and_saveexec_b64 s[0:1], vcc
	s_cbranch_execz .LBB74_233
; %bb.232:
	ds_read2_b32 v[52:53], v17 offset0:14 offset1:15
	ds_read2_b32 v[54:55], v17 offset0:16 offset1:17
	;; [unrolled: 1-line block ×3, first 2 shown]
	v_mul_f32_e32 v46, v50, v13
	ds_read2_b32 v[50:51], v17 offset0:20 offset1:21
	s_waitcnt vmcnt(22) lgkmcnt(3)
	v_pk_fma_f32 v[8:9], v[46:47], v[52:53], v[8:9] op_sel_hi:[0,1,1] neg_lo:[1,0,0] neg_hi:[1,0,0]
	s_waitcnt vmcnt(20) lgkmcnt(2)
	v_pk_fma_f32 v[34:35], v[46:47], v[54:55], v[34:35] op_sel_hi:[0,1,1] neg_lo:[1,0,0] neg_hi:[1,0,0]
	;; [unrolled: 2-line block ×3, first 2 shown]
	ds_read2_b32 v[52:53], v17 offset0:22 offset1:23
	ds_read2_b32 v[54:55], v17 offset0:24 offset1:25
	;; [unrolled: 1-line block ×3, first 2 shown]
	s_waitcnt vmcnt(16) lgkmcnt(3)
	v_pk_fma_f32 v[24:25], v[46:47], v[50:51], v[24:25] op_sel_hi:[0,1,1] neg_lo:[1,0,0] neg_hi:[1,0,0]
	ds_read2_b32 v[50:51], v17 offset0:28 offset1:29
	s_waitcnt vmcnt(14) lgkmcnt(3)
	v_pk_fma_f32 v[14:15], v[46:47], v[52:53], v[14:15] op_sel_hi:[0,1,1] neg_lo:[1,0,0] neg_hi:[1,0,0]
	s_waitcnt vmcnt(12) lgkmcnt(2)
	v_pk_fma_f32 v[42:43], v[46:47], v[54:55], v[42:43] op_sel_hi:[0,1,1] neg_lo:[1,0,0] neg_hi:[1,0,0]
	s_waitcnt vmcnt(10) lgkmcnt(1)
	v_pk_fma_f32 v[38:39], v[46:47], v[56:57], v[38:39] op_sel_hi:[0,1,1] neg_lo:[1,0,0] neg_hi:[1,0,0]
	ds_read2_b32 v[52:53], v17 offset0:30 offset1:31
	ds_read2_b32 v[54:55], v17 offset0:32 offset1:33
	;; [unrolled: 1-line block ×4, first 2 shown]
	s_waitcnt vmcnt(8) lgkmcnt(4)
	v_pk_fma_f32 v[32:33], v[46:47], v[50:51], v[32:33] op_sel_hi:[0,1,1] neg_lo:[1,0,0] neg_hi:[1,0,0]
	s_waitcnt vmcnt(6) lgkmcnt(3)
	v_pk_fma_f32 v[26:27], v[46:47], v[52:53], v[26:27] op_sel_hi:[0,1,1] neg_lo:[1,0,0] neg_hi:[1,0,0]
	s_waitcnt vmcnt(4) lgkmcnt(2)
	v_pk_fma_f32 v[44:45], v[46:47], v[54:55], v[44:45] op_sel_hi:[0,1,1] neg_lo:[1,0,0] neg_hi:[1,0,0]
	s_waitcnt vmcnt(2) lgkmcnt(1)
	v_pk_fma_f32 v[40:41], v[46:47], v[56:57], v[40:41] op_sel_hi:[0,1,1] neg_lo:[1,0,0] neg_hi:[1,0,0]
	s_waitcnt vmcnt(0) lgkmcnt(0)
	v_pk_fma_f32 v[36:37], v[46:47], v[58:59], v[36:37] op_sel_hi:[0,1,1] neg_lo:[1,0,0] neg_hi:[1,0,0]
	v_mov_b32_e32 v13, v46
.LBB74_233:
	s_or_b64 exec, exec, s[0:1]
	v_lshl_add_u32 v46, v49, 2, v17
	s_barrier
	s_waitcnt vmcnt(23)
	ds_write_b32 v46, v8
	s_waitcnt lgkmcnt(0)
	s_barrier
	ds_read_b32 v50, v17 offset:56
	s_cmp_lt_i32 s22, 16
	v_mov_b32_e32 v46, 14
	s_cbranch_scc1 .LBB74_236
; %bb.234:
	v_add3_u32 v51, v48, 0, 60
	v_mov_b32_e32 v46, 14
	s_mov_b32 s0, 15
.LBB74_235:                             ; =>This Inner Loop Header: Depth=1
	ds_read_b32 v52, v51
	v_mov_b32_e32 v53, s0
	s_add_i32 s0, s0, 1
	v_add_u32_e32 v51, 4, v51
	s_cmp_lg_u32 s22, s0
	s_waitcnt lgkmcnt(0)
	v_cmp_lt_f32_e64 vcc, |v50|, |v52|
	s_nop 1
	v_cndmask_b32_e32 v50, v50, v52, vcc
	v_cndmask_b32_e32 v46, v46, v53, vcc
	s_cbranch_scc1 .LBB74_235
.LBB74_236:
	s_waitcnt lgkmcnt(0)
	v_cmp_eq_f32_e32 vcc, 0, v50
	s_and_saveexec_b64 s[0:1], vcc
	s_xor_b64 s[0:1], exec, s[0:1]
; %bb.237:
	v_cmp_ne_u32_e32 vcc, 0, v19
	s_nop 1
	v_cndmask_b32_e32 v19, 15, v19, vcc
; %bb.238:
	s_andn2_saveexec_b64 s[0:1], s[0:1]
	s_cbranch_execz .LBB74_240
; %bb.239:
	v_div_scale_f32 v51, s[2:3], v50, v50, 1.0
	v_rcp_f32_e32 v52, v51
	v_div_scale_f32 v53, vcc, 1.0, v50, 1.0
	v_fma_f32 v54, -v51, v52, 1.0
	v_fmac_f32_e32 v52, v54, v52
	v_mul_f32_e32 v54, v53, v52
	v_fma_f32 v55, -v51, v54, v53
	v_fmac_f32_e32 v54, v55, v52
	v_fma_f32 v51, -v51, v54, v53
	v_div_fmas_f32 v51, v51, v52, v54
	v_div_fixup_f32 v50, v51, v50, 1.0
.LBB74_240:
	s_or_b64 exec, exec, s[0:1]
	v_cmp_ne_u32_e32 vcc, v49, v46
	s_and_saveexec_b64 s[0:1], vcc
	s_xor_b64 s[0:1], exec, s[0:1]
	s_cbranch_execz .LBB74_246
; %bb.241:
	v_cmp_eq_u32_e32 vcc, 14, v49
	s_and_saveexec_b64 s[2:3], vcc
	s_cbranch_execz .LBB74_245
; %bb.242:
	v_cmp_ne_u32_e32 vcc, 14, v46
	s_xor_b64 s[18:19], s[16:17], -1
	s_and_b64 s[20:21], s[18:19], vcc
	s_and_saveexec_b64 s[18:19], s[20:21]
	s_cbranch_execz .LBB74_244
; %bb.243:
	v_ashrrev_i32_e32 v47, 31, v46
	v_lshl_add_u64 v[52:53], v[46:47], 2, v[20:21]
	global_load_dword v47, v[52:53], off
	global_load_dword v49, v[20:21], off offset:56
	s_waitcnt vmcnt(1)
	global_store_dword v[20:21], v47, off offset:56
	s_waitcnt vmcnt(1)
	global_store_dword v[52:53], v49, off
.LBB74_244:
	s_or_b64 exec, exec, s[18:19]
	v_mov_b32_e32 v47, v46
	v_mov_b32_e32 v49, v46
.LBB74_245:
	s_or_b64 exec, exec, s[2:3]
.LBB74_246:
	s_andn2_saveexec_b64 s[0:1], s[0:1]
	s_cbranch_execz .LBB74_248
; %bb.247:
	s_waitcnt vmcnt(20)
	v_pk_mov_b32 v[52:53], v[8:9], v[34:35] op_sel:[1,0]
	ds_write2_b32 v17, v52, v53 offset0:15 offset1:16
	s_waitcnt vmcnt(18)
	v_pk_mov_b32 v[52:53], v[34:35], v[30:31] op_sel:[1,0]
	ds_write2_b32 v17, v52, v53 offset0:17 offset1:18
	;; [unrolled: 3-line block ×10, first 2 shown]
	s_waitcnt vmcnt(0)
	v_pk_mov_b32 v[52:53], v[40:41], v[36:37] op_sel:[1,0]
	v_mov_b32_e32 v49, 14
	ds_write2_b32 v17, v52, v53 offset0:35 offset1:36
	ds_write_b32 v17, v37 offset:148
.LBB74_248:
	s_or_b64 exec, exec, s[0:1]
	v_cmp_lt_i32_e32 vcc, 14, v49
	s_waitcnt lgkmcnt(0)
	s_barrier
	s_and_saveexec_b64 s[0:1], vcc
	s_cbranch_execz .LBB74_250
; %bb.249:
	ds_read_b32 v46, v17 offset:60
	ds_read2_b32 v[52:53], v17 offset0:16 offset1:17
	ds_read2_b32 v[54:55], v17 offset0:18 offset1:19
	v_mul_f32_e32 v8, v50, v8
	ds_read2_b32 v[50:51], v17 offset0:20 offset1:21
	s_waitcnt vmcnt(22) lgkmcnt(3)
	v_fma_f32 v9, -v8, v46, v9
	s_waitcnt vmcnt(20) lgkmcnt(2)
	v_pk_fma_f32 v[34:35], v[8:9], v[52:53], v[34:35] op_sel_hi:[0,1,1] neg_lo:[1,0,0] neg_hi:[1,0,0]
	s_waitcnt vmcnt(18) lgkmcnt(1)
	v_pk_fma_f32 v[30:31], v[8:9], v[54:55], v[30:31] op_sel_hi:[0,1,1] neg_lo:[1,0,0] neg_hi:[1,0,0]
	ds_read2_b32 v[52:53], v17 offset0:22 offset1:23
	ds_read2_b32 v[54:55], v17 offset0:24 offset1:25
	;; [unrolled: 1-line block ×3, first 2 shown]
	s_waitcnt vmcnt(16) lgkmcnt(3)
	v_pk_fma_f32 v[24:25], v[8:9], v[50:51], v[24:25] op_sel_hi:[0,1,1] neg_lo:[1,0,0] neg_hi:[1,0,0]
	ds_read2_b32 v[50:51], v17 offset0:28 offset1:29
	s_waitcnt vmcnt(14) lgkmcnt(3)
	v_pk_fma_f32 v[14:15], v[8:9], v[52:53], v[14:15] op_sel_hi:[0,1,1] neg_lo:[1,0,0] neg_hi:[1,0,0]
	s_waitcnt vmcnt(12) lgkmcnt(2)
	v_pk_fma_f32 v[42:43], v[8:9], v[54:55], v[42:43] op_sel_hi:[0,1,1] neg_lo:[1,0,0] neg_hi:[1,0,0]
	s_waitcnt vmcnt(10) lgkmcnt(1)
	v_pk_fma_f32 v[38:39], v[8:9], v[56:57], v[38:39] op_sel_hi:[0,1,1] neg_lo:[1,0,0] neg_hi:[1,0,0]
	ds_read2_b32 v[52:53], v17 offset0:30 offset1:31
	ds_read2_b32 v[54:55], v17 offset0:32 offset1:33
	;; [unrolled: 1-line block ×4, first 2 shown]
	s_waitcnt vmcnt(8) lgkmcnt(4)
	v_pk_fma_f32 v[32:33], v[8:9], v[50:51], v[32:33] op_sel_hi:[0,1,1] neg_lo:[1,0,0] neg_hi:[1,0,0]
	s_waitcnt vmcnt(6) lgkmcnt(3)
	v_pk_fma_f32 v[26:27], v[8:9], v[52:53], v[26:27] op_sel_hi:[0,1,1] neg_lo:[1,0,0] neg_hi:[1,0,0]
	;; [unrolled: 2-line block ×5, first 2 shown]
.LBB74_250:
	s_or_b64 exec, exec, s[0:1]
	v_lshl_add_u32 v46, v49, 2, v17
	s_barrier
	s_waitcnt vmcnt(22)
	ds_write_b32 v46, v9
	s_waitcnt lgkmcnt(0)
	s_barrier
	ds_read_b32 v50, v17 offset:60
	s_cmp_lt_i32 s22, 17
	v_mov_b32_e32 v46, 15
	s_cbranch_scc1 .LBB74_253
; %bb.251:
	v_add3_u32 v48, v48, 0, 64
	v_mov_b32_e32 v46, 15
	s_mov_b32 s0, 16
.LBB74_252:                             ; =>This Inner Loop Header: Depth=1
	ds_read_b32 v51, v48
	v_mov_b32_e32 v52, s0
	s_add_i32 s0, s0, 1
	v_add_u32_e32 v48, 4, v48
	s_cmp_lg_u32 s22, s0
	s_waitcnt lgkmcnt(0)
	v_cmp_lt_f32_e64 vcc, |v50|, |v51|
	s_nop 1
	v_cndmask_b32_e32 v50, v50, v51, vcc
	v_cndmask_b32_e32 v46, v46, v52, vcc
	s_cbranch_scc1 .LBB74_252
.LBB74_253:
	s_waitcnt lgkmcnt(0)
	v_cmp_eq_f32_e32 vcc, 0, v50
	s_and_saveexec_b64 s[0:1], vcc
	s_xor_b64 s[0:1], exec, s[0:1]
; %bb.254:
	v_cmp_ne_u32_e32 vcc, 0, v19
	s_nop 1
	v_cndmask_b32_e32 v19, 16, v19, vcc
; %bb.255:
	s_andn2_saveexec_b64 s[0:1], s[0:1]
	s_cbranch_execz .LBB74_257
; %bb.256:
	v_div_scale_f32 v48, s[2:3], v50, v50, 1.0
	v_rcp_f32_e32 v51, v48
	v_div_scale_f32 v52, vcc, 1.0, v50, 1.0
	v_fma_f32 v53, -v48, v51, 1.0
	v_fmac_f32_e32 v51, v53, v51
	v_mul_f32_e32 v53, v52, v51
	v_fma_f32 v54, -v48, v53, v52
	v_fmac_f32_e32 v53, v54, v51
	v_fma_f32 v48, -v48, v53, v52
	v_div_fmas_f32 v48, v48, v51, v53
	v_div_fixup_f32 v50, v48, v50, 1.0
.LBB74_257:
	s_or_b64 exec, exec, s[0:1]
	v_cmp_ne_u32_e32 vcc, v49, v46
	s_and_saveexec_b64 s[0:1], vcc
	s_xor_b64 s[0:1], exec, s[0:1]
	s_cbranch_execz .LBB74_263
; %bb.258:
	v_cmp_eq_u32_e32 vcc, 15, v49
	s_and_saveexec_b64 s[2:3], vcc
	s_cbranch_execz .LBB74_262
; %bb.259:
	v_cmp_ne_u32_e32 vcc, 15, v46
	s_xor_b64 s[18:19], s[16:17], -1
	s_and_b64 s[20:21], s[18:19], vcc
	s_and_saveexec_b64 s[18:19], s[20:21]
	s_cbranch_execz .LBB74_261
; %bb.260:
	v_ashrrev_i32_e32 v47, 31, v46
	v_lshl_add_u64 v[48:49], v[46:47], 2, v[20:21]
	global_load_dword v47, v[48:49], off
	global_load_dword v51, v[20:21], off offset:60
	s_waitcnt vmcnt(1)
	global_store_dword v[20:21], v47, off offset:60
	s_waitcnt vmcnt(1)
	global_store_dword v[48:49], v51, off
.LBB74_261:
	s_or_b64 exec, exec, s[18:19]
	v_mov_b32_e32 v47, v46
	v_mov_b32_e32 v49, v46
.LBB74_262:
	s_or_b64 exec, exec, s[2:3]
.LBB74_263:
	s_andn2_saveexec_b64 s[0:1], s[0:1]
	s_cbranch_execz .LBB74_265
; %bb.264:
	v_mov_b32_e32 v49, 15
	s_waitcnt vmcnt(20)
	ds_write2_b32 v17, v34, v35 offset0:16 offset1:17
	s_waitcnt vmcnt(18)
	ds_write2_b32 v17, v30, v31 offset0:18 offset1:19
	;; [unrolled: 2-line block ×11, first 2 shown]
.LBB74_265:
	s_or_b64 exec, exec, s[0:1]
	v_cmp_lt_i32_e32 vcc, 15, v49
	s_waitcnt lgkmcnt(0)
	s_barrier
	s_and_saveexec_b64 s[0:1], vcc
	s_cbranch_execz .LBB74_267
; %bb.266:
	ds_read2_b32 v[52:53], v17 offset0:16 offset1:17
	ds_read2_b32 v[54:55], v17 offset0:18 offset1:19
	;; [unrolled: 1-line block ×3, first 2 shown]
	v_mul_f32_e32 v46, v50, v9
	ds_read2_b32 v[50:51], v17 offset0:22 offset1:23
	s_waitcnt vmcnt(20) lgkmcnt(3)
	v_pk_fma_f32 v[34:35], v[46:47], v[52:53], v[34:35] op_sel_hi:[0,1,1] neg_lo:[1,0,0] neg_hi:[1,0,0]
	s_waitcnt vmcnt(18) lgkmcnt(2)
	v_pk_fma_f32 v[30:31], v[46:47], v[54:55], v[30:31] op_sel_hi:[0,1,1] neg_lo:[1,0,0] neg_hi:[1,0,0]
	ds_read2_b32 v[52:53], v17 offset0:24 offset1:25
	ds_read2_b32 v[54:55], v17 offset0:26 offset1:27
	s_waitcnt vmcnt(16) lgkmcnt(3)
	v_pk_fma_f32 v[24:25], v[46:47], v[56:57], v[24:25] op_sel_hi:[0,1,1] neg_lo:[1,0,0] neg_hi:[1,0,0]
	s_waitcnt vmcnt(14) lgkmcnt(2)
	v_pk_fma_f32 v[14:15], v[46:47], v[50:51], v[14:15] op_sel_hi:[0,1,1] neg_lo:[1,0,0] neg_hi:[1,0,0]
	ds_read2_b32 v[50:51], v17 offset0:28 offset1:29
	;; [unrolled: 6-line block ×3, first 2 shown]
	ds_read2_b32 v[54:55], v17 offset0:34 offset1:35
	ds_read2_b32 v[58:59], v17 offset0:36 offset1:37
	s_waitcnt vmcnt(8) lgkmcnt(4)
	v_pk_fma_f32 v[32:33], v[46:47], v[50:51], v[32:33] op_sel_hi:[0,1,1] neg_lo:[1,0,0] neg_hi:[1,0,0]
	s_waitcnt vmcnt(6) lgkmcnt(3)
	v_pk_fma_f32 v[26:27], v[46:47], v[56:57], v[26:27] op_sel_hi:[0,1,1] neg_lo:[1,0,0] neg_hi:[1,0,0]
	;; [unrolled: 2-line block ×5, first 2 shown]
	v_mov_b32_e32 v9, v46
.LBB74_267:
	s_or_b64 exec, exec, s[0:1]
	v_lshl_add_u32 v46, v49, 2, v17
	s_barrier
	s_waitcnt vmcnt(21)
	ds_write_b32 v46, v34
	s_waitcnt lgkmcnt(0)
	s_barrier
	ds_read_b32 v48, v17 offset:64
	s_cmp_lt_i32 s22, 18
	v_mov_b32_e32 v46, 16
	s_cbranch_scc1 .LBB74_270
; %bb.268:
	v_add_u32_e32 v50, 0x44, v17
	v_mov_b32_e32 v46, 16
	s_mov_b32 s0, 17
.LBB74_269:                             ; =>This Inner Loop Header: Depth=1
	ds_read_b32 v51, v50
	v_mov_b32_e32 v52, s0
	s_add_i32 s0, s0, 1
	v_add_u32_e32 v50, 4, v50
	s_cmp_lg_u32 s22, s0
	s_waitcnt lgkmcnt(0)
	v_cmp_lt_f32_e64 vcc, |v48|, |v51|
	s_nop 1
	v_cndmask_b32_e32 v48, v48, v51, vcc
	v_cndmask_b32_e32 v46, v46, v52, vcc
	s_cbranch_scc1 .LBB74_269
.LBB74_270:
	s_waitcnt lgkmcnt(0)
	v_cmp_eq_f32_e32 vcc, 0, v48
	s_and_saveexec_b64 s[0:1], vcc
	s_xor_b64 s[0:1], exec, s[0:1]
; %bb.271:
	v_cmp_ne_u32_e32 vcc, 0, v19
	s_nop 1
	v_cndmask_b32_e32 v19, 17, v19, vcc
; %bb.272:
	s_andn2_saveexec_b64 s[0:1], s[0:1]
	s_cbranch_execz .LBB74_274
; %bb.273:
	v_div_scale_f32 v50, s[2:3], v48, v48, 1.0
	v_rcp_f32_e32 v51, v50
	v_div_scale_f32 v52, vcc, 1.0, v48, 1.0
	v_fma_f32 v53, -v50, v51, 1.0
	v_fmac_f32_e32 v51, v53, v51
	v_mul_f32_e32 v53, v52, v51
	v_fma_f32 v54, -v50, v53, v52
	v_fmac_f32_e32 v53, v54, v51
	v_fma_f32 v50, -v50, v53, v52
	v_div_fmas_f32 v50, v50, v51, v53
	v_div_fixup_f32 v48, v50, v48, 1.0
.LBB74_274:
	s_or_b64 exec, exec, s[0:1]
	v_cmp_ne_u32_e32 vcc, v49, v46
	s_and_saveexec_b64 s[0:1], vcc
	s_xor_b64 s[0:1], exec, s[0:1]
	s_cbranch_execz .LBB74_280
; %bb.275:
	v_cmp_eq_u32_e32 vcc, 16, v49
	s_and_saveexec_b64 s[2:3], vcc
	s_cbranch_execz .LBB74_279
; %bb.276:
	v_cmp_ne_u32_e32 vcc, 16, v46
	s_xor_b64 s[18:19], s[16:17], -1
	s_and_b64 s[20:21], s[18:19], vcc
	s_and_saveexec_b64 s[18:19], s[20:21]
	s_cbranch_execz .LBB74_278
; %bb.277:
	v_ashrrev_i32_e32 v47, 31, v46
	v_lshl_add_u64 v[50:51], v[46:47], 2, v[20:21]
	global_load_dword v47, v[50:51], off
	global_load_dword v49, v[20:21], off offset:64
	s_waitcnt vmcnt(1)
	global_store_dword v[20:21], v47, off offset:64
	s_waitcnt vmcnt(1)
	global_store_dword v[50:51], v49, off
.LBB74_278:
	s_or_b64 exec, exec, s[18:19]
	v_mov_b32_e32 v47, v46
	v_mov_b32_e32 v49, v46
.LBB74_279:
	s_or_b64 exec, exec, s[2:3]
.LBB74_280:
	s_andn2_saveexec_b64 s[0:1], s[0:1]
	s_cbranch_execz .LBB74_282
; %bb.281:
	s_waitcnt vmcnt(18)
	v_pk_mov_b32 v[50:51], v[34:35], v[30:31] op_sel:[1,0]
	ds_write2_b32 v17, v50, v51 offset0:17 offset1:18
	s_waitcnt vmcnt(16)
	v_pk_mov_b32 v[50:51], v[30:31], v[24:25] op_sel:[1,0]
	ds_write2_b32 v17, v50, v51 offset0:19 offset1:20
	;; [unrolled: 3-line block ×9, first 2 shown]
	s_waitcnt vmcnt(0)
	v_pk_mov_b32 v[50:51], v[40:41], v[36:37] op_sel:[1,0]
	v_mov_b32_e32 v49, 16
	ds_write2_b32 v17, v50, v51 offset0:35 offset1:36
	ds_write_b32 v17, v37 offset:148
.LBB74_282:
	s_or_b64 exec, exec, s[0:1]
	v_cmp_lt_i32_e32 vcc, 16, v49
	s_waitcnt lgkmcnt(0)
	s_barrier
	s_and_saveexec_b64 s[0:1], vcc
	s_cbranch_execz .LBB74_284
; %bb.283:
	ds_read_b32 v46, v17 offset:68
	ds_read2_b32 v[50:51], v17 offset0:18 offset1:19
	ds_read2_b32 v[52:53], v17 offset0:20 offset1:21
	v_mul_f32_e32 v34, v48, v34
	ds_read2_b32 v[54:55], v17 offset0:22 offset1:23
	s_waitcnt vmcnt(20) lgkmcnt(3)
	v_fma_f32 v35, -v34, v46, v35
	s_waitcnt vmcnt(18) lgkmcnt(2)
	v_pk_fma_f32 v[30:31], v[34:35], v[50:51], v[30:31] op_sel_hi:[0,1,1] neg_lo:[1,0,0] neg_hi:[1,0,0]
	s_waitcnt vmcnt(16) lgkmcnt(1)
	v_pk_fma_f32 v[24:25], v[34:35], v[52:53], v[24:25] op_sel_hi:[0,1,1] neg_lo:[1,0,0] neg_hi:[1,0,0]
	ds_read2_b32 v[50:51], v17 offset0:24 offset1:25
	ds_read2_b32 v[52:53], v17 offset0:26 offset1:27
	s_waitcnt vmcnt(14) lgkmcnt(2)
	v_pk_fma_f32 v[14:15], v[34:35], v[54:55], v[14:15] op_sel_hi:[0,1,1] neg_lo:[1,0,0] neg_hi:[1,0,0]
	ds_read2_b32 v[54:55], v17 offset0:28 offset1:29
	ds_read2_b32 v[56:57], v17 offset0:30 offset1:31
	s_waitcnt vmcnt(12) lgkmcnt(3)
	v_pk_fma_f32 v[42:43], v[34:35], v[50:51], v[42:43] op_sel_hi:[0,1,1] neg_lo:[1,0,0] neg_hi:[1,0,0]
	s_waitcnt vmcnt(10) lgkmcnt(2)
	v_pk_fma_f32 v[38:39], v[34:35], v[52:53], v[38:39] op_sel_hi:[0,1,1] neg_lo:[1,0,0] neg_hi:[1,0,0]
	ds_read2_b32 v[50:51], v17 offset0:32 offset1:33
	ds_read2_b32 v[52:53], v17 offset0:34 offset1:35
	;; [unrolled: 1-line block ×3, first 2 shown]
	s_waitcnt vmcnt(8) lgkmcnt(4)
	v_pk_fma_f32 v[32:33], v[34:35], v[54:55], v[32:33] op_sel_hi:[0,1,1] neg_lo:[1,0,0] neg_hi:[1,0,0]
	s_waitcnt vmcnt(6) lgkmcnt(3)
	v_pk_fma_f32 v[26:27], v[34:35], v[56:57], v[26:27] op_sel_hi:[0,1,1] neg_lo:[1,0,0] neg_hi:[1,0,0]
	;; [unrolled: 2-line block ×5, first 2 shown]
.LBB74_284:
	s_or_b64 exec, exec, s[0:1]
	v_lshl_add_u32 v46, v49, 2, v17
	s_barrier
	s_waitcnt vmcnt(20)
	ds_write_b32 v46, v35
	s_waitcnt lgkmcnt(0)
	s_barrier
	ds_read_b32 v48, v17 offset:68
	s_cmp_lt_i32 s22, 19
	v_mov_b32_e32 v46, 17
	s_cbranch_scc1 .LBB74_287
; %bb.285:
	v_add_u32_e32 v50, 0x48, v17
	v_mov_b32_e32 v46, 17
	s_mov_b32 s0, 18
.LBB74_286:                             ; =>This Inner Loop Header: Depth=1
	ds_read_b32 v51, v50
	v_mov_b32_e32 v52, s0
	s_add_i32 s0, s0, 1
	v_add_u32_e32 v50, 4, v50
	s_cmp_lg_u32 s22, s0
	s_waitcnt lgkmcnt(0)
	v_cmp_lt_f32_e64 vcc, |v48|, |v51|
	s_nop 1
	v_cndmask_b32_e32 v48, v48, v51, vcc
	v_cndmask_b32_e32 v46, v46, v52, vcc
	s_cbranch_scc1 .LBB74_286
.LBB74_287:
	s_waitcnt lgkmcnt(0)
	v_cmp_eq_f32_e32 vcc, 0, v48
	s_and_saveexec_b64 s[0:1], vcc
	s_xor_b64 s[0:1], exec, s[0:1]
; %bb.288:
	v_cmp_ne_u32_e32 vcc, 0, v19
	s_nop 1
	v_cndmask_b32_e32 v19, 18, v19, vcc
; %bb.289:
	s_andn2_saveexec_b64 s[0:1], s[0:1]
	s_cbranch_execz .LBB74_291
; %bb.290:
	v_div_scale_f32 v50, s[2:3], v48, v48, 1.0
	v_rcp_f32_e32 v51, v50
	v_div_scale_f32 v52, vcc, 1.0, v48, 1.0
	v_fma_f32 v53, -v50, v51, 1.0
	v_fmac_f32_e32 v51, v53, v51
	v_mul_f32_e32 v53, v52, v51
	v_fma_f32 v54, -v50, v53, v52
	v_fmac_f32_e32 v53, v54, v51
	v_fma_f32 v50, -v50, v53, v52
	v_div_fmas_f32 v50, v50, v51, v53
	v_div_fixup_f32 v48, v50, v48, 1.0
.LBB74_291:
	s_or_b64 exec, exec, s[0:1]
	v_cmp_ne_u32_e32 vcc, v49, v46
	s_and_saveexec_b64 s[0:1], vcc
	s_xor_b64 s[0:1], exec, s[0:1]
	s_cbranch_execz .LBB74_297
; %bb.292:
	v_cmp_eq_u32_e32 vcc, 17, v49
	s_and_saveexec_b64 s[2:3], vcc
	s_cbranch_execz .LBB74_296
; %bb.293:
	v_cmp_ne_u32_e32 vcc, 17, v46
	s_xor_b64 s[18:19], s[16:17], -1
	s_and_b64 s[20:21], s[18:19], vcc
	s_and_saveexec_b64 s[18:19], s[20:21]
	s_cbranch_execz .LBB74_295
; %bb.294:
	v_ashrrev_i32_e32 v47, 31, v46
	v_lshl_add_u64 v[50:51], v[46:47], 2, v[20:21]
	global_load_dword v47, v[50:51], off
	global_load_dword v49, v[20:21], off offset:68
	s_waitcnt vmcnt(1)
	global_store_dword v[20:21], v47, off offset:68
	s_waitcnt vmcnt(1)
	global_store_dword v[50:51], v49, off
.LBB74_295:
	s_or_b64 exec, exec, s[18:19]
	v_mov_b32_e32 v47, v46
	v_mov_b32_e32 v49, v46
.LBB74_296:
	s_or_b64 exec, exec, s[2:3]
.LBB74_297:
	s_andn2_saveexec_b64 s[0:1], s[0:1]
	s_cbranch_execz .LBB74_299
; %bb.298:
	v_mov_b32_e32 v49, 17
	s_waitcnt vmcnt(18)
	ds_write2_b32 v17, v30, v31 offset0:18 offset1:19
	s_waitcnt vmcnt(16)
	ds_write2_b32 v17, v24, v25 offset0:20 offset1:21
	;; [unrolled: 2-line block ×10, first 2 shown]
.LBB74_299:
	s_or_b64 exec, exec, s[0:1]
	v_cmp_lt_i32_e32 vcc, 17, v49
	s_waitcnt lgkmcnt(0)
	s_barrier
	s_and_saveexec_b64 s[0:1], vcc
	s_cbranch_execz .LBB74_301
; %bb.300:
	ds_read2_b32 v[50:51], v17 offset0:18 offset1:19
	ds_read2_b32 v[52:53], v17 offset0:20 offset1:21
	;; [unrolled: 1-line block ×3, first 2 shown]
	v_mul_f32_e32 v46, v48, v35
	ds_read2_b32 v[56:57], v17 offset0:24 offset1:25
	s_waitcnt vmcnt(18) lgkmcnt(3)
	v_pk_fma_f32 v[30:31], v[46:47], v[50:51], v[30:31] op_sel_hi:[0,1,1] neg_lo:[1,0,0] neg_hi:[1,0,0]
	ds_read2_b32 v[50:51], v17 offset0:26 offset1:27
	s_waitcnt vmcnt(16) lgkmcnt(3)
	v_pk_fma_f32 v[24:25], v[46:47], v[52:53], v[24:25] op_sel_hi:[0,1,1] neg_lo:[1,0,0] neg_hi:[1,0,0]
	s_waitcnt vmcnt(14) lgkmcnt(2)
	v_pk_fma_f32 v[14:15], v[46:47], v[54:55], v[14:15] op_sel_hi:[0,1,1] neg_lo:[1,0,0] neg_hi:[1,0,0]
	;; [unrolled: 2-line block ×3, first 2 shown]
	ds_read2_b32 v[52:53], v17 offset0:28 offset1:29
	ds_read2_b32 v[54:55], v17 offset0:30 offset1:31
	;; [unrolled: 1-line block ×3, first 2 shown]
	s_waitcnt vmcnt(10) lgkmcnt(3)
	v_pk_fma_f32 v[38:39], v[46:47], v[50:51], v[38:39] op_sel_hi:[0,1,1] neg_lo:[1,0,0] neg_hi:[1,0,0]
	ds_read2_b32 v[50:51], v17 offset0:34 offset1:35
	ds_read2_b32 v[58:59], v17 offset0:36 offset1:37
	s_waitcnt vmcnt(8) lgkmcnt(4)
	v_pk_fma_f32 v[32:33], v[46:47], v[52:53], v[32:33] op_sel_hi:[0,1,1] neg_lo:[1,0,0] neg_hi:[1,0,0]
	s_waitcnt vmcnt(6) lgkmcnt(3)
	v_pk_fma_f32 v[26:27], v[46:47], v[54:55], v[26:27] op_sel_hi:[0,1,1] neg_lo:[1,0,0] neg_hi:[1,0,0]
	;; [unrolled: 2-line block ×5, first 2 shown]
	v_mov_b32_e32 v35, v46
.LBB74_301:
	s_or_b64 exec, exec, s[0:1]
	v_lshl_add_u32 v46, v49, 2, v17
	s_barrier
	s_waitcnt vmcnt(19)
	ds_write_b32 v46, v30
	s_waitcnt lgkmcnt(0)
	s_barrier
	ds_read_b32 v48, v17 offset:72
	s_cmp_lt_i32 s22, 20
	v_mov_b32_e32 v46, 18
	s_cbranch_scc1 .LBB74_304
; %bb.302:
	v_add_u32_e32 v50, 0x4c, v17
	v_mov_b32_e32 v46, 18
	s_mov_b32 s0, 19
.LBB74_303:                             ; =>This Inner Loop Header: Depth=1
	ds_read_b32 v51, v50
	v_mov_b32_e32 v52, s0
	s_add_i32 s0, s0, 1
	v_add_u32_e32 v50, 4, v50
	s_cmp_lg_u32 s22, s0
	s_waitcnt lgkmcnt(0)
	v_cmp_lt_f32_e64 vcc, |v48|, |v51|
	s_nop 1
	v_cndmask_b32_e32 v48, v48, v51, vcc
	v_cndmask_b32_e32 v46, v46, v52, vcc
	s_cbranch_scc1 .LBB74_303
.LBB74_304:
	s_waitcnt lgkmcnt(0)
	v_cmp_eq_f32_e32 vcc, 0, v48
	s_and_saveexec_b64 s[0:1], vcc
	s_xor_b64 s[0:1], exec, s[0:1]
; %bb.305:
	v_cmp_ne_u32_e32 vcc, 0, v19
	s_nop 1
	v_cndmask_b32_e32 v19, 19, v19, vcc
; %bb.306:
	s_andn2_saveexec_b64 s[0:1], s[0:1]
	s_cbranch_execz .LBB74_308
; %bb.307:
	v_div_scale_f32 v50, s[2:3], v48, v48, 1.0
	v_rcp_f32_e32 v51, v50
	v_div_scale_f32 v52, vcc, 1.0, v48, 1.0
	v_fma_f32 v53, -v50, v51, 1.0
	v_fmac_f32_e32 v51, v53, v51
	v_mul_f32_e32 v53, v52, v51
	v_fma_f32 v54, -v50, v53, v52
	v_fmac_f32_e32 v53, v54, v51
	v_fma_f32 v50, -v50, v53, v52
	v_div_fmas_f32 v50, v50, v51, v53
	v_div_fixup_f32 v48, v50, v48, 1.0
.LBB74_308:
	s_or_b64 exec, exec, s[0:1]
	v_cmp_ne_u32_e32 vcc, v49, v46
	s_and_saveexec_b64 s[0:1], vcc
	s_xor_b64 s[0:1], exec, s[0:1]
	s_cbranch_execz .LBB74_314
; %bb.309:
	v_cmp_eq_u32_e32 vcc, 18, v49
	s_and_saveexec_b64 s[2:3], vcc
	s_cbranch_execz .LBB74_313
; %bb.310:
	v_cmp_ne_u32_e32 vcc, 18, v46
	s_xor_b64 s[18:19], s[16:17], -1
	s_and_b64 s[20:21], s[18:19], vcc
	s_and_saveexec_b64 s[18:19], s[20:21]
	s_cbranch_execz .LBB74_312
; %bb.311:
	v_ashrrev_i32_e32 v47, 31, v46
	v_lshl_add_u64 v[50:51], v[46:47], 2, v[20:21]
	global_load_dword v47, v[50:51], off
	global_load_dword v49, v[20:21], off offset:72
	s_waitcnt vmcnt(1)
	global_store_dword v[20:21], v47, off offset:72
	s_waitcnt vmcnt(1)
	global_store_dword v[50:51], v49, off
.LBB74_312:
	s_or_b64 exec, exec, s[18:19]
	v_mov_b32_e32 v47, v46
	v_mov_b32_e32 v49, v46
.LBB74_313:
	s_or_b64 exec, exec, s[2:3]
.LBB74_314:
	s_andn2_saveexec_b64 s[0:1], s[0:1]
	s_cbranch_execz .LBB74_316
; %bb.315:
	s_waitcnt vmcnt(16)
	v_pk_mov_b32 v[50:51], v[30:31], v[24:25] op_sel:[1,0]
	ds_write2_b32 v17, v50, v51 offset0:19 offset1:20
	s_waitcnt vmcnt(14)
	v_pk_mov_b32 v[50:51], v[24:25], v[14:15] op_sel:[1,0]
	ds_write2_b32 v17, v50, v51 offset0:21 offset1:22
	;; [unrolled: 3-line block ×8, first 2 shown]
	s_waitcnt vmcnt(0)
	v_pk_mov_b32 v[50:51], v[40:41], v[36:37] op_sel:[1,0]
	v_mov_b32_e32 v49, 18
	ds_write2_b32 v17, v50, v51 offset0:35 offset1:36
	ds_write_b32 v17, v37 offset:148
.LBB74_316:
	s_or_b64 exec, exec, s[0:1]
	v_cmp_lt_i32_e32 vcc, 18, v49
	s_waitcnt lgkmcnt(0)
	s_barrier
	s_and_saveexec_b64 s[0:1], vcc
	s_cbranch_execz .LBB74_318
; %bb.317:
	ds_read_b32 v46, v17 offset:76
	ds_read2_b32 v[50:51], v17 offset0:20 offset1:21
	ds_read2_b32 v[52:53], v17 offset0:22 offset1:23
	v_mul_f32_e32 v30, v48, v30
	ds_read2_b32 v[54:55], v17 offset0:24 offset1:25
	s_waitcnt vmcnt(18) lgkmcnt(3)
	v_fma_f32 v31, -v30, v46, v31
	s_waitcnt vmcnt(16) lgkmcnt(2)
	v_pk_fma_f32 v[24:25], v[30:31], v[50:51], v[24:25] op_sel_hi:[0,1,1] neg_lo:[1,0,0] neg_hi:[1,0,0]
	ds_read2_b32 v[50:51], v17 offset0:26 offset1:27
	s_waitcnt vmcnt(14) lgkmcnt(2)
	v_pk_fma_f32 v[14:15], v[30:31], v[52:53], v[14:15] op_sel_hi:[0,1,1] neg_lo:[1,0,0] neg_hi:[1,0,0]
	s_waitcnt vmcnt(12) lgkmcnt(1)
	v_pk_fma_f32 v[42:43], v[30:31], v[54:55], v[42:43] op_sel_hi:[0,1,1] neg_lo:[1,0,0] neg_hi:[1,0,0]
	ds_read2_b32 v[52:53], v17 offset0:28 offset1:29
	ds_read2_b32 v[54:55], v17 offset0:30 offset1:31
	;; [unrolled: 1-line block ×3, first 2 shown]
	s_waitcnt vmcnt(10) lgkmcnt(3)
	v_pk_fma_f32 v[38:39], v[30:31], v[50:51], v[38:39] op_sel_hi:[0,1,1] neg_lo:[1,0,0] neg_hi:[1,0,0]
	ds_read2_b32 v[50:51], v17 offset0:34 offset1:35
	ds_read2_b32 v[58:59], v17 offset0:36 offset1:37
	s_waitcnt vmcnt(8) lgkmcnt(4)
	v_pk_fma_f32 v[32:33], v[30:31], v[52:53], v[32:33] op_sel_hi:[0,1,1] neg_lo:[1,0,0] neg_hi:[1,0,0]
	s_waitcnt vmcnt(6) lgkmcnt(3)
	v_pk_fma_f32 v[26:27], v[30:31], v[54:55], v[26:27] op_sel_hi:[0,1,1] neg_lo:[1,0,0] neg_hi:[1,0,0]
	;; [unrolled: 2-line block ×5, first 2 shown]
.LBB74_318:
	s_or_b64 exec, exec, s[0:1]
	v_lshl_add_u32 v46, v49, 2, v17
	s_barrier
	s_waitcnt vmcnt(18)
	ds_write_b32 v46, v31
	s_waitcnt lgkmcnt(0)
	s_barrier
	ds_read_b32 v48, v17 offset:76
	s_cmp_lt_i32 s22, 21
	v_mov_b32_e32 v46, 19
	s_cbranch_scc1 .LBB74_321
; %bb.319:
	v_add_u32_e32 v50, 0x50, v17
	v_mov_b32_e32 v46, 19
	s_mov_b32 s0, 20
.LBB74_320:                             ; =>This Inner Loop Header: Depth=1
	ds_read_b32 v51, v50
	v_mov_b32_e32 v52, s0
	s_add_i32 s0, s0, 1
	v_add_u32_e32 v50, 4, v50
	s_cmp_lg_u32 s22, s0
	s_waitcnt lgkmcnt(0)
	v_cmp_lt_f32_e64 vcc, |v48|, |v51|
	s_nop 1
	v_cndmask_b32_e32 v48, v48, v51, vcc
	v_cndmask_b32_e32 v46, v46, v52, vcc
	s_cbranch_scc1 .LBB74_320
.LBB74_321:
	s_waitcnt lgkmcnt(0)
	v_cmp_eq_f32_e32 vcc, 0, v48
	s_and_saveexec_b64 s[0:1], vcc
	s_xor_b64 s[0:1], exec, s[0:1]
; %bb.322:
	v_cmp_ne_u32_e32 vcc, 0, v19
	s_nop 1
	v_cndmask_b32_e32 v19, 20, v19, vcc
; %bb.323:
	s_andn2_saveexec_b64 s[0:1], s[0:1]
	s_cbranch_execz .LBB74_325
; %bb.324:
	v_div_scale_f32 v50, s[2:3], v48, v48, 1.0
	v_rcp_f32_e32 v51, v50
	v_div_scale_f32 v52, vcc, 1.0, v48, 1.0
	v_fma_f32 v53, -v50, v51, 1.0
	v_fmac_f32_e32 v51, v53, v51
	v_mul_f32_e32 v53, v52, v51
	v_fma_f32 v54, -v50, v53, v52
	v_fmac_f32_e32 v53, v54, v51
	v_fma_f32 v50, -v50, v53, v52
	v_div_fmas_f32 v50, v50, v51, v53
	v_div_fixup_f32 v48, v50, v48, 1.0
.LBB74_325:
	s_or_b64 exec, exec, s[0:1]
	v_cmp_ne_u32_e32 vcc, v49, v46
	s_and_saveexec_b64 s[0:1], vcc
	s_xor_b64 s[0:1], exec, s[0:1]
	s_cbranch_execz .LBB74_331
; %bb.326:
	v_cmp_eq_u32_e32 vcc, 19, v49
	s_and_saveexec_b64 s[2:3], vcc
	s_cbranch_execz .LBB74_330
; %bb.327:
	v_cmp_ne_u32_e32 vcc, 19, v46
	s_xor_b64 s[18:19], s[16:17], -1
	s_and_b64 s[20:21], s[18:19], vcc
	s_and_saveexec_b64 s[18:19], s[20:21]
	s_cbranch_execz .LBB74_329
; %bb.328:
	v_ashrrev_i32_e32 v47, 31, v46
	v_lshl_add_u64 v[50:51], v[46:47], 2, v[20:21]
	global_load_dword v47, v[50:51], off
	global_load_dword v49, v[20:21], off offset:76
	s_waitcnt vmcnt(1)
	global_store_dword v[20:21], v47, off offset:76
	s_waitcnt vmcnt(1)
	global_store_dword v[50:51], v49, off
.LBB74_329:
	s_or_b64 exec, exec, s[18:19]
	v_mov_b32_e32 v47, v46
	v_mov_b32_e32 v49, v46
.LBB74_330:
	s_or_b64 exec, exec, s[2:3]
.LBB74_331:
	s_andn2_saveexec_b64 s[0:1], s[0:1]
	s_cbranch_execz .LBB74_333
; %bb.332:
	v_mov_b32_e32 v49, 19
	s_waitcnt vmcnt(16)
	ds_write2_b32 v17, v24, v25 offset0:20 offset1:21
	s_waitcnt vmcnt(14)
	ds_write2_b32 v17, v14, v15 offset0:22 offset1:23
	;; [unrolled: 2-line block ×9, first 2 shown]
.LBB74_333:
	s_or_b64 exec, exec, s[0:1]
	v_cmp_lt_i32_e32 vcc, 19, v49
	s_waitcnt lgkmcnt(0)
	s_barrier
	s_and_saveexec_b64 s[0:1], vcc
	s_cbranch_execz .LBB74_335
; %bb.334:
	ds_read2_b32 v[50:51], v17 offset0:20 offset1:21
	ds_read2_b32 v[52:53], v17 offset0:22 offset1:23
	;; [unrolled: 1-line block ×4, first 2 shown]
	v_mul_f32_e32 v46, v48, v31
	s_waitcnt vmcnt(16) lgkmcnt(3)
	v_pk_fma_f32 v[24:25], v[46:47], v[50:51], v[24:25] op_sel_hi:[0,1,1] neg_lo:[1,0,0] neg_hi:[1,0,0]
	s_waitcnt vmcnt(14) lgkmcnt(2)
	v_pk_fma_f32 v[14:15], v[46:47], v[52:53], v[14:15] op_sel_hi:[0,1,1] neg_lo:[1,0,0] neg_hi:[1,0,0]
	;; [unrolled: 2-line block ×4, first 2 shown]
	ds_read2_b32 v[50:51], v17 offset0:28 offset1:29
	ds_read2_b32 v[52:53], v17 offset0:30 offset1:31
	;; [unrolled: 1-line block ×5, first 2 shown]
	s_waitcnt vmcnt(8) lgkmcnt(4)
	v_pk_fma_f32 v[32:33], v[46:47], v[50:51], v[32:33] op_sel_hi:[0,1,1] neg_lo:[1,0,0] neg_hi:[1,0,0]
	s_waitcnt vmcnt(6) lgkmcnt(3)
	v_pk_fma_f32 v[26:27], v[46:47], v[52:53], v[26:27] op_sel_hi:[0,1,1] neg_lo:[1,0,0] neg_hi:[1,0,0]
	;; [unrolled: 2-line block ×5, first 2 shown]
	v_mov_b32_e32 v31, v46
.LBB74_335:
	s_or_b64 exec, exec, s[0:1]
	v_lshl_add_u32 v46, v49, 2, v17
	s_barrier
	s_waitcnt vmcnt(17)
	ds_write_b32 v46, v24
	s_waitcnt lgkmcnt(0)
	s_barrier
	ds_read_b32 v48, v17 offset:80
	s_cmp_lt_i32 s22, 22
	v_mov_b32_e32 v46, 20
	s_cbranch_scc1 .LBB74_338
; %bb.336:
	v_add_u32_e32 v50, 0x54, v17
	v_mov_b32_e32 v46, 20
	s_mov_b32 s0, 21
.LBB74_337:                             ; =>This Inner Loop Header: Depth=1
	ds_read_b32 v51, v50
	v_mov_b32_e32 v52, s0
	s_add_i32 s0, s0, 1
	v_add_u32_e32 v50, 4, v50
	s_cmp_lg_u32 s22, s0
	s_waitcnt lgkmcnt(0)
	v_cmp_lt_f32_e64 vcc, |v48|, |v51|
	s_nop 1
	v_cndmask_b32_e32 v48, v48, v51, vcc
	v_cndmask_b32_e32 v46, v46, v52, vcc
	s_cbranch_scc1 .LBB74_337
.LBB74_338:
	s_waitcnt lgkmcnt(0)
	v_cmp_eq_f32_e32 vcc, 0, v48
	s_and_saveexec_b64 s[0:1], vcc
	s_xor_b64 s[0:1], exec, s[0:1]
; %bb.339:
	v_cmp_ne_u32_e32 vcc, 0, v19
	s_nop 1
	v_cndmask_b32_e32 v19, 21, v19, vcc
; %bb.340:
	s_andn2_saveexec_b64 s[0:1], s[0:1]
	s_cbranch_execz .LBB74_342
; %bb.341:
	v_div_scale_f32 v50, s[2:3], v48, v48, 1.0
	v_rcp_f32_e32 v51, v50
	v_div_scale_f32 v52, vcc, 1.0, v48, 1.0
	v_fma_f32 v53, -v50, v51, 1.0
	v_fmac_f32_e32 v51, v53, v51
	v_mul_f32_e32 v53, v52, v51
	v_fma_f32 v54, -v50, v53, v52
	v_fmac_f32_e32 v53, v54, v51
	v_fma_f32 v50, -v50, v53, v52
	v_div_fmas_f32 v50, v50, v51, v53
	v_div_fixup_f32 v48, v50, v48, 1.0
.LBB74_342:
	s_or_b64 exec, exec, s[0:1]
	v_cmp_ne_u32_e32 vcc, v49, v46
	s_and_saveexec_b64 s[0:1], vcc
	s_xor_b64 s[0:1], exec, s[0:1]
	s_cbranch_execz .LBB74_348
; %bb.343:
	v_cmp_eq_u32_e32 vcc, 20, v49
	s_and_saveexec_b64 s[2:3], vcc
	s_cbranch_execz .LBB74_347
; %bb.344:
	v_cmp_ne_u32_e32 vcc, 20, v46
	s_xor_b64 s[18:19], s[16:17], -1
	s_and_b64 s[20:21], s[18:19], vcc
	s_and_saveexec_b64 s[18:19], s[20:21]
	s_cbranch_execz .LBB74_346
; %bb.345:
	v_ashrrev_i32_e32 v47, 31, v46
	v_lshl_add_u64 v[50:51], v[46:47], 2, v[20:21]
	global_load_dword v47, v[50:51], off
	global_load_dword v49, v[20:21], off offset:80
	s_waitcnt vmcnt(1)
	global_store_dword v[20:21], v47, off offset:80
	s_waitcnt vmcnt(1)
	global_store_dword v[50:51], v49, off
.LBB74_346:
	s_or_b64 exec, exec, s[18:19]
	v_mov_b32_e32 v47, v46
	v_mov_b32_e32 v49, v46
.LBB74_347:
	s_or_b64 exec, exec, s[2:3]
.LBB74_348:
	s_andn2_saveexec_b64 s[0:1], s[0:1]
	s_cbranch_execz .LBB74_350
; %bb.349:
	s_waitcnt vmcnt(14)
	v_pk_mov_b32 v[50:51], v[24:25], v[14:15] op_sel:[1,0]
	ds_write2_b32 v17, v50, v51 offset0:21 offset1:22
	s_waitcnt vmcnt(12)
	v_pk_mov_b32 v[50:51], v[14:15], v[42:43] op_sel:[1,0]
	ds_write2_b32 v17, v50, v51 offset0:23 offset1:24
	;; [unrolled: 3-line block ×7, first 2 shown]
	s_waitcnt vmcnt(0)
	v_pk_mov_b32 v[50:51], v[40:41], v[36:37] op_sel:[1,0]
	v_mov_b32_e32 v49, 20
	ds_write2_b32 v17, v50, v51 offset0:35 offset1:36
	ds_write_b32 v17, v37 offset:148
.LBB74_350:
	s_or_b64 exec, exec, s[0:1]
	v_cmp_lt_i32_e32 vcc, 20, v49
	s_waitcnt lgkmcnt(0)
	s_barrier
	s_and_saveexec_b64 s[0:1], vcc
	s_cbranch_execz .LBB74_352
; %bb.351:
	ds_read_b32 v46, v17 offset:84
	ds_read2_b32 v[50:51], v17 offset0:22 offset1:23
	ds_read2_b32 v[52:53], v17 offset0:24 offset1:25
	;; [unrolled: 1-line block ×3, first 2 shown]
	v_mul_f32_e32 v24, v48, v24
	s_waitcnt vmcnt(16) lgkmcnt(3)
	v_fma_f32 v25, -v24, v46, v25
	s_waitcnt vmcnt(14) lgkmcnt(2)
	v_pk_fma_f32 v[14:15], v[24:25], v[50:51], v[14:15] op_sel_hi:[0,1,1] neg_lo:[1,0,0] neg_hi:[1,0,0]
	s_waitcnt vmcnt(12) lgkmcnt(1)
	v_pk_fma_f32 v[42:43], v[24:25], v[52:53], v[42:43] op_sel_hi:[0,1,1] neg_lo:[1,0,0] neg_hi:[1,0,0]
	;; [unrolled: 2-line block ×3, first 2 shown]
	ds_read2_b32 v[50:51], v17 offset0:28 offset1:29
	ds_read2_b32 v[52:53], v17 offset0:30 offset1:31
	;; [unrolled: 1-line block ×5, first 2 shown]
	s_waitcnt vmcnt(8) lgkmcnt(4)
	v_pk_fma_f32 v[32:33], v[24:25], v[50:51], v[32:33] op_sel_hi:[0,1,1] neg_lo:[1,0,0] neg_hi:[1,0,0]
	s_waitcnt vmcnt(6) lgkmcnt(3)
	v_pk_fma_f32 v[26:27], v[24:25], v[52:53], v[26:27] op_sel_hi:[0,1,1] neg_lo:[1,0,0] neg_hi:[1,0,0]
	s_waitcnt vmcnt(4) lgkmcnt(2)
	v_pk_fma_f32 v[44:45], v[24:25], v[54:55], v[44:45] op_sel_hi:[0,1,1] neg_lo:[1,0,0] neg_hi:[1,0,0]
	s_waitcnt vmcnt(2) lgkmcnt(1)
	v_pk_fma_f32 v[40:41], v[24:25], v[56:57], v[40:41] op_sel_hi:[0,1,1] neg_lo:[1,0,0] neg_hi:[1,0,0]
	s_waitcnt vmcnt(0) lgkmcnt(0)
	v_pk_fma_f32 v[36:37], v[24:25], v[58:59], v[36:37] op_sel_hi:[0,1,1] neg_lo:[1,0,0] neg_hi:[1,0,0]
.LBB74_352:
	s_or_b64 exec, exec, s[0:1]
	v_lshl_add_u32 v46, v49, 2, v17
	s_barrier
	s_waitcnt vmcnt(16)
	ds_write_b32 v46, v25
	s_waitcnt lgkmcnt(0)
	s_barrier
	ds_read_b32 v48, v17 offset:84
	s_cmp_lt_i32 s22, 23
	v_mov_b32_e32 v46, 21
	s_cbranch_scc1 .LBB74_355
; %bb.353:
	v_add_u32_e32 v50, 0x58, v17
	v_mov_b32_e32 v46, 21
	s_mov_b32 s0, 22
.LBB74_354:                             ; =>This Inner Loop Header: Depth=1
	ds_read_b32 v51, v50
	v_mov_b32_e32 v52, s0
	s_add_i32 s0, s0, 1
	v_add_u32_e32 v50, 4, v50
	s_cmp_lg_u32 s22, s0
	s_waitcnt lgkmcnt(0)
	v_cmp_lt_f32_e64 vcc, |v48|, |v51|
	s_nop 1
	v_cndmask_b32_e32 v48, v48, v51, vcc
	v_cndmask_b32_e32 v46, v46, v52, vcc
	s_cbranch_scc1 .LBB74_354
.LBB74_355:
	s_waitcnt lgkmcnt(0)
	v_cmp_eq_f32_e32 vcc, 0, v48
	s_and_saveexec_b64 s[0:1], vcc
	s_xor_b64 s[0:1], exec, s[0:1]
; %bb.356:
	v_cmp_ne_u32_e32 vcc, 0, v19
	s_nop 1
	v_cndmask_b32_e32 v19, 22, v19, vcc
; %bb.357:
	s_andn2_saveexec_b64 s[0:1], s[0:1]
	s_cbranch_execz .LBB74_359
; %bb.358:
	v_div_scale_f32 v50, s[2:3], v48, v48, 1.0
	v_rcp_f32_e32 v51, v50
	v_div_scale_f32 v52, vcc, 1.0, v48, 1.0
	v_fma_f32 v53, -v50, v51, 1.0
	v_fmac_f32_e32 v51, v53, v51
	v_mul_f32_e32 v53, v52, v51
	v_fma_f32 v54, -v50, v53, v52
	v_fmac_f32_e32 v53, v54, v51
	v_fma_f32 v50, -v50, v53, v52
	v_div_fmas_f32 v50, v50, v51, v53
	v_div_fixup_f32 v48, v50, v48, 1.0
.LBB74_359:
	s_or_b64 exec, exec, s[0:1]
	v_cmp_ne_u32_e32 vcc, v49, v46
	s_and_saveexec_b64 s[0:1], vcc
	s_xor_b64 s[0:1], exec, s[0:1]
	s_cbranch_execz .LBB74_365
; %bb.360:
	v_cmp_eq_u32_e32 vcc, 21, v49
	s_and_saveexec_b64 s[2:3], vcc
	s_cbranch_execz .LBB74_364
; %bb.361:
	v_cmp_ne_u32_e32 vcc, 21, v46
	s_xor_b64 s[18:19], s[16:17], -1
	s_and_b64 s[20:21], s[18:19], vcc
	s_and_saveexec_b64 s[18:19], s[20:21]
	s_cbranch_execz .LBB74_363
; %bb.362:
	v_ashrrev_i32_e32 v47, 31, v46
	v_lshl_add_u64 v[50:51], v[46:47], 2, v[20:21]
	global_load_dword v47, v[50:51], off
	global_load_dword v49, v[20:21], off offset:84
	s_waitcnt vmcnt(1)
	global_store_dword v[20:21], v47, off offset:84
	s_waitcnt vmcnt(1)
	global_store_dword v[50:51], v49, off
.LBB74_363:
	s_or_b64 exec, exec, s[18:19]
	v_mov_b32_e32 v47, v46
	v_mov_b32_e32 v49, v46
.LBB74_364:
	s_or_b64 exec, exec, s[2:3]
.LBB74_365:
	s_andn2_saveexec_b64 s[0:1], s[0:1]
	s_cbranch_execz .LBB74_367
; %bb.366:
	v_mov_b32_e32 v49, 21
	s_waitcnt vmcnt(14)
	ds_write2_b32 v17, v14, v15 offset0:22 offset1:23
	s_waitcnt vmcnt(12)
	ds_write2_b32 v17, v42, v43 offset0:24 offset1:25
	;; [unrolled: 2-line block ×8, first 2 shown]
.LBB74_367:
	s_or_b64 exec, exec, s[0:1]
	v_cmp_lt_i32_e32 vcc, 21, v49
	s_waitcnt lgkmcnt(0)
	s_barrier
	s_and_saveexec_b64 s[0:1], vcc
	s_cbranch_execz .LBB74_369
; %bb.368:
	ds_read2_b32 v[50:51], v17 offset0:22 offset1:23
	ds_read2_b32 v[52:53], v17 offset0:24 offset1:25
	;; [unrolled: 1-line block ×3, first 2 shown]
	v_mul_f32_e32 v46, v48, v25
	ds_read2_b32 v[56:57], v17 offset0:28 offset1:29
	s_waitcnt vmcnt(14) lgkmcnt(3)
	v_pk_fma_f32 v[14:15], v[46:47], v[50:51], v[14:15] op_sel_hi:[0,1,1] neg_lo:[1,0,0] neg_hi:[1,0,0]
	s_waitcnt vmcnt(12) lgkmcnt(2)
	v_pk_fma_f32 v[42:43], v[46:47], v[52:53], v[42:43] op_sel_hi:[0,1,1] neg_lo:[1,0,0] neg_hi:[1,0,0]
	;; [unrolled: 2-line block ×3, first 2 shown]
	ds_read2_b32 v[50:51], v17 offset0:30 offset1:31
	ds_read2_b32 v[52:53], v17 offset0:32 offset1:33
	;; [unrolled: 1-line block ×4, first 2 shown]
	s_waitcnt vmcnt(8) lgkmcnt(4)
	v_pk_fma_f32 v[32:33], v[46:47], v[56:57], v[32:33] op_sel_hi:[0,1,1] neg_lo:[1,0,0] neg_hi:[1,0,0]
	s_waitcnt vmcnt(6) lgkmcnt(3)
	v_pk_fma_f32 v[26:27], v[46:47], v[50:51], v[26:27] op_sel_hi:[0,1,1] neg_lo:[1,0,0] neg_hi:[1,0,0]
	;; [unrolled: 2-line block ×5, first 2 shown]
	v_mov_b32_e32 v25, v46
.LBB74_369:
	s_or_b64 exec, exec, s[0:1]
	v_lshl_add_u32 v46, v49, 2, v17
	s_barrier
	s_waitcnt vmcnt(15)
	ds_write_b32 v46, v14
	s_waitcnt lgkmcnt(0)
	s_barrier
	ds_read_b32 v48, v17 offset:88
	s_cmp_lt_i32 s22, 24
	v_mov_b32_e32 v46, 22
	s_cbranch_scc1 .LBB74_372
; %bb.370:
	v_add_u32_e32 v50, 0x5c, v17
	v_mov_b32_e32 v46, 22
	s_mov_b32 s0, 23
.LBB74_371:                             ; =>This Inner Loop Header: Depth=1
	ds_read_b32 v51, v50
	v_mov_b32_e32 v52, s0
	s_add_i32 s0, s0, 1
	v_add_u32_e32 v50, 4, v50
	s_cmp_lg_u32 s22, s0
	s_waitcnt lgkmcnt(0)
	v_cmp_lt_f32_e64 vcc, |v48|, |v51|
	s_nop 1
	v_cndmask_b32_e32 v48, v48, v51, vcc
	v_cndmask_b32_e32 v46, v46, v52, vcc
	s_cbranch_scc1 .LBB74_371
.LBB74_372:
	s_waitcnt lgkmcnt(0)
	v_cmp_eq_f32_e32 vcc, 0, v48
	s_and_saveexec_b64 s[0:1], vcc
	s_xor_b64 s[0:1], exec, s[0:1]
; %bb.373:
	v_cmp_ne_u32_e32 vcc, 0, v19
	s_nop 1
	v_cndmask_b32_e32 v19, 23, v19, vcc
; %bb.374:
	s_andn2_saveexec_b64 s[0:1], s[0:1]
	s_cbranch_execz .LBB74_376
; %bb.375:
	v_div_scale_f32 v50, s[2:3], v48, v48, 1.0
	v_rcp_f32_e32 v51, v50
	v_div_scale_f32 v52, vcc, 1.0, v48, 1.0
	v_fma_f32 v53, -v50, v51, 1.0
	v_fmac_f32_e32 v51, v53, v51
	v_mul_f32_e32 v53, v52, v51
	v_fma_f32 v54, -v50, v53, v52
	v_fmac_f32_e32 v53, v54, v51
	v_fma_f32 v50, -v50, v53, v52
	v_div_fmas_f32 v50, v50, v51, v53
	v_div_fixup_f32 v48, v50, v48, 1.0
.LBB74_376:
	s_or_b64 exec, exec, s[0:1]
	v_cmp_ne_u32_e32 vcc, v49, v46
	s_and_saveexec_b64 s[0:1], vcc
	s_xor_b64 s[0:1], exec, s[0:1]
	s_cbranch_execz .LBB74_382
; %bb.377:
	v_cmp_eq_u32_e32 vcc, 22, v49
	s_and_saveexec_b64 s[2:3], vcc
	s_cbranch_execz .LBB74_381
; %bb.378:
	v_cmp_ne_u32_e32 vcc, 22, v46
	s_xor_b64 s[18:19], s[16:17], -1
	s_and_b64 s[20:21], s[18:19], vcc
	s_and_saveexec_b64 s[18:19], s[20:21]
	s_cbranch_execz .LBB74_380
; %bb.379:
	v_ashrrev_i32_e32 v47, 31, v46
	v_lshl_add_u64 v[50:51], v[46:47], 2, v[20:21]
	global_load_dword v47, v[50:51], off
	global_load_dword v49, v[20:21], off offset:88
	s_waitcnt vmcnt(1)
	global_store_dword v[20:21], v47, off offset:88
	s_waitcnt vmcnt(1)
	global_store_dword v[50:51], v49, off
.LBB74_380:
	s_or_b64 exec, exec, s[18:19]
	v_mov_b32_e32 v47, v46
	v_mov_b32_e32 v49, v46
.LBB74_381:
	s_or_b64 exec, exec, s[2:3]
.LBB74_382:
	s_andn2_saveexec_b64 s[0:1], s[0:1]
	s_cbranch_execz .LBB74_384
; %bb.383:
	s_waitcnt vmcnt(12)
	v_pk_mov_b32 v[50:51], v[14:15], v[42:43] op_sel:[1,0]
	ds_write2_b32 v17, v50, v51 offset0:23 offset1:24
	s_waitcnt vmcnt(10)
	v_pk_mov_b32 v[50:51], v[42:43], v[38:39] op_sel:[1,0]
	ds_write2_b32 v17, v50, v51 offset0:25 offset1:26
	;; [unrolled: 3-line block ×6, first 2 shown]
	s_waitcnt vmcnt(0)
	v_pk_mov_b32 v[50:51], v[40:41], v[36:37] op_sel:[1,0]
	v_mov_b32_e32 v49, 22
	ds_write2_b32 v17, v50, v51 offset0:35 offset1:36
	ds_write_b32 v17, v37 offset:148
.LBB74_384:
	s_or_b64 exec, exec, s[0:1]
	v_cmp_lt_i32_e32 vcc, 22, v49
	s_waitcnt lgkmcnt(0)
	s_barrier
	s_and_saveexec_b64 s[0:1], vcc
	s_cbranch_execz .LBB74_386
; %bb.385:
	ds_read_b32 v46, v17 offset:92
	ds_read2_b32 v[50:51], v17 offset0:24 offset1:25
	ds_read2_b32 v[52:53], v17 offset0:26 offset1:27
	v_mul_f32_e32 v14, v48, v14
	ds_read2_b32 v[54:55], v17 offset0:28 offset1:29
	s_waitcnt vmcnt(14) lgkmcnt(3)
	v_fma_f32 v15, -v14, v46, v15
	s_waitcnt vmcnt(12) lgkmcnt(2)
	v_pk_fma_f32 v[42:43], v[14:15], v[50:51], v[42:43] op_sel_hi:[0,1,1] neg_lo:[1,0,0] neg_hi:[1,0,0]
	s_waitcnt vmcnt(10) lgkmcnt(1)
	v_pk_fma_f32 v[38:39], v[14:15], v[52:53], v[38:39] op_sel_hi:[0,1,1] neg_lo:[1,0,0] neg_hi:[1,0,0]
	ds_read2_b32 v[50:51], v17 offset0:30 offset1:31
	ds_read2_b32 v[52:53], v17 offset0:32 offset1:33
	;; [unrolled: 1-line block ×4, first 2 shown]
	s_waitcnt vmcnt(8) lgkmcnt(4)
	v_pk_fma_f32 v[32:33], v[14:15], v[54:55], v[32:33] op_sel_hi:[0,1,1] neg_lo:[1,0,0] neg_hi:[1,0,0]
	s_waitcnt vmcnt(6) lgkmcnt(3)
	v_pk_fma_f32 v[26:27], v[14:15], v[50:51], v[26:27] op_sel_hi:[0,1,1] neg_lo:[1,0,0] neg_hi:[1,0,0]
	;; [unrolled: 2-line block ×5, first 2 shown]
.LBB74_386:
	s_or_b64 exec, exec, s[0:1]
	v_lshl_add_u32 v46, v49, 2, v17
	s_barrier
	s_waitcnt vmcnt(14)
	ds_write_b32 v46, v15
	s_waitcnt lgkmcnt(0)
	s_barrier
	ds_read_b32 v48, v17 offset:92
	s_cmp_lt_i32 s22, 25
	v_mov_b32_e32 v46, 23
	s_cbranch_scc1 .LBB74_389
; %bb.387:
	v_add_u32_e32 v50, 0x60, v17
	v_mov_b32_e32 v46, 23
	s_mov_b32 s0, 24
.LBB74_388:                             ; =>This Inner Loop Header: Depth=1
	ds_read_b32 v51, v50
	v_mov_b32_e32 v52, s0
	s_add_i32 s0, s0, 1
	v_add_u32_e32 v50, 4, v50
	s_cmp_lg_u32 s22, s0
	s_waitcnt lgkmcnt(0)
	v_cmp_lt_f32_e64 vcc, |v48|, |v51|
	s_nop 1
	v_cndmask_b32_e32 v48, v48, v51, vcc
	v_cndmask_b32_e32 v46, v46, v52, vcc
	s_cbranch_scc1 .LBB74_388
.LBB74_389:
	s_waitcnt lgkmcnt(0)
	v_cmp_eq_f32_e32 vcc, 0, v48
	s_and_saveexec_b64 s[0:1], vcc
	s_xor_b64 s[0:1], exec, s[0:1]
; %bb.390:
	v_cmp_ne_u32_e32 vcc, 0, v19
	s_nop 1
	v_cndmask_b32_e32 v19, 24, v19, vcc
; %bb.391:
	s_andn2_saveexec_b64 s[0:1], s[0:1]
	s_cbranch_execz .LBB74_393
; %bb.392:
	v_div_scale_f32 v50, s[2:3], v48, v48, 1.0
	v_rcp_f32_e32 v51, v50
	v_div_scale_f32 v52, vcc, 1.0, v48, 1.0
	v_fma_f32 v53, -v50, v51, 1.0
	v_fmac_f32_e32 v51, v53, v51
	v_mul_f32_e32 v53, v52, v51
	v_fma_f32 v54, -v50, v53, v52
	v_fmac_f32_e32 v53, v54, v51
	v_fma_f32 v50, -v50, v53, v52
	v_div_fmas_f32 v50, v50, v51, v53
	v_div_fixup_f32 v48, v50, v48, 1.0
.LBB74_393:
	s_or_b64 exec, exec, s[0:1]
	v_cmp_ne_u32_e32 vcc, v49, v46
	s_and_saveexec_b64 s[0:1], vcc
	s_xor_b64 s[0:1], exec, s[0:1]
	s_cbranch_execz .LBB74_399
; %bb.394:
	v_cmp_eq_u32_e32 vcc, 23, v49
	s_and_saveexec_b64 s[2:3], vcc
	s_cbranch_execz .LBB74_398
; %bb.395:
	v_cmp_ne_u32_e32 vcc, 23, v46
	s_xor_b64 s[18:19], s[16:17], -1
	s_and_b64 s[20:21], s[18:19], vcc
	s_and_saveexec_b64 s[18:19], s[20:21]
	s_cbranch_execz .LBB74_397
; %bb.396:
	v_ashrrev_i32_e32 v47, 31, v46
	v_lshl_add_u64 v[50:51], v[46:47], 2, v[20:21]
	global_load_dword v47, v[50:51], off
	global_load_dword v49, v[20:21], off offset:92
	s_waitcnt vmcnt(1)
	global_store_dword v[20:21], v47, off offset:92
	s_waitcnt vmcnt(1)
	global_store_dword v[50:51], v49, off
.LBB74_397:
	s_or_b64 exec, exec, s[18:19]
	v_mov_b32_e32 v47, v46
	v_mov_b32_e32 v49, v46
.LBB74_398:
	s_or_b64 exec, exec, s[2:3]
.LBB74_399:
	s_andn2_saveexec_b64 s[0:1], s[0:1]
	s_cbranch_execz .LBB74_401
; %bb.400:
	v_mov_b32_e32 v49, 23
	s_waitcnt vmcnt(12)
	ds_write2_b32 v17, v42, v43 offset0:24 offset1:25
	s_waitcnt vmcnt(10)
	ds_write2_b32 v17, v38, v39 offset0:26 offset1:27
	;; [unrolled: 2-line block ×7, first 2 shown]
.LBB74_401:
	s_or_b64 exec, exec, s[0:1]
	v_cmp_lt_i32_e32 vcc, 23, v49
	s_waitcnt lgkmcnt(0)
	s_barrier
	s_and_saveexec_b64 s[0:1], vcc
	s_cbranch_execz .LBB74_403
; %bb.402:
	ds_read2_b32 v[50:51], v17 offset0:24 offset1:25
	ds_read2_b32 v[52:53], v17 offset0:26 offset1:27
	v_mul_f32_e32 v46, v48, v15
	ds_read2_b32 v[54:55], v17 offset0:28 offset1:29
	ds_read2_b32 v[56:57], v17 offset0:30 offset1:31
	v_mov_b32_e32 v15, v46
	s_waitcnt vmcnt(12) lgkmcnt(3)
	v_pk_fma_f32 v[42:43], v[46:47], v[50:51], v[42:43] op_sel_hi:[0,1,1] neg_lo:[1,0,0] neg_hi:[1,0,0]
	s_waitcnt vmcnt(10) lgkmcnt(2)
	v_pk_fma_f32 v[38:39], v[46:47], v[52:53], v[38:39] op_sel_hi:[0,1,1] neg_lo:[1,0,0] neg_hi:[1,0,0]
	ds_read2_b32 v[50:51], v17 offset0:32 offset1:33
	ds_read2_b32 v[52:53], v17 offset0:34 offset1:35
	;; [unrolled: 1-line block ×3, first 2 shown]
	s_waitcnt vmcnt(8) lgkmcnt(4)
	v_pk_fma_f32 v[32:33], v[46:47], v[54:55], v[32:33] op_sel_hi:[0,1,1] neg_lo:[1,0,0] neg_hi:[1,0,0]
	s_waitcnt vmcnt(6) lgkmcnt(3)
	v_pk_fma_f32 v[26:27], v[46:47], v[56:57], v[26:27] op_sel_hi:[0,1,1] neg_lo:[1,0,0] neg_hi:[1,0,0]
	;; [unrolled: 2-line block ×5, first 2 shown]
.LBB74_403:
	s_or_b64 exec, exec, s[0:1]
	v_lshl_add_u32 v46, v49, 2, v17
	s_barrier
	s_waitcnt vmcnt(13)
	ds_write_b32 v46, v42
	s_waitcnt lgkmcnt(0)
	s_barrier
	ds_read_b32 v48, v17 offset:96
	s_cmp_lt_i32 s22, 26
	v_mov_b32_e32 v46, 24
	s_cbranch_scc1 .LBB74_406
; %bb.404:
	v_add_u32_e32 v50, 0x64, v17
	v_mov_b32_e32 v46, 24
	s_mov_b32 s0, 25
.LBB74_405:                             ; =>This Inner Loop Header: Depth=1
	ds_read_b32 v51, v50
	v_mov_b32_e32 v52, s0
	s_add_i32 s0, s0, 1
	v_add_u32_e32 v50, 4, v50
	s_cmp_lg_u32 s22, s0
	s_waitcnt lgkmcnt(0)
	v_cmp_lt_f32_e64 vcc, |v48|, |v51|
	s_nop 1
	v_cndmask_b32_e32 v48, v48, v51, vcc
	v_cndmask_b32_e32 v46, v46, v52, vcc
	s_cbranch_scc1 .LBB74_405
.LBB74_406:
	s_waitcnt lgkmcnt(0)
	v_cmp_eq_f32_e32 vcc, 0, v48
	s_and_saveexec_b64 s[0:1], vcc
	s_xor_b64 s[0:1], exec, s[0:1]
; %bb.407:
	v_cmp_ne_u32_e32 vcc, 0, v19
	s_nop 1
	v_cndmask_b32_e32 v19, 25, v19, vcc
; %bb.408:
	s_andn2_saveexec_b64 s[0:1], s[0:1]
	s_cbranch_execz .LBB74_410
; %bb.409:
	v_div_scale_f32 v50, s[2:3], v48, v48, 1.0
	v_rcp_f32_e32 v51, v50
	v_div_scale_f32 v52, vcc, 1.0, v48, 1.0
	v_fma_f32 v53, -v50, v51, 1.0
	v_fmac_f32_e32 v51, v53, v51
	v_mul_f32_e32 v53, v52, v51
	v_fma_f32 v54, -v50, v53, v52
	v_fmac_f32_e32 v53, v54, v51
	v_fma_f32 v50, -v50, v53, v52
	v_div_fmas_f32 v50, v50, v51, v53
	v_div_fixup_f32 v48, v50, v48, 1.0
.LBB74_410:
	s_or_b64 exec, exec, s[0:1]
	v_cmp_ne_u32_e32 vcc, v49, v46
	s_and_saveexec_b64 s[0:1], vcc
	s_xor_b64 s[0:1], exec, s[0:1]
	s_cbranch_execz .LBB74_416
; %bb.411:
	v_cmp_eq_u32_e32 vcc, 24, v49
	s_and_saveexec_b64 s[2:3], vcc
	s_cbranch_execz .LBB74_415
; %bb.412:
	v_cmp_ne_u32_e32 vcc, 24, v46
	s_xor_b64 s[18:19], s[16:17], -1
	s_and_b64 s[20:21], s[18:19], vcc
	s_and_saveexec_b64 s[18:19], s[20:21]
	s_cbranch_execz .LBB74_414
; %bb.413:
	v_ashrrev_i32_e32 v47, 31, v46
	v_lshl_add_u64 v[50:51], v[46:47], 2, v[20:21]
	global_load_dword v47, v[50:51], off
	global_load_dword v49, v[20:21], off offset:96
	s_waitcnt vmcnt(1)
	global_store_dword v[20:21], v47, off offset:96
	s_waitcnt vmcnt(1)
	global_store_dword v[50:51], v49, off
.LBB74_414:
	s_or_b64 exec, exec, s[18:19]
	v_mov_b32_e32 v47, v46
	v_mov_b32_e32 v49, v46
.LBB74_415:
	s_or_b64 exec, exec, s[2:3]
.LBB74_416:
	s_andn2_saveexec_b64 s[0:1], s[0:1]
	s_cbranch_execz .LBB74_418
; %bb.417:
	s_waitcnt vmcnt(10)
	v_pk_mov_b32 v[50:51], v[42:43], v[38:39] op_sel:[1,0]
	ds_write2_b32 v17, v50, v51 offset0:25 offset1:26
	s_waitcnt vmcnt(8)
	v_pk_mov_b32 v[50:51], v[38:39], v[32:33] op_sel:[1,0]
	ds_write2_b32 v17, v50, v51 offset0:27 offset1:28
	;; [unrolled: 3-line block ×5, first 2 shown]
	s_waitcnt vmcnt(0)
	v_pk_mov_b32 v[50:51], v[40:41], v[36:37] op_sel:[1,0]
	v_mov_b32_e32 v49, 24
	ds_write2_b32 v17, v50, v51 offset0:35 offset1:36
	ds_write_b32 v17, v37 offset:148
.LBB74_418:
	s_or_b64 exec, exec, s[0:1]
	v_cmp_lt_i32_e32 vcc, 24, v49
	s_waitcnt lgkmcnt(0)
	s_barrier
	s_and_saveexec_b64 s[0:1], vcc
	s_cbranch_execz .LBB74_420
; %bb.419:
	ds_read_b32 v46, v17 offset:100
	ds_read2_b32 v[50:51], v17 offset0:26 offset1:27
	v_mul_f32_e32 v42, v48, v42
	ds_read2_b32 v[52:53], v17 offset0:28 offset1:29
	ds_read2_b32 v[54:55], v17 offset0:30 offset1:31
	s_waitcnt vmcnt(12) lgkmcnt(3)
	v_fma_f32 v43, -v42, v46, v43
	s_waitcnt vmcnt(10) lgkmcnt(2)
	v_pk_fma_f32 v[38:39], v[42:43], v[50:51], v[38:39] op_sel_hi:[0,1,1] neg_lo:[1,0,0] neg_hi:[1,0,0]
	ds_read2_b32 v[50:51], v17 offset0:32 offset1:33
	ds_read2_b32 v[56:57], v17 offset0:34 offset1:35
	;; [unrolled: 1-line block ×3, first 2 shown]
	s_waitcnt vmcnt(8) lgkmcnt(4)
	v_pk_fma_f32 v[32:33], v[42:43], v[52:53], v[32:33] op_sel_hi:[0,1,1] neg_lo:[1,0,0] neg_hi:[1,0,0]
	s_waitcnt vmcnt(6) lgkmcnt(3)
	v_pk_fma_f32 v[26:27], v[42:43], v[54:55], v[26:27] op_sel_hi:[0,1,1] neg_lo:[1,0,0] neg_hi:[1,0,0]
	;; [unrolled: 2-line block ×5, first 2 shown]
.LBB74_420:
	s_or_b64 exec, exec, s[0:1]
	v_lshl_add_u32 v46, v49, 2, v17
	s_barrier
	s_waitcnt vmcnt(12)
	ds_write_b32 v46, v43
	s_waitcnt lgkmcnt(0)
	s_barrier
	ds_read_b32 v48, v17 offset:100
	s_cmp_lt_i32 s22, 27
	v_mov_b32_e32 v46, 25
	s_cbranch_scc1 .LBB74_423
; %bb.421:
	v_add_u32_e32 v50, 0x68, v17
	v_mov_b32_e32 v46, 25
	s_mov_b32 s0, 26
.LBB74_422:                             ; =>This Inner Loop Header: Depth=1
	ds_read_b32 v51, v50
	v_mov_b32_e32 v52, s0
	s_add_i32 s0, s0, 1
	v_add_u32_e32 v50, 4, v50
	s_cmp_lg_u32 s22, s0
	s_waitcnt lgkmcnt(0)
	v_cmp_lt_f32_e64 vcc, |v48|, |v51|
	s_nop 1
	v_cndmask_b32_e32 v48, v48, v51, vcc
	v_cndmask_b32_e32 v46, v46, v52, vcc
	s_cbranch_scc1 .LBB74_422
.LBB74_423:
	s_waitcnt lgkmcnt(0)
	v_cmp_eq_f32_e32 vcc, 0, v48
	s_and_saveexec_b64 s[0:1], vcc
	s_xor_b64 s[0:1], exec, s[0:1]
; %bb.424:
	v_cmp_ne_u32_e32 vcc, 0, v19
	s_nop 1
	v_cndmask_b32_e32 v19, 26, v19, vcc
; %bb.425:
	s_andn2_saveexec_b64 s[0:1], s[0:1]
	s_cbranch_execz .LBB74_427
; %bb.426:
	v_div_scale_f32 v50, s[2:3], v48, v48, 1.0
	v_rcp_f32_e32 v51, v50
	v_div_scale_f32 v52, vcc, 1.0, v48, 1.0
	v_fma_f32 v53, -v50, v51, 1.0
	v_fmac_f32_e32 v51, v53, v51
	v_mul_f32_e32 v53, v52, v51
	v_fma_f32 v54, -v50, v53, v52
	v_fmac_f32_e32 v53, v54, v51
	v_fma_f32 v50, -v50, v53, v52
	v_div_fmas_f32 v50, v50, v51, v53
	v_div_fixup_f32 v48, v50, v48, 1.0
.LBB74_427:
	s_or_b64 exec, exec, s[0:1]
	v_cmp_ne_u32_e32 vcc, v49, v46
	s_and_saveexec_b64 s[0:1], vcc
	s_xor_b64 s[0:1], exec, s[0:1]
	s_cbranch_execz .LBB74_433
; %bb.428:
	v_cmp_eq_u32_e32 vcc, 25, v49
	s_and_saveexec_b64 s[2:3], vcc
	s_cbranch_execz .LBB74_432
; %bb.429:
	v_cmp_ne_u32_e32 vcc, 25, v46
	s_xor_b64 s[18:19], s[16:17], -1
	s_and_b64 s[20:21], s[18:19], vcc
	s_and_saveexec_b64 s[18:19], s[20:21]
	s_cbranch_execz .LBB74_431
; %bb.430:
	v_ashrrev_i32_e32 v47, 31, v46
	v_lshl_add_u64 v[50:51], v[46:47], 2, v[20:21]
	global_load_dword v47, v[50:51], off
	global_load_dword v49, v[20:21], off offset:100
	s_waitcnt vmcnt(1)
	global_store_dword v[20:21], v47, off offset:100
	s_waitcnt vmcnt(1)
	global_store_dword v[50:51], v49, off
.LBB74_431:
	s_or_b64 exec, exec, s[18:19]
	v_mov_b32_e32 v47, v46
	v_mov_b32_e32 v49, v46
.LBB74_432:
	s_or_b64 exec, exec, s[2:3]
.LBB74_433:
	s_andn2_saveexec_b64 s[0:1], s[0:1]
	s_cbranch_execz .LBB74_435
; %bb.434:
	v_mov_b32_e32 v49, 25
	s_waitcnt vmcnt(10)
	ds_write2_b32 v17, v38, v39 offset0:26 offset1:27
	s_waitcnt vmcnt(8)
	ds_write2_b32 v17, v32, v33 offset0:28 offset1:29
	;; [unrolled: 2-line block ×6, first 2 shown]
.LBB74_435:
	s_or_b64 exec, exec, s[0:1]
	v_cmp_lt_i32_e32 vcc, 25, v49
	s_waitcnt lgkmcnt(0)
	s_barrier
	s_and_saveexec_b64 s[0:1], vcc
	s_cbranch_execz .LBB74_437
; %bb.436:
	ds_read2_b32 v[50:51], v17 offset0:26 offset1:27
	v_mul_f32_e32 v46, v48, v43
	ds_read2_b32 v[52:53], v17 offset0:28 offset1:29
	ds_read2_b32 v[54:55], v17 offset0:30 offset1:31
	;; [unrolled: 1-line block ×3, first 2 shown]
	v_mov_b32_e32 v43, v46
	s_waitcnt vmcnt(8) lgkmcnt(2)
	v_pk_fma_f32 v[32:33], v[46:47], v[52:53], v[32:33] op_sel_hi:[0,1,1] neg_lo:[1,0,0] neg_hi:[1,0,0]
	v_pk_fma_f32 v[38:39], v[46:47], v[50:51], v[38:39] op_sel_hi:[0,1,1] neg_lo:[1,0,0] neg_hi:[1,0,0]
	ds_read2_b32 v[50:51], v17 offset0:34 offset1:35
	ds_read2_b32 v[58:59], v17 offset0:36 offset1:37
	s_waitcnt vmcnt(6) lgkmcnt(3)
	v_pk_fma_f32 v[26:27], v[46:47], v[54:55], v[26:27] op_sel_hi:[0,1,1] neg_lo:[1,0,0] neg_hi:[1,0,0]
	s_waitcnt vmcnt(4) lgkmcnt(2)
	v_pk_fma_f32 v[44:45], v[46:47], v[56:57], v[44:45] op_sel_hi:[0,1,1] neg_lo:[1,0,0] neg_hi:[1,0,0]
	;; [unrolled: 2-line block ×4, first 2 shown]
.LBB74_437:
	s_or_b64 exec, exec, s[0:1]
	v_lshl_add_u32 v46, v49, 2, v17
	s_barrier
	s_waitcnt vmcnt(11)
	ds_write_b32 v46, v38
	s_waitcnt lgkmcnt(0)
	s_barrier
	ds_read_b32 v48, v17 offset:104
	s_cmp_lt_i32 s22, 28
	v_mov_b32_e32 v46, 26
	s_cbranch_scc1 .LBB74_440
; %bb.438:
	v_add_u32_e32 v50, 0x6c, v17
	v_mov_b32_e32 v46, 26
	s_mov_b32 s0, 27
.LBB74_439:                             ; =>This Inner Loop Header: Depth=1
	ds_read_b32 v51, v50
	v_mov_b32_e32 v52, s0
	s_add_i32 s0, s0, 1
	v_add_u32_e32 v50, 4, v50
	s_cmp_lg_u32 s22, s0
	s_waitcnt lgkmcnt(0)
	v_cmp_lt_f32_e64 vcc, |v48|, |v51|
	s_nop 1
	v_cndmask_b32_e32 v48, v48, v51, vcc
	v_cndmask_b32_e32 v46, v46, v52, vcc
	s_cbranch_scc1 .LBB74_439
.LBB74_440:
	s_waitcnt lgkmcnt(0)
	v_cmp_eq_f32_e32 vcc, 0, v48
	s_and_saveexec_b64 s[0:1], vcc
	s_xor_b64 s[0:1], exec, s[0:1]
; %bb.441:
	v_cmp_ne_u32_e32 vcc, 0, v19
	s_nop 1
	v_cndmask_b32_e32 v19, 27, v19, vcc
; %bb.442:
	s_andn2_saveexec_b64 s[0:1], s[0:1]
	s_cbranch_execz .LBB74_444
; %bb.443:
	v_div_scale_f32 v50, s[2:3], v48, v48, 1.0
	v_rcp_f32_e32 v51, v50
	v_div_scale_f32 v52, vcc, 1.0, v48, 1.0
	v_fma_f32 v53, -v50, v51, 1.0
	v_fmac_f32_e32 v51, v53, v51
	v_mul_f32_e32 v53, v52, v51
	v_fma_f32 v54, -v50, v53, v52
	v_fmac_f32_e32 v53, v54, v51
	v_fma_f32 v50, -v50, v53, v52
	v_div_fmas_f32 v50, v50, v51, v53
	v_div_fixup_f32 v48, v50, v48, 1.0
.LBB74_444:
	s_or_b64 exec, exec, s[0:1]
	v_cmp_ne_u32_e32 vcc, v49, v46
	s_and_saveexec_b64 s[0:1], vcc
	s_xor_b64 s[0:1], exec, s[0:1]
	s_cbranch_execz .LBB74_450
; %bb.445:
	v_cmp_eq_u32_e32 vcc, 26, v49
	s_and_saveexec_b64 s[2:3], vcc
	s_cbranch_execz .LBB74_449
; %bb.446:
	v_cmp_ne_u32_e32 vcc, 26, v46
	s_xor_b64 s[18:19], s[16:17], -1
	s_and_b64 s[20:21], s[18:19], vcc
	s_and_saveexec_b64 s[18:19], s[20:21]
	s_cbranch_execz .LBB74_448
; %bb.447:
	v_ashrrev_i32_e32 v47, 31, v46
	v_lshl_add_u64 v[50:51], v[46:47], 2, v[20:21]
	global_load_dword v47, v[50:51], off
	global_load_dword v49, v[20:21], off offset:104
	s_waitcnt vmcnt(1)
	global_store_dword v[20:21], v47, off offset:104
	s_waitcnt vmcnt(1)
	global_store_dword v[50:51], v49, off
.LBB74_448:
	s_or_b64 exec, exec, s[18:19]
	v_mov_b32_e32 v47, v46
	v_mov_b32_e32 v49, v46
.LBB74_449:
	s_or_b64 exec, exec, s[2:3]
.LBB74_450:
	s_andn2_saveexec_b64 s[0:1], s[0:1]
	s_cbranch_execz .LBB74_452
; %bb.451:
	s_waitcnt vmcnt(8)
	v_pk_mov_b32 v[50:51], v[38:39], v[32:33] op_sel:[1,0]
	ds_write2_b32 v17, v50, v51 offset0:27 offset1:28
	s_waitcnt vmcnt(6)
	v_pk_mov_b32 v[50:51], v[32:33], v[26:27] op_sel:[1,0]
	ds_write2_b32 v17, v50, v51 offset0:29 offset1:30
	;; [unrolled: 3-line block ×4, first 2 shown]
	s_waitcnt vmcnt(0)
	v_pk_mov_b32 v[50:51], v[40:41], v[36:37] op_sel:[1,0]
	v_mov_b32_e32 v49, 26
	ds_write2_b32 v17, v50, v51 offset0:35 offset1:36
	ds_write_b32 v17, v37 offset:148
.LBB74_452:
	s_or_b64 exec, exec, s[0:1]
	v_cmp_lt_i32_e32 vcc, 26, v49
	s_waitcnt lgkmcnt(0)
	s_barrier
	s_and_saveexec_b64 s[0:1], vcc
	s_cbranch_execz .LBB74_454
; %bb.453:
	ds_read_b32 v46, v17 offset:108
	ds_read2_b32 v[50:51], v17 offset0:28 offset1:29
	ds_read2_b32 v[52:53], v17 offset0:30 offset1:31
	;; [unrolled: 1-line block ×5, first 2 shown]
	v_mul_f32_e32 v38, v48, v38
	s_waitcnt vmcnt(10) lgkmcnt(5)
	v_fma_f32 v39, -v38, v46, v39
	s_waitcnt vmcnt(8) lgkmcnt(4)
	v_pk_fma_f32 v[32:33], v[38:39], v[50:51], v[32:33] op_sel_hi:[0,1,1] neg_lo:[1,0,0] neg_hi:[1,0,0]
	s_waitcnt vmcnt(6) lgkmcnt(3)
	v_pk_fma_f32 v[26:27], v[38:39], v[52:53], v[26:27] op_sel_hi:[0,1,1] neg_lo:[1,0,0] neg_hi:[1,0,0]
	;; [unrolled: 2-line block ×5, first 2 shown]
.LBB74_454:
	s_or_b64 exec, exec, s[0:1]
	v_lshl_add_u32 v46, v49, 2, v17
	s_barrier
	s_waitcnt vmcnt(10)
	ds_write_b32 v46, v39
	s_waitcnt lgkmcnt(0)
	s_barrier
	ds_read_b32 v48, v17 offset:108
	s_cmp_lt_i32 s22, 29
	v_mov_b32_e32 v46, 27
	s_cbranch_scc1 .LBB74_457
; %bb.455:
	v_add_u32_e32 v50, 0x70, v17
	v_mov_b32_e32 v46, 27
	s_mov_b32 s0, 28
.LBB74_456:                             ; =>This Inner Loop Header: Depth=1
	ds_read_b32 v51, v50
	v_mov_b32_e32 v52, s0
	s_add_i32 s0, s0, 1
	v_add_u32_e32 v50, 4, v50
	s_cmp_lg_u32 s22, s0
	s_waitcnt lgkmcnt(0)
	v_cmp_lt_f32_e64 vcc, |v48|, |v51|
	s_nop 1
	v_cndmask_b32_e32 v48, v48, v51, vcc
	v_cndmask_b32_e32 v46, v46, v52, vcc
	s_cbranch_scc1 .LBB74_456
.LBB74_457:
	s_waitcnt lgkmcnt(0)
	v_cmp_eq_f32_e32 vcc, 0, v48
	s_and_saveexec_b64 s[0:1], vcc
	s_xor_b64 s[0:1], exec, s[0:1]
; %bb.458:
	v_cmp_ne_u32_e32 vcc, 0, v19
	s_nop 1
	v_cndmask_b32_e32 v19, 28, v19, vcc
; %bb.459:
	s_andn2_saveexec_b64 s[0:1], s[0:1]
	s_cbranch_execz .LBB74_461
; %bb.460:
	v_div_scale_f32 v50, s[2:3], v48, v48, 1.0
	v_rcp_f32_e32 v51, v50
	v_div_scale_f32 v52, vcc, 1.0, v48, 1.0
	v_fma_f32 v53, -v50, v51, 1.0
	v_fmac_f32_e32 v51, v53, v51
	v_mul_f32_e32 v53, v52, v51
	v_fma_f32 v54, -v50, v53, v52
	v_fmac_f32_e32 v53, v54, v51
	v_fma_f32 v50, -v50, v53, v52
	v_div_fmas_f32 v50, v50, v51, v53
	v_div_fixup_f32 v48, v50, v48, 1.0
.LBB74_461:
	s_or_b64 exec, exec, s[0:1]
	v_cmp_ne_u32_e32 vcc, v49, v46
	s_and_saveexec_b64 s[0:1], vcc
	s_xor_b64 s[0:1], exec, s[0:1]
	s_cbranch_execz .LBB74_467
; %bb.462:
	v_cmp_eq_u32_e32 vcc, 27, v49
	s_and_saveexec_b64 s[2:3], vcc
	s_cbranch_execz .LBB74_466
; %bb.463:
	v_cmp_ne_u32_e32 vcc, 27, v46
	s_xor_b64 s[18:19], s[16:17], -1
	s_and_b64 s[20:21], s[18:19], vcc
	s_and_saveexec_b64 s[18:19], s[20:21]
	s_cbranch_execz .LBB74_465
; %bb.464:
	v_ashrrev_i32_e32 v47, 31, v46
	v_lshl_add_u64 v[50:51], v[46:47], 2, v[20:21]
	global_load_dword v47, v[50:51], off
	global_load_dword v49, v[20:21], off offset:108
	s_waitcnt vmcnt(1)
	global_store_dword v[20:21], v47, off offset:108
	s_waitcnt vmcnt(1)
	global_store_dword v[50:51], v49, off
.LBB74_465:
	s_or_b64 exec, exec, s[18:19]
	v_mov_b32_e32 v47, v46
	v_mov_b32_e32 v49, v46
.LBB74_466:
	s_or_b64 exec, exec, s[2:3]
.LBB74_467:
	s_andn2_saveexec_b64 s[0:1], s[0:1]
	s_cbranch_execz .LBB74_469
; %bb.468:
	v_mov_b32_e32 v49, 27
	s_waitcnt vmcnt(8)
	ds_write2_b32 v17, v32, v33 offset0:28 offset1:29
	s_waitcnt vmcnt(6)
	ds_write2_b32 v17, v26, v27 offset0:30 offset1:31
	;; [unrolled: 2-line block ×5, first 2 shown]
.LBB74_469:
	s_or_b64 exec, exec, s[0:1]
	v_cmp_lt_i32_e32 vcc, 27, v49
	s_waitcnt lgkmcnt(0)
	s_barrier
	s_and_saveexec_b64 s[0:1], vcc
	s_cbranch_execz .LBB74_471
; %bb.470:
	ds_read2_b32 v[50:51], v17 offset0:28 offset1:29
	ds_read2_b32 v[52:53], v17 offset0:30 offset1:31
	;; [unrolled: 1-line block ×5, first 2 shown]
	v_mul_f32_e32 v46, v48, v39
	s_waitcnt vmcnt(8) lgkmcnt(4)
	v_pk_fma_f32 v[32:33], v[46:47], v[50:51], v[32:33] op_sel_hi:[0,1,1] neg_lo:[1,0,0] neg_hi:[1,0,0]
	s_waitcnt vmcnt(6) lgkmcnt(3)
	v_pk_fma_f32 v[26:27], v[46:47], v[52:53], v[26:27] op_sel_hi:[0,1,1] neg_lo:[1,0,0] neg_hi:[1,0,0]
	;; [unrolled: 2-line block ×5, first 2 shown]
	v_mov_b32_e32 v39, v46
.LBB74_471:
	s_or_b64 exec, exec, s[0:1]
	v_lshl_add_u32 v46, v49, 2, v17
	s_barrier
	s_waitcnt vmcnt(9)
	ds_write_b32 v46, v32
	s_waitcnt lgkmcnt(0)
	s_barrier
	ds_read_b32 v48, v17 offset:112
	s_cmp_lt_i32 s22, 30
	v_mov_b32_e32 v46, 28
	s_cbranch_scc1 .LBB74_474
; %bb.472:
	v_add_u32_e32 v50, 0x74, v17
	v_mov_b32_e32 v46, 28
	s_mov_b32 s0, 29
.LBB74_473:                             ; =>This Inner Loop Header: Depth=1
	ds_read_b32 v51, v50
	v_mov_b32_e32 v52, s0
	s_add_i32 s0, s0, 1
	v_add_u32_e32 v50, 4, v50
	s_cmp_lg_u32 s22, s0
	s_waitcnt lgkmcnt(0)
	v_cmp_lt_f32_e64 vcc, |v48|, |v51|
	s_nop 1
	v_cndmask_b32_e32 v48, v48, v51, vcc
	v_cndmask_b32_e32 v46, v46, v52, vcc
	s_cbranch_scc1 .LBB74_473
.LBB74_474:
	s_waitcnt lgkmcnt(0)
	v_cmp_eq_f32_e32 vcc, 0, v48
	s_and_saveexec_b64 s[0:1], vcc
	s_xor_b64 s[0:1], exec, s[0:1]
; %bb.475:
	v_cmp_ne_u32_e32 vcc, 0, v19
	s_nop 1
	v_cndmask_b32_e32 v19, 29, v19, vcc
; %bb.476:
	s_andn2_saveexec_b64 s[0:1], s[0:1]
	s_cbranch_execz .LBB74_478
; %bb.477:
	v_div_scale_f32 v50, s[2:3], v48, v48, 1.0
	v_rcp_f32_e32 v51, v50
	v_div_scale_f32 v52, vcc, 1.0, v48, 1.0
	v_fma_f32 v53, -v50, v51, 1.0
	v_fmac_f32_e32 v51, v53, v51
	v_mul_f32_e32 v53, v52, v51
	v_fma_f32 v54, -v50, v53, v52
	v_fmac_f32_e32 v53, v54, v51
	v_fma_f32 v50, -v50, v53, v52
	v_div_fmas_f32 v50, v50, v51, v53
	v_div_fixup_f32 v48, v50, v48, 1.0
.LBB74_478:
	s_or_b64 exec, exec, s[0:1]
	v_cmp_ne_u32_e32 vcc, v49, v46
	s_and_saveexec_b64 s[0:1], vcc
	s_xor_b64 s[0:1], exec, s[0:1]
	s_cbranch_execz .LBB74_484
; %bb.479:
	v_cmp_eq_u32_e32 vcc, 28, v49
	s_and_saveexec_b64 s[2:3], vcc
	s_cbranch_execz .LBB74_483
; %bb.480:
	v_cmp_ne_u32_e32 vcc, 28, v46
	s_xor_b64 s[18:19], s[16:17], -1
	s_and_b64 s[20:21], s[18:19], vcc
	s_and_saveexec_b64 s[18:19], s[20:21]
	s_cbranch_execz .LBB74_482
; %bb.481:
	v_ashrrev_i32_e32 v47, 31, v46
	v_lshl_add_u64 v[50:51], v[46:47], 2, v[20:21]
	global_load_dword v47, v[50:51], off
	global_load_dword v49, v[20:21], off offset:112
	s_waitcnt vmcnt(1)
	global_store_dword v[20:21], v47, off offset:112
	s_waitcnt vmcnt(1)
	global_store_dword v[50:51], v49, off
.LBB74_482:
	s_or_b64 exec, exec, s[18:19]
	v_mov_b32_e32 v47, v46
	v_mov_b32_e32 v49, v46
.LBB74_483:
	s_or_b64 exec, exec, s[2:3]
.LBB74_484:
	s_andn2_saveexec_b64 s[0:1], s[0:1]
	s_cbranch_execz .LBB74_486
; %bb.485:
	s_waitcnt vmcnt(6)
	v_pk_mov_b32 v[50:51], v[32:33], v[26:27] op_sel:[1,0]
	ds_write2_b32 v17, v50, v51 offset0:29 offset1:30
	s_waitcnt vmcnt(4)
	v_pk_mov_b32 v[50:51], v[26:27], v[44:45] op_sel:[1,0]
	ds_write2_b32 v17, v50, v51 offset0:31 offset1:32
	;; [unrolled: 3-line block ×3, first 2 shown]
	s_waitcnt vmcnt(0)
	v_pk_mov_b32 v[50:51], v[40:41], v[36:37] op_sel:[1,0]
	v_mov_b32_e32 v49, 28
	ds_write2_b32 v17, v50, v51 offset0:35 offset1:36
	ds_write_b32 v17, v37 offset:148
.LBB74_486:
	s_or_b64 exec, exec, s[0:1]
	v_cmp_lt_i32_e32 vcc, 28, v49
	s_waitcnt lgkmcnt(0)
	s_barrier
	s_and_saveexec_b64 s[0:1], vcc
	s_cbranch_execz .LBB74_488
; %bb.487:
	ds_read_b32 v46, v17 offset:116
	ds_read2_b32 v[50:51], v17 offset0:30 offset1:31
	ds_read2_b32 v[52:53], v17 offset0:32 offset1:33
	ds_read2_b32 v[54:55], v17 offset0:34 offset1:35
	ds_read2_b32 v[56:57], v17 offset0:36 offset1:37
	v_mul_f32_e32 v32, v48, v32
	s_waitcnt vmcnt(8) lgkmcnt(4)
	v_fma_f32 v33, -v32, v46, v33
	s_waitcnt vmcnt(6) lgkmcnt(3)
	v_pk_fma_f32 v[26:27], v[32:33], v[50:51], v[26:27] op_sel_hi:[0,1,1] neg_lo:[1,0,0] neg_hi:[1,0,0]
	s_waitcnt vmcnt(4) lgkmcnt(2)
	v_pk_fma_f32 v[44:45], v[32:33], v[52:53], v[44:45] op_sel_hi:[0,1,1] neg_lo:[1,0,0] neg_hi:[1,0,0]
	;; [unrolled: 2-line block ×4, first 2 shown]
.LBB74_488:
	s_or_b64 exec, exec, s[0:1]
	v_lshl_add_u32 v46, v49, 2, v17
	s_barrier
	s_waitcnt vmcnt(8)
	ds_write_b32 v46, v33
	s_waitcnt lgkmcnt(0)
	s_barrier
	ds_read_b32 v48, v17 offset:116
	s_cmp_lt_i32 s22, 31
	v_mov_b32_e32 v46, 29
	s_cbranch_scc1 .LBB74_491
; %bb.489:
	v_add_u32_e32 v50, 0x78, v17
	v_mov_b32_e32 v46, 29
	s_mov_b32 s0, 30
.LBB74_490:                             ; =>This Inner Loop Header: Depth=1
	ds_read_b32 v51, v50
	v_mov_b32_e32 v52, s0
	s_add_i32 s0, s0, 1
	v_add_u32_e32 v50, 4, v50
	s_cmp_lg_u32 s22, s0
	s_waitcnt lgkmcnt(0)
	v_cmp_lt_f32_e64 vcc, |v48|, |v51|
	s_nop 1
	v_cndmask_b32_e32 v48, v48, v51, vcc
	v_cndmask_b32_e32 v46, v46, v52, vcc
	s_cbranch_scc1 .LBB74_490
.LBB74_491:
	s_waitcnt lgkmcnt(0)
	v_cmp_eq_f32_e32 vcc, 0, v48
	s_and_saveexec_b64 s[0:1], vcc
	s_xor_b64 s[0:1], exec, s[0:1]
; %bb.492:
	v_cmp_ne_u32_e32 vcc, 0, v19
	s_nop 1
	v_cndmask_b32_e32 v19, 30, v19, vcc
; %bb.493:
	s_andn2_saveexec_b64 s[0:1], s[0:1]
	s_cbranch_execz .LBB74_495
; %bb.494:
	v_div_scale_f32 v50, s[2:3], v48, v48, 1.0
	v_rcp_f32_e32 v51, v50
	v_div_scale_f32 v52, vcc, 1.0, v48, 1.0
	v_fma_f32 v53, -v50, v51, 1.0
	v_fmac_f32_e32 v51, v53, v51
	v_mul_f32_e32 v53, v52, v51
	v_fma_f32 v54, -v50, v53, v52
	v_fmac_f32_e32 v53, v54, v51
	v_fma_f32 v50, -v50, v53, v52
	v_div_fmas_f32 v50, v50, v51, v53
	v_div_fixup_f32 v48, v50, v48, 1.0
.LBB74_495:
	s_or_b64 exec, exec, s[0:1]
	v_cmp_ne_u32_e32 vcc, v49, v46
	s_and_saveexec_b64 s[0:1], vcc
	s_xor_b64 s[0:1], exec, s[0:1]
	s_cbranch_execz .LBB74_501
; %bb.496:
	v_cmp_eq_u32_e32 vcc, 29, v49
	s_and_saveexec_b64 s[2:3], vcc
	s_cbranch_execz .LBB74_500
; %bb.497:
	v_cmp_ne_u32_e32 vcc, 29, v46
	s_xor_b64 s[18:19], s[16:17], -1
	s_and_b64 s[20:21], s[18:19], vcc
	s_and_saveexec_b64 s[18:19], s[20:21]
	s_cbranch_execz .LBB74_499
; %bb.498:
	v_ashrrev_i32_e32 v47, 31, v46
	v_lshl_add_u64 v[50:51], v[46:47], 2, v[20:21]
	global_load_dword v47, v[50:51], off
	global_load_dword v49, v[20:21], off offset:116
	s_waitcnt vmcnt(1)
	global_store_dword v[20:21], v47, off offset:116
	s_waitcnt vmcnt(1)
	global_store_dword v[50:51], v49, off
.LBB74_499:
	s_or_b64 exec, exec, s[18:19]
	v_mov_b32_e32 v47, v46
	v_mov_b32_e32 v49, v46
.LBB74_500:
	s_or_b64 exec, exec, s[2:3]
.LBB74_501:
	s_andn2_saveexec_b64 s[0:1], s[0:1]
	s_cbranch_execz .LBB74_503
; %bb.502:
	v_mov_b32_e32 v49, 29
	s_waitcnt vmcnt(6)
	ds_write2_b32 v17, v26, v27 offset0:30 offset1:31
	s_waitcnt vmcnt(4)
	ds_write2_b32 v17, v44, v45 offset0:32 offset1:33
	;; [unrolled: 2-line block ×4, first 2 shown]
.LBB74_503:
	s_or_b64 exec, exec, s[0:1]
	v_cmp_lt_i32_e32 vcc, 29, v49
	s_waitcnt lgkmcnt(0)
	s_barrier
	s_and_saveexec_b64 s[0:1], vcc
	s_cbranch_execz .LBB74_505
; %bb.504:
	ds_read2_b32 v[50:51], v17 offset0:30 offset1:31
	ds_read2_b32 v[52:53], v17 offset0:32 offset1:33
	;; [unrolled: 1-line block ×4, first 2 shown]
	v_mul_f32_e32 v46, v48, v33
	s_waitcnt vmcnt(6) lgkmcnt(3)
	v_pk_fma_f32 v[26:27], v[46:47], v[50:51], v[26:27] op_sel_hi:[0,1,1] neg_lo:[1,0,0] neg_hi:[1,0,0]
	s_waitcnt vmcnt(4) lgkmcnt(2)
	v_pk_fma_f32 v[44:45], v[46:47], v[52:53], v[44:45] op_sel_hi:[0,1,1] neg_lo:[1,0,0] neg_hi:[1,0,0]
	;; [unrolled: 2-line block ×4, first 2 shown]
	v_mov_b32_e32 v33, v46
.LBB74_505:
	s_or_b64 exec, exec, s[0:1]
	v_lshl_add_u32 v46, v49, 2, v17
	s_barrier
	s_waitcnt vmcnt(7)
	ds_write_b32 v46, v26
	s_waitcnt lgkmcnt(0)
	s_barrier
	ds_read_b32 v48, v17 offset:120
	s_cmp_lt_i32 s22, 32
	v_mov_b32_e32 v46, 30
	s_cbranch_scc1 .LBB74_508
; %bb.506:
	v_add_u32_e32 v50, 0x7c, v17
	v_mov_b32_e32 v46, 30
	s_mov_b32 s0, 31
.LBB74_507:                             ; =>This Inner Loop Header: Depth=1
	ds_read_b32 v51, v50
	v_mov_b32_e32 v52, s0
	s_add_i32 s0, s0, 1
	v_add_u32_e32 v50, 4, v50
	s_cmp_lg_u32 s22, s0
	s_waitcnt lgkmcnt(0)
	v_cmp_lt_f32_e64 vcc, |v48|, |v51|
	s_nop 1
	v_cndmask_b32_e32 v48, v48, v51, vcc
	v_cndmask_b32_e32 v46, v46, v52, vcc
	s_cbranch_scc1 .LBB74_507
.LBB74_508:
	s_waitcnt lgkmcnt(0)
	v_cmp_eq_f32_e32 vcc, 0, v48
	s_and_saveexec_b64 s[0:1], vcc
	s_xor_b64 s[0:1], exec, s[0:1]
; %bb.509:
	v_cmp_ne_u32_e32 vcc, 0, v19
	s_nop 1
	v_cndmask_b32_e32 v19, 31, v19, vcc
; %bb.510:
	s_andn2_saveexec_b64 s[0:1], s[0:1]
	s_cbranch_execz .LBB74_512
; %bb.511:
	v_div_scale_f32 v50, s[2:3], v48, v48, 1.0
	v_rcp_f32_e32 v51, v50
	v_div_scale_f32 v52, vcc, 1.0, v48, 1.0
	v_fma_f32 v53, -v50, v51, 1.0
	v_fmac_f32_e32 v51, v53, v51
	v_mul_f32_e32 v53, v52, v51
	v_fma_f32 v54, -v50, v53, v52
	v_fmac_f32_e32 v53, v54, v51
	v_fma_f32 v50, -v50, v53, v52
	v_div_fmas_f32 v50, v50, v51, v53
	v_div_fixup_f32 v48, v50, v48, 1.0
.LBB74_512:
	s_or_b64 exec, exec, s[0:1]
	v_cmp_ne_u32_e32 vcc, v49, v46
	s_and_saveexec_b64 s[0:1], vcc
	s_xor_b64 s[0:1], exec, s[0:1]
	s_cbranch_execz .LBB74_518
; %bb.513:
	v_cmp_eq_u32_e32 vcc, 30, v49
	s_and_saveexec_b64 s[2:3], vcc
	s_cbranch_execz .LBB74_517
; %bb.514:
	v_cmp_ne_u32_e32 vcc, 30, v46
	s_xor_b64 s[18:19], s[16:17], -1
	s_and_b64 s[20:21], s[18:19], vcc
	s_and_saveexec_b64 s[18:19], s[20:21]
	s_cbranch_execz .LBB74_516
; %bb.515:
	v_ashrrev_i32_e32 v47, 31, v46
	v_lshl_add_u64 v[50:51], v[46:47], 2, v[20:21]
	global_load_dword v47, v[50:51], off
	global_load_dword v49, v[20:21], off offset:120
	s_waitcnt vmcnt(1)
	global_store_dword v[20:21], v47, off offset:120
	s_waitcnt vmcnt(1)
	global_store_dword v[50:51], v49, off
.LBB74_516:
	s_or_b64 exec, exec, s[18:19]
	v_mov_b32_e32 v47, v46
	v_mov_b32_e32 v49, v46
.LBB74_517:
	s_or_b64 exec, exec, s[2:3]
.LBB74_518:
	s_andn2_saveexec_b64 s[0:1], s[0:1]
	s_cbranch_execz .LBB74_520
; %bb.519:
	s_waitcnt vmcnt(4)
	v_pk_mov_b32 v[50:51], v[26:27], v[44:45] op_sel:[1,0]
	ds_write2_b32 v17, v50, v51 offset0:31 offset1:32
	s_waitcnt vmcnt(2)
	v_pk_mov_b32 v[50:51], v[44:45], v[40:41] op_sel:[1,0]
	ds_write2_b32 v17, v50, v51 offset0:33 offset1:34
	s_waitcnt vmcnt(0)
	v_pk_mov_b32 v[50:51], v[40:41], v[36:37] op_sel:[1,0]
	v_mov_b32_e32 v49, 30
	ds_write2_b32 v17, v50, v51 offset0:35 offset1:36
	ds_write_b32 v17, v37 offset:148
.LBB74_520:
	s_or_b64 exec, exec, s[0:1]
	v_cmp_lt_i32_e32 vcc, 30, v49
	s_waitcnt lgkmcnt(0)
	s_barrier
	s_and_saveexec_b64 s[0:1], vcc
	s_cbranch_execz .LBB74_522
; %bb.521:
	ds_read_b32 v46, v17 offset:124
	ds_read2_b32 v[50:51], v17 offset0:32 offset1:33
	ds_read2_b32 v[52:53], v17 offset0:34 offset1:35
	;; [unrolled: 1-line block ×3, first 2 shown]
	v_mul_f32_e32 v26, v48, v26
	s_waitcnt vmcnt(6) lgkmcnt(3)
	v_fma_f32 v27, -v26, v46, v27
	s_waitcnt vmcnt(4) lgkmcnt(2)
	v_pk_fma_f32 v[44:45], v[26:27], v[50:51], v[44:45] op_sel_hi:[0,1,1] neg_lo:[1,0,0] neg_hi:[1,0,0]
	s_waitcnt vmcnt(2) lgkmcnt(1)
	v_pk_fma_f32 v[40:41], v[26:27], v[52:53], v[40:41] op_sel_hi:[0,1,1] neg_lo:[1,0,0] neg_hi:[1,0,0]
	;; [unrolled: 2-line block ×3, first 2 shown]
.LBB74_522:
	s_or_b64 exec, exec, s[0:1]
	v_lshl_add_u32 v46, v49, 2, v17
	s_barrier
	s_waitcnt vmcnt(6)
	ds_write_b32 v46, v27
	s_waitcnt lgkmcnt(0)
	s_barrier
	ds_read_b32 v48, v17 offset:124
	s_cmp_lt_i32 s22, 33
	v_mov_b32_e32 v46, 31
	s_cbranch_scc1 .LBB74_525
; %bb.523:
	v_add_u32_e32 v50, 0x80, v17
	v_mov_b32_e32 v46, 31
	s_mov_b32 s0, 32
.LBB74_524:                             ; =>This Inner Loop Header: Depth=1
	ds_read_b32 v51, v50
	v_mov_b32_e32 v52, s0
	s_add_i32 s0, s0, 1
	v_add_u32_e32 v50, 4, v50
	s_cmp_lg_u32 s22, s0
	s_waitcnt lgkmcnt(0)
	v_cmp_lt_f32_e64 vcc, |v48|, |v51|
	s_nop 1
	v_cndmask_b32_e32 v48, v48, v51, vcc
	v_cndmask_b32_e32 v46, v46, v52, vcc
	s_cbranch_scc1 .LBB74_524
.LBB74_525:
	s_waitcnt lgkmcnt(0)
	v_cmp_eq_f32_e32 vcc, 0, v48
	s_and_saveexec_b64 s[0:1], vcc
	s_xor_b64 s[0:1], exec, s[0:1]
; %bb.526:
	v_cmp_ne_u32_e32 vcc, 0, v19
	s_nop 1
	v_cndmask_b32_e32 v19, 32, v19, vcc
; %bb.527:
	s_andn2_saveexec_b64 s[0:1], s[0:1]
	s_cbranch_execz .LBB74_529
; %bb.528:
	v_div_scale_f32 v50, s[2:3], v48, v48, 1.0
	v_rcp_f32_e32 v51, v50
	v_div_scale_f32 v52, vcc, 1.0, v48, 1.0
	v_fma_f32 v53, -v50, v51, 1.0
	v_fmac_f32_e32 v51, v53, v51
	v_mul_f32_e32 v53, v52, v51
	v_fma_f32 v54, -v50, v53, v52
	v_fmac_f32_e32 v53, v54, v51
	v_fma_f32 v50, -v50, v53, v52
	v_div_fmas_f32 v50, v50, v51, v53
	v_div_fixup_f32 v48, v50, v48, 1.0
.LBB74_529:
	s_or_b64 exec, exec, s[0:1]
	v_cmp_ne_u32_e32 vcc, v49, v46
	s_and_saveexec_b64 s[0:1], vcc
	s_xor_b64 s[0:1], exec, s[0:1]
	s_cbranch_execz .LBB74_535
; %bb.530:
	v_cmp_eq_u32_e32 vcc, 31, v49
	s_and_saveexec_b64 s[2:3], vcc
	s_cbranch_execz .LBB74_534
; %bb.531:
	v_cmp_ne_u32_e32 vcc, 31, v46
	s_xor_b64 s[18:19], s[16:17], -1
	s_and_b64 s[20:21], s[18:19], vcc
	s_and_saveexec_b64 s[18:19], s[20:21]
	s_cbranch_execz .LBB74_533
; %bb.532:
	v_ashrrev_i32_e32 v47, 31, v46
	v_lshl_add_u64 v[50:51], v[46:47], 2, v[20:21]
	global_load_dword v47, v[50:51], off
	global_load_dword v49, v[20:21], off offset:124
	s_waitcnt vmcnt(1)
	global_store_dword v[20:21], v47, off offset:124
	s_waitcnt vmcnt(1)
	global_store_dword v[50:51], v49, off
.LBB74_533:
	s_or_b64 exec, exec, s[18:19]
	v_mov_b32_e32 v47, v46
	v_mov_b32_e32 v49, v46
.LBB74_534:
	s_or_b64 exec, exec, s[2:3]
.LBB74_535:
	s_andn2_saveexec_b64 s[0:1], s[0:1]
	s_cbranch_execz .LBB74_537
; %bb.536:
	v_mov_b32_e32 v49, 31
	s_waitcnt vmcnt(4)
	ds_write2_b32 v17, v44, v45 offset0:32 offset1:33
	s_waitcnt vmcnt(2)
	ds_write2_b32 v17, v40, v41 offset0:34 offset1:35
	;; [unrolled: 2-line block ×3, first 2 shown]
.LBB74_537:
	s_or_b64 exec, exec, s[0:1]
	v_cmp_lt_i32_e32 vcc, 31, v49
	s_waitcnt lgkmcnt(0)
	s_barrier
	s_and_saveexec_b64 s[0:1], vcc
	s_cbranch_execz .LBB74_539
; %bb.538:
	ds_read2_b32 v[50:51], v17 offset0:32 offset1:33
	ds_read2_b32 v[52:53], v17 offset0:34 offset1:35
	;; [unrolled: 1-line block ×3, first 2 shown]
	v_mul_f32_e32 v46, v48, v27
	v_mov_b32_e32 v27, v46
	s_waitcnt vmcnt(4) lgkmcnt(2)
	v_pk_fma_f32 v[44:45], v[46:47], v[50:51], v[44:45] op_sel_hi:[0,1,1] neg_lo:[1,0,0] neg_hi:[1,0,0]
	s_waitcnt vmcnt(2) lgkmcnt(1)
	v_pk_fma_f32 v[40:41], v[46:47], v[52:53], v[40:41] op_sel_hi:[0,1,1] neg_lo:[1,0,0] neg_hi:[1,0,0]
	;; [unrolled: 2-line block ×3, first 2 shown]
.LBB74_539:
	s_or_b64 exec, exec, s[0:1]
	v_lshl_add_u32 v46, v49, 2, v17
	s_barrier
	s_waitcnt vmcnt(5)
	ds_write_b32 v46, v44
	s_waitcnt lgkmcnt(0)
	s_barrier
	ds_read_b32 v48, v17 offset:128
	s_cmp_lt_i32 s22, 34
	v_mov_b32_e32 v46, 32
	s_cbranch_scc1 .LBB74_542
; %bb.540:
	v_add_u32_e32 v50, 0x84, v17
	v_mov_b32_e32 v46, 32
	s_mov_b32 s0, 33
.LBB74_541:                             ; =>This Inner Loop Header: Depth=1
	ds_read_b32 v51, v50
	v_mov_b32_e32 v52, s0
	s_add_i32 s0, s0, 1
	v_add_u32_e32 v50, 4, v50
	s_cmp_lg_u32 s22, s0
	s_waitcnt lgkmcnt(0)
	v_cmp_lt_f32_e64 vcc, |v48|, |v51|
	s_nop 1
	v_cndmask_b32_e32 v48, v48, v51, vcc
	v_cndmask_b32_e32 v46, v46, v52, vcc
	s_cbranch_scc1 .LBB74_541
.LBB74_542:
	s_waitcnt lgkmcnt(0)
	v_cmp_eq_f32_e32 vcc, 0, v48
	s_and_saveexec_b64 s[0:1], vcc
	s_xor_b64 s[0:1], exec, s[0:1]
; %bb.543:
	v_cmp_ne_u32_e32 vcc, 0, v19
	s_nop 1
	v_cndmask_b32_e32 v19, 33, v19, vcc
; %bb.544:
	s_andn2_saveexec_b64 s[0:1], s[0:1]
	s_cbranch_execz .LBB74_546
; %bb.545:
	v_div_scale_f32 v50, s[2:3], v48, v48, 1.0
	v_rcp_f32_e32 v51, v50
	v_div_scale_f32 v52, vcc, 1.0, v48, 1.0
	v_fma_f32 v53, -v50, v51, 1.0
	v_fmac_f32_e32 v51, v53, v51
	v_mul_f32_e32 v53, v52, v51
	v_fma_f32 v54, -v50, v53, v52
	v_fmac_f32_e32 v53, v54, v51
	v_fma_f32 v50, -v50, v53, v52
	v_div_fmas_f32 v50, v50, v51, v53
	v_div_fixup_f32 v48, v50, v48, 1.0
.LBB74_546:
	s_or_b64 exec, exec, s[0:1]
	v_cmp_ne_u32_e32 vcc, v49, v46
	s_and_saveexec_b64 s[0:1], vcc
	s_xor_b64 s[0:1], exec, s[0:1]
	s_cbranch_execz .LBB74_552
; %bb.547:
	v_cmp_eq_u32_e32 vcc, 32, v49
	s_and_saveexec_b64 s[2:3], vcc
	s_cbranch_execz .LBB74_551
; %bb.548:
	v_cmp_ne_u32_e32 vcc, 32, v46
	s_xor_b64 s[18:19], s[16:17], -1
	s_and_b64 s[20:21], s[18:19], vcc
	s_and_saveexec_b64 s[18:19], s[20:21]
	s_cbranch_execz .LBB74_550
; %bb.549:
	v_ashrrev_i32_e32 v47, 31, v46
	v_lshl_add_u64 v[50:51], v[46:47], 2, v[20:21]
	global_load_dword v47, v[50:51], off
	global_load_dword v49, v[20:21], off offset:128
	s_waitcnt vmcnt(1)
	global_store_dword v[20:21], v47, off offset:128
	s_waitcnt vmcnt(1)
	global_store_dword v[50:51], v49, off
.LBB74_550:
	s_or_b64 exec, exec, s[18:19]
	v_mov_b32_e32 v47, v46
	v_mov_b32_e32 v49, v46
.LBB74_551:
	s_or_b64 exec, exec, s[2:3]
.LBB74_552:
	s_andn2_saveexec_b64 s[0:1], s[0:1]
	s_cbranch_execz .LBB74_554
; %bb.553:
	s_waitcnt vmcnt(2)
	v_pk_mov_b32 v[50:51], v[44:45], v[40:41] op_sel:[1,0]
	ds_write2_b32 v17, v50, v51 offset0:33 offset1:34
	s_waitcnt vmcnt(0)
	v_pk_mov_b32 v[50:51], v[40:41], v[36:37] op_sel:[1,0]
	v_mov_b32_e32 v49, 32
	ds_write2_b32 v17, v50, v51 offset0:35 offset1:36
	ds_write_b32 v17, v37 offset:148
.LBB74_554:
	s_or_b64 exec, exec, s[0:1]
	v_cmp_lt_i32_e32 vcc, 32, v49
	s_waitcnt lgkmcnt(0)
	s_barrier
	s_and_saveexec_b64 s[0:1], vcc
	s_cbranch_execz .LBB74_556
; %bb.555:
	ds_read_b32 v46, v17 offset:132
	ds_read2_b32 v[50:51], v17 offset0:34 offset1:35
	ds_read2_b32 v[52:53], v17 offset0:36 offset1:37
	v_mul_f32_e32 v44, v48, v44
	s_waitcnt vmcnt(4) lgkmcnt(2)
	v_fma_f32 v45, -v44, v46, v45
	s_waitcnt vmcnt(2) lgkmcnt(1)
	v_pk_fma_f32 v[40:41], v[44:45], v[50:51], v[40:41] op_sel_hi:[0,1,1] neg_lo:[1,0,0] neg_hi:[1,0,0]
	s_waitcnt vmcnt(0) lgkmcnt(0)
	v_pk_fma_f32 v[36:37], v[44:45], v[52:53], v[36:37] op_sel_hi:[0,1,1] neg_lo:[1,0,0] neg_hi:[1,0,0]
.LBB74_556:
	s_or_b64 exec, exec, s[0:1]
	v_lshl_add_u32 v46, v49, 2, v17
	s_barrier
	s_waitcnt vmcnt(4)
	ds_write_b32 v46, v45
	s_waitcnt lgkmcnt(0)
	s_barrier
	ds_read_b32 v48, v17 offset:132
	s_cmp_lt_i32 s22, 35
	v_mov_b32_e32 v46, 33
	s_cbranch_scc1 .LBB74_559
; %bb.557:
	v_add_u32_e32 v50, 0x88, v17
	v_mov_b32_e32 v46, 33
	s_mov_b32 s0, 34
.LBB74_558:                             ; =>This Inner Loop Header: Depth=1
	ds_read_b32 v51, v50
	v_mov_b32_e32 v52, s0
	s_add_i32 s0, s0, 1
	v_add_u32_e32 v50, 4, v50
	s_cmp_lg_u32 s22, s0
	s_waitcnt lgkmcnt(0)
	v_cmp_lt_f32_e64 vcc, |v48|, |v51|
	s_nop 1
	v_cndmask_b32_e32 v48, v48, v51, vcc
	v_cndmask_b32_e32 v46, v46, v52, vcc
	s_cbranch_scc1 .LBB74_558
.LBB74_559:
	s_waitcnt lgkmcnt(0)
	v_cmp_eq_f32_e32 vcc, 0, v48
	s_and_saveexec_b64 s[0:1], vcc
	s_xor_b64 s[0:1], exec, s[0:1]
; %bb.560:
	v_cmp_ne_u32_e32 vcc, 0, v19
	s_nop 1
	v_cndmask_b32_e32 v19, 34, v19, vcc
; %bb.561:
	s_andn2_saveexec_b64 s[0:1], s[0:1]
	s_cbranch_execz .LBB74_563
; %bb.562:
	v_div_scale_f32 v50, s[2:3], v48, v48, 1.0
	v_rcp_f32_e32 v51, v50
	v_div_scale_f32 v52, vcc, 1.0, v48, 1.0
	v_fma_f32 v53, -v50, v51, 1.0
	v_fmac_f32_e32 v51, v53, v51
	v_mul_f32_e32 v53, v52, v51
	v_fma_f32 v54, -v50, v53, v52
	v_fmac_f32_e32 v53, v54, v51
	v_fma_f32 v50, -v50, v53, v52
	v_div_fmas_f32 v50, v50, v51, v53
	v_div_fixup_f32 v48, v50, v48, 1.0
.LBB74_563:
	s_or_b64 exec, exec, s[0:1]
	v_cmp_ne_u32_e32 vcc, v49, v46
	s_and_saveexec_b64 s[0:1], vcc
	s_xor_b64 s[0:1], exec, s[0:1]
	s_cbranch_execz .LBB74_569
; %bb.564:
	v_cmp_eq_u32_e32 vcc, 33, v49
	s_and_saveexec_b64 s[2:3], vcc
	s_cbranch_execz .LBB74_568
; %bb.565:
	v_cmp_ne_u32_e32 vcc, 33, v46
	s_xor_b64 s[18:19], s[16:17], -1
	s_and_b64 s[20:21], s[18:19], vcc
	s_and_saveexec_b64 s[18:19], s[20:21]
	s_cbranch_execz .LBB74_567
; %bb.566:
	v_ashrrev_i32_e32 v47, 31, v46
	v_lshl_add_u64 v[50:51], v[46:47], 2, v[20:21]
	global_load_dword v47, v[50:51], off
	global_load_dword v49, v[20:21], off offset:132
	s_waitcnt vmcnt(1)
	global_store_dword v[20:21], v47, off offset:132
	s_waitcnt vmcnt(1)
	global_store_dword v[50:51], v49, off
.LBB74_567:
	s_or_b64 exec, exec, s[18:19]
	v_mov_b32_e32 v47, v46
	v_mov_b32_e32 v49, v46
.LBB74_568:
	s_or_b64 exec, exec, s[2:3]
.LBB74_569:
	s_andn2_saveexec_b64 s[0:1], s[0:1]
	s_cbranch_execz .LBB74_571
; %bb.570:
	v_mov_b32_e32 v49, 33
	s_waitcnt vmcnt(2)
	ds_write2_b32 v17, v40, v41 offset0:34 offset1:35
	s_waitcnt vmcnt(0)
	ds_write2_b32 v17, v36, v37 offset0:36 offset1:37
.LBB74_571:
	s_or_b64 exec, exec, s[0:1]
	v_cmp_lt_i32_e32 vcc, 33, v49
	s_waitcnt lgkmcnt(0)
	s_barrier
	s_and_saveexec_b64 s[0:1], vcc
	s_cbranch_execz .LBB74_573
; %bb.572:
	ds_read2_b32 v[50:51], v17 offset0:34 offset1:35
	ds_read2_b32 v[52:53], v17 offset0:36 offset1:37
	v_mul_f32_e32 v46, v48, v45
	v_mov_b32_e32 v45, v46
	s_waitcnt vmcnt(2) lgkmcnt(1)
	v_pk_fma_f32 v[40:41], v[46:47], v[50:51], v[40:41] op_sel_hi:[0,1,1] neg_lo:[1,0,0] neg_hi:[1,0,0]
	s_waitcnt vmcnt(0) lgkmcnt(0)
	v_pk_fma_f32 v[36:37], v[46:47], v[52:53], v[36:37] op_sel_hi:[0,1,1] neg_lo:[1,0,0] neg_hi:[1,0,0]
.LBB74_573:
	s_or_b64 exec, exec, s[0:1]
	v_lshl_add_u32 v46, v49, 2, v17
	s_barrier
	s_waitcnt vmcnt(3)
	ds_write_b32 v46, v40
	s_waitcnt lgkmcnt(0)
	s_barrier
	ds_read_b32 v48, v17 offset:136
	s_cmp_lt_i32 s22, 36
	v_mov_b32_e32 v46, 34
	s_cbranch_scc1 .LBB74_576
; %bb.574:
	v_add_u32_e32 v50, 0x8c, v17
	v_mov_b32_e32 v46, 34
	s_mov_b32 s0, 35
.LBB74_575:                             ; =>This Inner Loop Header: Depth=1
	ds_read_b32 v51, v50
	v_mov_b32_e32 v52, s0
	s_add_i32 s0, s0, 1
	v_add_u32_e32 v50, 4, v50
	s_cmp_lg_u32 s22, s0
	s_waitcnt lgkmcnt(0)
	v_cmp_lt_f32_e64 vcc, |v48|, |v51|
	s_nop 1
	v_cndmask_b32_e32 v48, v48, v51, vcc
	v_cndmask_b32_e32 v46, v46, v52, vcc
	s_cbranch_scc1 .LBB74_575
.LBB74_576:
	s_waitcnt lgkmcnt(0)
	v_cmp_eq_f32_e32 vcc, 0, v48
	s_and_saveexec_b64 s[0:1], vcc
	s_xor_b64 s[0:1], exec, s[0:1]
; %bb.577:
	v_cmp_ne_u32_e32 vcc, 0, v19
	s_nop 1
	v_cndmask_b32_e32 v19, 35, v19, vcc
; %bb.578:
	s_andn2_saveexec_b64 s[0:1], s[0:1]
	s_cbranch_execz .LBB74_580
; %bb.579:
	v_div_scale_f32 v50, s[2:3], v48, v48, 1.0
	v_rcp_f32_e32 v51, v50
	v_div_scale_f32 v52, vcc, 1.0, v48, 1.0
	v_fma_f32 v53, -v50, v51, 1.0
	v_fmac_f32_e32 v51, v53, v51
	v_mul_f32_e32 v53, v52, v51
	v_fma_f32 v54, -v50, v53, v52
	v_fmac_f32_e32 v53, v54, v51
	v_fma_f32 v50, -v50, v53, v52
	v_div_fmas_f32 v50, v50, v51, v53
	v_div_fixup_f32 v48, v50, v48, 1.0
.LBB74_580:
	s_or_b64 exec, exec, s[0:1]
	v_cmp_ne_u32_e32 vcc, v49, v46
	s_and_saveexec_b64 s[0:1], vcc
	s_xor_b64 s[0:1], exec, s[0:1]
	s_cbranch_execz .LBB74_586
; %bb.581:
	v_cmp_eq_u32_e32 vcc, 34, v49
	s_and_saveexec_b64 s[2:3], vcc
	s_cbranch_execz .LBB74_585
; %bb.582:
	v_cmp_ne_u32_e32 vcc, 34, v46
	s_xor_b64 s[18:19], s[16:17], -1
	s_and_b64 s[20:21], s[18:19], vcc
	s_and_saveexec_b64 s[18:19], s[20:21]
	s_cbranch_execz .LBB74_584
; %bb.583:
	v_ashrrev_i32_e32 v47, 31, v46
	v_lshl_add_u64 v[50:51], v[46:47], 2, v[20:21]
	global_load_dword v47, v[50:51], off
	global_load_dword v49, v[20:21], off offset:136
	s_waitcnt vmcnt(1)
	global_store_dword v[20:21], v47, off offset:136
	s_waitcnt vmcnt(1)
	global_store_dword v[50:51], v49, off
.LBB74_584:
	s_or_b64 exec, exec, s[18:19]
	v_mov_b32_e32 v47, v46
	v_mov_b32_e32 v49, v46
.LBB74_585:
	s_or_b64 exec, exec, s[2:3]
.LBB74_586:
	s_andn2_saveexec_b64 s[0:1], s[0:1]
	s_cbranch_execz .LBB74_588
; %bb.587:
	s_waitcnt vmcnt(0)
	v_pk_mov_b32 v[50:51], v[40:41], v[36:37] op_sel:[1,0]
	v_mov_b32_e32 v49, 34
	ds_write2_b32 v17, v50, v51 offset0:35 offset1:36
	ds_write_b32 v17, v37 offset:148
.LBB74_588:
	s_or_b64 exec, exec, s[0:1]
	v_cmp_lt_i32_e32 vcc, 34, v49
	s_waitcnt lgkmcnt(0)
	s_barrier
	s_and_saveexec_b64 s[0:1], vcc
	s_cbranch_execz .LBB74_590
; %bb.589:
	ds_read_b32 v46, v17 offset:140
	ds_read2_b32 v[50:51], v17 offset0:36 offset1:37
	v_mul_f32_e32 v40, v48, v40
	s_waitcnt vmcnt(2) lgkmcnt(1)
	v_fma_f32 v41, -v40, v46, v41
	s_waitcnt vmcnt(0) lgkmcnt(0)
	v_pk_fma_f32 v[36:37], v[40:41], v[50:51], v[36:37] op_sel_hi:[0,1,1] neg_lo:[1,0,0] neg_hi:[1,0,0]
.LBB74_590:
	s_or_b64 exec, exec, s[0:1]
	v_lshl_add_u32 v46, v49, 2, v17
	s_barrier
	s_waitcnt vmcnt(2)
	ds_write_b32 v46, v41
	s_waitcnt lgkmcnt(0)
	s_barrier
	ds_read_b32 v48, v17 offset:140
	s_cmp_lt_i32 s22, 37
	v_mov_b32_e32 v46, 35
	s_cbranch_scc1 .LBB74_593
; %bb.591:
	v_add_u32_e32 v50, 0x90, v17
	v_mov_b32_e32 v46, 35
	s_mov_b32 s0, 36
.LBB74_592:                             ; =>This Inner Loop Header: Depth=1
	ds_read_b32 v51, v50
	v_mov_b32_e32 v52, s0
	s_add_i32 s0, s0, 1
	v_add_u32_e32 v50, 4, v50
	s_cmp_lg_u32 s22, s0
	s_waitcnt lgkmcnt(0)
	v_cmp_lt_f32_e64 vcc, |v48|, |v51|
	s_nop 1
	v_cndmask_b32_e32 v48, v48, v51, vcc
	v_cndmask_b32_e32 v46, v46, v52, vcc
	s_cbranch_scc1 .LBB74_592
.LBB74_593:
	s_waitcnt lgkmcnt(0)
	v_cmp_eq_f32_e32 vcc, 0, v48
	s_and_saveexec_b64 s[0:1], vcc
	s_xor_b64 s[0:1], exec, s[0:1]
; %bb.594:
	v_cmp_ne_u32_e32 vcc, 0, v19
	s_nop 1
	v_cndmask_b32_e32 v19, 36, v19, vcc
; %bb.595:
	s_andn2_saveexec_b64 s[0:1], s[0:1]
	s_cbranch_execz .LBB74_597
; %bb.596:
	v_div_scale_f32 v50, s[2:3], v48, v48, 1.0
	v_rcp_f32_e32 v51, v50
	v_div_scale_f32 v52, vcc, 1.0, v48, 1.0
	v_fma_f32 v53, -v50, v51, 1.0
	v_fmac_f32_e32 v51, v53, v51
	v_mul_f32_e32 v53, v52, v51
	v_fma_f32 v54, -v50, v53, v52
	v_fmac_f32_e32 v53, v54, v51
	v_fma_f32 v50, -v50, v53, v52
	v_div_fmas_f32 v50, v50, v51, v53
	v_div_fixup_f32 v48, v50, v48, 1.0
.LBB74_597:
	s_or_b64 exec, exec, s[0:1]
	v_cmp_ne_u32_e32 vcc, v49, v46
	s_and_saveexec_b64 s[0:1], vcc
	s_xor_b64 s[0:1], exec, s[0:1]
	s_cbranch_execz .LBB74_603
; %bb.598:
	v_cmp_eq_u32_e32 vcc, 35, v49
	s_and_saveexec_b64 s[2:3], vcc
	s_cbranch_execz .LBB74_602
; %bb.599:
	v_cmp_ne_u32_e32 vcc, 35, v46
	s_xor_b64 s[18:19], s[16:17], -1
	s_and_b64 s[20:21], s[18:19], vcc
	s_and_saveexec_b64 s[18:19], s[20:21]
	s_cbranch_execz .LBB74_601
; %bb.600:
	v_ashrrev_i32_e32 v47, 31, v46
	v_lshl_add_u64 v[50:51], v[46:47], 2, v[20:21]
	global_load_dword v47, v[50:51], off
	global_load_dword v49, v[20:21], off offset:140
	s_waitcnt vmcnt(1)
	global_store_dword v[20:21], v47, off offset:140
	s_waitcnt vmcnt(1)
	global_store_dword v[50:51], v49, off
.LBB74_601:
	s_or_b64 exec, exec, s[18:19]
	v_mov_b32_e32 v47, v46
	v_mov_b32_e32 v49, v46
.LBB74_602:
	s_or_b64 exec, exec, s[2:3]
.LBB74_603:
	s_andn2_saveexec_b64 s[0:1], s[0:1]
	s_cbranch_execz .LBB74_605
; %bb.604:
	v_mov_b32_e32 v49, 35
	s_waitcnt vmcnt(0)
	ds_write2_b32 v17, v36, v37 offset0:36 offset1:37
.LBB74_605:
	s_or_b64 exec, exec, s[0:1]
	v_cmp_lt_i32_e32 vcc, 35, v49
	s_waitcnt lgkmcnt(0)
	s_barrier
	s_and_saveexec_b64 s[0:1], vcc
	s_cbranch_execz .LBB74_607
; %bb.606:
	ds_read2_b32 v[50:51], v17 offset0:36 offset1:37
	v_mul_f32_e32 v46, v48, v41
	v_mov_b32_e32 v41, v46
	s_waitcnt vmcnt(0) lgkmcnt(0)
	v_pk_fma_f32 v[36:37], v[46:47], v[50:51], v[36:37] op_sel_hi:[0,1,1] neg_lo:[1,0,0] neg_hi:[1,0,0]
.LBB74_607:
	s_or_b64 exec, exec, s[0:1]
	v_lshl_add_u32 v46, v49, 2, v17
	s_barrier
	s_waitcnt vmcnt(1)
	ds_write_b32 v46, v36
	s_waitcnt lgkmcnt(0)
	s_barrier
	ds_read_b32 v48, v17 offset:144
	s_cmp_lt_i32 s22, 38
	v_mov_b32_e32 v46, 36
	s_cbranch_scc1 .LBB74_610
; %bb.608:
	v_add_u32_e32 v50, 0x94, v17
	v_mov_b32_e32 v46, 36
	s_mov_b32 s0, 37
.LBB74_609:                             ; =>This Inner Loop Header: Depth=1
	ds_read_b32 v51, v50
	v_mov_b32_e32 v52, s0
	s_add_i32 s0, s0, 1
	v_add_u32_e32 v50, 4, v50
	s_cmp_lg_u32 s22, s0
	s_waitcnt lgkmcnt(0)
	v_cmp_lt_f32_e64 vcc, |v48|, |v51|
	s_nop 1
	v_cndmask_b32_e32 v48, v48, v51, vcc
	v_cndmask_b32_e32 v46, v46, v52, vcc
	s_cbranch_scc1 .LBB74_609
.LBB74_610:
	s_waitcnt lgkmcnt(0)
	v_cmp_eq_f32_e32 vcc, 0, v48
	s_and_saveexec_b64 s[0:1], vcc
	s_xor_b64 s[0:1], exec, s[0:1]
; %bb.611:
	v_cmp_ne_u32_e32 vcc, 0, v19
	s_nop 1
	v_cndmask_b32_e32 v19, 37, v19, vcc
; %bb.612:
	s_andn2_saveexec_b64 s[0:1], s[0:1]
	s_cbranch_execz .LBB74_614
; %bb.613:
	v_div_scale_f32 v50, s[2:3], v48, v48, 1.0
	v_rcp_f32_e32 v51, v50
	v_div_scale_f32 v52, vcc, 1.0, v48, 1.0
	v_fma_f32 v53, -v50, v51, 1.0
	v_fmac_f32_e32 v51, v53, v51
	v_mul_f32_e32 v53, v52, v51
	v_fma_f32 v54, -v50, v53, v52
	v_fmac_f32_e32 v53, v54, v51
	v_fma_f32 v50, -v50, v53, v52
	v_div_fmas_f32 v50, v50, v51, v53
	v_div_fixup_f32 v48, v50, v48, 1.0
.LBB74_614:
	s_or_b64 exec, exec, s[0:1]
	v_cmp_ne_u32_e32 vcc, v49, v46
	s_and_saveexec_b64 s[0:1], vcc
	s_xor_b64 s[0:1], exec, s[0:1]
	s_cbranch_execz .LBB74_620
; %bb.615:
	v_cmp_eq_u32_e32 vcc, 36, v49
	s_and_saveexec_b64 s[2:3], vcc
	s_cbranch_execz .LBB74_619
; %bb.616:
	v_cmp_ne_u32_e32 vcc, 36, v46
	s_xor_b64 s[18:19], s[16:17], -1
	s_and_b64 s[20:21], s[18:19], vcc
	s_and_saveexec_b64 s[18:19], s[20:21]
	s_cbranch_execz .LBB74_618
; %bb.617:
	v_ashrrev_i32_e32 v47, 31, v46
	v_lshl_add_u64 v[50:51], v[46:47], 2, v[20:21]
	global_load_dword v47, v[50:51], off
	global_load_dword v49, v[20:21], off offset:144
	s_waitcnt vmcnt(1)
	global_store_dword v[20:21], v47, off offset:144
	s_waitcnt vmcnt(1)
	global_store_dword v[50:51], v49, off
.LBB74_618:
	s_or_b64 exec, exec, s[18:19]
	v_mov_b32_e32 v47, v46
	v_mov_b32_e32 v49, v46
.LBB74_619:
	s_or_b64 exec, exec, s[2:3]
.LBB74_620:
	s_andn2_saveexec_b64 s[0:1], s[0:1]
	s_cbranch_execz .LBB74_622
; %bb.621:
	v_mov_b32_e32 v49, 36
	s_waitcnt vmcnt(0)
	ds_write_b32 v17, v37 offset:148
.LBB74_622:
	s_or_b64 exec, exec, s[0:1]
	v_cmp_lt_i32_e32 vcc, 36, v49
	s_waitcnt lgkmcnt(0)
	s_barrier
	s_and_saveexec_b64 s[0:1], vcc
	s_cbranch_execz .LBB74_624
; %bb.623:
	ds_read_b32 v46, v17 offset:148
	v_mul_f32_e32 v36, v48, v36
	s_waitcnt vmcnt(0) lgkmcnt(0)
	v_fma_f32 v37, -v36, v46, v37
.LBB74_624:
	s_or_b64 exec, exec, s[0:1]
	v_lshl_add_u32 v46, v49, 2, v17
	s_barrier
	s_waitcnt vmcnt(0)
	ds_write_b32 v46, v37
	s_waitcnt lgkmcnt(0)
	s_barrier
	ds_read_b32 v50, v17 offset:148
	s_cmp_lt_i32 s22, 39
	v_mov_b32_e32 v46, 37
	s_cbranch_scc1 .LBB74_627
; %bb.625:
	v_add_u32_e32 v17, 0x98, v17
	v_mov_b32_e32 v46, 37
	s_mov_b32 s0, 38
.LBB74_626:                             ; =>This Inner Loop Header: Depth=1
	ds_read_b32 v48, v17
	v_mov_b32_e32 v51, s0
	s_add_i32 s0, s0, 1
	v_add_u32_e32 v17, 4, v17
	s_cmp_lg_u32 s22, s0
	s_waitcnt lgkmcnt(0)
	v_cmp_lt_f32_e64 vcc, |v50|, |v48|
	s_nop 1
	v_cndmask_b32_e32 v50, v50, v48, vcc
	v_cndmask_b32_e32 v46, v46, v51, vcc
	s_cbranch_scc1 .LBB74_626
.LBB74_627:
	s_waitcnt lgkmcnt(0)
	v_cmp_eq_f32_e32 vcc, 0, v50
	s_and_saveexec_b64 s[0:1], vcc
	s_xor_b64 s[0:1], exec, s[0:1]
; %bb.628:
	v_cmp_ne_u32_e32 vcc, 0, v19
	s_nop 1
	v_cndmask_b32_e32 v19, 38, v19, vcc
; %bb.629:
	s_andn2_saveexec_b64 s[0:1], s[0:1]
	s_cbranch_execz .LBB74_631
; %bb.630:
	v_div_scale_f32 v17, s[2:3], v50, v50, 1.0
	v_rcp_f32_e32 v48, v17
	v_div_scale_f32 v51, vcc, 1.0, v50, 1.0
	v_fma_f32 v52, -v17, v48, 1.0
	v_fmac_f32_e32 v48, v52, v48
	v_mul_f32_e32 v52, v51, v48
	v_fma_f32 v53, -v17, v52, v51
	v_fmac_f32_e32 v52, v53, v48
	v_fma_f32 v17, -v17, v52, v51
	v_div_fmas_f32 v17, v17, v48, v52
	v_div_fixup_f32 v50, v17, v50, 1.0
.LBB74_631:
	s_or_b64 exec, exec, s[0:1]
	v_cmp_ne_u32_e32 vcc, v49, v46
	v_mov_b32_e32 v48, 37
	s_and_saveexec_b64 s[0:1], vcc
	s_cbranch_execz .LBB74_637
; %bb.632:
	v_cmp_eq_u32_e32 vcc, 37, v49
	s_and_saveexec_b64 s[2:3], vcc
	s_cbranch_execz .LBB74_636
; %bb.633:
	v_cmp_ne_u32_e32 vcc, 37, v46
	s_xor_b64 s[16:17], s[16:17], -1
	s_and_b64 s[18:19], s[16:17], vcc
	s_and_saveexec_b64 s[16:17], s[18:19]
	s_cbranch_execz .LBB74_635
; %bb.634:
	v_ashrrev_i32_e32 v47, 31, v46
	v_lshl_add_u64 v[48:49], v[46:47], 2, v[20:21]
	global_load_dword v17, v[48:49], off
	global_load_dword v47, v[20:21], off offset:148
	s_waitcnt vmcnt(1)
	global_store_dword v[20:21], v17, off offset:148
	s_waitcnt vmcnt(1)
	global_store_dword v[48:49], v47, off
.LBB74_635:
	s_or_b64 exec, exec, s[16:17]
	v_mov_b32_e32 v47, v46
	v_mov_b32_e32 v49, v46
.LBB74_636:
	s_or_b64 exec, exec, s[2:3]
	v_mov_b32_e32 v48, v49
.LBB74_637:
	s_or_b64 exec, exec, s[0:1]
	v_cmp_gt_i32_e32 vcc, 38, v48
	v_ashrrev_i32_e32 v49, 31, v48
	s_barrier
	s_barrier
	s_and_saveexec_b64 s[0:1], vcc
	s_cbranch_execz .LBB74_639
; %bb.638:
	v_mul_lo_u32 v17, s11, v4
	v_mul_lo_u32 v46, s10, v5
	v_mad_u64_u32 v[52:53], s[2:3], s10, v4, 0
	v_mov_b32_e32 v20, s6
	v_mov_b32_e32 v21, s7
	v_add3_u32 v53, v53, v46, v17
	v_lshl_add_u64 v[20:21], v[52:53], 2, v[20:21]
	v_lshl_add_u64 v[20:21], s[8:9], 2, v[20:21]
	v_lshl_add_u64 v[20:21], v[48:49], 2, v[20:21]
	v_add3_u32 v17, v47, s15, 1
	global_store_dword v[20:21], v17, off
.LBB74_639:
	s_or_b64 exec, exec, s[0:1]
	v_cmp_eq_u32_e32 vcc, 0, v48
	s_and_saveexec_b64 s[2:3], vcc
	s_cbranch_execz .LBB74_642
; %bb.640:
	v_mov_b32_e32 v20, s4
	v_mov_b32_e32 v21, s5
	v_lshl_add_u64 v[4:5], v[4:5], 2, v[20:21]
	global_load_dword v17, v[4:5], off
	v_cmp_ne_u32_e64 s[0:1], 0, v19
	s_waitcnt vmcnt(0)
	v_cmp_eq_u32_e32 vcc, 0, v17
	s_and_b64 s[0:1], vcc, s[0:1]
	s_and_b64 exec, exec, s[0:1]
	s_cbranch_execz .LBB74_642
; %bb.641:
	v_add_u32_e32 v17, s15, v19
	global_store_dword v[4:5], v17, off
.LBB74_642:
	s_or_b64 exec, exec, s[2:3]
	v_mul_f32_e32 v4, v50, v37
	v_cmp_lt_i32_e32 vcc, 37, v48
	s_nop 1
	v_cndmask_b32_e32 v19, v37, v4, vcc
	v_lshl_add_u64 v[4:5], v[48:49], 2, v[2:3]
	global_store_dword v[4:5], v18, off
	v_lshl_add_u64 v[4:5], s[12:13], 2, v[4:5]
	global_store_dword v[4:5], v16, off
	v_add_u32_e32 v4, s14, v48
	v_ashrrev_i32_e32 v5, 31, v4
	v_lshl_add_u64 v[16:17], v[4:5], 2, v[2:3]
	v_add_u32_e32 v4, s12, v4
	v_ashrrev_i32_e32 v5, 31, v4
	global_store_dword v[16:17], v10, off
	v_lshl_add_u64 v[16:17], v[4:5], 2, v[2:3]
	v_add_u32_e32 v4, s12, v4
	v_ashrrev_i32_e32 v5, 31, v4
	global_store_dword v[16:17], v11, off
	;; [unrolled: 4-line block ×5, first 2 shown]
	v_lshl_add_u64 v[6:7], v[4:5], 2, v[2:3]
	v_add_u32_e32 v0, s12, v4
	global_store_dword v[6:7], v1, off
	v_ashrrev_i32_e32 v1, 31, v0
	v_lshl_add_u64 v[4:5], v[0:1], 2, v[2:3]
	v_add_u32_e32 v0, s12, v0
	v_ashrrev_i32_e32 v1, 31, v0
	global_store_dword v[4:5], v28, off
	v_lshl_add_u64 v[4:5], v[0:1], 2, v[2:3]
	v_add_u32_e32 v0, s12, v0
	v_ashrrev_i32_e32 v1, 31, v0
	global_store_dword v[4:5], v29, off
	;; [unrolled: 4-line block ×28, first 2 shown]
	v_lshl_add_u64 v[4:5], v[0:1], 2, v[2:3]
	v_add_u32_e32 v0, s12, v0
	v_ashrrev_i32_e32 v1, 31, v0
	v_lshl_add_u64 v[0:1], v[0:1], 2, v[2:3]
	global_store_dword v[4:5], v36, off
	global_store_dword v[0:1], v19, off
.LBB74_643:
	s_endpgm
	.section	.rodata,"a",@progbits
	.p2align	6, 0x0
	.amdhsa_kernel _ZN9rocsolver6v33100L18getf2_small_kernelILi38EfiiPfEEvT1_T3_lS3_lPS3_llPT2_S3_S3_S5_l
		.amdhsa_group_segment_fixed_size 0
		.amdhsa_private_segment_fixed_size 0
		.amdhsa_kernarg_size 352
		.amdhsa_user_sgpr_count 2
		.amdhsa_user_sgpr_dispatch_ptr 0
		.amdhsa_user_sgpr_queue_ptr 0
		.amdhsa_user_sgpr_kernarg_segment_ptr 1
		.amdhsa_user_sgpr_dispatch_id 0
		.amdhsa_user_sgpr_kernarg_preload_length 0
		.amdhsa_user_sgpr_kernarg_preload_offset 0
		.amdhsa_user_sgpr_private_segment_size 0
		.amdhsa_uses_dynamic_stack 0
		.amdhsa_enable_private_segment 0
		.amdhsa_system_sgpr_workgroup_id_x 1
		.amdhsa_system_sgpr_workgroup_id_y 1
		.amdhsa_system_sgpr_workgroup_id_z 0
		.amdhsa_system_sgpr_workgroup_info 0
		.amdhsa_system_vgpr_workitem_id 1
		.amdhsa_next_free_vgpr 60
		.amdhsa_next_free_sgpr 26
		.amdhsa_accum_offset 60
		.amdhsa_reserve_vcc 1
		.amdhsa_float_round_mode_32 0
		.amdhsa_float_round_mode_16_64 0
		.amdhsa_float_denorm_mode_32 3
		.amdhsa_float_denorm_mode_16_64 3
		.amdhsa_dx10_clamp 1
		.amdhsa_ieee_mode 1
		.amdhsa_fp16_overflow 0
		.amdhsa_tg_split 0
		.amdhsa_exception_fp_ieee_invalid_op 0
		.amdhsa_exception_fp_denorm_src 0
		.amdhsa_exception_fp_ieee_div_zero 0
		.amdhsa_exception_fp_ieee_overflow 0
		.amdhsa_exception_fp_ieee_underflow 0
		.amdhsa_exception_fp_ieee_inexact 0
		.amdhsa_exception_int_div_zero 0
	.end_amdhsa_kernel
	.section	.text._ZN9rocsolver6v33100L18getf2_small_kernelILi38EfiiPfEEvT1_T3_lS3_lPS3_llPT2_S3_S3_S5_l,"axG",@progbits,_ZN9rocsolver6v33100L18getf2_small_kernelILi38EfiiPfEEvT1_T3_lS3_lPS3_llPT2_S3_S3_S5_l,comdat
.Lfunc_end74:
	.size	_ZN9rocsolver6v33100L18getf2_small_kernelILi38EfiiPfEEvT1_T3_lS3_lPS3_llPT2_S3_S3_S5_l, .Lfunc_end74-_ZN9rocsolver6v33100L18getf2_small_kernelILi38EfiiPfEEvT1_T3_lS3_lPS3_llPT2_S3_S3_S5_l
                                        ; -- End function
	.set _ZN9rocsolver6v33100L18getf2_small_kernelILi38EfiiPfEEvT1_T3_lS3_lPS3_llPT2_S3_S3_S5_l.num_vgpr, 60
	.set _ZN9rocsolver6v33100L18getf2_small_kernelILi38EfiiPfEEvT1_T3_lS3_lPS3_llPT2_S3_S3_S5_l.num_agpr, 0
	.set _ZN9rocsolver6v33100L18getf2_small_kernelILi38EfiiPfEEvT1_T3_lS3_lPS3_llPT2_S3_S3_S5_l.numbered_sgpr, 26
	.set _ZN9rocsolver6v33100L18getf2_small_kernelILi38EfiiPfEEvT1_T3_lS3_lPS3_llPT2_S3_S3_S5_l.num_named_barrier, 0
	.set _ZN9rocsolver6v33100L18getf2_small_kernelILi38EfiiPfEEvT1_T3_lS3_lPS3_llPT2_S3_S3_S5_l.private_seg_size, 0
	.set _ZN9rocsolver6v33100L18getf2_small_kernelILi38EfiiPfEEvT1_T3_lS3_lPS3_llPT2_S3_S3_S5_l.uses_vcc, 1
	.set _ZN9rocsolver6v33100L18getf2_small_kernelILi38EfiiPfEEvT1_T3_lS3_lPS3_llPT2_S3_S3_S5_l.uses_flat_scratch, 0
	.set _ZN9rocsolver6v33100L18getf2_small_kernelILi38EfiiPfEEvT1_T3_lS3_lPS3_llPT2_S3_S3_S5_l.has_dyn_sized_stack, 0
	.set _ZN9rocsolver6v33100L18getf2_small_kernelILi38EfiiPfEEvT1_T3_lS3_lPS3_llPT2_S3_S3_S5_l.has_recursion, 0
	.set _ZN9rocsolver6v33100L18getf2_small_kernelILi38EfiiPfEEvT1_T3_lS3_lPS3_llPT2_S3_S3_S5_l.has_indirect_call, 0
	.section	.AMDGPU.csdata,"",@progbits
; Kernel info:
; codeLenInByte = 29892
; TotalNumSgprs: 32
; NumVgprs: 60
; NumAgprs: 0
; TotalNumVgprs: 60
; ScratchSize: 0
; MemoryBound: 0
; FloatMode: 240
; IeeeMode: 1
; LDSByteSize: 0 bytes/workgroup (compile time only)
; SGPRBlocks: 3
; VGPRBlocks: 7
; NumSGPRsForWavesPerEU: 32
; NumVGPRsForWavesPerEU: 60
; AccumOffset: 60
; Occupancy: 8
; WaveLimiterHint : 0
; COMPUTE_PGM_RSRC2:SCRATCH_EN: 0
; COMPUTE_PGM_RSRC2:USER_SGPR: 2
; COMPUTE_PGM_RSRC2:TRAP_HANDLER: 0
; COMPUTE_PGM_RSRC2:TGID_X_EN: 1
; COMPUTE_PGM_RSRC2:TGID_Y_EN: 1
; COMPUTE_PGM_RSRC2:TGID_Z_EN: 0
; COMPUTE_PGM_RSRC2:TIDIG_COMP_CNT: 1
; COMPUTE_PGM_RSRC3_GFX90A:ACCUM_OFFSET: 14
; COMPUTE_PGM_RSRC3_GFX90A:TG_SPLIT: 0
	.section	.text._ZN9rocsolver6v33100L23getf2_npvt_small_kernelILi38EfiiPfEEvT1_T3_lS3_lPT2_S3_S3_,"axG",@progbits,_ZN9rocsolver6v33100L23getf2_npvt_small_kernelILi38EfiiPfEEvT1_T3_lS3_lPT2_S3_S3_,comdat
	.globl	_ZN9rocsolver6v33100L23getf2_npvt_small_kernelILi38EfiiPfEEvT1_T3_lS3_lPT2_S3_S3_ ; -- Begin function _ZN9rocsolver6v33100L23getf2_npvt_small_kernelILi38EfiiPfEEvT1_T3_lS3_lPT2_S3_S3_
	.p2align	8
	.type	_ZN9rocsolver6v33100L23getf2_npvt_small_kernelILi38EfiiPfEEvT1_T3_lS3_lPT2_S3_S3_,@function
_ZN9rocsolver6v33100L23getf2_npvt_small_kernelILi38EfiiPfEEvT1_T3_lS3_lPT2_S3_S3_: ; @_ZN9rocsolver6v33100L23getf2_npvt_small_kernelILi38EfiiPfEEvT1_T3_lS3_lPT2_S3_S3_
; %bb.0:
	s_load_dword s2, s[0:1], 0x44
	s_load_dwordx2 s[8:9], s[0:1], 0x30
	v_bfe_u32 v117, v0, 10, 10
	s_waitcnt lgkmcnt(0)
	s_lshr_b32 s10, s2, 16
	s_mul_i32 s3, s3, s10
	v_add_u32_e32 v24, s3, v117
	v_cmp_gt_i32_e32 vcc, s8, v24
	s_and_saveexec_b64 s[2:3], vcc
	s_cbranch_execz .LBB75_210
; %bb.1:
	s_load_dwordx4 s[12:15], s[0:1], 0x8
	s_load_dword s2, s[0:1], 0x18
	s_load_dwordx4 s[4:7], s[0:1], 0x20
	v_ashrrev_i32_e32 v25, 31, v24
	v_and_b32_e32 v115, 0x3ff, v0
	s_waitcnt lgkmcnt(0)
	v_mov_b32_e32 v0, s12
	v_mov_b32_e32 v1, s13
	v_mad_u64_u32 v[2:3], s[0:1], s4, v24, 0
	v_mul_lo_u32 v4, s5, v24
	v_mul_lo_u32 v5, s4, v25
	s_add_i32 s0, s2, s2
	v_add3_u32 v3, v3, v5, v4
	v_add_u32_e32 v4, s0, v115
	v_add_u32_e32 v6, s2, v4
	;; [unrolled: 1-line block ×34, first 2 shown]
	v_lshl_add_u64 v[0:1], v[2:3], 2, v[0:1]
	v_add_u32_e32 v76, s2, v72
	v_lshl_add_u64 v[74:75], s[14:15], 2, v[0:1]
	v_ashrrev_i32_e32 v5, 31, v4
	v_ashrrev_i32_e32 v7, 31, v6
	;; [unrolled: 1-line block ×35, first 2 shown]
	v_lshl_add_u64 v[2:3], v[4:5], 2, v[74:75]
	v_lshl_add_u64 v[4:5], v[6:7], 2, v[74:75]
	v_lshl_add_u64 v[6:7], v[8:9], 2, v[74:75]
	v_lshl_add_u64 v[8:9], v[10:11], 2, v[74:75]
	v_lshl_add_u64 v[10:11], v[12:13], 2, v[74:75]
	v_lshl_add_u64 v[12:13], v[14:15], 2, v[74:75]
	v_lshl_add_u64 v[14:15], v[16:17], 2, v[74:75]
	v_lshl_add_u64 v[16:17], v[18:19], 2, v[74:75]
	v_lshl_add_u64 v[18:19], v[20:21], 2, v[74:75]
	v_lshl_add_u64 v[20:21], v[22:23], 2, v[74:75]
	v_lshl_add_u64 v[22:23], v[26:27], 2, v[74:75]
	v_lshl_add_u64 v[26:27], v[28:29], 2, v[74:75]
	v_lshl_add_u64 v[28:29], v[30:31], 2, v[74:75]
	v_lshl_add_u64 v[30:31], v[32:33], 2, v[74:75]
	v_lshl_add_u64 v[32:33], v[34:35], 2, v[74:75]
	v_lshl_add_u64 v[34:35], v[36:37], 2, v[74:75]
	v_lshl_add_u64 v[36:37], v[38:39], 2, v[74:75]
	v_lshl_add_u64 v[38:39], v[40:41], 2, v[74:75]
	v_lshl_add_u64 v[40:41], v[42:43], 2, v[74:75]
	v_lshl_add_u64 v[42:43], v[44:45], 2, v[74:75]
	v_lshl_add_u64 v[44:45], v[46:47], 2, v[74:75]
	v_lshl_add_u64 v[46:47], v[48:49], 2, v[74:75]
	v_lshl_add_u64 v[48:49], v[50:51], 2, v[74:75]
	v_lshl_add_u64 v[50:51], v[52:53], 2, v[74:75]
	v_lshl_add_u64 v[52:53], v[54:55], 2, v[74:75]
	v_lshl_add_u64 v[54:55], v[56:57], 2, v[74:75]
	v_lshl_add_u64 v[56:57], v[58:59], 2, v[74:75]
	v_lshl_add_u64 v[58:59], v[60:61], 2, v[74:75]
	v_lshl_add_u64 v[60:61], v[62:63], 2, v[74:75]
	v_lshl_add_u64 v[62:63], v[64:65], 2, v[74:75]
	v_lshl_add_u64 v[64:65], v[66:67], 2, v[74:75]
	v_lshl_add_u64 v[66:67], v[68:69], 2, v[74:75]
	v_lshl_add_u64 v[68:69], v[70:71], 2, v[74:75]
	v_lshl_add_u64 v[70:71], v[72:73], 2, v[74:75]
	v_lshl_add_u64 v[72:73], v[76:77], 2, v[74:75]
	v_add_u32_e32 v76, s2, v76
	v_lshlrev_b32_e32 v0, 2, v115
	v_mov_b32_e32 v1, 0
	v_ashrrev_i32_e32 v77, 31, v76
	v_lshl_add_u64 v[0:1], v[74:75], 0, v[0:1]
	v_lshl_add_u64 v[74:75], v[76:77], 2, v[74:75]
	global_load_dword v102, v[14:15], off
	global_load_dword v103, v[16:17], off
	;; [unrolled: 1-line block ×30, first 2 shown]
	s_ashr_i32 s3, s2, 31
	v_lshl_add_u64 v[112:113], s[2:3], 2, v[0:1]
	global_load_dword v108, v[2:3], off
	global_load_dword v109, v[4:5], off
	;; [unrolled: 1-line block ×8, first 2 shown]
	s_mulk_i32 s10, 0x98
	s_movk_i32 s0, 0x98
	s_add_i32 s1, s10, 0
	v_mad_u32_u24 v119, v117, s0, 0
	v_lshl_add_u32 v117, v117, 2, s1
	v_cmp_ne_u32_e64 s[2:3], 0, v115
	v_cmp_eq_u32_e64 s[0:1], 0, v115
	s_and_saveexec_b64 s[4:5], s[0:1]
	s_cbranch_execz .LBB75_4
; %bb.2:
	s_waitcnt vmcnt(1)
	ds_write_b32 v117, v114
	s_waitcnt vmcnt(0)
	ds_write2_b32 v119, v116, v108 offset0:1 offset1:2
	ds_write2_b32 v119, v109, v110 offset0:3 offset1:4
	;; [unrolled: 1-line block ×18, first 2 shown]
	ds_write_b32 v119, v105 offset:148
	ds_read_b32 v118, v117
	s_waitcnt lgkmcnt(0)
	v_cmp_neq_f32_e32 vcc, 0, v118
	s_and_b64 exec, exec, vcc
	s_cbranch_execz .LBB75_4
; %bb.3:
	v_div_scale_f32 v120, s[10:11], v118, v118, 1.0
	v_rcp_f32_e32 v121, v120
	v_div_scale_f32 v122, vcc, 1.0, v118, 1.0
	v_fma_f32 v123, -v120, v121, 1.0
	v_fmac_f32_e32 v121, v123, v121
	v_mul_f32_e32 v123, v122, v121
	v_fma_f32 v124, -v120, v123, v122
	v_fmac_f32_e32 v123, v124, v121
	v_fma_f32 v120, -v120, v123, v122
	v_div_fmas_f32 v120, v120, v121, v123
	v_div_fixup_f32 v118, v120, v118, 1.0
	ds_write_b32 v117, v118
.LBB75_4:
	s_or_b64 exec, exec, s[4:5]
	s_waitcnt lgkmcnt(0)
	s_barrier
	ds_read_b32 v118, v117
	s_and_saveexec_b64 s[4:5], s[2:3]
	s_cbranch_execz .LBB75_6
; %bb.5:
	ds_read_b32 v120, v119 offset:4
	s_waitcnt vmcnt(1) lgkmcnt(1)
	v_mul_f32_e32 v114, v118, v114
	s_waitcnt vmcnt(0) lgkmcnt(0)
	v_fma_f32 v116, -v114, v120, v116
	ds_read2_b64 v[120:123], v119 offset0:1 offset1:2
	s_waitcnt lgkmcnt(0)
	v_pk_fma_f32 v[108:109], v[114:115], v[120:121], v[108:109] op_sel_hi:[0,1,1] neg_lo:[1,0,0] neg_hi:[1,0,0]
	v_pk_fma_f32 v[110:111], v[114:115], v[122:123], v[110:111] op_sel_hi:[0,1,1] neg_lo:[1,0,0] neg_hi:[1,0,0]
	ds_read2_b64 v[120:123], v119 offset0:3 offset1:4
	s_waitcnt lgkmcnt(0)
	v_pk_fma_f32 v[106:107], v[114:115], v[120:121], v[106:107] op_sel_hi:[0,1,1] neg_lo:[1,0,0] neg_hi:[1,0,0]
	v_pk_fma_f32 v[102:103], v[114:115], v[122:123], v[102:103] op_sel_hi:[0,1,1] neg_lo:[1,0,0] neg_hi:[1,0,0]
	;; [unrolled: 4-line block ×9, first 2 shown]
.LBB75_6:
	s_or_b64 exec, exec, s[4:5]
	v_cmp_eq_u32_e32 vcc, 1, v115
	s_waitcnt lgkmcnt(0)
	s_barrier
	s_and_saveexec_b64 s[2:3], vcc
	s_cbranch_execz .LBB75_9
; %bb.7:
	s_waitcnt vmcnt(0)
	ds_write_b32 v117, v116
	ds_write2_b64 v119, v[108:109], v[110:111] offset0:1 offset1:2
	ds_write2_b64 v119, v[106:107], v[102:103] offset0:3 offset1:4
	;; [unrolled: 1-line block ×9, first 2 shown]
	ds_read_b32 v120, v117
	s_waitcnt lgkmcnt(0)
	v_cmp_neq_f32_e32 vcc, 0, v120
	s_and_b64 exec, exec, vcc
	s_cbranch_execz .LBB75_9
; %bb.8:
	v_div_scale_f32 v121, s[4:5], v120, v120, 1.0
	v_rcp_f32_e32 v122, v121
	v_div_scale_f32 v123, vcc, 1.0, v120, 1.0
	v_fma_f32 v124, -v121, v122, 1.0
	v_fmac_f32_e32 v122, v124, v122
	v_mul_f32_e32 v124, v123, v122
	v_fma_f32 v125, -v121, v124, v123
	v_fmac_f32_e32 v124, v125, v122
	v_fma_f32 v121, -v121, v124, v123
	v_div_fmas_f32 v121, v121, v122, v124
	v_div_fixup_f32 v120, v121, v120, 1.0
	ds_write_b32 v117, v120
.LBB75_9:
	s_or_b64 exec, exec, s[2:3]
	s_waitcnt lgkmcnt(0)
	s_barrier
	ds_read_b32 v120, v117
	v_cmp_lt_u32_e32 vcc, 1, v115
	s_and_saveexec_b64 s[2:3], vcc
	s_cbranch_execz .LBB75_11
; %bb.10:
	ds_read2_b64 v[122:125], v119 offset0:1 offset1:2
	s_waitcnt vmcnt(0) lgkmcnt(1)
	v_mul_f32_e32 v116, v120, v116
	s_waitcnt lgkmcnt(0)
	v_pk_fma_f32 v[108:109], v[116:117], v[122:123], v[108:109] op_sel_hi:[0,1,1] neg_lo:[1,0,0] neg_hi:[1,0,0]
	v_pk_fma_f32 v[110:111], v[116:117], v[124:125], v[110:111] op_sel_hi:[0,1,1] neg_lo:[1,0,0] neg_hi:[1,0,0]
	ds_read2_b64 v[122:125], v119 offset0:3 offset1:4
	s_waitcnt lgkmcnt(0)
	v_pk_fma_f32 v[106:107], v[116:117], v[122:123], v[106:107] op_sel_hi:[0,1,1] neg_lo:[1,0,0] neg_hi:[1,0,0]
	v_pk_fma_f32 v[102:103], v[116:117], v[124:125], v[102:103] op_sel_hi:[0,1,1] neg_lo:[1,0,0] neg_hi:[1,0,0]
	ds_read2_b64 v[122:125], v119 offset0:5 offset1:6
	;; [unrolled: 4-line block ×8, first 2 shown]
	s_waitcnt lgkmcnt(0)
	v_pk_fma_f32 v[76:77], v[116:117], v[122:123], v[76:77] op_sel_hi:[0,1,1] neg_lo:[1,0,0] neg_hi:[1,0,0]
	v_pk_fma_f32 v[104:105], v[116:117], v[124:125], v[104:105] op_sel_hi:[0,1,1] neg_lo:[1,0,0] neg_hi:[1,0,0]
.LBB75_11:
	s_or_b64 exec, exec, s[2:3]
	v_cmp_eq_u32_e32 vcc, 2, v115
	s_waitcnt lgkmcnt(0)
	s_barrier
	s_and_saveexec_b64 s[2:3], vcc
	s_cbranch_execz .LBB75_14
; %bb.12:
	s_waitcnt vmcnt(4)
	v_pk_mov_b32 v[122:123], v[108:109], v[110:111] op_sel:[1,0]
	ds_write_b32 v117, v108
	ds_write2_b32 v119, v122, v123 offset0:3 offset1:4
	s_waitcnt vmcnt(2)
	v_pk_mov_b32 v[122:123], v[110:111], v[106:107] op_sel:[1,0]
	ds_write2_b32 v119, v122, v123 offset0:5 offset1:6
	v_pk_mov_b32 v[122:123], v[106:107], v[102:103] op_sel:[1,0]
	ds_write2_b32 v119, v122, v123 offset0:7 offset1:8
	;; [unrolled: 2-line block ×16, first 2 shown]
	ds_write_b32 v119, v105 offset:148
	ds_read_b32 v121, v117
	s_waitcnt lgkmcnt(0)
	v_cmp_neq_f32_e32 vcc, 0, v121
	s_and_b64 exec, exec, vcc
	s_cbranch_execz .LBB75_14
; %bb.13:
	v_div_scale_f32 v122, s[4:5], v121, v121, 1.0
	v_rcp_f32_e32 v123, v122
	v_div_scale_f32 v124, vcc, 1.0, v121, 1.0
	v_fma_f32 v125, -v122, v123, 1.0
	v_fmac_f32_e32 v123, v125, v123
	v_mul_f32_e32 v125, v124, v123
	v_fma_f32 v126, -v122, v125, v124
	v_fmac_f32_e32 v125, v126, v123
	v_fma_f32 v122, -v122, v125, v124
	v_div_fmas_f32 v122, v122, v123, v125
	v_div_fixup_f32 v121, v122, v121, 1.0
	ds_write_b32 v117, v121
.LBB75_14:
	s_or_b64 exec, exec, s[2:3]
	s_waitcnt lgkmcnt(0)
	s_barrier
	ds_read_b32 v121, v117
	v_cmp_lt_u32_e32 vcc, 2, v115
	s_and_saveexec_b64 s[2:3], vcc
	s_cbranch_execz .LBB75_16
; %bb.15:
	ds_read_b32 v122, v119 offset:12
	s_waitcnt vmcnt(7) lgkmcnt(1)
	v_mul_f32_e32 v108, v121, v108
	s_waitcnt vmcnt(6) lgkmcnt(0)
	v_fma_f32 v109, -v108, v122, v109
	ds_read2_b64 v[122:125], v119 offset0:2 offset1:3
	s_waitcnt vmcnt(4) lgkmcnt(0)
	v_pk_fma_f32 v[110:111], v[108:109], v[122:123], v[110:111] op_sel_hi:[0,1,1] neg_lo:[1,0,0] neg_hi:[1,0,0]
	s_waitcnt vmcnt(2)
	v_pk_fma_f32 v[106:107], v[108:109], v[124:125], v[106:107] op_sel_hi:[0,1,1] neg_lo:[1,0,0] neg_hi:[1,0,0]
	ds_read2_b64 v[122:125], v119 offset0:4 offset1:5
	s_waitcnt lgkmcnt(0)
	v_pk_fma_f32 v[102:103], v[108:109], v[122:123], v[102:103] op_sel_hi:[0,1,1] neg_lo:[1,0,0] neg_hi:[1,0,0]
	v_pk_fma_f32 v[88:89], v[108:109], v[124:125], v[88:89] op_sel_hi:[0,1,1] neg_lo:[1,0,0] neg_hi:[1,0,0]
	ds_read2_b64 v[122:125], v119 offset0:6 offset1:7
	s_waitcnt lgkmcnt(0)
	v_pk_fma_f32 v[100:101], v[108:109], v[122:123], v[100:101] op_sel_hi:[0,1,1] neg_lo:[1,0,0] neg_hi:[1,0,0]
	;; [unrolled: 4-line block ×7, first 2 shown]
	ds_read_b64 v[122:123], v119 offset:144
	v_pk_fma_f32 v[76:77], v[108:109], v[124:125], v[76:77] op_sel_hi:[0,1,1] neg_lo:[1,0,0] neg_hi:[1,0,0]
	s_waitcnt lgkmcnt(0)
	v_pk_fma_f32 v[104:105], v[108:109], v[122:123], v[104:105] op_sel_hi:[0,1,1] neg_lo:[1,0,0] neg_hi:[1,0,0]
.LBB75_16:
	s_or_b64 exec, exec, s[2:3]
	v_cmp_eq_u32_e32 vcc, 3, v115
	s_waitcnt lgkmcnt(0)
	s_barrier
	s_and_saveexec_b64 s[2:3], vcc
	s_cbranch_execz .LBB75_19
; %bb.17:
	s_waitcnt vmcnt(5)
	v_mov_b32_e32 v122, v110
	s_waitcnt vmcnt(4)
	v_mov_b32_e32 v123, v111
	;; [unrolled: 2-line block ×4, first 2 shown]
	ds_write_b32 v117, v109
	ds_write2_b64 v119, v[122:123], v[124:125] offset0:2 offset1:3
	v_mov_b32_e32 v122, v102
	v_mov_b32_e32 v123, v103
	v_mov_b32_e32 v124, v88
	v_mov_b32_e32 v125, v89
	ds_write2_b64 v119, v[122:123], v[124:125] offset0:4 offset1:5
	v_mov_b32_e32 v122, v100
	v_mov_b32_e32 v123, v101
	v_mov_b32_e32 v124, v86
	v_mov_b32_e32 v125, v87
	;; [unrolled: 5-line block ×7, first 2 shown]
	ds_write2_b64 v119, v[122:123], v[124:125] offset0:16 offset1:17
	ds_write_b64 v119, v[104:105] offset:144
	ds_read_b32 v122, v117
	s_waitcnt lgkmcnt(0)
	v_cmp_neq_f32_e32 vcc, 0, v122
	s_and_b64 exec, exec, vcc
	s_cbranch_execz .LBB75_19
; %bb.18:
	v_div_scale_f32 v123, s[4:5], v122, v122, 1.0
	v_rcp_f32_e32 v124, v123
	v_div_scale_f32 v125, vcc, 1.0, v122, 1.0
	v_fma_f32 v126, -v123, v124, 1.0
	v_fmac_f32_e32 v124, v126, v124
	v_mul_f32_e32 v126, v125, v124
	v_fma_f32 v127, -v123, v126, v125
	v_fmac_f32_e32 v126, v127, v124
	v_fma_f32 v123, -v123, v126, v125
	v_div_fmas_f32 v123, v123, v124, v126
	v_div_fixup_f32 v122, v123, v122, 1.0
	ds_write_b32 v117, v122
.LBB75_19:
	s_or_b64 exec, exec, s[2:3]
	s_waitcnt lgkmcnt(0)
	s_barrier
	ds_read_b32 v122, v117
	v_cmp_lt_u32_e32 vcc, 3, v115
	s_and_saveexec_b64 s[2:3], vcc
	s_cbranch_execz .LBB75_21
; %bb.20:
	ds_read2_b64 v[124:127], v119 offset0:2 offset1:3
	s_waitcnt vmcnt(6) lgkmcnt(1)
	v_mul_f32_e32 v128, v122, v109
	v_mov_b32_e32 v109, v128
	s_waitcnt vmcnt(4) lgkmcnt(0)
	v_pk_fma_f32 v[110:111], v[128:129], v[124:125], v[110:111] op_sel_hi:[0,1,1] neg_lo:[1,0,0] neg_hi:[1,0,0]
	s_waitcnt vmcnt(2)
	v_pk_fma_f32 v[106:107], v[128:129], v[126:127], v[106:107] op_sel_hi:[0,1,1] neg_lo:[1,0,0] neg_hi:[1,0,0]
	ds_read2_b64 v[124:127], v119 offset0:4 offset1:5
	s_waitcnt lgkmcnt(0)
	v_pk_fma_f32 v[102:103], v[128:129], v[124:125], v[102:103] op_sel_hi:[0,1,1] neg_lo:[1,0,0] neg_hi:[1,0,0]
	v_pk_fma_f32 v[88:89], v[128:129], v[126:127], v[88:89] op_sel_hi:[0,1,1] neg_lo:[1,0,0] neg_hi:[1,0,0]
	ds_read2_b64 v[124:127], v119 offset0:6 offset1:7
	s_waitcnt lgkmcnt(0)
	v_pk_fma_f32 v[100:101], v[128:129], v[124:125], v[100:101] op_sel_hi:[0,1,1] neg_lo:[1,0,0] neg_hi:[1,0,0]
	;; [unrolled: 4-line block ×7, first 2 shown]
	ds_read_b64 v[124:125], v119 offset:144
	v_pk_fma_f32 v[76:77], v[128:129], v[126:127], v[76:77] op_sel_hi:[0,1,1] neg_lo:[1,0,0] neg_hi:[1,0,0]
	s_waitcnt lgkmcnt(0)
	v_pk_fma_f32 v[104:105], v[128:129], v[124:125], v[104:105] op_sel_hi:[0,1,1] neg_lo:[1,0,0] neg_hi:[1,0,0]
.LBB75_21:
	s_or_b64 exec, exec, s[2:3]
	v_cmp_eq_u32_e32 vcc, 4, v115
	s_waitcnt lgkmcnt(0)
	s_barrier
	s_and_saveexec_b64 s[2:3], vcc
	s_cbranch_execz .LBB75_24
; %bb.22:
	s_waitcnt vmcnt(2)
	v_pk_mov_b32 v[124:125], v[110:111], v[106:107] op_sel:[1,0]
	ds_write_b32 v117, v110
	ds_write2_b32 v119, v124, v125 offset0:5 offset1:6
	v_pk_mov_b32 v[124:125], v[106:107], v[102:103] op_sel:[1,0]
	ds_write2_b32 v119, v124, v125 offset0:7 offset1:8
	v_pk_mov_b32 v[124:125], v[102:103], v[88:89] op_sel:[1,0]
	;; [unrolled: 2-line block ×15, first 2 shown]
	ds_write2_b32 v119, v124, v125 offset0:35 offset1:36
	ds_write_b32 v119, v105 offset:148
	ds_read_b32 v123, v117
	s_waitcnt lgkmcnt(0)
	v_cmp_neq_f32_e32 vcc, 0, v123
	s_and_b64 exec, exec, vcc
	s_cbranch_execz .LBB75_24
; %bb.23:
	v_div_scale_f32 v124, s[4:5], v123, v123, 1.0
	v_rcp_f32_e32 v125, v124
	v_div_scale_f32 v126, vcc, 1.0, v123, 1.0
	v_fma_f32 v127, -v124, v125, 1.0
	v_fmac_f32_e32 v125, v127, v125
	v_mul_f32_e32 v127, v126, v125
	v_fma_f32 v128, -v124, v127, v126
	v_fmac_f32_e32 v127, v128, v125
	v_fma_f32 v124, -v124, v127, v126
	v_div_fmas_f32 v124, v124, v125, v127
	v_div_fixup_f32 v123, v124, v123, 1.0
	ds_write_b32 v117, v123
.LBB75_24:
	s_or_b64 exec, exec, s[2:3]
	s_waitcnt lgkmcnt(0)
	s_barrier
	ds_read_b32 v123, v117
	v_cmp_lt_u32_e32 vcc, 4, v115
	s_and_saveexec_b64 s[2:3], vcc
	s_cbranch_execz .LBB75_26
; %bb.25:
	ds_read_b32 v136, v119 offset:20
	ds_read2_b64 v[124:127], v119 offset0:3 offset1:4
	ds_read2_b64 v[128:131], v119 offset0:5 offset1:6
	;; [unrolled: 1-line block ×3, first 2 shown]
	s_waitcnt vmcnt(5) lgkmcnt(4)
	v_mul_f32_e32 v110, v123, v110
	s_waitcnt vmcnt(4) lgkmcnt(3)
	v_fma_f32 v111, -v110, v136, v111
	s_waitcnt vmcnt(2) lgkmcnt(2)
	v_pk_fma_f32 v[106:107], v[110:111], v[124:125], v[106:107] op_sel_hi:[0,1,1] neg_lo:[1,0,0] neg_hi:[1,0,0]
	v_pk_fma_f32 v[102:103], v[110:111], v[126:127], v[102:103] op_sel_hi:[0,1,1] neg_lo:[1,0,0] neg_hi:[1,0,0]
	s_waitcnt lgkmcnt(1)
	v_pk_fma_f32 v[88:89], v[110:111], v[128:129], v[88:89] op_sel_hi:[0,1,1] neg_lo:[1,0,0] neg_hi:[1,0,0]
	ds_read2_b64 v[124:127], v119 offset0:9 offset1:10
	v_pk_fma_f32 v[100:101], v[110:111], v[130:131], v[100:101] op_sel_hi:[0,1,1] neg_lo:[1,0,0] neg_hi:[1,0,0]
	ds_read2_b64 v[128:131], v119 offset0:11 offset1:12
	s_waitcnt lgkmcnt(2)
	v_pk_fma_f32 v[86:87], v[110:111], v[132:133], v[86:87] op_sel_hi:[0,1,1] neg_lo:[1,0,0] neg_hi:[1,0,0]
	v_pk_fma_f32 v[98:99], v[110:111], v[134:135], v[98:99] op_sel_hi:[0,1,1] neg_lo:[1,0,0] neg_hi:[1,0,0]
	s_waitcnt lgkmcnt(1)
	v_pk_fma_f32 v[84:85], v[110:111], v[124:125], v[84:85] op_sel_hi:[0,1,1] neg_lo:[1,0,0] neg_hi:[1,0,0]
	v_pk_fma_f32 v[96:97], v[110:111], v[126:127], v[96:97] op_sel_hi:[0,1,1] neg_lo:[1,0,0] neg_hi:[1,0,0]
	ds_read2_b64 v[124:127], v119 offset0:13 offset1:14
	ds_read2_b64 v[132:135], v119 offset0:15 offset1:16
	s_waitcnt lgkmcnt(2)
	v_pk_fma_f32 v[82:83], v[110:111], v[128:129], v[82:83] op_sel_hi:[0,1,1] neg_lo:[1,0,0] neg_hi:[1,0,0]
	v_pk_fma_f32 v[94:95], v[110:111], v[130:131], v[94:95] op_sel_hi:[0,1,1] neg_lo:[1,0,0] neg_hi:[1,0,0]
	ds_read2_b64 v[128:131], v119 offset0:17 offset1:18
	s_waitcnt lgkmcnt(2)
	v_pk_fma_f32 v[80:81], v[110:111], v[124:125], v[80:81] op_sel_hi:[0,1,1] neg_lo:[1,0,0] neg_hi:[1,0,0]
	v_pk_fma_f32 v[92:93], v[110:111], v[126:127], v[92:93] op_sel_hi:[0,1,1] neg_lo:[1,0,0] neg_hi:[1,0,0]
	s_waitcnt lgkmcnt(1)
	v_pk_fma_f32 v[78:79], v[110:111], v[132:133], v[78:79] op_sel_hi:[0,1,1] neg_lo:[1,0,0] neg_hi:[1,0,0]
	v_pk_fma_f32 v[90:91], v[110:111], v[134:135], v[90:91] op_sel_hi:[0,1,1] neg_lo:[1,0,0] neg_hi:[1,0,0]
	;; [unrolled: 3-line block ×3, first 2 shown]
.LBB75_26:
	s_or_b64 exec, exec, s[2:3]
	v_cmp_ne_u32_e32 vcc, 5, v115
	s_waitcnt lgkmcnt(0)
	s_barrier
	s_and_saveexec_b64 s[2:3], vcc
	s_xor_b64 s[2:3], exec, s[2:3]
	s_andn2_saveexec_b64 s[2:3], s[2:3]
	s_cbranch_execz .LBB75_30
; %bb.27:
	s_waitcnt vmcnt(4)
	ds_write_b32 v117, v111
	s_waitcnt vmcnt(2)
	ds_write2_b64 v119, v[106:107], v[102:103] offset0:3 offset1:4
	ds_write2_b64 v119, v[88:89], v[100:101] offset0:5 offset1:6
	;; [unrolled: 1-line block ×8, first 2 shown]
	ds_read_b32 v124, v117
	s_waitcnt lgkmcnt(0)
	v_cmp_neq_f32_e32 vcc, 0, v124
	s_and_saveexec_b64 s[4:5], vcc
	s_cbranch_execz .LBB75_29
; %bb.28:
	v_div_scale_f32 v125, s[10:11], v124, v124, 1.0
	v_rcp_f32_e32 v126, v125
	v_div_scale_f32 v127, vcc, 1.0, v124, 1.0
	v_fma_f32 v128, -v125, v126, 1.0
	v_fmac_f32_e32 v126, v128, v126
	v_mul_f32_e32 v128, v127, v126
	v_fma_f32 v129, -v125, v128, v127
	v_fmac_f32_e32 v128, v129, v126
	v_fma_f32 v125, -v125, v128, v127
	v_div_fmas_f32 v125, v125, v126, v128
	v_div_fixup_f32 v124, v125, v124, 1.0
	ds_write_b32 v117, v124
.LBB75_29:
	s_or_b64 exec, exec, s[4:5]
.LBB75_30:
	s_or_b64 exec, exec, s[2:3]
	s_waitcnt lgkmcnt(0)
	s_barrier
	ds_read_b32 v124, v117
	v_cmp_lt_u32_e32 vcc, 5, v115
	s_and_saveexec_b64 s[2:3], vcc
	s_cbranch_execz .LBB75_32
; %bb.31:
	ds_read2_b64 v[126:129], v119 offset0:3 offset1:4
	ds_read2_b64 v[130:133], v119 offset0:5 offset1:6
	s_waitcnt vmcnt(4) lgkmcnt(2)
	v_mul_f32_e32 v138, v124, v111
	ds_read2_b64 v[134:137], v119 offset0:7 offset1:8
	v_mov_b32_e32 v111, v138
	s_waitcnt vmcnt(2) lgkmcnt(2)
	v_pk_fma_f32 v[106:107], v[138:139], v[126:127], v[106:107] op_sel_hi:[0,1,1] neg_lo:[1,0,0] neg_hi:[1,0,0]
	v_pk_fma_f32 v[102:103], v[138:139], v[128:129], v[102:103] op_sel_hi:[0,1,1] neg_lo:[1,0,0] neg_hi:[1,0,0]
	s_waitcnt lgkmcnt(1)
	v_pk_fma_f32 v[88:89], v[138:139], v[130:131], v[88:89] op_sel_hi:[0,1,1] neg_lo:[1,0,0] neg_hi:[1,0,0]
	ds_read2_b64 v[126:129], v119 offset0:9 offset1:10
	v_pk_fma_f32 v[100:101], v[138:139], v[132:133], v[100:101] op_sel_hi:[0,1,1] neg_lo:[1,0,0] neg_hi:[1,0,0]
	ds_read2_b64 v[130:133], v119 offset0:11 offset1:12
	s_waitcnt lgkmcnt(2)
	v_pk_fma_f32 v[86:87], v[138:139], v[134:135], v[86:87] op_sel_hi:[0,1,1] neg_lo:[1,0,0] neg_hi:[1,0,0]
	v_pk_fma_f32 v[98:99], v[138:139], v[136:137], v[98:99] op_sel_hi:[0,1,1] neg_lo:[1,0,0] neg_hi:[1,0,0]
	s_waitcnt lgkmcnt(1)
	v_pk_fma_f32 v[84:85], v[138:139], v[126:127], v[84:85] op_sel_hi:[0,1,1] neg_lo:[1,0,0] neg_hi:[1,0,0]
	v_pk_fma_f32 v[96:97], v[138:139], v[128:129], v[96:97] op_sel_hi:[0,1,1] neg_lo:[1,0,0] neg_hi:[1,0,0]
	ds_read2_b64 v[126:129], v119 offset0:13 offset1:14
	s_waitcnt lgkmcnt(1)
	v_pk_fma_f32 v[82:83], v[138:139], v[130:131], v[82:83] op_sel_hi:[0,1,1] neg_lo:[1,0,0] neg_hi:[1,0,0]
	ds_read2_b64 v[134:137], v119 offset0:15 offset1:16
	v_pk_fma_f32 v[94:95], v[138:139], v[132:133], v[94:95] op_sel_hi:[0,1,1] neg_lo:[1,0,0] neg_hi:[1,0,0]
	ds_read2_b64 v[130:133], v119 offset0:17 offset1:18
	s_waitcnt lgkmcnt(2)
	v_pk_fma_f32 v[80:81], v[138:139], v[126:127], v[80:81] op_sel_hi:[0,1,1] neg_lo:[1,0,0] neg_hi:[1,0,0]
	v_pk_fma_f32 v[92:93], v[138:139], v[128:129], v[92:93] op_sel_hi:[0,1,1] neg_lo:[1,0,0] neg_hi:[1,0,0]
	s_waitcnt lgkmcnt(1)
	v_pk_fma_f32 v[78:79], v[138:139], v[134:135], v[78:79] op_sel_hi:[0,1,1] neg_lo:[1,0,0] neg_hi:[1,0,0]
	v_pk_fma_f32 v[90:91], v[138:139], v[136:137], v[90:91] op_sel_hi:[0,1,1] neg_lo:[1,0,0] neg_hi:[1,0,0]
	;; [unrolled: 3-line block ×3, first 2 shown]
.LBB75_32:
	s_or_b64 exec, exec, s[2:3]
	v_cmp_eq_u32_e32 vcc, 6, v115
	s_waitcnt lgkmcnt(0)
	s_barrier
	s_and_saveexec_b64 s[2:3], vcc
	s_cbranch_execz .LBB75_35
; %bb.33:
	s_waitcnt vmcnt(2)
	v_pk_mov_b32 v[126:127], v[106:107], v[102:103] op_sel:[1,0]
	ds_write_b32 v117, v106
	ds_write2_b32 v119, v126, v127 offset0:7 offset1:8
	v_pk_mov_b32 v[126:127], v[102:103], v[88:89] op_sel:[1,0]
	ds_write2_b32 v119, v126, v127 offset0:9 offset1:10
	v_pk_mov_b32 v[126:127], v[88:89], v[100:101] op_sel:[1,0]
	;; [unrolled: 2-line block ×14, first 2 shown]
	ds_write2_b32 v119, v126, v127 offset0:35 offset1:36
	ds_write_b32 v119, v105 offset:148
	ds_read_b32 v125, v117
	s_waitcnt lgkmcnt(0)
	v_cmp_neq_f32_e32 vcc, 0, v125
	s_and_b64 exec, exec, vcc
	s_cbranch_execz .LBB75_35
; %bb.34:
	v_div_scale_f32 v126, s[4:5], v125, v125, 1.0
	v_rcp_f32_e32 v127, v126
	v_div_scale_f32 v128, vcc, 1.0, v125, 1.0
	v_fma_f32 v129, -v126, v127, 1.0
	v_fmac_f32_e32 v127, v129, v127
	v_mul_f32_e32 v129, v128, v127
	v_fma_f32 v130, -v126, v129, v128
	v_fmac_f32_e32 v129, v130, v127
	v_fma_f32 v126, -v126, v129, v128
	v_div_fmas_f32 v126, v126, v127, v129
	v_div_fixup_f32 v125, v126, v125, 1.0
	ds_write_b32 v117, v125
.LBB75_35:
	s_or_b64 exec, exec, s[2:3]
	s_waitcnt lgkmcnt(0)
	s_barrier
	ds_read_b32 v125, v117
	v_cmp_lt_u32_e32 vcc, 6, v115
	s_and_saveexec_b64 s[2:3], vcc
	s_cbranch_execz .LBB75_37
; %bb.36:
	ds_read_b32 v138, v119 offset:28
	ds_read2_b64 v[126:129], v119 offset0:4 offset1:5
	ds_read2_b64 v[130:133], v119 offset0:6 offset1:7
	;; [unrolled: 1-line block ×3, first 2 shown]
	s_waitcnt vmcnt(3) lgkmcnt(4)
	v_mul_f32_e32 v106, v125, v106
	s_waitcnt vmcnt(2) lgkmcnt(3)
	v_fma_f32 v107, -v106, v138, v107
	s_waitcnt lgkmcnt(2)
	v_pk_fma_f32 v[102:103], v[106:107], v[126:127], v[102:103] op_sel_hi:[0,1,1] neg_lo:[1,0,0] neg_hi:[1,0,0]
	v_pk_fma_f32 v[88:89], v[106:107], v[128:129], v[88:89] op_sel_hi:[0,1,1] neg_lo:[1,0,0] neg_hi:[1,0,0]
	s_waitcnt lgkmcnt(1)
	v_pk_fma_f32 v[100:101], v[106:107], v[130:131], v[100:101] op_sel_hi:[0,1,1] neg_lo:[1,0,0] neg_hi:[1,0,0]
	ds_read2_b64 v[126:129], v119 offset0:10 offset1:11
	v_pk_fma_f32 v[86:87], v[106:107], v[132:133], v[86:87] op_sel_hi:[0,1,1] neg_lo:[1,0,0] neg_hi:[1,0,0]
	ds_read2_b64 v[130:133], v119 offset0:12 offset1:13
	s_waitcnt lgkmcnt(2)
	v_pk_fma_f32 v[98:99], v[106:107], v[134:135], v[98:99] op_sel_hi:[0,1,1] neg_lo:[1,0,0] neg_hi:[1,0,0]
	v_pk_fma_f32 v[84:85], v[106:107], v[136:137], v[84:85] op_sel_hi:[0,1,1] neg_lo:[1,0,0] neg_hi:[1,0,0]
	s_waitcnt lgkmcnt(1)
	v_pk_fma_f32 v[96:97], v[106:107], v[126:127], v[96:97] op_sel_hi:[0,1,1] neg_lo:[1,0,0] neg_hi:[1,0,0]
	v_pk_fma_f32 v[82:83], v[106:107], v[128:129], v[82:83] op_sel_hi:[0,1,1] neg_lo:[1,0,0] neg_hi:[1,0,0]
	ds_read2_b64 v[126:129], v119 offset0:14 offset1:15
	ds_read2_b64 v[134:137], v119 offset0:16 offset1:17
	s_waitcnt lgkmcnt(2)
	v_pk_fma_f32 v[94:95], v[106:107], v[130:131], v[94:95] op_sel_hi:[0,1,1] neg_lo:[1,0,0] neg_hi:[1,0,0]
	ds_read_b64 v[130:131], v119 offset:144
	v_pk_fma_f32 v[80:81], v[106:107], v[132:133], v[80:81] op_sel_hi:[0,1,1] neg_lo:[1,0,0] neg_hi:[1,0,0]
	s_waitcnt lgkmcnt(2)
	v_pk_fma_f32 v[92:93], v[106:107], v[126:127], v[92:93] op_sel_hi:[0,1,1] neg_lo:[1,0,0] neg_hi:[1,0,0]
	v_pk_fma_f32 v[78:79], v[106:107], v[128:129], v[78:79] op_sel_hi:[0,1,1] neg_lo:[1,0,0] neg_hi:[1,0,0]
	s_waitcnt lgkmcnt(1)
	v_pk_fma_f32 v[90:91], v[106:107], v[134:135], v[90:91] op_sel_hi:[0,1,1] neg_lo:[1,0,0] neg_hi:[1,0,0]
	;; [unrolled: 3-line block ×3, first 2 shown]
.LBB75_37:
	s_or_b64 exec, exec, s[2:3]
	v_cmp_ne_u32_e32 vcc, 7, v115
	s_waitcnt lgkmcnt(0)
	s_barrier
	s_and_saveexec_b64 s[2:3], vcc
	s_xor_b64 s[2:3], exec, s[2:3]
	s_andn2_saveexec_b64 s[2:3], s[2:3]
	s_cbranch_execz .LBB75_41
; %bb.38:
	s_waitcnt vmcnt(37)
	v_mov_b32_e32 v126, v102
	s_waitcnt vmcnt(36)
	v_mov_b32_e32 v127, v103
	;; [unrolled: 2-line block ×4, first 2 shown]
	s_waitcnt vmcnt(2)
	ds_write_b32 v117, v107
	ds_write2_b64 v119, v[126:127], v[128:129] offset0:4 offset1:5
	v_mov_b32_e32 v126, v100
	v_mov_b32_e32 v127, v101
	v_mov_b32_e32 v128, v86
	v_mov_b32_e32 v129, v87
	ds_write2_b64 v119, v[126:127], v[128:129] offset0:6 offset1:7
	v_mov_b32_e32 v126, v98
	v_mov_b32_e32 v127, v99
	v_mov_b32_e32 v128, v84
	v_mov_b32_e32 v129, v85
	;; [unrolled: 5-line block ×6, first 2 shown]
	ds_write2_b64 v119, v[126:127], v[128:129] offset0:16 offset1:17
	ds_write_b64 v119, v[104:105] offset:144
	ds_read_b32 v126, v117
	s_waitcnt lgkmcnt(0)
	v_cmp_neq_f32_e32 vcc, 0, v126
	s_and_saveexec_b64 s[4:5], vcc
	s_cbranch_execz .LBB75_40
; %bb.39:
	v_div_scale_f32 v127, s[10:11], v126, v126, 1.0
	v_rcp_f32_e32 v128, v127
	v_div_scale_f32 v129, vcc, 1.0, v126, 1.0
	v_fma_f32 v130, -v127, v128, 1.0
	v_fmac_f32_e32 v128, v130, v128
	v_mul_f32_e32 v130, v129, v128
	v_fma_f32 v131, -v127, v130, v129
	v_fmac_f32_e32 v130, v131, v128
	v_fma_f32 v127, -v127, v130, v129
	v_div_fmas_f32 v127, v127, v128, v130
	v_div_fixup_f32 v126, v127, v126, 1.0
	ds_write_b32 v117, v126
.LBB75_40:
	s_or_b64 exec, exec, s[4:5]
.LBB75_41:
	s_or_b64 exec, exec, s[2:3]
	s_waitcnt lgkmcnt(0)
	s_barrier
	ds_read_b32 v126, v117
	v_cmp_lt_u32_e32 vcc, 7, v115
	s_and_saveexec_b64 s[2:3], vcc
	s_cbranch_execz .LBB75_43
; %bb.42:
	ds_read2_b64 v[128:131], v119 offset0:4 offset1:5
	ds_read2_b64 v[132:135], v119 offset0:6 offset1:7
	s_waitcnt vmcnt(2) lgkmcnt(2)
	v_mul_f32_e32 v140, v126, v107
	ds_read2_b64 v[136:139], v119 offset0:8 offset1:9
	v_mov_b32_e32 v107, v140
	s_waitcnt lgkmcnt(2)
	v_pk_fma_f32 v[102:103], v[140:141], v[128:129], v[102:103] op_sel_hi:[0,1,1] neg_lo:[1,0,0] neg_hi:[1,0,0]
	v_pk_fma_f32 v[88:89], v[140:141], v[130:131], v[88:89] op_sel_hi:[0,1,1] neg_lo:[1,0,0] neg_hi:[1,0,0]
	s_waitcnt lgkmcnt(1)
	v_pk_fma_f32 v[100:101], v[140:141], v[132:133], v[100:101] op_sel_hi:[0,1,1] neg_lo:[1,0,0] neg_hi:[1,0,0]
	ds_read2_b64 v[128:131], v119 offset0:10 offset1:11
	v_pk_fma_f32 v[86:87], v[140:141], v[134:135], v[86:87] op_sel_hi:[0,1,1] neg_lo:[1,0,0] neg_hi:[1,0,0]
	ds_read2_b64 v[132:135], v119 offset0:12 offset1:13
	s_waitcnt lgkmcnt(2)
	v_pk_fma_f32 v[98:99], v[140:141], v[136:137], v[98:99] op_sel_hi:[0,1,1] neg_lo:[1,0,0] neg_hi:[1,0,0]
	v_pk_fma_f32 v[84:85], v[140:141], v[138:139], v[84:85] op_sel_hi:[0,1,1] neg_lo:[1,0,0] neg_hi:[1,0,0]
	s_waitcnt lgkmcnt(1)
	v_pk_fma_f32 v[96:97], v[140:141], v[128:129], v[96:97] op_sel_hi:[0,1,1] neg_lo:[1,0,0] neg_hi:[1,0,0]
	v_pk_fma_f32 v[82:83], v[140:141], v[130:131], v[82:83] op_sel_hi:[0,1,1] neg_lo:[1,0,0] neg_hi:[1,0,0]
	ds_read2_b64 v[128:131], v119 offset0:14 offset1:15
	s_waitcnt lgkmcnt(1)
	v_pk_fma_f32 v[94:95], v[140:141], v[132:133], v[94:95] op_sel_hi:[0,1,1] neg_lo:[1,0,0] neg_hi:[1,0,0]
	ds_read2_b64 v[136:139], v119 offset0:16 offset1:17
	ds_read_b64 v[132:133], v119 offset:144
	v_pk_fma_f32 v[80:81], v[140:141], v[134:135], v[80:81] op_sel_hi:[0,1,1] neg_lo:[1,0,0] neg_hi:[1,0,0]
	s_waitcnt lgkmcnt(2)
	v_pk_fma_f32 v[92:93], v[140:141], v[128:129], v[92:93] op_sel_hi:[0,1,1] neg_lo:[1,0,0] neg_hi:[1,0,0]
	v_pk_fma_f32 v[78:79], v[140:141], v[130:131], v[78:79] op_sel_hi:[0,1,1] neg_lo:[1,0,0] neg_hi:[1,0,0]
	s_waitcnt lgkmcnt(1)
	v_pk_fma_f32 v[90:91], v[140:141], v[136:137], v[90:91] op_sel_hi:[0,1,1] neg_lo:[1,0,0] neg_hi:[1,0,0]
	;; [unrolled: 3-line block ×3, first 2 shown]
.LBB75_43:
	s_or_b64 exec, exec, s[2:3]
	v_cmp_eq_u32_e32 vcc, 8, v115
	s_waitcnt lgkmcnt(0)
	s_barrier
	s_and_saveexec_b64 s[2:3], vcc
	s_cbranch_execz .LBB75_46
; %bb.44:
	s_waitcnt vmcnt(34)
	v_pk_mov_b32 v[128:129], v[102:103], v[88:89] op_sel:[1,0]
	ds_write_b32 v117, v102
	ds_write2_b32 v119, v128, v129 offset0:9 offset1:10
	s_waitcnt vmcnt(32)
	v_pk_mov_b32 v[128:129], v[88:89], v[100:101] op_sel:[1,0]
	ds_write2_b32 v119, v128, v129 offset0:11 offset1:12
	s_waitcnt vmcnt(30)
	v_pk_mov_b32 v[128:129], v[100:101], v[86:87] op_sel:[1,0]
	;; [unrolled: 3-line block ×13, first 2 shown]
	ds_write2_b32 v119, v128, v129 offset0:35 offset1:36
	ds_write_b32 v119, v105 offset:148
	ds_read_b32 v127, v117
	s_waitcnt lgkmcnt(0)
	v_cmp_neq_f32_e32 vcc, 0, v127
	s_and_b64 exec, exec, vcc
	s_cbranch_execz .LBB75_46
; %bb.45:
	v_div_scale_f32 v128, s[4:5], v127, v127, 1.0
	v_rcp_f32_e32 v129, v128
	v_div_scale_f32 v130, vcc, 1.0, v127, 1.0
	v_fma_f32 v131, -v128, v129, 1.0
	v_fmac_f32_e32 v129, v131, v129
	v_mul_f32_e32 v131, v130, v129
	v_fma_f32 v132, -v128, v131, v130
	v_fmac_f32_e32 v131, v132, v129
	v_fma_f32 v128, -v128, v131, v130
	v_div_fmas_f32 v128, v128, v129, v131
	v_div_fixup_f32 v127, v128, v127, 1.0
	ds_write_b32 v117, v127
.LBB75_46:
	s_or_b64 exec, exec, s[2:3]
	s_waitcnt lgkmcnt(0)
	s_barrier
	ds_read_b32 v127, v117
	v_cmp_lt_u32_e32 vcc, 8, v115
	s_and_saveexec_b64 s[2:3], vcc
	s_cbranch_execz .LBB75_48
; %bb.47:
	ds_read_b32 v140, v119 offset:36
	ds_read2_b64 v[128:131], v119 offset0:5 offset1:6
	s_waitcnt vmcnt(37) lgkmcnt(2)
	v_mul_f32_e32 v102, v127, v102
	ds_read2_b64 v[132:135], v119 offset0:7 offset1:8
	ds_read2_b64 v[136:139], v119 offset0:9 offset1:10
	s_waitcnt vmcnt(36) lgkmcnt(3)
	v_fma_f32 v103, -v102, v140, v103
	s_waitcnt vmcnt(34) lgkmcnt(2)
	v_pk_fma_f32 v[88:89], v[102:103], v[128:129], v[88:89] op_sel_hi:[0,1,1] neg_lo:[1,0,0] neg_hi:[1,0,0]
	s_waitcnt vmcnt(32)
	v_pk_fma_f32 v[100:101], v[102:103], v[130:131], v[100:101] op_sel_hi:[0,1,1] neg_lo:[1,0,0] neg_hi:[1,0,0]
	ds_read2_b64 v[128:131], v119 offset0:11 offset1:12
	s_waitcnt vmcnt(30) lgkmcnt(2)
	v_pk_fma_f32 v[86:87], v[102:103], v[132:133], v[86:87] op_sel_hi:[0,1,1] neg_lo:[1,0,0] neg_hi:[1,0,0]
	s_waitcnt vmcnt(28)
	v_pk_fma_f32 v[98:99], v[102:103], v[134:135], v[98:99] op_sel_hi:[0,1,1] neg_lo:[1,0,0] neg_hi:[1,0,0]
	s_waitcnt vmcnt(26) lgkmcnt(1)
	v_pk_fma_f32 v[84:85], v[102:103], v[136:137], v[84:85] op_sel_hi:[0,1,1] neg_lo:[1,0,0] neg_hi:[1,0,0]
	s_waitcnt vmcnt(24)
	v_pk_fma_f32 v[96:97], v[102:103], v[138:139], v[96:97] op_sel_hi:[0,1,1] neg_lo:[1,0,0] neg_hi:[1,0,0]
	ds_read2_b64 v[132:135], v119 offset0:13 offset1:14
	s_waitcnt vmcnt(22) lgkmcnt(1)
	v_pk_fma_f32 v[82:83], v[102:103], v[128:129], v[82:83] op_sel_hi:[0,1,1] neg_lo:[1,0,0] neg_hi:[1,0,0]
	ds_read2_b64 v[136:139], v119 offset0:15 offset1:16
	s_waitcnt vmcnt(20)
	v_pk_fma_f32 v[94:95], v[102:103], v[130:131], v[94:95] op_sel_hi:[0,1,1] neg_lo:[1,0,0] neg_hi:[1,0,0]
	ds_read2_b64 v[128:131], v119 offset0:17 offset1:18
	s_waitcnt vmcnt(18) lgkmcnt(2)
	v_pk_fma_f32 v[80:81], v[102:103], v[132:133], v[80:81] op_sel_hi:[0,1,1] neg_lo:[1,0,0] neg_hi:[1,0,0]
	s_waitcnt vmcnt(16)
	v_pk_fma_f32 v[92:93], v[102:103], v[134:135], v[92:93] op_sel_hi:[0,1,1] neg_lo:[1,0,0] neg_hi:[1,0,0]
	s_waitcnt vmcnt(14) lgkmcnt(1)
	v_pk_fma_f32 v[78:79], v[102:103], v[136:137], v[78:79] op_sel_hi:[0,1,1] neg_lo:[1,0,0] neg_hi:[1,0,0]
	s_waitcnt vmcnt(12)
	v_pk_fma_f32 v[90:91], v[102:103], v[138:139], v[90:91] op_sel_hi:[0,1,1] neg_lo:[1,0,0] neg_hi:[1,0,0]
	;; [unrolled: 4-line block ×3, first 2 shown]
.LBB75_48:
	s_or_b64 exec, exec, s[2:3]
	v_cmp_ne_u32_e32 vcc, 9, v115
	s_waitcnt lgkmcnt(0)
	s_barrier
	s_and_saveexec_b64 s[2:3], vcc
	s_xor_b64 s[2:3], exec, s[2:3]
	s_andn2_saveexec_b64 s[2:3], s[2:3]
	s_cbranch_execz .LBB75_52
; %bb.49:
	s_waitcnt vmcnt(36)
	ds_write_b32 v117, v103
	s_waitcnt vmcnt(32)
	ds_write2_b64 v119, v[88:89], v[100:101] offset0:5 offset1:6
	s_waitcnt vmcnt(28)
	ds_write2_b64 v119, v[86:87], v[98:99] offset0:7 offset1:8
	;; [unrolled: 2-line block ×7, first 2 shown]
	ds_read_b32 v128, v117
	s_waitcnt lgkmcnt(0)
	v_cmp_neq_f32_e32 vcc, 0, v128
	s_and_saveexec_b64 s[4:5], vcc
	s_cbranch_execz .LBB75_51
; %bb.50:
	v_div_scale_f32 v129, s[10:11], v128, v128, 1.0
	v_rcp_f32_e32 v130, v129
	v_div_scale_f32 v131, vcc, 1.0, v128, 1.0
	v_fma_f32 v132, -v129, v130, 1.0
	v_fmac_f32_e32 v130, v132, v130
	v_mul_f32_e32 v132, v131, v130
	v_fma_f32 v133, -v129, v132, v131
	v_fmac_f32_e32 v132, v133, v130
	v_fma_f32 v129, -v129, v132, v131
	v_div_fmas_f32 v129, v129, v130, v132
	v_div_fixup_f32 v128, v129, v128, 1.0
	ds_write_b32 v117, v128
.LBB75_51:
	s_or_b64 exec, exec, s[4:5]
.LBB75_52:
	s_or_b64 exec, exec, s[2:3]
	s_waitcnt lgkmcnt(0)
	s_barrier
	ds_read_b32 v128, v117
	v_cmp_lt_u32_e32 vcc, 9, v115
	s_and_saveexec_b64 s[2:3], vcc
	s_cbranch_execz .LBB75_54
; %bb.53:
	ds_read2_b64 v[130:133], v119 offset0:5 offset1:6
	ds_read2_b64 v[134:137], v119 offset0:7 offset1:8
	s_waitcnt vmcnt(36) lgkmcnt(2)
	v_mul_f32_e32 v142, v128, v103
	ds_read2_b64 v[138:141], v119 offset0:9 offset1:10
	v_mov_b32_e32 v103, v142
	s_waitcnt vmcnt(34) lgkmcnt(2)
	v_pk_fma_f32 v[88:89], v[142:143], v[130:131], v[88:89] op_sel_hi:[0,1,1] neg_lo:[1,0,0] neg_hi:[1,0,0]
	s_waitcnt vmcnt(32)
	v_pk_fma_f32 v[100:101], v[142:143], v[132:133], v[100:101] op_sel_hi:[0,1,1] neg_lo:[1,0,0] neg_hi:[1,0,0]
	ds_read2_b64 v[130:133], v119 offset0:11 offset1:12
	s_waitcnt vmcnt(30) lgkmcnt(2)
	v_pk_fma_f32 v[86:87], v[142:143], v[134:135], v[86:87] op_sel_hi:[0,1,1] neg_lo:[1,0,0] neg_hi:[1,0,0]
	s_waitcnt vmcnt(28)
	v_pk_fma_f32 v[98:99], v[142:143], v[136:137], v[98:99] op_sel_hi:[0,1,1] neg_lo:[1,0,0] neg_hi:[1,0,0]
	s_waitcnt vmcnt(26) lgkmcnt(1)
	v_pk_fma_f32 v[84:85], v[142:143], v[138:139], v[84:85] op_sel_hi:[0,1,1] neg_lo:[1,0,0] neg_hi:[1,0,0]
	s_waitcnt vmcnt(24)
	v_pk_fma_f32 v[96:97], v[142:143], v[140:141], v[96:97] op_sel_hi:[0,1,1] neg_lo:[1,0,0] neg_hi:[1,0,0]
	ds_read2_b64 v[134:137], v119 offset0:13 offset1:14
	ds_read2_b64 v[138:141], v119 offset0:15 offset1:16
	s_waitcnt vmcnt(22) lgkmcnt(2)
	v_pk_fma_f32 v[82:83], v[142:143], v[130:131], v[82:83] op_sel_hi:[0,1,1] neg_lo:[1,0,0] neg_hi:[1,0,0]
	s_waitcnt vmcnt(20)
	v_pk_fma_f32 v[94:95], v[142:143], v[132:133], v[94:95] op_sel_hi:[0,1,1] neg_lo:[1,0,0] neg_hi:[1,0,0]
	ds_read2_b64 v[130:133], v119 offset0:17 offset1:18
	s_waitcnt vmcnt(18) lgkmcnt(2)
	v_pk_fma_f32 v[80:81], v[142:143], v[134:135], v[80:81] op_sel_hi:[0,1,1] neg_lo:[1,0,0] neg_hi:[1,0,0]
	s_waitcnt vmcnt(16)
	v_pk_fma_f32 v[92:93], v[142:143], v[136:137], v[92:93] op_sel_hi:[0,1,1] neg_lo:[1,0,0] neg_hi:[1,0,0]
	s_waitcnt vmcnt(14) lgkmcnt(1)
	v_pk_fma_f32 v[78:79], v[142:143], v[138:139], v[78:79] op_sel_hi:[0,1,1] neg_lo:[1,0,0] neg_hi:[1,0,0]
	s_waitcnt vmcnt(12)
	v_pk_fma_f32 v[90:91], v[142:143], v[140:141], v[90:91] op_sel_hi:[0,1,1] neg_lo:[1,0,0] neg_hi:[1,0,0]
	;; [unrolled: 4-line block ×3, first 2 shown]
.LBB75_54:
	s_or_b64 exec, exec, s[2:3]
	v_cmp_eq_u32_e32 vcc, 10, v115
	s_waitcnt lgkmcnt(0)
	s_barrier
	s_and_saveexec_b64 s[2:3], vcc
	s_cbranch_execz .LBB75_57
; %bb.55:
	s_waitcnt vmcnt(32)
	v_pk_mov_b32 v[130:131], v[88:89], v[100:101] op_sel:[1,0]
	ds_write_b32 v117, v88
	ds_write2_b32 v119, v130, v131 offset0:11 offset1:12
	s_waitcnt vmcnt(30)
	v_pk_mov_b32 v[130:131], v[100:101], v[86:87] op_sel:[1,0]
	ds_write2_b32 v119, v130, v131 offset0:13 offset1:14
	s_waitcnt vmcnt(28)
	v_pk_mov_b32 v[130:131], v[86:87], v[98:99] op_sel:[1,0]
	;; [unrolled: 3-line block ×12, first 2 shown]
	ds_write2_b32 v119, v130, v131 offset0:35 offset1:36
	ds_write_b32 v119, v105 offset:148
	ds_read_b32 v129, v117
	s_waitcnt lgkmcnt(0)
	v_cmp_neq_f32_e32 vcc, 0, v129
	s_and_b64 exec, exec, vcc
	s_cbranch_execz .LBB75_57
; %bb.56:
	v_div_scale_f32 v130, s[4:5], v129, v129, 1.0
	v_rcp_f32_e32 v131, v130
	v_div_scale_f32 v132, vcc, 1.0, v129, 1.0
	v_fma_f32 v133, -v130, v131, 1.0
	v_fmac_f32_e32 v131, v133, v131
	v_mul_f32_e32 v133, v132, v131
	v_fma_f32 v134, -v130, v133, v132
	v_fmac_f32_e32 v133, v134, v131
	v_fma_f32 v130, -v130, v133, v132
	v_div_fmas_f32 v130, v130, v131, v133
	v_div_fixup_f32 v129, v130, v129, 1.0
	ds_write_b32 v117, v129
.LBB75_57:
	s_or_b64 exec, exec, s[2:3]
	s_waitcnt lgkmcnt(0)
	s_barrier
	ds_read_b32 v129, v117
	v_cmp_lt_u32_e32 vcc, 10, v115
	s_and_saveexec_b64 s[2:3], vcc
	s_cbranch_execz .LBB75_59
; %bb.58:
	ds_read_b32 v142, v119 offset:44
	ds_read2_b64 v[130:133], v119 offset0:6 offset1:7
	s_waitcnt vmcnt(35) lgkmcnt(2)
	v_mul_f32_e32 v88, v129, v88
	ds_read2_b64 v[134:137], v119 offset0:8 offset1:9
	ds_read2_b64 v[138:141], v119 offset0:10 offset1:11
	s_waitcnt vmcnt(34) lgkmcnt(3)
	v_fma_f32 v89, -v88, v142, v89
	s_waitcnt vmcnt(32) lgkmcnt(2)
	v_pk_fma_f32 v[100:101], v[88:89], v[130:131], v[100:101] op_sel_hi:[0,1,1] neg_lo:[1,0,0] neg_hi:[1,0,0]
	s_waitcnt vmcnt(30)
	v_pk_fma_f32 v[86:87], v[88:89], v[132:133], v[86:87] op_sel_hi:[0,1,1] neg_lo:[1,0,0] neg_hi:[1,0,0]
	ds_read2_b64 v[130:133], v119 offset0:12 offset1:13
	s_waitcnt vmcnt(28) lgkmcnt(2)
	v_pk_fma_f32 v[98:99], v[88:89], v[134:135], v[98:99] op_sel_hi:[0,1,1] neg_lo:[1,0,0] neg_hi:[1,0,0]
	s_waitcnt vmcnt(26)
	v_pk_fma_f32 v[84:85], v[88:89], v[136:137], v[84:85] op_sel_hi:[0,1,1] neg_lo:[1,0,0] neg_hi:[1,0,0]
	s_waitcnt vmcnt(24) lgkmcnt(1)
	v_pk_fma_f32 v[96:97], v[88:89], v[138:139], v[96:97] op_sel_hi:[0,1,1] neg_lo:[1,0,0] neg_hi:[1,0,0]
	s_waitcnt vmcnt(22)
	v_pk_fma_f32 v[82:83], v[88:89], v[140:141], v[82:83] op_sel_hi:[0,1,1] neg_lo:[1,0,0] neg_hi:[1,0,0]
	ds_read2_b64 v[134:137], v119 offset0:14 offset1:15
	s_waitcnt vmcnt(20) lgkmcnt(1)
	v_pk_fma_f32 v[94:95], v[88:89], v[130:131], v[94:95] op_sel_hi:[0,1,1] neg_lo:[1,0,0] neg_hi:[1,0,0]
	ds_read2_b64 v[138:141], v119 offset0:16 offset1:17
	ds_read_b64 v[130:131], v119 offset:144
	s_waitcnt vmcnt(18)
	v_pk_fma_f32 v[80:81], v[88:89], v[132:133], v[80:81] op_sel_hi:[0,1,1] neg_lo:[1,0,0] neg_hi:[1,0,0]
	s_waitcnt vmcnt(16) lgkmcnt(2)
	v_pk_fma_f32 v[92:93], v[88:89], v[134:135], v[92:93] op_sel_hi:[0,1,1] neg_lo:[1,0,0] neg_hi:[1,0,0]
	s_waitcnt vmcnt(14)
	v_pk_fma_f32 v[78:79], v[88:89], v[136:137], v[78:79] op_sel_hi:[0,1,1] neg_lo:[1,0,0] neg_hi:[1,0,0]
	s_waitcnt vmcnt(12) lgkmcnt(1)
	v_pk_fma_f32 v[90:91], v[88:89], v[138:139], v[90:91] op_sel_hi:[0,1,1] neg_lo:[1,0,0] neg_hi:[1,0,0]
	;; [unrolled: 4-line block ×3, first 2 shown]
.LBB75_59:
	s_or_b64 exec, exec, s[2:3]
	v_cmp_ne_u32_e32 vcc, 11, v115
	s_waitcnt lgkmcnt(0)
	s_barrier
	s_and_saveexec_b64 s[2:3], vcc
	s_xor_b64 s[2:3], exec, s[2:3]
	s_andn2_saveexec_b64 s[2:3], s[2:3]
	s_cbranch_execz .LBB75_63
; %bb.60:
	s_waitcnt vmcnt(33)
	v_mov_b32_e32 v130, v100
	s_waitcnt vmcnt(32)
	v_mov_b32_e32 v131, v101
	;; [unrolled: 2-line block ×4, first 2 shown]
	ds_write_b32 v117, v89
	ds_write2_b64 v119, v[130:131], v[132:133] offset0:6 offset1:7
	s_waitcnt vmcnt(29)
	v_mov_b32_e32 v130, v98
	s_waitcnt vmcnt(28)
	v_mov_b32_e32 v131, v99
	s_waitcnt vmcnt(27)
	v_mov_b32_e32 v132, v84
	s_waitcnt vmcnt(26)
	v_mov_b32_e32 v133, v85
	ds_write2_b64 v119, v[130:131], v[132:133] offset0:8 offset1:9
	s_waitcnt vmcnt(25)
	v_mov_b32_e32 v130, v96
	s_waitcnt vmcnt(24)
	v_mov_b32_e32 v131, v97
	s_waitcnt vmcnt(23)
	v_mov_b32_e32 v132, v82
	s_waitcnt vmcnt(22)
	v_mov_b32_e32 v133, v83
	;; [unrolled: 9-line block ×5, first 2 shown]
	ds_write2_b64 v119, v[130:131], v[132:133] offset0:16 offset1:17
	s_waitcnt vmcnt(8)
	ds_write_b64 v119, v[104:105] offset:144
	ds_read_b32 v130, v117
	s_waitcnt lgkmcnt(0)
	v_cmp_neq_f32_e32 vcc, 0, v130
	s_and_saveexec_b64 s[4:5], vcc
	s_cbranch_execz .LBB75_62
; %bb.61:
	v_div_scale_f32 v131, s[10:11], v130, v130, 1.0
	v_rcp_f32_e32 v132, v131
	v_div_scale_f32 v133, vcc, 1.0, v130, 1.0
	v_fma_f32 v134, -v131, v132, 1.0
	v_fmac_f32_e32 v132, v134, v132
	v_mul_f32_e32 v134, v133, v132
	v_fma_f32 v135, -v131, v134, v133
	v_fmac_f32_e32 v134, v135, v132
	v_fma_f32 v131, -v131, v134, v133
	v_div_fmas_f32 v131, v131, v132, v134
	v_div_fixup_f32 v130, v131, v130, 1.0
	ds_write_b32 v117, v130
.LBB75_62:
	s_or_b64 exec, exec, s[4:5]
.LBB75_63:
	s_or_b64 exec, exec, s[2:3]
	s_waitcnt lgkmcnt(0)
	s_barrier
	ds_read_b32 v130, v117
	v_cmp_lt_u32_e32 vcc, 11, v115
	s_and_saveexec_b64 s[2:3], vcc
	s_cbranch_execz .LBB75_65
; %bb.64:
	ds_read2_b64 v[132:135], v119 offset0:6 offset1:7
	ds_read2_b64 v[136:139], v119 offset0:8 offset1:9
	s_waitcnt vmcnt(34) lgkmcnt(2)
	v_mul_f32_e32 v144, v130, v89
	ds_read2_b64 v[140:143], v119 offset0:10 offset1:11
	v_mov_b32_e32 v89, v144
	s_waitcnt vmcnt(32) lgkmcnt(2)
	v_pk_fma_f32 v[100:101], v[144:145], v[132:133], v[100:101] op_sel_hi:[0,1,1] neg_lo:[1,0,0] neg_hi:[1,0,0]
	s_waitcnt vmcnt(30)
	v_pk_fma_f32 v[86:87], v[144:145], v[134:135], v[86:87] op_sel_hi:[0,1,1] neg_lo:[1,0,0] neg_hi:[1,0,0]
	ds_read2_b64 v[132:135], v119 offset0:12 offset1:13
	s_waitcnt vmcnt(28) lgkmcnt(2)
	v_pk_fma_f32 v[98:99], v[144:145], v[136:137], v[98:99] op_sel_hi:[0,1,1] neg_lo:[1,0,0] neg_hi:[1,0,0]
	s_waitcnt vmcnt(26)
	v_pk_fma_f32 v[84:85], v[144:145], v[138:139], v[84:85] op_sel_hi:[0,1,1] neg_lo:[1,0,0] neg_hi:[1,0,0]
	s_waitcnt vmcnt(24) lgkmcnt(1)
	v_pk_fma_f32 v[96:97], v[144:145], v[140:141], v[96:97] op_sel_hi:[0,1,1] neg_lo:[1,0,0] neg_hi:[1,0,0]
	s_waitcnt vmcnt(22)
	v_pk_fma_f32 v[82:83], v[144:145], v[142:143], v[82:83] op_sel_hi:[0,1,1] neg_lo:[1,0,0] neg_hi:[1,0,0]
	ds_read2_b64 v[136:139], v119 offset0:14 offset1:15
	ds_read2_b64 v[140:143], v119 offset0:16 offset1:17
	s_waitcnt vmcnt(20) lgkmcnt(2)
	v_pk_fma_f32 v[94:95], v[144:145], v[132:133], v[94:95] op_sel_hi:[0,1,1] neg_lo:[1,0,0] neg_hi:[1,0,0]
	ds_read_b64 v[132:133], v119 offset:144
	s_waitcnt vmcnt(18)
	v_pk_fma_f32 v[80:81], v[144:145], v[134:135], v[80:81] op_sel_hi:[0,1,1] neg_lo:[1,0,0] neg_hi:[1,0,0]
	s_waitcnt vmcnt(16) lgkmcnt(2)
	v_pk_fma_f32 v[92:93], v[144:145], v[136:137], v[92:93] op_sel_hi:[0,1,1] neg_lo:[1,0,0] neg_hi:[1,0,0]
	s_waitcnt vmcnt(14)
	v_pk_fma_f32 v[78:79], v[144:145], v[138:139], v[78:79] op_sel_hi:[0,1,1] neg_lo:[1,0,0] neg_hi:[1,0,0]
	s_waitcnt vmcnt(12) lgkmcnt(1)
	v_pk_fma_f32 v[90:91], v[144:145], v[140:141], v[90:91] op_sel_hi:[0,1,1] neg_lo:[1,0,0] neg_hi:[1,0,0]
	;; [unrolled: 4-line block ×3, first 2 shown]
.LBB75_65:
	s_or_b64 exec, exec, s[2:3]
	v_cmp_eq_u32_e32 vcc, 12, v115
	s_waitcnt lgkmcnt(0)
	s_barrier
	s_and_saveexec_b64 s[2:3], vcc
	s_cbranch_execz .LBB75_68
; %bb.66:
	s_waitcnt vmcnt(30)
	v_pk_mov_b32 v[132:133], v[100:101], v[86:87] op_sel:[1,0]
	ds_write_b32 v117, v100
	ds_write2_b32 v119, v132, v133 offset0:13 offset1:14
	s_waitcnt vmcnt(28)
	v_pk_mov_b32 v[132:133], v[86:87], v[98:99] op_sel:[1,0]
	ds_write2_b32 v119, v132, v133 offset0:15 offset1:16
	s_waitcnt vmcnt(26)
	v_pk_mov_b32 v[132:133], v[98:99], v[84:85] op_sel:[1,0]
	ds_write2_b32 v119, v132, v133 offset0:17 offset1:18
	s_waitcnt vmcnt(24)
	v_pk_mov_b32 v[132:133], v[84:85], v[96:97] op_sel:[1,0]
	ds_write2_b32 v119, v132, v133 offset0:19 offset1:20
	s_waitcnt vmcnt(22)
	v_pk_mov_b32 v[132:133], v[96:97], v[82:83] op_sel:[1,0]
	ds_write2_b32 v119, v132, v133 offset0:21 offset1:22
	s_waitcnt vmcnt(20)
	v_pk_mov_b32 v[132:133], v[82:83], v[94:95] op_sel:[1,0]
	ds_write2_b32 v119, v132, v133 offset0:23 offset1:24
	s_waitcnt vmcnt(18)
	v_pk_mov_b32 v[132:133], v[94:95], v[80:81] op_sel:[1,0]
	ds_write2_b32 v119, v132, v133 offset0:25 offset1:26
	s_waitcnt vmcnt(16)
	v_pk_mov_b32 v[132:133], v[80:81], v[92:93] op_sel:[1,0]
	ds_write2_b32 v119, v132, v133 offset0:27 offset1:28
	s_waitcnt vmcnt(14)
	v_pk_mov_b32 v[132:133], v[92:93], v[78:79] op_sel:[1,0]
	ds_write2_b32 v119, v132, v133 offset0:29 offset1:30
	s_waitcnt vmcnt(12)
	v_pk_mov_b32 v[132:133], v[78:79], v[90:91] op_sel:[1,0]
	ds_write2_b32 v119, v132, v133 offset0:31 offset1:32
	s_waitcnt vmcnt(10)
	v_pk_mov_b32 v[132:133], v[90:91], v[76:77] op_sel:[1,0]
	ds_write2_b32 v119, v132, v133 offset0:33 offset1:34
	s_waitcnt vmcnt(8)
	v_pk_mov_b32 v[132:133], v[76:77], v[104:105] op_sel:[1,0]
	ds_write2_b32 v119, v132, v133 offset0:35 offset1:36
	ds_write_b32 v119, v105 offset:148
	ds_read_b32 v131, v117
	s_waitcnt lgkmcnt(0)
	v_cmp_neq_f32_e32 vcc, 0, v131
	s_and_b64 exec, exec, vcc
	s_cbranch_execz .LBB75_68
; %bb.67:
	v_div_scale_f32 v132, s[4:5], v131, v131, 1.0
	v_rcp_f32_e32 v133, v132
	v_div_scale_f32 v134, vcc, 1.0, v131, 1.0
	v_fma_f32 v135, -v132, v133, 1.0
	v_fmac_f32_e32 v133, v135, v133
	v_mul_f32_e32 v135, v134, v133
	v_fma_f32 v136, -v132, v135, v134
	v_fmac_f32_e32 v135, v136, v133
	v_fma_f32 v132, -v132, v135, v134
	v_div_fmas_f32 v132, v132, v133, v135
	v_div_fixup_f32 v131, v132, v131, 1.0
	ds_write_b32 v117, v131
.LBB75_68:
	s_or_b64 exec, exec, s[2:3]
	s_waitcnt lgkmcnt(0)
	s_barrier
	ds_read_b32 v131, v117
	v_cmp_lt_u32_e32 vcc, 12, v115
	s_and_saveexec_b64 s[2:3], vcc
	s_cbranch_execz .LBB75_70
; %bb.69:
	ds_read_b32 v144, v119 offset:52
	ds_read2_b64 v[132:135], v119 offset0:7 offset1:8
	ds_read2_b64 v[136:139], v119 offset0:9 offset1:10
	;; [unrolled: 1-line block ×3, first 2 shown]
	s_waitcnt vmcnt(33) lgkmcnt(4)
	v_mul_f32_e32 v100, v131, v100
	s_waitcnt vmcnt(32) lgkmcnt(3)
	v_fma_f32 v101, -v100, v144, v101
	s_waitcnt vmcnt(30) lgkmcnt(2)
	v_pk_fma_f32 v[86:87], v[100:101], v[132:133], v[86:87] op_sel_hi:[0,1,1] neg_lo:[1,0,0] neg_hi:[1,0,0]
	s_waitcnt vmcnt(28)
	v_pk_fma_f32 v[98:99], v[100:101], v[134:135], v[98:99] op_sel_hi:[0,1,1] neg_lo:[1,0,0] neg_hi:[1,0,0]
	s_waitcnt vmcnt(26) lgkmcnt(1)
	v_pk_fma_f32 v[84:85], v[100:101], v[136:137], v[84:85] op_sel_hi:[0,1,1] neg_lo:[1,0,0] neg_hi:[1,0,0]
	s_waitcnt vmcnt(24)
	v_pk_fma_f32 v[96:97], v[100:101], v[138:139], v[96:97] op_sel_hi:[0,1,1] neg_lo:[1,0,0] neg_hi:[1,0,0]
	ds_read2_b64 v[132:135], v119 offset0:13 offset1:14
	ds_read2_b64 v[136:139], v119 offset0:15 offset1:16
	s_waitcnt vmcnt(22) lgkmcnt(2)
	v_pk_fma_f32 v[82:83], v[100:101], v[140:141], v[82:83] op_sel_hi:[0,1,1] neg_lo:[1,0,0] neg_hi:[1,0,0]
	s_waitcnt vmcnt(20)
	v_pk_fma_f32 v[94:95], v[100:101], v[142:143], v[94:95] op_sel_hi:[0,1,1] neg_lo:[1,0,0] neg_hi:[1,0,0]
	ds_read2_b64 v[140:143], v119 offset0:17 offset1:18
	s_waitcnt vmcnt(18) lgkmcnt(2)
	v_pk_fma_f32 v[80:81], v[100:101], v[132:133], v[80:81] op_sel_hi:[0,1,1] neg_lo:[1,0,0] neg_hi:[1,0,0]
	s_waitcnt vmcnt(16)
	v_pk_fma_f32 v[92:93], v[100:101], v[134:135], v[92:93] op_sel_hi:[0,1,1] neg_lo:[1,0,0] neg_hi:[1,0,0]
	s_waitcnt vmcnt(14) lgkmcnt(1)
	v_pk_fma_f32 v[78:79], v[100:101], v[136:137], v[78:79] op_sel_hi:[0,1,1] neg_lo:[1,0,0] neg_hi:[1,0,0]
	s_waitcnt vmcnt(12)
	v_pk_fma_f32 v[90:91], v[100:101], v[138:139], v[90:91] op_sel_hi:[0,1,1] neg_lo:[1,0,0] neg_hi:[1,0,0]
	;; [unrolled: 4-line block ×3, first 2 shown]
.LBB75_70:
	s_or_b64 exec, exec, s[2:3]
	v_cmp_ne_u32_e32 vcc, 13, v115
	s_waitcnt lgkmcnt(0)
	s_barrier
	s_and_saveexec_b64 s[2:3], vcc
	s_xor_b64 s[2:3], exec, s[2:3]
	s_andn2_saveexec_b64 s[2:3], s[2:3]
	s_cbranch_execz .LBB75_74
; %bb.71:
	s_waitcnt vmcnt(32)
	ds_write_b32 v117, v101
	s_waitcnt vmcnt(28)
	ds_write2_b64 v119, v[86:87], v[98:99] offset0:7 offset1:8
	s_waitcnt vmcnt(24)
	ds_write2_b64 v119, v[84:85], v[96:97] offset0:9 offset1:10
	;; [unrolled: 2-line block ×6, first 2 shown]
	ds_read_b32 v132, v117
	s_waitcnt lgkmcnt(0)
	v_cmp_neq_f32_e32 vcc, 0, v132
	s_and_saveexec_b64 s[4:5], vcc
	s_cbranch_execz .LBB75_73
; %bb.72:
	v_div_scale_f32 v133, s[10:11], v132, v132, 1.0
	v_rcp_f32_e32 v134, v133
	v_div_scale_f32 v135, vcc, 1.0, v132, 1.0
	v_fma_f32 v136, -v133, v134, 1.0
	v_fmac_f32_e32 v134, v136, v134
	v_mul_f32_e32 v136, v135, v134
	v_fma_f32 v137, -v133, v136, v135
	v_fmac_f32_e32 v136, v137, v134
	v_fma_f32 v133, -v133, v136, v135
	v_div_fmas_f32 v133, v133, v134, v136
	v_div_fixup_f32 v132, v133, v132, 1.0
	ds_write_b32 v117, v132
.LBB75_73:
	s_or_b64 exec, exec, s[4:5]
.LBB75_74:
	s_or_b64 exec, exec, s[2:3]
	s_waitcnt lgkmcnt(0)
	s_barrier
	ds_read_b32 v132, v117
	v_cmp_lt_u32_e32 vcc, 13, v115
	s_and_saveexec_b64 s[2:3], vcc
	s_cbranch_execz .LBB75_76
; %bb.75:
	ds_read2_b64 v[134:137], v119 offset0:7 offset1:8
	ds_read2_b64 v[138:141], v119 offset0:9 offset1:10
	;; [unrolled: 1-line block ×3, first 2 shown]
	s_waitcnt vmcnt(32) lgkmcnt(3)
	v_mul_f32_e32 v146, v132, v101
	v_mov_b32_e32 v101, v146
	s_waitcnt vmcnt(30) lgkmcnt(2)
	v_pk_fma_f32 v[86:87], v[146:147], v[134:135], v[86:87] op_sel_hi:[0,1,1] neg_lo:[1,0,0] neg_hi:[1,0,0]
	s_waitcnt vmcnt(28)
	v_pk_fma_f32 v[98:99], v[146:147], v[136:137], v[98:99] op_sel_hi:[0,1,1] neg_lo:[1,0,0] neg_hi:[1,0,0]
	s_waitcnt vmcnt(26) lgkmcnt(1)
	v_pk_fma_f32 v[84:85], v[146:147], v[138:139], v[84:85] op_sel_hi:[0,1,1] neg_lo:[1,0,0] neg_hi:[1,0,0]
	s_waitcnt vmcnt(24)
	v_pk_fma_f32 v[96:97], v[146:147], v[140:141], v[96:97] op_sel_hi:[0,1,1] neg_lo:[1,0,0] neg_hi:[1,0,0]
	ds_read2_b64 v[134:137], v119 offset0:13 offset1:14
	s_waitcnt vmcnt(22) lgkmcnt(1)
	v_pk_fma_f32 v[82:83], v[146:147], v[142:143], v[82:83] op_sel_hi:[0,1,1] neg_lo:[1,0,0] neg_hi:[1,0,0]
	ds_read2_b64 v[138:141], v119 offset0:15 offset1:16
	s_waitcnt vmcnt(20)
	v_pk_fma_f32 v[94:95], v[146:147], v[144:145], v[94:95] op_sel_hi:[0,1,1] neg_lo:[1,0,0] neg_hi:[1,0,0]
	ds_read2_b64 v[142:145], v119 offset0:17 offset1:18
	s_waitcnt vmcnt(18) lgkmcnt(2)
	v_pk_fma_f32 v[80:81], v[146:147], v[134:135], v[80:81] op_sel_hi:[0,1,1] neg_lo:[1,0,0] neg_hi:[1,0,0]
	s_waitcnt vmcnt(16)
	v_pk_fma_f32 v[92:93], v[146:147], v[136:137], v[92:93] op_sel_hi:[0,1,1] neg_lo:[1,0,0] neg_hi:[1,0,0]
	s_waitcnt vmcnt(14) lgkmcnt(1)
	v_pk_fma_f32 v[78:79], v[146:147], v[138:139], v[78:79] op_sel_hi:[0,1,1] neg_lo:[1,0,0] neg_hi:[1,0,0]
	s_waitcnt vmcnt(12)
	v_pk_fma_f32 v[90:91], v[146:147], v[140:141], v[90:91] op_sel_hi:[0,1,1] neg_lo:[1,0,0] neg_hi:[1,0,0]
	;; [unrolled: 4-line block ×3, first 2 shown]
.LBB75_76:
	s_or_b64 exec, exec, s[2:3]
	v_cmp_eq_u32_e32 vcc, 14, v115
	s_waitcnt lgkmcnt(0)
	s_barrier
	s_and_saveexec_b64 s[2:3], vcc
	s_cbranch_execz .LBB75_79
; %bb.77:
	s_waitcnt vmcnt(28)
	v_pk_mov_b32 v[134:135], v[86:87], v[98:99] op_sel:[1,0]
	ds_write_b32 v117, v86
	ds_write2_b32 v119, v134, v135 offset0:15 offset1:16
	s_waitcnt vmcnt(26)
	v_pk_mov_b32 v[134:135], v[98:99], v[84:85] op_sel:[1,0]
	ds_write2_b32 v119, v134, v135 offset0:17 offset1:18
	s_waitcnt vmcnt(24)
	v_pk_mov_b32 v[134:135], v[84:85], v[96:97] op_sel:[1,0]
	;; [unrolled: 3-line block ×10, first 2 shown]
	ds_write2_b32 v119, v134, v135 offset0:35 offset1:36
	ds_write_b32 v119, v105 offset:148
	ds_read_b32 v133, v117
	s_waitcnt lgkmcnt(0)
	v_cmp_neq_f32_e32 vcc, 0, v133
	s_and_b64 exec, exec, vcc
	s_cbranch_execz .LBB75_79
; %bb.78:
	v_div_scale_f32 v134, s[4:5], v133, v133, 1.0
	v_rcp_f32_e32 v135, v134
	v_div_scale_f32 v136, vcc, 1.0, v133, 1.0
	v_fma_f32 v137, -v134, v135, 1.0
	v_fmac_f32_e32 v135, v137, v135
	v_mul_f32_e32 v137, v136, v135
	v_fma_f32 v138, -v134, v137, v136
	v_fmac_f32_e32 v137, v138, v135
	v_fma_f32 v134, -v134, v137, v136
	v_div_fmas_f32 v134, v134, v135, v137
	v_div_fixup_f32 v133, v134, v133, 1.0
	ds_write_b32 v117, v133
.LBB75_79:
	s_or_b64 exec, exec, s[2:3]
	s_waitcnt lgkmcnt(0)
	s_barrier
	ds_read_b32 v133, v117
	v_cmp_lt_u32_e32 vcc, 14, v115
	s_and_saveexec_b64 s[2:3], vcc
	s_cbranch_execz .LBB75_81
; %bb.80:
	ds_read_b32 v146, v119 offset:60
	ds_read2_b64 v[134:137], v119 offset0:8 offset1:9
	ds_read2_b64 v[138:141], v119 offset0:10 offset1:11
	;; [unrolled: 1-line block ×3, first 2 shown]
	s_waitcnt vmcnt(31) lgkmcnt(4)
	v_mul_f32_e32 v86, v133, v86
	s_waitcnt vmcnt(30) lgkmcnt(3)
	v_fma_f32 v87, -v86, v146, v87
	s_waitcnt vmcnt(28) lgkmcnt(2)
	v_pk_fma_f32 v[98:99], v[86:87], v[134:135], v[98:99] op_sel_hi:[0,1,1] neg_lo:[1,0,0] neg_hi:[1,0,0]
	s_waitcnt vmcnt(26)
	v_pk_fma_f32 v[84:85], v[86:87], v[136:137], v[84:85] op_sel_hi:[0,1,1] neg_lo:[1,0,0] neg_hi:[1,0,0]
	s_waitcnt vmcnt(24) lgkmcnt(1)
	v_pk_fma_f32 v[96:97], v[86:87], v[138:139], v[96:97] op_sel_hi:[0,1,1] neg_lo:[1,0,0] neg_hi:[1,0,0]
	s_waitcnt vmcnt(22)
	v_pk_fma_f32 v[82:83], v[86:87], v[140:141], v[82:83] op_sel_hi:[0,1,1] neg_lo:[1,0,0] neg_hi:[1,0,0]
	ds_read2_b64 v[134:137], v119 offset0:14 offset1:15
	ds_read2_b64 v[138:141], v119 offset0:16 offset1:17
	s_waitcnt vmcnt(20) lgkmcnt(2)
	v_pk_fma_f32 v[94:95], v[86:87], v[142:143], v[94:95] op_sel_hi:[0,1,1] neg_lo:[1,0,0] neg_hi:[1,0,0]
	ds_read_b64 v[142:143], v119 offset:144
	s_waitcnt vmcnt(18)
	v_pk_fma_f32 v[80:81], v[86:87], v[144:145], v[80:81] op_sel_hi:[0,1,1] neg_lo:[1,0,0] neg_hi:[1,0,0]
	s_waitcnt vmcnt(16) lgkmcnt(2)
	v_pk_fma_f32 v[92:93], v[86:87], v[134:135], v[92:93] op_sel_hi:[0,1,1] neg_lo:[1,0,0] neg_hi:[1,0,0]
	s_waitcnt vmcnt(14)
	v_pk_fma_f32 v[78:79], v[86:87], v[136:137], v[78:79] op_sel_hi:[0,1,1] neg_lo:[1,0,0] neg_hi:[1,0,0]
	s_waitcnt vmcnt(12) lgkmcnt(1)
	v_pk_fma_f32 v[90:91], v[86:87], v[138:139], v[90:91] op_sel_hi:[0,1,1] neg_lo:[1,0,0] neg_hi:[1,0,0]
	s_waitcnt vmcnt(10)
	v_pk_fma_f32 v[76:77], v[86:87], v[140:141], v[76:77] op_sel_hi:[0,1,1] neg_lo:[1,0,0] neg_hi:[1,0,0]
	s_waitcnt vmcnt(8) lgkmcnt(0)
	v_pk_fma_f32 v[104:105], v[86:87], v[142:143], v[104:105] op_sel_hi:[0,1,1] neg_lo:[1,0,0] neg_hi:[1,0,0]
.LBB75_81:
	s_or_b64 exec, exec, s[2:3]
	v_cmp_ne_u32_e32 vcc, 15, v115
	s_waitcnt lgkmcnt(0)
	s_barrier
	s_and_saveexec_b64 s[2:3], vcc
	s_xor_b64 s[2:3], exec, s[2:3]
	s_andn2_saveexec_b64 s[2:3], s[2:3]
	s_cbranch_execz .LBB75_85
; %bb.82:
	s_waitcnt vmcnt(29)
	v_mov_b32_e32 v134, v98
	s_waitcnt vmcnt(28)
	v_mov_b32_e32 v135, v99
	;; [unrolled: 2-line block ×4, first 2 shown]
	ds_write_b32 v117, v87
	ds_write2_b64 v119, v[134:135], v[136:137] offset0:8 offset1:9
	s_waitcnt vmcnt(25)
	v_mov_b32_e32 v134, v96
	s_waitcnt vmcnt(24)
	v_mov_b32_e32 v135, v97
	s_waitcnt vmcnt(23)
	v_mov_b32_e32 v136, v82
	s_waitcnt vmcnt(22)
	v_mov_b32_e32 v137, v83
	ds_write2_b64 v119, v[134:135], v[136:137] offset0:10 offset1:11
	s_waitcnt vmcnt(21)
	v_mov_b32_e32 v134, v94
	s_waitcnt vmcnt(20)
	v_mov_b32_e32 v135, v95
	s_waitcnt vmcnt(19)
	v_mov_b32_e32 v136, v80
	s_waitcnt vmcnt(18)
	v_mov_b32_e32 v137, v81
	;; [unrolled: 9-line block ×4, first 2 shown]
	ds_write2_b64 v119, v[134:135], v[136:137] offset0:16 offset1:17
	s_waitcnt vmcnt(8)
	ds_write_b64 v119, v[104:105] offset:144
	ds_read_b32 v134, v117
	s_waitcnt lgkmcnt(0)
	v_cmp_neq_f32_e32 vcc, 0, v134
	s_and_saveexec_b64 s[4:5], vcc
	s_cbranch_execz .LBB75_84
; %bb.83:
	v_div_scale_f32 v135, s[10:11], v134, v134, 1.0
	v_rcp_f32_e32 v136, v135
	v_div_scale_f32 v137, vcc, 1.0, v134, 1.0
	v_fma_f32 v138, -v135, v136, 1.0
	v_fmac_f32_e32 v136, v138, v136
	v_mul_f32_e32 v138, v137, v136
	v_fma_f32 v139, -v135, v138, v137
	v_fmac_f32_e32 v138, v139, v136
	v_fma_f32 v135, -v135, v138, v137
	v_div_fmas_f32 v135, v135, v136, v138
	v_div_fixup_f32 v134, v135, v134, 1.0
	ds_write_b32 v117, v134
.LBB75_84:
	s_or_b64 exec, exec, s[4:5]
.LBB75_85:
	s_or_b64 exec, exec, s[2:3]
	s_waitcnt lgkmcnt(0)
	s_barrier
	ds_read_b32 v134, v117
	v_cmp_lt_u32_e32 vcc, 15, v115
	s_and_saveexec_b64 s[2:3], vcc
	s_cbranch_execz .LBB75_87
; %bb.86:
	ds_read2_b64 v[136:139], v119 offset0:8 offset1:9
	ds_read2_b64 v[140:143], v119 offset0:10 offset1:11
	;; [unrolled: 1-line block ×3, first 2 shown]
	s_waitcnt vmcnt(30) lgkmcnt(3)
	v_mul_f32_e32 v148, v134, v87
	v_mov_b32_e32 v87, v148
	s_waitcnt vmcnt(28) lgkmcnt(2)
	v_pk_fma_f32 v[98:99], v[148:149], v[136:137], v[98:99] op_sel_hi:[0,1,1] neg_lo:[1,0,0] neg_hi:[1,0,0]
	s_waitcnt vmcnt(26)
	v_pk_fma_f32 v[84:85], v[148:149], v[138:139], v[84:85] op_sel_hi:[0,1,1] neg_lo:[1,0,0] neg_hi:[1,0,0]
	s_waitcnt vmcnt(24) lgkmcnt(1)
	v_pk_fma_f32 v[96:97], v[148:149], v[140:141], v[96:97] op_sel_hi:[0,1,1] neg_lo:[1,0,0] neg_hi:[1,0,0]
	s_waitcnt vmcnt(22)
	v_pk_fma_f32 v[82:83], v[148:149], v[142:143], v[82:83] op_sel_hi:[0,1,1] neg_lo:[1,0,0] neg_hi:[1,0,0]
	ds_read2_b64 v[136:139], v119 offset0:14 offset1:15
	s_waitcnt vmcnt(20) lgkmcnt(1)
	v_pk_fma_f32 v[94:95], v[148:149], v[144:145], v[94:95] op_sel_hi:[0,1,1] neg_lo:[1,0,0] neg_hi:[1,0,0]
	ds_read2_b64 v[140:143], v119 offset0:16 offset1:17
	ds_read_b64 v[144:145], v119 offset:144
	s_waitcnt vmcnt(18)
	v_pk_fma_f32 v[80:81], v[148:149], v[146:147], v[80:81] op_sel_hi:[0,1,1] neg_lo:[1,0,0] neg_hi:[1,0,0]
	s_waitcnt vmcnt(16) lgkmcnt(2)
	v_pk_fma_f32 v[92:93], v[148:149], v[136:137], v[92:93] op_sel_hi:[0,1,1] neg_lo:[1,0,0] neg_hi:[1,0,0]
	s_waitcnt vmcnt(14)
	v_pk_fma_f32 v[78:79], v[148:149], v[138:139], v[78:79] op_sel_hi:[0,1,1] neg_lo:[1,0,0] neg_hi:[1,0,0]
	s_waitcnt vmcnt(12) lgkmcnt(1)
	v_pk_fma_f32 v[90:91], v[148:149], v[140:141], v[90:91] op_sel_hi:[0,1,1] neg_lo:[1,0,0] neg_hi:[1,0,0]
	;; [unrolled: 4-line block ×3, first 2 shown]
.LBB75_87:
	s_or_b64 exec, exec, s[2:3]
	v_cmp_eq_u32_e32 vcc, 16, v115
	s_waitcnt lgkmcnt(0)
	s_barrier
	s_and_saveexec_b64 s[2:3], vcc
	s_cbranch_execz .LBB75_90
; %bb.88:
	s_waitcnt vmcnt(26)
	v_pk_mov_b32 v[136:137], v[98:99], v[84:85] op_sel:[1,0]
	ds_write_b32 v117, v98
	ds_write2_b32 v119, v136, v137 offset0:17 offset1:18
	s_waitcnt vmcnt(24)
	v_pk_mov_b32 v[136:137], v[84:85], v[96:97] op_sel:[1,0]
	ds_write2_b32 v119, v136, v137 offset0:19 offset1:20
	s_waitcnt vmcnt(22)
	v_pk_mov_b32 v[136:137], v[96:97], v[82:83] op_sel:[1,0]
	;; [unrolled: 3-line block ×9, first 2 shown]
	ds_write2_b32 v119, v136, v137 offset0:35 offset1:36
	ds_write_b32 v119, v105 offset:148
	ds_read_b32 v135, v117
	s_waitcnt lgkmcnt(0)
	v_cmp_neq_f32_e32 vcc, 0, v135
	s_and_b64 exec, exec, vcc
	s_cbranch_execz .LBB75_90
; %bb.89:
	v_div_scale_f32 v136, s[4:5], v135, v135, 1.0
	v_rcp_f32_e32 v137, v136
	v_div_scale_f32 v138, vcc, 1.0, v135, 1.0
	v_fma_f32 v139, -v136, v137, 1.0
	v_fmac_f32_e32 v137, v139, v137
	v_mul_f32_e32 v139, v138, v137
	v_fma_f32 v140, -v136, v139, v138
	v_fmac_f32_e32 v139, v140, v137
	v_fma_f32 v136, -v136, v139, v138
	v_div_fmas_f32 v136, v136, v137, v139
	v_div_fixup_f32 v135, v136, v135, 1.0
	ds_write_b32 v117, v135
.LBB75_90:
	s_or_b64 exec, exec, s[2:3]
	s_waitcnt lgkmcnt(0)
	s_barrier
	ds_read_b32 v135, v117
	v_cmp_lt_u32_e32 vcc, 16, v115
	s_and_saveexec_b64 s[2:3], vcc
	s_cbranch_execz .LBB75_92
; %bb.91:
	ds_read_b32 v144, v119 offset:68
	ds_read2_b64 v[136:139], v119 offset0:9 offset1:10
	ds_read2_b64 v[140:143], v119 offset0:11 offset1:12
	s_waitcnt vmcnt(29) lgkmcnt(3)
	v_mul_f32_e32 v98, v135, v98
	s_waitcnt vmcnt(28) lgkmcnt(2)
	v_fma_f32 v99, -v98, v144, v99
	s_waitcnt vmcnt(26) lgkmcnt(1)
	v_pk_fma_f32 v[84:85], v[98:99], v[136:137], v[84:85] op_sel_hi:[0,1,1] neg_lo:[1,0,0] neg_hi:[1,0,0]
	s_waitcnt vmcnt(24)
	v_pk_fma_f32 v[96:97], v[98:99], v[138:139], v[96:97] op_sel_hi:[0,1,1] neg_lo:[1,0,0] neg_hi:[1,0,0]
	ds_read2_b64 v[136:139], v119 offset0:13 offset1:14
	s_waitcnt vmcnt(22) lgkmcnt(1)
	v_pk_fma_f32 v[82:83], v[98:99], v[140:141], v[82:83] op_sel_hi:[0,1,1] neg_lo:[1,0,0] neg_hi:[1,0,0]
	ds_read2_b64 v[144:147], v119 offset0:15 offset1:16
	s_waitcnt vmcnt(20)
	v_pk_fma_f32 v[94:95], v[98:99], v[142:143], v[94:95] op_sel_hi:[0,1,1] neg_lo:[1,0,0] neg_hi:[1,0,0]
	ds_read2_b64 v[140:143], v119 offset0:17 offset1:18
	s_waitcnt vmcnt(18) lgkmcnt(2)
	v_pk_fma_f32 v[80:81], v[98:99], v[136:137], v[80:81] op_sel_hi:[0,1,1] neg_lo:[1,0,0] neg_hi:[1,0,0]
	s_waitcnt vmcnt(16)
	v_pk_fma_f32 v[92:93], v[98:99], v[138:139], v[92:93] op_sel_hi:[0,1,1] neg_lo:[1,0,0] neg_hi:[1,0,0]
	s_waitcnt vmcnt(14) lgkmcnt(1)
	v_pk_fma_f32 v[78:79], v[98:99], v[144:145], v[78:79] op_sel_hi:[0,1,1] neg_lo:[1,0,0] neg_hi:[1,0,0]
	s_waitcnt vmcnt(12)
	v_pk_fma_f32 v[90:91], v[98:99], v[146:147], v[90:91] op_sel_hi:[0,1,1] neg_lo:[1,0,0] neg_hi:[1,0,0]
	;; [unrolled: 4-line block ×3, first 2 shown]
.LBB75_92:
	s_or_b64 exec, exec, s[2:3]
	v_cmp_ne_u32_e32 vcc, 17, v115
	s_waitcnt lgkmcnt(0)
	s_barrier
	s_and_saveexec_b64 s[2:3], vcc
	s_xor_b64 s[2:3], exec, s[2:3]
	s_andn2_saveexec_b64 s[2:3], s[2:3]
	s_cbranch_execz .LBB75_96
; %bb.93:
	s_waitcnt vmcnt(28)
	ds_write_b32 v117, v99
	s_waitcnt vmcnt(24)
	ds_write2_b64 v119, v[84:85], v[96:97] offset0:9 offset1:10
	s_waitcnt vmcnt(20)
	ds_write2_b64 v119, v[82:83], v[94:95] offset0:11 offset1:12
	s_waitcnt vmcnt(16)
	ds_write2_b64 v119, v[80:81], v[92:93] offset0:13 offset1:14
	s_waitcnt vmcnt(12)
	ds_write2_b64 v119, v[78:79], v[90:91] offset0:15 offset1:16
	s_waitcnt vmcnt(8)
	ds_write2_b64 v119, v[76:77], v[104:105] offset0:17 offset1:18
	ds_read_b32 v136, v117
	s_waitcnt lgkmcnt(0)
	v_cmp_neq_f32_e32 vcc, 0, v136
	s_and_saveexec_b64 s[4:5], vcc
	s_cbranch_execz .LBB75_95
; %bb.94:
	v_div_scale_f32 v137, s[10:11], v136, v136, 1.0
	v_rcp_f32_e32 v138, v137
	v_div_scale_f32 v139, vcc, 1.0, v136, 1.0
	v_fma_f32 v140, -v137, v138, 1.0
	v_fmac_f32_e32 v138, v140, v138
	v_mul_f32_e32 v140, v139, v138
	v_fma_f32 v141, -v137, v140, v139
	v_fmac_f32_e32 v140, v141, v138
	v_fma_f32 v137, -v137, v140, v139
	v_div_fmas_f32 v137, v137, v138, v140
	v_div_fixup_f32 v136, v137, v136, 1.0
	ds_write_b32 v117, v136
.LBB75_95:
	s_or_b64 exec, exec, s[4:5]
.LBB75_96:
	s_or_b64 exec, exec, s[2:3]
	s_waitcnt lgkmcnt(0)
	s_barrier
	ds_read_b32 v136, v117
	v_cmp_lt_u32_e32 vcc, 17, v115
	s_and_saveexec_b64 s[2:3], vcc
	s_cbranch_execz .LBB75_98
; %bb.97:
	ds_read2_b64 v[138:141], v119 offset0:9 offset1:10
	ds_read2_b64 v[142:145], v119 offset0:11 offset1:12
	s_waitcnt vmcnt(28) lgkmcnt(2)
	v_mul_f32_e32 v150, v136, v99
	ds_read2_b64 v[146:149], v119 offset0:13 offset1:14
	v_mov_b32_e32 v99, v150
	s_waitcnt vmcnt(26) lgkmcnt(2)
	v_pk_fma_f32 v[84:85], v[150:151], v[138:139], v[84:85] op_sel_hi:[0,1,1] neg_lo:[1,0,0] neg_hi:[1,0,0]
	s_waitcnt vmcnt(24)
	v_pk_fma_f32 v[96:97], v[150:151], v[140:141], v[96:97] op_sel_hi:[0,1,1] neg_lo:[1,0,0] neg_hi:[1,0,0]
	s_waitcnt vmcnt(22) lgkmcnt(1)
	v_pk_fma_f32 v[82:83], v[150:151], v[142:143], v[82:83] op_sel_hi:[0,1,1] neg_lo:[1,0,0] neg_hi:[1,0,0]
	ds_read2_b64 v[138:141], v119 offset0:15 offset1:16
	s_waitcnt vmcnt(20)
	v_pk_fma_f32 v[94:95], v[150:151], v[144:145], v[94:95] op_sel_hi:[0,1,1] neg_lo:[1,0,0] neg_hi:[1,0,0]
	ds_read2_b64 v[142:145], v119 offset0:17 offset1:18
	s_waitcnt vmcnt(18) lgkmcnt(2)
	v_pk_fma_f32 v[80:81], v[150:151], v[146:147], v[80:81] op_sel_hi:[0,1,1] neg_lo:[1,0,0] neg_hi:[1,0,0]
	s_waitcnt vmcnt(16)
	v_pk_fma_f32 v[92:93], v[150:151], v[148:149], v[92:93] op_sel_hi:[0,1,1] neg_lo:[1,0,0] neg_hi:[1,0,0]
	s_waitcnt vmcnt(14) lgkmcnt(1)
	v_pk_fma_f32 v[78:79], v[150:151], v[138:139], v[78:79] op_sel_hi:[0,1,1] neg_lo:[1,0,0] neg_hi:[1,0,0]
	s_waitcnt vmcnt(12)
	v_pk_fma_f32 v[90:91], v[150:151], v[140:141], v[90:91] op_sel_hi:[0,1,1] neg_lo:[1,0,0] neg_hi:[1,0,0]
	;; [unrolled: 4-line block ×3, first 2 shown]
.LBB75_98:
	s_or_b64 exec, exec, s[2:3]
	v_cmp_eq_u32_e32 vcc, 18, v115
	s_waitcnt lgkmcnt(0)
	s_barrier
	s_and_saveexec_b64 s[2:3], vcc
	s_cbranch_execz .LBB75_101
; %bb.99:
	s_waitcnt vmcnt(24)
	v_pk_mov_b32 v[138:139], v[84:85], v[96:97] op_sel:[1,0]
	ds_write_b32 v117, v84
	ds_write2_b32 v119, v138, v139 offset0:19 offset1:20
	s_waitcnt vmcnt(22)
	v_pk_mov_b32 v[138:139], v[96:97], v[82:83] op_sel:[1,0]
	ds_write2_b32 v119, v138, v139 offset0:21 offset1:22
	s_waitcnt vmcnt(20)
	v_pk_mov_b32 v[138:139], v[82:83], v[94:95] op_sel:[1,0]
	;; [unrolled: 3-line block ×8, first 2 shown]
	ds_write2_b32 v119, v138, v139 offset0:35 offset1:36
	ds_write_b32 v119, v105 offset:148
	ds_read_b32 v137, v117
	s_waitcnt lgkmcnt(0)
	v_cmp_neq_f32_e32 vcc, 0, v137
	s_and_b64 exec, exec, vcc
	s_cbranch_execz .LBB75_101
; %bb.100:
	v_div_scale_f32 v138, s[4:5], v137, v137, 1.0
	v_rcp_f32_e32 v139, v138
	v_div_scale_f32 v140, vcc, 1.0, v137, 1.0
	v_fma_f32 v141, -v138, v139, 1.0
	v_fmac_f32_e32 v139, v141, v139
	v_mul_f32_e32 v141, v140, v139
	v_fma_f32 v142, -v138, v141, v140
	v_fmac_f32_e32 v141, v142, v139
	v_fma_f32 v138, -v138, v141, v140
	v_div_fmas_f32 v138, v138, v139, v141
	v_div_fixup_f32 v137, v138, v137, 1.0
	ds_write_b32 v117, v137
.LBB75_101:
	s_or_b64 exec, exec, s[2:3]
	s_waitcnt lgkmcnt(0)
	s_barrier
	ds_read_b32 v137, v117
	v_cmp_lt_u32_e32 vcc, 18, v115
	s_and_saveexec_b64 s[2:3], vcc
	s_cbranch_execz .LBB75_103
; %bb.102:
	ds_read_b32 v146, v119 offset:76
	ds_read2_b64 v[138:141], v119 offset0:10 offset1:11
	ds_read2_b64 v[142:145], v119 offset0:12 offset1:13
	s_waitcnt vmcnt(27) lgkmcnt(3)
	v_mul_f32_e32 v84, v137, v84
	s_waitcnt vmcnt(26) lgkmcnt(2)
	v_fma_f32 v85, -v84, v146, v85
	s_waitcnt vmcnt(24) lgkmcnt(1)
	v_pk_fma_f32 v[96:97], v[84:85], v[138:139], v[96:97] op_sel_hi:[0,1,1] neg_lo:[1,0,0] neg_hi:[1,0,0]
	s_waitcnt vmcnt(22)
	v_pk_fma_f32 v[82:83], v[84:85], v[140:141], v[82:83] op_sel_hi:[0,1,1] neg_lo:[1,0,0] neg_hi:[1,0,0]
	ds_read2_b64 v[138:141], v119 offset0:14 offset1:15
	s_waitcnt vmcnt(20) lgkmcnt(1)
	v_pk_fma_f32 v[94:95], v[84:85], v[142:143], v[94:95] op_sel_hi:[0,1,1] neg_lo:[1,0,0] neg_hi:[1,0,0]
	ds_read2_b64 v[146:149], v119 offset0:16 offset1:17
	ds_read_b64 v[142:143], v119 offset:144
	s_waitcnt vmcnt(18)
	v_pk_fma_f32 v[80:81], v[84:85], v[144:145], v[80:81] op_sel_hi:[0,1,1] neg_lo:[1,0,0] neg_hi:[1,0,0]
	s_waitcnt vmcnt(16) lgkmcnt(2)
	v_pk_fma_f32 v[92:93], v[84:85], v[138:139], v[92:93] op_sel_hi:[0,1,1] neg_lo:[1,0,0] neg_hi:[1,0,0]
	s_waitcnt vmcnt(14)
	v_pk_fma_f32 v[78:79], v[84:85], v[140:141], v[78:79] op_sel_hi:[0,1,1] neg_lo:[1,0,0] neg_hi:[1,0,0]
	s_waitcnt vmcnt(12) lgkmcnt(1)
	v_pk_fma_f32 v[90:91], v[84:85], v[146:147], v[90:91] op_sel_hi:[0,1,1] neg_lo:[1,0,0] neg_hi:[1,0,0]
	s_waitcnt vmcnt(10)
	v_pk_fma_f32 v[76:77], v[84:85], v[148:149], v[76:77] op_sel_hi:[0,1,1] neg_lo:[1,0,0] neg_hi:[1,0,0]
	s_waitcnt vmcnt(8) lgkmcnt(0)
	v_pk_fma_f32 v[104:105], v[84:85], v[142:143], v[104:105] op_sel_hi:[0,1,1] neg_lo:[1,0,0] neg_hi:[1,0,0]
.LBB75_103:
	s_or_b64 exec, exec, s[2:3]
	v_cmp_ne_u32_e32 vcc, 19, v115
	s_waitcnt lgkmcnt(0)
	s_barrier
	s_and_saveexec_b64 s[2:3], vcc
	s_xor_b64 s[2:3], exec, s[2:3]
	s_andn2_saveexec_b64 s[2:3], s[2:3]
	s_cbranch_execz .LBB75_107
; %bb.104:
	s_waitcnt vmcnt(25)
	v_mov_b32_e32 v138, v96
	s_waitcnt vmcnt(24)
	v_mov_b32_e32 v139, v97
	;; [unrolled: 2-line block ×4, first 2 shown]
	ds_write_b32 v117, v85
	ds_write2_b64 v119, v[138:139], v[140:141] offset0:10 offset1:11
	s_waitcnt vmcnt(21)
	v_mov_b32_e32 v138, v94
	s_waitcnt vmcnt(20)
	v_mov_b32_e32 v139, v95
	s_waitcnt vmcnt(19)
	v_mov_b32_e32 v140, v80
	s_waitcnt vmcnt(18)
	v_mov_b32_e32 v141, v81
	ds_write2_b64 v119, v[138:139], v[140:141] offset0:12 offset1:13
	s_waitcnt vmcnt(17)
	v_mov_b32_e32 v138, v92
	s_waitcnt vmcnt(16)
	v_mov_b32_e32 v139, v93
	s_waitcnt vmcnt(15)
	v_mov_b32_e32 v140, v78
	s_waitcnt vmcnt(14)
	v_mov_b32_e32 v141, v79
	;; [unrolled: 9-line block ×3, first 2 shown]
	ds_write2_b64 v119, v[138:139], v[140:141] offset0:16 offset1:17
	s_waitcnt vmcnt(8)
	ds_write_b64 v119, v[104:105] offset:144
	ds_read_b32 v138, v117
	s_waitcnt lgkmcnt(0)
	v_cmp_neq_f32_e32 vcc, 0, v138
	s_and_saveexec_b64 s[4:5], vcc
	s_cbranch_execz .LBB75_106
; %bb.105:
	v_div_scale_f32 v139, s[10:11], v138, v138, 1.0
	v_rcp_f32_e32 v140, v139
	v_div_scale_f32 v141, vcc, 1.0, v138, 1.0
	v_fma_f32 v142, -v139, v140, 1.0
	v_fmac_f32_e32 v140, v142, v140
	v_mul_f32_e32 v142, v141, v140
	v_fma_f32 v143, -v139, v142, v141
	v_fmac_f32_e32 v142, v143, v140
	v_fma_f32 v139, -v139, v142, v141
	v_div_fmas_f32 v139, v139, v140, v142
	v_div_fixup_f32 v138, v139, v138, 1.0
	ds_write_b32 v117, v138
.LBB75_106:
	s_or_b64 exec, exec, s[4:5]
.LBB75_107:
	s_or_b64 exec, exec, s[2:3]
	s_waitcnt lgkmcnt(0)
	s_barrier
	ds_read_b32 v138, v117
	v_cmp_lt_u32_e32 vcc, 19, v115
	s_and_saveexec_b64 s[2:3], vcc
	s_cbranch_execz .LBB75_109
; %bb.108:
	ds_read2_b64 v[140:143], v119 offset0:10 offset1:11
	ds_read2_b64 v[144:147], v119 offset0:12 offset1:13
	s_waitcnt vmcnt(26) lgkmcnt(2)
	v_mul_f32_e32 v152, v138, v85
	ds_read2_b64 v[148:151], v119 offset0:14 offset1:15
	v_mov_b32_e32 v85, v152
	s_waitcnt vmcnt(24) lgkmcnt(2)
	v_pk_fma_f32 v[96:97], v[152:153], v[140:141], v[96:97] op_sel_hi:[0,1,1] neg_lo:[1,0,0] neg_hi:[1,0,0]
	s_waitcnt vmcnt(22)
	v_pk_fma_f32 v[82:83], v[152:153], v[142:143], v[82:83] op_sel_hi:[0,1,1] neg_lo:[1,0,0] neg_hi:[1,0,0]
	s_waitcnt vmcnt(20) lgkmcnt(1)
	v_pk_fma_f32 v[94:95], v[152:153], v[144:145], v[94:95] op_sel_hi:[0,1,1] neg_lo:[1,0,0] neg_hi:[1,0,0]
	ds_read2_b64 v[140:143], v119 offset0:16 offset1:17
	ds_read_b64 v[144:145], v119 offset:144
	s_waitcnt vmcnt(18)
	v_pk_fma_f32 v[80:81], v[152:153], v[146:147], v[80:81] op_sel_hi:[0,1,1] neg_lo:[1,0,0] neg_hi:[1,0,0]
	s_waitcnt vmcnt(16) lgkmcnt(2)
	v_pk_fma_f32 v[92:93], v[152:153], v[148:149], v[92:93] op_sel_hi:[0,1,1] neg_lo:[1,0,0] neg_hi:[1,0,0]
	s_waitcnt vmcnt(14)
	v_pk_fma_f32 v[78:79], v[152:153], v[150:151], v[78:79] op_sel_hi:[0,1,1] neg_lo:[1,0,0] neg_hi:[1,0,0]
	s_waitcnt vmcnt(12) lgkmcnt(1)
	v_pk_fma_f32 v[90:91], v[152:153], v[140:141], v[90:91] op_sel_hi:[0,1,1] neg_lo:[1,0,0] neg_hi:[1,0,0]
	s_waitcnt vmcnt(10)
	v_pk_fma_f32 v[76:77], v[152:153], v[142:143], v[76:77] op_sel_hi:[0,1,1] neg_lo:[1,0,0] neg_hi:[1,0,0]
	s_waitcnt vmcnt(8) lgkmcnt(0)
	v_pk_fma_f32 v[104:105], v[152:153], v[144:145], v[104:105] op_sel_hi:[0,1,1] neg_lo:[1,0,0] neg_hi:[1,0,0]
.LBB75_109:
	s_or_b64 exec, exec, s[2:3]
	v_cmp_eq_u32_e32 vcc, 20, v115
	s_waitcnt lgkmcnt(0)
	s_barrier
	s_and_saveexec_b64 s[2:3], vcc
	s_cbranch_execz .LBB75_112
; %bb.110:
	s_waitcnt vmcnt(22)
	v_pk_mov_b32 v[140:141], v[96:97], v[82:83] op_sel:[1,0]
	ds_write_b32 v117, v96
	ds_write2_b32 v119, v140, v141 offset0:21 offset1:22
	s_waitcnt vmcnt(20)
	v_pk_mov_b32 v[140:141], v[82:83], v[94:95] op_sel:[1,0]
	ds_write2_b32 v119, v140, v141 offset0:23 offset1:24
	s_waitcnt vmcnt(18)
	v_pk_mov_b32 v[140:141], v[94:95], v[80:81] op_sel:[1,0]
	;; [unrolled: 3-line block ×7, first 2 shown]
	ds_write2_b32 v119, v140, v141 offset0:35 offset1:36
	ds_write_b32 v119, v105 offset:148
	ds_read_b32 v139, v117
	s_waitcnt lgkmcnt(0)
	v_cmp_neq_f32_e32 vcc, 0, v139
	s_and_b64 exec, exec, vcc
	s_cbranch_execz .LBB75_112
; %bb.111:
	v_div_scale_f32 v140, s[4:5], v139, v139, 1.0
	v_rcp_f32_e32 v141, v140
	v_div_scale_f32 v142, vcc, 1.0, v139, 1.0
	v_fma_f32 v143, -v140, v141, 1.0
	v_fmac_f32_e32 v141, v143, v141
	v_mul_f32_e32 v143, v142, v141
	v_fma_f32 v144, -v140, v143, v142
	v_fmac_f32_e32 v143, v144, v141
	v_fma_f32 v140, -v140, v143, v142
	v_div_fmas_f32 v140, v140, v141, v143
	v_div_fixup_f32 v139, v140, v139, 1.0
	ds_write_b32 v117, v139
.LBB75_112:
	s_or_b64 exec, exec, s[2:3]
	s_waitcnt lgkmcnt(0)
	s_barrier
	ds_read_b32 v139, v117
	v_cmp_lt_u32_e32 vcc, 20, v115
	s_and_saveexec_b64 s[2:3], vcc
	s_cbranch_execz .LBB75_114
; %bb.113:
	ds_read_b32 v152, v119 offset:84
	ds_read2_b64 v[140:143], v119 offset0:11 offset1:12
	s_waitcnt vmcnt(25) lgkmcnt(2)
	v_mul_f32_e32 v96, v139, v96
	ds_read2_b64 v[144:147], v119 offset0:13 offset1:14
	ds_read2_b64 v[148:151], v119 offset0:15 offset1:16
	s_waitcnt vmcnt(24) lgkmcnt(3)
	v_fma_f32 v97, -v96, v152, v97
	s_waitcnt vmcnt(22) lgkmcnt(2)
	v_pk_fma_f32 v[82:83], v[96:97], v[140:141], v[82:83] op_sel_hi:[0,1,1] neg_lo:[1,0,0] neg_hi:[1,0,0]
	s_waitcnt vmcnt(20)
	v_pk_fma_f32 v[94:95], v[96:97], v[142:143], v[94:95] op_sel_hi:[0,1,1] neg_lo:[1,0,0] neg_hi:[1,0,0]
	ds_read2_b64 v[140:143], v119 offset0:17 offset1:18
	s_waitcnt vmcnt(18) lgkmcnt(2)
	v_pk_fma_f32 v[80:81], v[96:97], v[144:145], v[80:81] op_sel_hi:[0,1,1] neg_lo:[1,0,0] neg_hi:[1,0,0]
	s_waitcnt vmcnt(16)
	v_pk_fma_f32 v[92:93], v[96:97], v[146:147], v[92:93] op_sel_hi:[0,1,1] neg_lo:[1,0,0] neg_hi:[1,0,0]
	s_waitcnt vmcnt(14) lgkmcnt(1)
	v_pk_fma_f32 v[78:79], v[96:97], v[148:149], v[78:79] op_sel_hi:[0,1,1] neg_lo:[1,0,0] neg_hi:[1,0,0]
	s_waitcnt vmcnt(12)
	v_pk_fma_f32 v[90:91], v[96:97], v[150:151], v[90:91] op_sel_hi:[0,1,1] neg_lo:[1,0,0] neg_hi:[1,0,0]
	;; [unrolled: 4-line block ×3, first 2 shown]
.LBB75_114:
	s_or_b64 exec, exec, s[2:3]
	v_cmp_ne_u32_e32 vcc, 21, v115
	s_waitcnt lgkmcnt(0)
	s_barrier
	s_and_saveexec_b64 s[2:3], vcc
	s_xor_b64 s[2:3], exec, s[2:3]
	s_andn2_saveexec_b64 s[2:3], s[2:3]
	s_cbranch_execz .LBB75_118
; %bb.115:
	s_waitcnt vmcnt(24)
	ds_write_b32 v117, v97
	s_waitcnt vmcnt(20)
	ds_write2_b64 v119, v[82:83], v[94:95] offset0:11 offset1:12
	s_waitcnt vmcnt(16)
	ds_write2_b64 v119, v[80:81], v[92:93] offset0:13 offset1:14
	;; [unrolled: 2-line block ×4, first 2 shown]
	ds_read_b32 v140, v117
	s_waitcnt lgkmcnt(0)
	v_cmp_neq_f32_e32 vcc, 0, v140
	s_and_saveexec_b64 s[4:5], vcc
	s_cbranch_execz .LBB75_117
; %bb.116:
	v_div_scale_f32 v141, s[10:11], v140, v140, 1.0
	v_rcp_f32_e32 v142, v141
	v_div_scale_f32 v143, vcc, 1.0, v140, 1.0
	v_fma_f32 v144, -v141, v142, 1.0
	v_fmac_f32_e32 v142, v144, v142
	v_mul_f32_e32 v144, v143, v142
	v_fma_f32 v145, -v141, v144, v143
	v_fmac_f32_e32 v144, v145, v142
	v_fma_f32 v141, -v141, v144, v143
	v_div_fmas_f32 v141, v141, v142, v144
	v_div_fixup_f32 v140, v141, v140, 1.0
	ds_write_b32 v117, v140
.LBB75_117:
	s_or_b64 exec, exec, s[4:5]
.LBB75_118:
	s_or_b64 exec, exec, s[2:3]
	s_waitcnt lgkmcnt(0)
	s_barrier
	ds_read_b32 v140, v117
	v_cmp_lt_u32_e32 vcc, 21, v115
	s_and_saveexec_b64 s[2:3], vcc
	s_cbranch_execz .LBB75_120
; %bb.119:
	ds_read2_b64 v[142:145], v119 offset0:11 offset1:12
	s_waitcnt vmcnt(24) lgkmcnt(1)
	v_mul_f32_e32 v154, v140, v97
	ds_read2_b64 v[146:149], v119 offset0:13 offset1:14
	ds_read2_b64 v[150:153], v119 offset0:15 offset1:16
	v_mov_b32_e32 v97, v154
	s_waitcnt vmcnt(22) lgkmcnt(2)
	v_pk_fma_f32 v[82:83], v[154:155], v[142:143], v[82:83] op_sel_hi:[0,1,1] neg_lo:[1,0,0] neg_hi:[1,0,0]
	s_waitcnt vmcnt(20)
	v_pk_fma_f32 v[94:95], v[154:155], v[144:145], v[94:95] op_sel_hi:[0,1,1] neg_lo:[1,0,0] neg_hi:[1,0,0]
	ds_read2_b64 v[142:145], v119 offset0:17 offset1:18
	s_waitcnt vmcnt(18) lgkmcnt(2)
	v_pk_fma_f32 v[80:81], v[154:155], v[146:147], v[80:81] op_sel_hi:[0,1,1] neg_lo:[1,0,0] neg_hi:[1,0,0]
	s_waitcnt vmcnt(16)
	v_pk_fma_f32 v[92:93], v[154:155], v[148:149], v[92:93] op_sel_hi:[0,1,1] neg_lo:[1,0,0] neg_hi:[1,0,0]
	s_waitcnt vmcnt(14) lgkmcnt(1)
	v_pk_fma_f32 v[78:79], v[154:155], v[150:151], v[78:79] op_sel_hi:[0,1,1] neg_lo:[1,0,0] neg_hi:[1,0,0]
	s_waitcnt vmcnt(12)
	v_pk_fma_f32 v[90:91], v[154:155], v[152:153], v[90:91] op_sel_hi:[0,1,1] neg_lo:[1,0,0] neg_hi:[1,0,0]
	s_waitcnt vmcnt(10) lgkmcnt(0)
	v_pk_fma_f32 v[76:77], v[154:155], v[142:143], v[76:77] op_sel_hi:[0,1,1] neg_lo:[1,0,0] neg_hi:[1,0,0]
	s_waitcnt vmcnt(8)
	v_pk_fma_f32 v[104:105], v[154:155], v[144:145], v[104:105] op_sel_hi:[0,1,1] neg_lo:[1,0,0] neg_hi:[1,0,0]
.LBB75_120:
	s_or_b64 exec, exec, s[2:3]
	v_cmp_eq_u32_e32 vcc, 22, v115
	s_waitcnt lgkmcnt(0)
	s_barrier
	s_and_saveexec_b64 s[2:3], vcc
	s_cbranch_execz .LBB75_123
; %bb.121:
	s_waitcnt vmcnt(20)
	v_pk_mov_b32 v[142:143], v[82:83], v[94:95] op_sel:[1,0]
	ds_write_b32 v117, v82
	ds_write2_b32 v119, v142, v143 offset0:23 offset1:24
	s_waitcnt vmcnt(18)
	v_pk_mov_b32 v[142:143], v[94:95], v[80:81] op_sel:[1,0]
	ds_write2_b32 v119, v142, v143 offset0:25 offset1:26
	s_waitcnt vmcnt(16)
	v_pk_mov_b32 v[142:143], v[80:81], v[92:93] op_sel:[1,0]
	;; [unrolled: 3-line block ×6, first 2 shown]
	ds_write2_b32 v119, v142, v143 offset0:35 offset1:36
	ds_write_b32 v119, v105 offset:148
	ds_read_b32 v141, v117
	s_waitcnt lgkmcnt(0)
	v_cmp_neq_f32_e32 vcc, 0, v141
	s_and_b64 exec, exec, vcc
	s_cbranch_execz .LBB75_123
; %bb.122:
	v_div_scale_f32 v142, s[4:5], v141, v141, 1.0
	v_rcp_f32_e32 v143, v142
	v_div_scale_f32 v144, vcc, 1.0, v141, 1.0
	v_fma_f32 v145, -v142, v143, 1.0
	v_fmac_f32_e32 v143, v145, v143
	v_mul_f32_e32 v145, v144, v143
	v_fma_f32 v146, -v142, v145, v144
	v_fmac_f32_e32 v145, v146, v143
	v_fma_f32 v142, -v142, v145, v144
	v_div_fmas_f32 v142, v142, v143, v145
	v_div_fixup_f32 v141, v142, v141, 1.0
	ds_write_b32 v117, v141
.LBB75_123:
	s_or_b64 exec, exec, s[2:3]
	s_waitcnt lgkmcnt(0)
	s_barrier
	ds_read_b32 v141, v117
	v_cmp_lt_u32_e32 vcc, 22, v115
	s_and_saveexec_b64 s[2:3], vcc
	s_cbranch_execz .LBB75_125
; %bb.124:
	ds_read_b32 v150, v119 offset:92
	s_waitcnt vmcnt(23) lgkmcnt(1)
	v_mul_f32_e32 v82, v141, v82
	ds_read2_b64 v[142:145], v119 offset0:12 offset1:13
	ds_read_b64 v[154:155], v119 offset:144
	ds_read2_b64 v[146:149], v119 offset0:14 offset1:15
	s_waitcnt vmcnt(22) lgkmcnt(3)
	v_fma_f32 v83, -v82, v150, v83
	ds_read2_b64 v[150:153], v119 offset0:16 offset1:17
	s_waitcnt vmcnt(20) lgkmcnt(3)
	v_pk_fma_f32 v[94:95], v[82:83], v[142:143], v[94:95] op_sel_hi:[0,1,1] neg_lo:[1,0,0] neg_hi:[1,0,0]
	s_waitcnt vmcnt(18)
	v_pk_fma_f32 v[80:81], v[82:83], v[144:145], v[80:81] op_sel_hi:[0,1,1] neg_lo:[1,0,0] neg_hi:[1,0,0]
	s_waitcnt vmcnt(16) lgkmcnt(1)
	v_pk_fma_f32 v[92:93], v[82:83], v[146:147], v[92:93] op_sel_hi:[0,1,1] neg_lo:[1,0,0] neg_hi:[1,0,0]
	s_waitcnt vmcnt(14)
	v_pk_fma_f32 v[78:79], v[82:83], v[148:149], v[78:79] op_sel_hi:[0,1,1] neg_lo:[1,0,0] neg_hi:[1,0,0]
	;; [unrolled: 4-line block ×3, first 2 shown]
	s_waitcnt vmcnt(8)
	v_pk_fma_f32 v[104:105], v[82:83], v[154:155], v[104:105] op_sel_hi:[0,1,1] neg_lo:[1,0,0] neg_hi:[1,0,0]
.LBB75_125:
	s_or_b64 exec, exec, s[2:3]
	v_cmp_ne_u32_e32 vcc, 23, v115
	s_waitcnt lgkmcnt(0)
	s_barrier
	s_and_saveexec_b64 s[2:3], vcc
	s_xor_b64 s[2:3], exec, s[2:3]
	s_andn2_saveexec_b64 s[2:3], s[2:3]
	s_cbranch_execz .LBB75_129
; %bb.126:
	s_waitcnt vmcnt(21)
	v_mov_b32_e32 v142, v94
	s_waitcnt vmcnt(20)
	v_mov_b32_e32 v143, v95
	;; [unrolled: 2-line block ×4, first 2 shown]
	ds_write_b32 v117, v83
	ds_write2_b64 v119, v[142:143], v[144:145] offset0:12 offset1:13
	s_waitcnt vmcnt(17)
	v_mov_b32_e32 v142, v92
	s_waitcnt vmcnt(16)
	v_mov_b32_e32 v143, v93
	;; [unrolled: 2-line block ×4, first 2 shown]
	ds_write2_b64 v119, v[142:143], v[144:145] offset0:14 offset1:15
	s_waitcnt vmcnt(13)
	v_mov_b32_e32 v142, v90
	s_waitcnt vmcnt(12)
	v_mov_b32_e32 v143, v91
	;; [unrolled: 2-line block ×4, first 2 shown]
	ds_write2_b64 v119, v[142:143], v[144:145] offset0:16 offset1:17
	s_waitcnt vmcnt(8)
	ds_write_b64 v119, v[104:105] offset:144
	ds_read_b32 v142, v117
	s_waitcnt lgkmcnt(0)
	v_cmp_neq_f32_e32 vcc, 0, v142
	s_and_saveexec_b64 s[4:5], vcc
	s_cbranch_execz .LBB75_128
; %bb.127:
	v_div_scale_f32 v143, s[10:11], v142, v142, 1.0
	v_rcp_f32_e32 v144, v143
	v_div_scale_f32 v145, vcc, 1.0, v142, 1.0
	v_fma_f32 v146, -v143, v144, 1.0
	v_fmac_f32_e32 v144, v146, v144
	v_mul_f32_e32 v146, v145, v144
	v_fma_f32 v147, -v143, v146, v145
	v_fmac_f32_e32 v146, v147, v144
	v_fma_f32 v143, -v143, v146, v145
	v_div_fmas_f32 v143, v143, v144, v146
	v_div_fixup_f32 v142, v143, v142, 1.0
	ds_write_b32 v117, v142
.LBB75_128:
	s_or_b64 exec, exec, s[4:5]
.LBB75_129:
	s_or_b64 exec, exec, s[2:3]
	s_waitcnt lgkmcnt(0)
	s_barrier
	ds_read_b32 v142, v117
	v_cmp_lt_u32_e32 vcc, 23, v115
	s_and_saveexec_b64 s[2:3], vcc
	s_cbranch_execz .LBB75_131
; %bb.130:
	ds_read2_b64 v[144:147], v119 offset0:12 offset1:13
	s_waitcnt vmcnt(22) lgkmcnt(1)
	v_mul_f32_e32 v156, v142, v83
	ds_read2_b64 v[148:151], v119 offset0:14 offset1:15
	ds_read2_b64 v[152:155], v119 offset0:16 offset1:17
	v_mov_b32_e32 v83, v156
	s_waitcnt vmcnt(20) lgkmcnt(2)
	v_pk_fma_f32 v[94:95], v[156:157], v[144:145], v[94:95] op_sel_hi:[0,1,1] neg_lo:[1,0,0] neg_hi:[1,0,0]
	ds_read_b64 v[144:145], v119 offset:144
	s_waitcnt vmcnt(18)
	v_pk_fma_f32 v[80:81], v[156:157], v[146:147], v[80:81] op_sel_hi:[0,1,1] neg_lo:[1,0,0] neg_hi:[1,0,0]
	s_waitcnt vmcnt(16) lgkmcnt(2)
	v_pk_fma_f32 v[92:93], v[156:157], v[148:149], v[92:93] op_sel_hi:[0,1,1] neg_lo:[1,0,0] neg_hi:[1,0,0]
	s_waitcnt vmcnt(14)
	v_pk_fma_f32 v[78:79], v[156:157], v[150:151], v[78:79] op_sel_hi:[0,1,1] neg_lo:[1,0,0] neg_hi:[1,0,0]
	s_waitcnt vmcnt(12) lgkmcnt(1)
	v_pk_fma_f32 v[90:91], v[156:157], v[152:153], v[90:91] op_sel_hi:[0,1,1] neg_lo:[1,0,0] neg_hi:[1,0,0]
	;; [unrolled: 4-line block ×3, first 2 shown]
.LBB75_131:
	s_or_b64 exec, exec, s[2:3]
	v_cmp_eq_u32_e32 vcc, 24, v115
	s_waitcnt lgkmcnt(0)
	s_barrier
	s_and_saveexec_b64 s[2:3], vcc
	s_cbranch_execz .LBB75_134
; %bb.132:
	s_waitcnt vmcnt(18)
	v_pk_mov_b32 v[144:145], v[94:95], v[80:81] op_sel:[1,0]
	ds_write_b32 v117, v94
	ds_write2_b32 v119, v144, v145 offset0:25 offset1:26
	s_waitcnt vmcnt(16)
	v_pk_mov_b32 v[144:145], v[80:81], v[92:93] op_sel:[1,0]
	ds_write2_b32 v119, v144, v145 offset0:27 offset1:28
	s_waitcnt vmcnt(14)
	v_pk_mov_b32 v[144:145], v[92:93], v[78:79] op_sel:[1,0]
	ds_write2_b32 v119, v144, v145 offset0:29 offset1:30
	s_waitcnt vmcnt(12)
	v_pk_mov_b32 v[144:145], v[78:79], v[90:91] op_sel:[1,0]
	ds_write2_b32 v119, v144, v145 offset0:31 offset1:32
	s_waitcnt vmcnt(10)
	v_pk_mov_b32 v[144:145], v[90:91], v[76:77] op_sel:[1,0]
	ds_write2_b32 v119, v144, v145 offset0:33 offset1:34
	s_waitcnt vmcnt(8)
	v_pk_mov_b32 v[144:145], v[76:77], v[104:105] op_sel:[1,0]
	ds_write2_b32 v119, v144, v145 offset0:35 offset1:36
	ds_write_b32 v119, v105 offset:148
	ds_read_b32 v143, v117
	s_waitcnt lgkmcnt(0)
	v_cmp_neq_f32_e32 vcc, 0, v143
	s_and_b64 exec, exec, vcc
	s_cbranch_execz .LBB75_134
; %bb.133:
	v_div_scale_f32 v144, s[4:5], v143, v143, 1.0
	v_rcp_f32_e32 v145, v144
	v_div_scale_f32 v146, vcc, 1.0, v143, 1.0
	v_fma_f32 v147, -v144, v145, 1.0
	v_fmac_f32_e32 v145, v147, v145
	v_mul_f32_e32 v147, v146, v145
	v_fma_f32 v148, -v144, v147, v146
	v_fmac_f32_e32 v147, v148, v145
	v_fma_f32 v144, -v144, v147, v146
	v_div_fmas_f32 v144, v144, v145, v147
	v_div_fixup_f32 v143, v144, v143, 1.0
	ds_write_b32 v117, v143
.LBB75_134:
	s_or_b64 exec, exec, s[2:3]
	s_waitcnt lgkmcnt(0)
	s_barrier
	ds_read_b32 v143, v117
	v_cmp_lt_u32_e32 vcc, 24, v115
	s_and_saveexec_b64 s[2:3], vcc
	s_cbranch_execz .LBB75_136
; %bb.135:
	ds_read_b32 v156, v119 offset:100
	ds_read2_b64 v[144:147], v119 offset0:13 offset1:14
	ds_read2_b64 v[148:151], v119 offset0:15 offset1:16
	;; [unrolled: 1-line block ×3, first 2 shown]
	s_waitcnt vmcnt(21) lgkmcnt(4)
	v_mul_f32_e32 v94, v143, v94
	s_waitcnt vmcnt(20) lgkmcnt(3)
	v_fma_f32 v95, -v94, v156, v95
	s_waitcnt vmcnt(18) lgkmcnt(2)
	v_pk_fma_f32 v[80:81], v[94:95], v[144:145], v[80:81] op_sel_hi:[0,1,1] neg_lo:[1,0,0] neg_hi:[1,0,0]
	s_waitcnt vmcnt(16)
	v_pk_fma_f32 v[92:93], v[94:95], v[146:147], v[92:93] op_sel_hi:[0,1,1] neg_lo:[1,0,0] neg_hi:[1,0,0]
	s_waitcnt vmcnt(14) lgkmcnt(1)
	v_pk_fma_f32 v[78:79], v[94:95], v[148:149], v[78:79] op_sel_hi:[0,1,1] neg_lo:[1,0,0] neg_hi:[1,0,0]
	s_waitcnt vmcnt(12)
	v_pk_fma_f32 v[90:91], v[94:95], v[150:151], v[90:91] op_sel_hi:[0,1,1] neg_lo:[1,0,0] neg_hi:[1,0,0]
	;; [unrolled: 4-line block ×3, first 2 shown]
.LBB75_136:
	s_or_b64 exec, exec, s[2:3]
	v_cmp_ne_u32_e32 vcc, 25, v115
	s_waitcnt lgkmcnt(0)
	s_barrier
	s_and_saveexec_b64 s[2:3], vcc
	s_xor_b64 s[2:3], exec, s[2:3]
	s_andn2_saveexec_b64 s[2:3], s[2:3]
	s_cbranch_execz .LBB75_140
; %bb.137:
	s_waitcnt vmcnt(20)
	ds_write_b32 v117, v95
	s_waitcnt vmcnt(16)
	ds_write2_b64 v119, v[80:81], v[92:93] offset0:13 offset1:14
	s_waitcnt vmcnt(12)
	ds_write2_b64 v119, v[78:79], v[90:91] offset0:15 offset1:16
	;; [unrolled: 2-line block ×3, first 2 shown]
	ds_read_b32 v144, v117
	s_waitcnt lgkmcnt(0)
	v_cmp_neq_f32_e32 vcc, 0, v144
	s_and_saveexec_b64 s[4:5], vcc
	s_cbranch_execz .LBB75_139
; %bb.138:
	v_div_scale_f32 v145, s[10:11], v144, v144, 1.0
	v_rcp_f32_e32 v146, v145
	v_div_scale_f32 v147, vcc, 1.0, v144, 1.0
	v_fma_f32 v148, -v145, v146, 1.0
	v_fmac_f32_e32 v146, v148, v146
	v_mul_f32_e32 v148, v147, v146
	v_fma_f32 v149, -v145, v148, v147
	v_fmac_f32_e32 v148, v149, v146
	v_fma_f32 v145, -v145, v148, v147
	v_div_fmas_f32 v145, v145, v146, v148
	v_div_fixup_f32 v144, v145, v144, 1.0
	ds_write_b32 v117, v144
.LBB75_139:
	s_or_b64 exec, exec, s[4:5]
.LBB75_140:
	s_or_b64 exec, exec, s[2:3]
	s_waitcnt lgkmcnt(0)
	s_barrier
	ds_read_b32 v144, v117
	v_cmp_lt_u32_e32 vcc, 25, v115
	s_and_saveexec_b64 s[2:3], vcc
	s_cbranch_execz .LBB75_142
; %bb.141:
	ds_read2_b64 v[146:149], v119 offset0:13 offset1:14
	ds_read2_b64 v[150:153], v119 offset0:15 offset1:16
	;; [unrolled: 1-line block ×3, first 2 shown]
	s_waitcnt vmcnt(20) lgkmcnt(3)
	v_mul_f32_e32 v158, v144, v95
	v_mov_b32_e32 v95, v158
	s_waitcnt vmcnt(18) lgkmcnt(2)
	v_pk_fma_f32 v[80:81], v[158:159], v[146:147], v[80:81] op_sel_hi:[0,1,1] neg_lo:[1,0,0] neg_hi:[1,0,0]
	s_waitcnt vmcnt(16)
	v_pk_fma_f32 v[92:93], v[158:159], v[148:149], v[92:93] op_sel_hi:[0,1,1] neg_lo:[1,0,0] neg_hi:[1,0,0]
	s_waitcnt vmcnt(14) lgkmcnt(1)
	v_pk_fma_f32 v[78:79], v[158:159], v[150:151], v[78:79] op_sel_hi:[0,1,1] neg_lo:[1,0,0] neg_hi:[1,0,0]
	s_waitcnt vmcnt(12)
	v_pk_fma_f32 v[90:91], v[158:159], v[152:153], v[90:91] op_sel_hi:[0,1,1] neg_lo:[1,0,0] neg_hi:[1,0,0]
	;; [unrolled: 4-line block ×3, first 2 shown]
.LBB75_142:
	s_or_b64 exec, exec, s[2:3]
	v_cmp_eq_u32_e32 vcc, 26, v115
	s_waitcnt lgkmcnt(0)
	s_barrier
	s_and_saveexec_b64 s[2:3], vcc
	s_cbranch_execz .LBB75_145
; %bb.143:
	s_waitcnt vmcnt(16)
	v_pk_mov_b32 v[146:147], v[80:81], v[92:93] op_sel:[1,0]
	ds_write_b32 v117, v80
	ds_write2_b32 v119, v146, v147 offset0:27 offset1:28
	s_waitcnt vmcnt(14)
	v_pk_mov_b32 v[146:147], v[92:93], v[78:79] op_sel:[1,0]
	ds_write2_b32 v119, v146, v147 offset0:29 offset1:30
	s_waitcnt vmcnt(12)
	v_pk_mov_b32 v[146:147], v[78:79], v[90:91] op_sel:[1,0]
	;; [unrolled: 3-line block ×4, first 2 shown]
	ds_write2_b32 v119, v146, v147 offset0:35 offset1:36
	ds_write_b32 v119, v105 offset:148
	ds_read_b32 v145, v117
	s_waitcnt lgkmcnt(0)
	v_cmp_neq_f32_e32 vcc, 0, v145
	s_and_b64 exec, exec, vcc
	s_cbranch_execz .LBB75_145
; %bb.144:
	v_div_scale_f32 v146, s[4:5], v145, v145, 1.0
	v_rcp_f32_e32 v147, v146
	v_div_scale_f32 v148, vcc, 1.0, v145, 1.0
	v_fma_f32 v149, -v146, v147, 1.0
	v_fmac_f32_e32 v147, v149, v147
	v_mul_f32_e32 v149, v148, v147
	v_fma_f32 v150, -v146, v149, v148
	v_fmac_f32_e32 v149, v150, v147
	v_fma_f32 v146, -v146, v149, v148
	v_div_fmas_f32 v146, v146, v147, v149
	v_div_fixup_f32 v145, v146, v145, 1.0
	ds_write_b32 v117, v145
.LBB75_145:
	s_or_b64 exec, exec, s[2:3]
	s_waitcnt lgkmcnt(0)
	s_barrier
	ds_read_b32 v145, v117
	v_cmp_lt_u32_e32 vcc, 26, v115
	s_and_saveexec_b64 s[2:3], vcc
	s_cbranch_execz .LBB75_147
; %bb.146:
	ds_read_b32 v156, v119 offset:108
	ds_read2_b64 v[146:149], v119 offset0:14 offset1:15
	ds_read_b64 v[154:155], v119 offset:144
	ds_read2_b64 v[150:153], v119 offset0:16 offset1:17
	s_waitcnt vmcnt(19) lgkmcnt(4)
	v_mul_f32_e32 v80, v145, v80
	s_waitcnt vmcnt(18) lgkmcnt(3)
	v_fma_f32 v81, -v80, v156, v81
	s_waitcnt vmcnt(16) lgkmcnt(2)
	v_pk_fma_f32 v[92:93], v[80:81], v[146:147], v[92:93] op_sel_hi:[0,1,1] neg_lo:[1,0,0] neg_hi:[1,0,0]
	s_waitcnt vmcnt(14)
	v_pk_fma_f32 v[78:79], v[80:81], v[148:149], v[78:79] op_sel_hi:[0,1,1] neg_lo:[1,0,0] neg_hi:[1,0,0]
	s_waitcnt vmcnt(12) lgkmcnt(0)
	v_pk_fma_f32 v[90:91], v[80:81], v[150:151], v[90:91] op_sel_hi:[0,1,1] neg_lo:[1,0,0] neg_hi:[1,0,0]
	s_waitcnt vmcnt(10)
	v_pk_fma_f32 v[76:77], v[80:81], v[152:153], v[76:77] op_sel_hi:[0,1,1] neg_lo:[1,0,0] neg_hi:[1,0,0]
	s_waitcnt vmcnt(8)
	v_pk_fma_f32 v[104:105], v[80:81], v[154:155], v[104:105] op_sel_hi:[0,1,1] neg_lo:[1,0,0] neg_hi:[1,0,0]
.LBB75_147:
	s_or_b64 exec, exec, s[2:3]
	v_cmp_ne_u32_e32 vcc, 27, v115
	s_waitcnt lgkmcnt(0)
	s_barrier
	s_and_saveexec_b64 s[2:3], vcc
	s_xor_b64 s[2:3], exec, s[2:3]
	s_andn2_saveexec_b64 s[2:3], s[2:3]
	s_cbranch_execz .LBB75_151
; %bb.148:
	s_waitcnt vmcnt(17)
	v_mov_b32_e32 v146, v92
	s_waitcnt vmcnt(16)
	v_mov_b32_e32 v147, v93
	;; [unrolled: 2-line block ×4, first 2 shown]
	ds_write_b32 v117, v81
	ds_write2_b64 v119, v[146:147], v[148:149] offset0:14 offset1:15
	s_waitcnt vmcnt(13)
	v_mov_b32_e32 v146, v90
	s_waitcnt vmcnt(12)
	v_mov_b32_e32 v147, v91
	;; [unrolled: 2-line block ×4, first 2 shown]
	ds_write2_b64 v119, v[146:147], v[148:149] offset0:16 offset1:17
	s_waitcnt vmcnt(8)
	ds_write_b64 v119, v[104:105] offset:144
	ds_read_b32 v146, v117
	s_waitcnt lgkmcnt(0)
	v_cmp_neq_f32_e32 vcc, 0, v146
	s_and_saveexec_b64 s[4:5], vcc
	s_cbranch_execz .LBB75_150
; %bb.149:
	v_div_scale_f32 v147, s[10:11], v146, v146, 1.0
	v_rcp_f32_e32 v148, v147
	v_div_scale_f32 v149, vcc, 1.0, v146, 1.0
	v_fma_f32 v150, -v147, v148, 1.0
	v_fmac_f32_e32 v148, v150, v148
	v_mul_f32_e32 v150, v149, v148
	v_fma_f32 v151, -v147, v150, v149
	v_fmac_f32_e32 v150, v151, v148
	v_fma_f32 v147, -v147, v150, v149
	v_div_fmas_f32 v147, v147, v148, v150
	v_div_fixup_f32 v146, v147, v146, 1.0
	ds_write_b32 v117, v146
.LBB75_150:
	s_or_b64 exec, exec, s[4:5]
.LBB75_151:
	s_or_b64 exec, exec, s[2:3]
	s_waitcnt lgkmcnt(0)
	s_barrier
	ds_read_b32 v146, v117
	v_cmp_lt_u32_e32 vcc, 27, v115
	s_and_saveexec_b64 s[2:3], vcc
	s_cbranch_execz .LBB75_153
; %bb.152:
	ds_read2_b64 v[148:151], v119 offset0:14 offset1:15
	ds_read2_b64 v[152:155], v119 offset0:16 offset1:17
	ds_read_b64 v[158:159], v119 offset:144
	s_waitcnt vmcnt(18) lgkmcnt(3)
	v_mul_f32_e32 v156, v146, v81
	v_mov_b32_e32 v81, v156
	s_waitcnt vmcnt(16) lgkmcnt(2)
	v_pk_fma_f32 v[92:93], v[156:157], v[148:149], v[92:93] op_sel_hi:[0,1,1] neg_lo:[1,0,0] neg_hi:[1,0,0]
	s_waitcnt vmcnt(14)
	v_pk_fma_f32 v[78:79], v[156:157], v[150:151], v[78:79] op_sel_hi:[0,1,1] neg_lo:[1,0,0] neg_hi:[1,0,0]
	s_waitcnt vmcnt(12) lgkmcnt(1)
	v_pk_fma_f32 v[90:91], v[156:157], v[152:153], v[90:91] op_sel_hi:[0,1,1] neg_lo:[1,0,0] neg_hi:[1,0,0]
	s_waitcnt vmcnt(10)
	v_pk_fma_f32 v[76:77], v[156:157], v[154:155], v[76:77] op_sel_hi:[0,1,1] neg_lo:[1,0,0] neg_hi:[1,0,0]
	s_waitcnt vmcnt(8) lgkmcnt(0)
	v_pk_fma_f32 v[104:105], v[156:157], v[158:159], v[104:105] op_sel_hi:[0,1,1] neg_lo:[1,0,0] neg_hi:[1,0,0]
.LBB75_153:
	s_or_b64 exec, exec, s[2:3]
	v_cmp_eq_u32_e32 vcc, 28, v115
	s_waitcnt lgkmcnt(0)
	s_barrier
	s_and_saveexec_b64 s[2:3], vcc
	s_cbranch_execz .LBB75_156
; %bb.154:
	s_waitcnt vmcnt(14)
	v_pk_mov_b32 v[148:149], v[92:93], v[78:79] op_sel:[1,0]
	ds_write_b32 v117, v92
	ds_write2_b32 v119, v148, v149 offset0:29 offset1:30
	s_waitcnt vmcnt(12)
	v_pk_mov_b32 v[148:149], v[78:79], v[90:91] op_sel:[1,0]
	ds_write2_b32 v119, v148, v149 offset0:31 offset1:32
	s_waitcnt vmcnt(10)
	v_pk_mov_b32 v[148:149], v[90:91], v[76:77] op_sel:[1,0]
	;; [unrolled: 3-line block ×3, first 2 shown]
	ds_write2_b32 v119, v148, v149 offset0:35 offset1:36
	ds_write_b32 v119, v105 offset:148
	ds_read_b32 v147, v117
	s_waitcnt lgkmcnt(0)
	v_cmp_neq_f32_e32 vcc, 0, v147
	s_and_b64 exec, exec, vcc
	s_cbranch_execz .LBB75_156
; %bb.155:
	v_div_scale_f32 v148, s[4:5], v147, v147, 1.0
	v_rcp_f32_e32 v149, v148
	v_div_scale_f32 v150, vcc, 1.0, v147, 1.0
	v_fma_f32 v151, -v148, v149, 1.0
	v_fmac_f32_e32 v149, v151, v149
	v_mul_f32_e32 v151, v150, v149
	v_fma_f32 v152, -v148, v151, v150
	v_fmac_f32_e32 v151, v152, v149
	v_fma_f32 v148, -v148, v151, v150
	v_div_fmas_f32 v148, v148, v149, v151
	v_div_fixup_f32 v147, v148, v147, 1.0
	ds_write_b32 v117, v147
.LBB75_156:
	s_or_b64 exec, exec, s[2:3]
	s_waitcnt lgkmcnt(0)
	s_barrier
	ds_read_b32 v147, v117
	v_cmp_lt_u32_e32 vcc, 28, v115
	s_and_saveexec_b64 s[2:3], vcc
	s_cbranch_execz .LBB75_158
; %bb.157:
	ds_read_b32 v156, v119 offset:116
	ds_read2_b64 v[148:151], v119 offset0:15 offset1:16
	ds_read2_b64 v[152:155], v119 offset0:17 offset1:18
	s_waitcnt vmcnt(17) lgkmcnt(3)
	v_mul_f32_e32 v92, v147, v92
	s_waitcnt vmcnt(16) lgkmcnt(2)
	v_fma_f32 v93, -v92, v156, v93
	s_waitcnt vmcnt(14) lgkmcnt(1)
	v_pk_fma_f32 v[78:79], v[92:93], v[148:149], v[78:79] op_sel_hi:[0,1,1] neg_lo:[1,0,0] neg_hi:[1,0,0]
	s_waitcnt vmcnt(12)
	v_pk_fma_f32 v[90:91], v[92:93], v[150:151], v[90:91] op_sel_hi:[0,1,1] neg_lo:[1,0,0] neg_hi:[1,0,0]
	s_waitcnt vmcnt(10) lgkmcnt(0)
	v_pk_fma_f32 v[76:77], v[92:93], v[152:153], v[76:77] op_sel_hi:[0,1,1] neg_lo:[1,0,0] neg_hi:[1,0,0]
	s_waitcnt vmcnt(8)
	v_pk_fma_f32 v[104:105], v[92:93], v[154:155], v[104:105] op_sel_hi:[0,1,1] neg_lo:[1,0,0] neg_hi:[1,0,0]
.LBB75_158:
	s_or_b64 exec, exec, s[2:3]
	v_cmp_ne_u32_e32 vcc, 29, v115
	s_waitcnt lgkmcnt(0)
	s_barrier
	s_and_saveexec_b64 s[2:3], vcc
	s_xor_b64 s[2:3], exec, s[2:3]
	s_andn2_saveexec_b64 s[2:3], s[2:3]
	s_cbranch_execz .LBB75_162
; %bb.159:
	s_waitcnt vmcnt(16)
	ds_write_b32 v117, v93
	s_waitcnt vmcnt(12)
	ds_write2_b64 v119, v[78:79], v[90:91] offset0:15 offset1:16
	s_waitcnt vmcnt(8)
	ds_write2_b64 v119, v[76:77], v[104:105] offset0:17 offset1:18
	ds_read_b32 v148, v117
	s_waitcnt lgkmcnt(0)
	v_cmp_neq_f32_e32 vcc, 0, v148
	s_and_saveexec_b64 s[4:5], vcc
	s_cbranch_execz .LBB75_161
; %bb.160:
	v_div_scale_f32 v149, s[10:11], v148, v148, 1.0
	v_rcp_f32_e32 v150, v149
	v_div_scale_f32 v151, vcc, 1.0, v148, 1.0
	v_fma_f32 v152, -v149, v150, 1.0
	v_fmac_f32_e32 v150, v152, v150
	v_mul_f32_e32 v152, v151, v150
	v_fma_f32 v153, -v149, v152, v151
	v_fmac_f32_e32 v152, v153, v150
	v_fma_f32 v149, -v149, v152, v151
	v_div_fmas_f32 v149, v149, v150, v152
	v_div_fixup_f32 v148, v149, v148, 1.0
	ds_write_b32 v117, v148
.LBB75_161:
	s_or_b64 exec, exec, s[4:5]
.LBB75_162:
	s_or_b64 exec, exec, s[2:3]
	s_waitcnt lgkmcnt(0)
	s_barrier
	ds_read_b32 v148, v117
	v_cmp_lt_u32_e32 vcc, 29, v115
	s_and_saveexec_b64 s[2:3], vcc
	s_cbranch_execz .LBB75_164
; %bb.163:
	ds_read2_b64 v[150:153], v119 offset0:15 offset1:16
	ds_read2_b64 v[154:157], v119 offset0:17 offset1:18
	s_waitcnt vmcnt(16) lgkmcnt(2)
	v_mul_f32_e32 v158, v148, v93
	v_mov_b32_e32 v93, v158
	s_waitcnt vmcnt(14) lgkmcnt(1)
	v_pk_fma_f32 v[78:79], v[158:159], v[150:151], v[78:79] op_sel_hi:[0,1,1] neg_lo:[1,0,0] neg_hi:[1,0,0]
	s_waitcnt vmcnt(12)
	v_pk_fma_f32 v[90:91], v[158:159], v[152:153], v[90:91] op_sel_hi:[0,1,1] neg_lo:[1,0,0] neg_hi:[1,0,0]
	s_waitcnt vmcnt(10) lgkmcnt(0)
	v_pk_fma_f32 v[76:77], v[158:159], v[154:155], v[76:77] op_sel_hi:[0,1,1] neg_lo:[1,0,0] neg_hi:[1,0,0]
	s_waitcnt vmcnt(8)
	v_pk_fma_f32 v[104:105], v[158:159], v[156:157], v[104:105] op_sel_hi:[0,1,1] neg_lo:[1,0,0] neg_hi:[1,0,0]
.LBB75_164:
	s_or_b64 exec, exec, s[2:3]
	v_cmp_eq_u32_e32 vcc, 30, v115
	s_waitcnt lgkmcnt(0)
	s_barrier
	s_and_saveexec_b64 s[2:3], vcc
	s_cbranch_execz .LBB75_167
; %bb.165:
	s_waitcnt vmcnt(12)
	v_pk_mov_b32 v[150:151], v[78:79], v[90:91] op_sel:[1,0]
	ds_write_b32 v117, v78
	ds_write2_b32 v119, v150, v151 offset0:31 offset1:32
	s_waitcnt vmcnt(10)
	v_pk_mov_b32 v[150:151], v[90:91], v[76:77] op_sel:[1,0]
	ds_write2_b32 v119, v150, v151 offset0:33 offset1:34
	s_waitcnt vmcnt(8)
	v_pk_mov_b32 v[150:151], v[76:77], v[104:105] op_sel:[1,0]
	ds_write2_b32 v119, v150, v151 offset0:35 offset1:36
	ds_write_b32 v119, v105 offset:148
	ds_read_b32 v149, v117
	s_waitcnt lgkmcnt(0)
	v_cmp_neq_f32_e32 vcc, 0, v149
	s_and_b64 exec, exec, vcc
	s_cbranch_execz .LBB75_167
; %bb.166:
	v_div_scale_f32 v150, s[4:5], v149, v149, 1.0
	v_rcp_f32_e32 v151, v150
	v_div_scale_f32 v152, vcc, 1.0, v149, 1.0
	v_fma_f32 v153, -v150, v151, 1.0
	v_fmac_f32_e32 v151, v153, v151
	v_mul_f32_e32 v153, v152, v151
	v_fma_f32 v154, -v150, v153, v152
	v_fmac_f32_e32 v153, v154, v151
	v_fma_f32 v150, -v150, v153, v152
	v_div_fmas_f32 v150, v150, v151, v153
	v_div_fixup_f32 v149, v150, v149, 1.0
	ds_write_b32 v117, v149
.LBB75_167:
	s_or_b64 exec, exec, s[2:3]
	s_waitcnt lgkmcnt(0)
	s_barrier
	ds_read_b32 v149, v117
	v_cmp_lt_u32_e32 vcc, 30, v115
	s_and_saveexec_b64 s[2:3], vcc
	s_cbranch_execz .LBB75_169
; %bb.168:
	ds_read_b32 v156, v119 offset:124
	ds_read2_b64 v[150:153], v119 offset0:16 offset1:17
	ds_read_b64 v[154:155], v119 offset:144
	s_waitcnt vmcnt(15) lgkmcnt(3)
	v_mul_f32_e32 v78, v149, v78
	s_waitcnt vmcnt(14) lgkmcnt(2)
	v_fma_f32 v79, -v78, v156, v79
	s_waitcnt vmcnt(12) lgkmcnt(1)
	v_pk_fma_f32 v[90:91], v[78:79], v[150:151], v[90:91] op_sel_hi:[0,1,1] neg_lo:[1,0,0] neg_hi:[1,0,0]
	s_waitcnt vmcnt(10)
	v_pk_fma_f32 v[76:77], v[78:79], v[152:153], v[76:77] op_sel_hi:[0,1,1] neg_lo:[1,0,0] neg_hi:[1,0,0]
	s_waitcnt vmcnt(8) lgkmcnt(0)
	v_pk_fma_f32 v[104:105], v[78:79], v[154:155], v[104:105] op_sel_hi:[0,1,1] neg_lo:[1,0,0] neg_hi:[1,0,0]
.LBB75_169:
	s_or_b64 exec, exec, s[2:3]
	v_cmp_ne_u32_e32 vcc, 31, v115
	s_waitcnt lgkmcnt(0)
	s_barrier
	s_and_saveexec_b64 s[2:3], vcc
	s_xor_b64 s[2:3], exec, s[2:3]
	s_andn2_saveexec_b64 s[2:3], s[2:3]
	s_cbranch_execz .LBB75_173
; %bb.170:
	s_waitcnt vmcnt(13)
	v_mov_b32_e32 v150, v90
	s_waitcnt vmcnt(12)
	v_mov_b32_e32 v151, v91
	;; [unrolled: 2-line block ×4, first 2 shown]
	ds_write_b32 v117, v79
	ds_write2_b64 v119, v[150:151], v[152:153] offset0:16 offset1:17
	s_waitcnt vmcnt(8)
	ds_write_b64 v119, v[104:105] offset:144
	ds_read_b32 v150, v117
	s_waitcnt lgkmcnt(0)
	v_cmp_neq_f32_e32 vcc, 0, v150
	s_and_saveexec_b64 s[4:5], vcc
	s_cbranch_execz .LBB75_172
; %bb.171:
	v_div_scale_f32 v151, s[10:11], v150, v150, 1.0
	v_rcp_f32_e32 v152, v151
	v_div_scale_f32 v153, vcc, 1.0, v150, 1.0
	v_fma_f32 v154, -v151, v152, 1.0
	v_fmac_f32_e32 v152, v154, v152
	v_mul_f32_e32 v154, v153, v152
	v_fma_f32 v155, -v151, v154, v153
	v_fmac_f32_e32 v154, v155, v152
	v_fma_f32 v151, -v151, v154, v153
	v_div_fmas_f32 v151, v151, v152, v154
	v_div_fixup_f32 v150, v151, v150, 1.0
	ds_write_b32 v117, v150
.LBB75_172:
	s_or_b64 exec, exec, s[4:5]
.LBB75_173:
	s_or_b64 exec, exec, s[2:3]
	s_waitcnt lgkmcnt(0)
	s_barrier
	ds_read_b32 v150, v117
	v_cmp_lt_u32_e32 vcc, 31, v115
	s_and_saveexec_b64 s[2:3], vcc
	s_cbranch_execz .LBB75_175
; %bb.174:
	ds_read2_b64 v[152:155], v119 offset0:16 offset1:17
	ds_read_b64 v[156:157], v119 offset:144
	s_waitcnt vmcnt(14) lgkmcnt(2)
	v_mul_f32_e32 v158, v150, v79
	v_mov_b32_e32 v79, v158
	s_waitcnt vmcnt(12) lgkmcnt(1)
	v_pk_fma_f32 v[90:91], v[158:159], v[152:153], v[90:91] op_sel_hi:[0,1,1] neg_lo:[1,0,0] neg_hi:[1,0,0]
	s_waitcnt vmcnt(10)
	v_pk_fma_f32 v[76:77], v[158:159], v[154:155], v[76:77] op_sel_hi:[0,1,1] neg_lo:[1,0,0] neg_hi:[1,0,0]
	s_waitcnt vmcnt(8) lgkmcnt(0)
	v_pk_fma_f32 v[104:105], v[158:159], v[156:157], v[104:105] op_sel_hi:[0,1,1] neg_lo:[1,0,0] neg_hi:[1,0,0]
.LBB75_175:
	s_or_b64 exec, exec, s[2:3]
	v_cmp_eq_u32_e32 vcc, 32, v115
	s_waitcnt lgkmcnt(0)
	s_barrier
	s_and_saveexec_b64 s[2:3], vcc
	s_cbranch_execz .LBB75_178
; %bb.176:
	s_waitcnt vmcnt(10)
	v_pk_mov_b32 v[152:153], v[90:91], v[76:77] op_sel:[1,0]
	ds_write_b32 v117, v90
	ds_write2_b32 v119, v152, v153 offset0:33 offset1:34
	s_waitcnt vmcnt(8)
	v_pk_mov_b32 v[152:153], v[76:77], v[104:105] op_sel:[1,0]
	ds_write2_b32 v119, v152, v153 offset0:35 offset1:36
	ds_write_b32 v119, v105 offset:148
	ds_read_b32 v151, v117
	s_waitcnt lgkmcnt(0)
	v_cmp_neq_f32_e32 vcc, 0, v151
	s_and_b64 exec, exec, vcc
	s_cbranch_execz .LBB75_178
; %bb.177:
	v_div_scale_f32 v152, s[4:5], v151, v151, 1.0
	v_rcp_f32_e32 v153, v152
	v_div_scale_f32 v154, vcc, 1.0, v151, 1.0
	v_fma_f32 v155, -v152, v153, 1.0
	v_fmac_f32_e32 v153, v155, v153
	v_mul_f32_e32 v155, v154, v153
	v_fma_f32 v156, -v152, v155, v154
	v_fmac_f32_e32 v155, v156, v153
	v_fma_f32 v152, -v152, v155, v154
	v_div_fmas_f32 v152, v152, v153, v155
	v_div_fixup_f32 v151, v152, v151, 1.0
	ds_write_b32 v117, v151
.LBB75_178:
	s_or_b64 exec, exec, s[2:3]
	s_waitcnt lgkmcnt(0)
	s_barrier
	ds_read_b32 v151, v117
	v_cmp_lt_u32_e32 vcc, 32, v115
	s_and_saveexec_b64 s[2:3], vcc
	s_cbranch_execz .LBB75_180
; %bb.179:
	ds_read_b32 v156, v119 offset:132
	ds_read2_b64 v[152:155], v119 offset0:17 offset1:18
	s_waitcnt vmcnt(13) lgkmcnt(2)
	v_mul_f32_e32 v90, v151, v90
	s_waitcnt vmcnt(12) lgkmcnt(1)
	v_fma_f32 v91, -v90, v156, v91
	s_waitcnt vmcnt(10) lgkmcnt(0)
	v_pk_fma_f32 v[76:77], v[90:91], v[152:153], v[76:77] op_sel_hi:[0,1,1] neg_lo:[1,0,0] neg_hi:[1,0,0]
	s_waitcnt vmcnt(8)
	v_pk_fma_f32 v[104:105], v[90:91], v[154:155], v[104:105] op_sel_hi:[0,1,1] neg_lo:[1,0,0] neg_hi:[1,0,0]
.LBB75_180:
	s_or_b64 exec, exec, s[2:3]
	v_cmp_ne_u32_e32 vcc, 33, v115
	s_waitcnt lgkmcnt(0)
	s_barrier
	s_and_saveexec_b64 s[2:3], vcc
	s_xor_b64 s[2:3], exec, s[2:3]
	s_andn2_saveexec_b64 s[2:3], s[2:3]
	s_cbranch_execz .LBB75_184
; %bb.181:
	s_waitcnt vmcnt(12)
	ds_write_b32 v117, v91
	s_waitcnt vmcnt(8)
	ds_write2_b64 v119, v[76:77], v[104:105] offset0:17 offset1:18
	ds_read_b32 v152, v117
	s_waitcnt lgkmcnt(0)
	v_cmp_neq_f32_e32 vcc, 0, v152
	s_and_saveexec_b64 s[4:5], vcc
	s_cbranch_execz .LBB75_183
; %bb.182:
	v_div_scale_f32 v153, s[10:11], v152, v152, 1.0
	v_rcp_f32_e32 v154, v153
	v_div_scale_f32 v155, vcc, 1.0, v152, 1.0
	v_fma_f32 v156, -v153, v154, 1.0
	v_fmac_f32_e32 v154, v156, v154
	v_mul_f32_e32 v156, v155, v154
	v_fma_f32 v157, -v153, v156, v155
	v_fmac_f32_e32 v156, v157, v154
	v_fma_f32 v153, -v153, v156, v155
	v_div_fmas_f32 v153, v153, v154, v156
	v_div_fixup_f32 v152, v153, v152, 1.0
	ds_write_b32 v117, v152
.LBB75_183:
	s_or_b64 exec, exec, s[4:5]
.LBB75_184:
	s_or_b64 exec, exec, s[2:3]
	s_waitcnt lgkmcnt(0)
	s_barrier
	ds_read_b32 v152, v117
	v_cmp_lt_u32_e32 vcc, 33, v115
	s_and_saveexec_b64 s[2:3], vcc
	s_cbranch_execz .LBB75_186
; %bb.185:
	ds_read2_b64 v[154:157], v119 offset0:17 offset1:18
	s_waitcnt vmcnt(12) lgkmcnt(1)
	v_mul_f32_e32 v158, v152, v91
	v_mov_b32_e32 v91, v158
	s_waitcnt vmcnt(10) lgkmcnt(0)
	v_pk_fma_f32 v[76:77], v[158:159], v[154:155], v[76:77] op_sel_hi:[0,1,1] neg_lo:[1,0,0] neg_hi:[1,0,0]
	s_waitcnt vmcnt(8)
	v_pk_fma_f32 v[104:105], v[158:159], v[156:157], v[104:105] op_sel_hi:[0,1,1] neg_lo:[1,0,0] neg_hi:[1,0,0]
.LBB75_186:
	s_or_b64 exec, exec, s[2:3]
	v_cmp_eq_u32_e32 vcc, 34, v115
	s_waitcnt lgkmcnt(0)
	s_barrier
	s_and_saveexec_b64 s[2:3], vcc
	s_cbranch_execz .LBB75_189
; %bb.187:
	s_waitcnt vmcnt(8)
	v_pk_mov_b32 v[154:155], v[76:77], v[104:105] op_sel:[1,0]
	ds_write_b32 v117, v76
	ds_write2_b32 v119, v154, v155 offset0:35 offset1:36
	ds_write_b32 v119, v105 offset:148
	ds_read_b32 v153, v117
	s_waitcnt lgkmcnt(0)
	v_cmp_neq_f32_e32 vcc, 0, v153
	s_and_b64 exec, exec, vcc
	s_cbranch_execz .LBB75_189
; %bb.188:
	v_div_scale_f32 v154, s[4:5], v153, v153, 1.0
	v_rcp_f32_e32 v155, v154
	v_div_scale_f32 v156, vcc, 1.0, v153, 1.0
	v_fma_f32 v157, -v154, v155, 1.0
	v_fmac_f32_e32 v155, v157, v155
	v_mul_f32_e32 v157, v156, v155
	v_fma_f32 v158, -v154, v157, v156
	v_fmac_f32_e32 v157, v158, v155
	v_fma_f32 v154, -v154, v157, v156
	v_div_fmas_f32 v154, v154, v155, v157
	v_div_fixup_f32 v153, v154, v153, 1.0
	ds_write_b32 v117, v153
.LBB75_189:
	s_or_b64 exec, exec, s[2:3]
	s_waitcnt lgkmcnt(0)
	s_barrier
	ds_read_b32 v153, v117
	v_cmp_lt_u32_e32 vcc, 34, v115
	s_and_saveexec_b64 s[2:3], vcc
	s_cbranch_execz .LBB75_191
; %bb.190:
	ds_read_b32 v156, v119 offset:140
	ds_read_b64 v[154:155], v119 offset:144
	s_waitcnt vmcnt(11) lgkmcnt(2)
	v_mul_f32_e32 v76, v153, v76
	s_waitcnt vmcnt(10) lgkmcnt(1)
	v_fma_f32 v77, -v76, v156, v77
	s_waitcnt vmcnt(8) lgkmcnt(0)
	v_pk_fma_f32 v[104:105], v[76:77], v[154:155], v[104:105] op_sel_hi:[0,1,1] neg_lo:[1,0,0] neg_hi:[1,0,0]
.LBB75_191:
	s_or_b64 exec, exec, s[2:3]
	v_cmp_ne_u32_e32 vcc, 35, v115
	s_waitcnt lgkmcnt(0)
	s_barrier
	s_and_saveexec_b64 s[2:3], vcc
	s_xor_b64 s[2:3], exec, s[2:3]
	s_andn2_saveexec_b64 s[2:3], s[2:3]
	s_cbranch_execz .LBB75_195
; %bb.192:
	s_waitcnt vmcnt(10)
	ds_write_b32 v117, v77
	s_waitcnt vmcnt(8)
	ds_write_b64 v119, v[104:105] offset:144
	ds_read_b32 v154, v117
	s_waitcnt lgkmcnt(0)
	v_cmp_neq_f32_e32 vcc, 0, v154
	s_and_saveexec_b64 s[4:5], vcc
	s_cbranch_execz .LBB75_194
; %bb.193:
	v_div_scale_f32 v155, s[10:11], v154, v154, 1.0
	v_rcp_f32_e32 v156, v155
	v_div_scale_f32 v157, vcc, 1.0, v154, 1.0
	v_fma_f32 v158, -v155, v156, 1.0
	v_fmac_f32_e32 v156, v158, v156
	v_mul_f32_e32 v158, v157, v156
	v_fma_f32 v159, -v155, v158, v157
	v_fmac_f32_e32 v158, v159, v156
	v_fma_f32 v155, -v155, v158, v157
	v_div_fmas_f32 v155, v155, v156, v158
	v_div_fixup_f32 v154, v155, v154, 1.0
	ds_write_b32 v117, v154
.LBB75_194:
	s_or_b64 exec, exec, s[4:5]
.LBB75_195:
	s_or_b64 exec, exec, s[2:3]
	s_waitcnt lgkmcnt(0)
	s_barrier
	ds_read_b32 v154, v117
	v_cmp_lt_u32_e32 vcc, 35, v115
	s_and_saveexec_b64 s[2:3], vcc
	s_cbranch_execz .LBB75_197
; %bb.196:
	ds_read_b64 v[156:157], v119 offset:144
	s_waitcnt vmcnt(10) lgkmcnt(1)
	v_mul_f32_e32 v158, v154, v77
	v_mov_b32_e32 v77, v158
	s_waitcnt vmcnt(8) lgkmcnt(0)
	v_pk_fma_f32 v[104:105], v[158:159], v[156:157], v[104:105] op_sel_hi:[0,1,1] neg_lo:[1,0,0] neg_hi:[1,0,0]
.LBB75_197:
	s_or_b64 exec, exec, s[2:3]
	v_cmp_eq_u32_e32 vcc, 36, v115
	s_waitcnt lgkmcnt(0)
	s_barrier
	s_and_saveexec_b64 s[2:3], vcc
	s_cbranch_execz .LBB75_200
; %bb.198:
	s_waitcnt vmcnt(9)
	ds_write_b32 v117, v104
	s_waitcnt vmcnt(8)
	ds_write_b32 v119, v105 offset:148
	ds_read_b32 v155, v117
	s_waitcnt lgkmcnt(0)
	v_cmp_neq_f32_e32 vcc, 0, v155
	s_and_b64 exec, exec, vcc
	s_cbranch_execz .LBB75_200
; %bb.199:
	v_div_scale_f32 v156, s[4:5], v155, v155, 1.0
	v_rcp_f32_e32 v157, v156
	v_div_scale_f32 v158, vcc, 1.0, v155, 1.0
	v_fma_f32 v159, -v156, v157, 1.0
	v_fmac_f32_e32 v157, v159, v157
	v_mul_f32_e32 v159, v158, v157
	v_fma_f32 v160, -v156, v159, v158
	v_fmac_f32_e32 v159, v160, v157
	v_fma_f32 v156, -v156, v159, v158
	v_div_fmas_f32 v156, v156, v157, v159
	v_div_fixup_f32 v155, v156, v155, 1.0
	ds_write_b32 v117, v155
.LBB75_200:
	s_or_b64 exec, exec, s[2:3]
	s_waitcnt lgkmcnt(0)
	s_barrier
	ds_read_b32 v155, v117
	v_cmp_lt_u32_e32 vcc, 36, v115
	s_and_saveexec_b64 s[2:3], vcc
	s_cbranch_execz .LBB75_202
; %bb.201:
	ds_read_b32 v119, v119 offset:148
	s_waitcnt vmcnt(9) lgkmcnt(1)
	v_mul_f32_e32 v104, v155, v104
	s_waitcnt vmcnt(8) lgkmcnt(0)
	v_fma_f32 v105, -v104, v119, v105
.LBB75_202:
	s_or_b64 exec, exec, s[2:3]
	v_cmp_ne_u32_e32 vcc, 37, v115
	s_waitcnt lgkmcnt(0)
	s_barrier
	s_and_saveexec_b64 s[2:3], vcc
	s_xor_b64 s[2:3], exec, s[2:3]
	s_andn2_saveexec_b64 s[2:3], s[2:3]
	s_cbranch_execz .LBB75_206
; %bb.203:
	s_waitcnt vmcnt(8)
	v_cmp_neq_f32_e32 vcc, 0, v105
	ds_write_b32 v117, v105
	s_and_saveexec_b64 s[4:5], vcc
	s_cbranch_execz .LBB75_205
; %bb.204:
	v_div_scale_f32 v119, s[10:11], v105, v105, 1.0
	v_rcp_f32_e32 v156, v119
	v_div_scale_f32 v157, vcc, 1.0, v105, 1.0
	v_fma_f32 v158, -v119, v156, 1.0
	v_fmac_f32_e32 v156, v158, v156
	v_mul_f32_e32 v158, v157, v156
	v_fma_f32 v159, -v119, v158, v157
	v_fmac_f32_e32 v158, v159, v156
	v_fma_f32 v119, -v119, v158, v157
	v_div_fmas_f32 v119, v119, v156, v158
	v_div_fixup_f32 v119, v119, v105, 1.0
	ds_write_b32 v117, v119
.LBB75_205:
	s_or_b64 exec, exec, s[4:5]
.LBB75_206:
	s_or_b64 exec, exec, s[2:3]
	s_waitcnt lgkmcnt(0)
	s_barrier
	ds_read_b32 v117, v117
	s_waitcnt lgkmcnt(0)
	s_barrier
	s_and_saveexec_b64 s[2:3], s[0:1]
	s_cbranch_execz .LBB75_209
; %bb.207:
	v_cmp_eq_f32_e32 vcc, 0, v118
	v_cmp_neq_f32_e64 s[0:1], 0, v120
	v_mov_b32_e32 v119, s7
	v_cndmask_b32_e64 v118, 0, 1, vcc
	s_or_b64 vcc, s[0:1], vcc
	v_cndmask_b32_e32 v118, 2, v118, vcc
	v_cmp_eq_f32_e32 vcc, 0, v121
	v_cmp_eq_u32_e64 s[0:1], 0, v118
	s_and_b64 s[0:1], vcc, s[0:1]
	v_cmp_eq_f32_e32 vcc, 0, v122
	v_cndmask_b32_e64 v118, v118, 3, s[0:1]
	v_cmp_eq_u32_e64 s[0:1], 0, v118
	s_and_b64 s[0:1], vcc, s[0:1]
	v_cmp_eq_f32_e32 vcc, 0, v123
	v_cndmask_b32_e64 v118, v118, 4, s[0:1]
	;; [unrolled: 4-line block ×16, first 2 shown]
	v_mov_b32_e32 v118, s6
	v_lshl_add_u64 v[24:25], v[24:25], 2, v[118:119]
	global_load_dword v119, v[24:25], off
	v_cmp_eq_u32_e64 s[0:1], 0, v120
	s_and_b64 s[0:1], vcc, s[0:1]
	v_cmp_eq_f32_e32 vcc, 0, v138
	v_cndmask_b32_e64 v118, v120, 19, s[0:1]
	v_cmp_eq_u32_e64 s[0:1], 0, v118
	s_and_b64 s[0:1], vcc, s[0:1]
	v_cmp_eq_f32_e32 vcc, 0, v139
	v_cndmask_b32_e64 v118, v118, 20, s[0:1]
	;; [unrolled: 4-line block ×19, first 2 shown]
	v_cmp_eq_u32_e64 s[0:1], 0, v118
	s_and_b64 s[0:1], vcc, s[0:1]
	s_waitcnt vmcnt(0)
	v_cmp_eq_u32_e32 vcc, 0, v119
	v_cndmask_b32_e64 v118, v118, 38, s[0:1]
	v_cmp_ne_u32_e64 s[0:1], 0, v118
	s_and_b64 s[0:1], vcc, s[0:1]
	s_and_b64 exec, exec, s[0:1]
	s_cbranch_execz .LBB75_209
; %bb.208:
	v_add_u32_e32 v118, s9, v118
	global_store_dword v[24:25], v118, off
.LBB75_209:
	s_or_b64 exec, exec, s[2:3]
	s_waitcnt vmcnt(8)
	v_mul_f32_e32 v24, v117, v105
	v_cmp_lt_u32_e32 vcc, 37, v115
	s_nop 1
	v_cndmask_b32_e32 v24, v105, v24, vcc
	s_waitcnt vmcnt(1)
	global_store_dword v[0:1], v114, off
	s_waitcnt vmcnt(1)
	global_store_dword v[112:113], v116, off
	global_store_dword v[2:3], v108, off
	;; [unrolled: 1-line block ×37, first 2 shown]
.LBB75_210:
	s_endpgm
	.section	.rodata,"a",@progbits
	.p2align	6, 0x0
	.amdhsa_kernel _ZN9rocsolver6v33100L23getf2_npvt_small_kernelILi38EfiiPfEEvT1_T3_lS3_lPT2_S3_S3_
		.amdhsa_group_segment_fixed_size 0
		.amdhsa_private_segment_fixed_size 0
		.amdhsa_kernarg_size 312
		.amdhsa_user_sgpr_count 2
		.amdhsa_user_sgpr_dispatch_ptr 0
		.amdhsa_user_sgpr_queue_ptr 0
		.amdhsa_user_sgpr_kernarg_segment_ptr 1
		.amdhsa_user_sgpr_dispatch_id 0
		.amdhsa_user_sgpr_kernarg_preload_length 0
		.amdhsa_user_sgpr_kernarg_preload_offset 0
		.amdhsa_user_sgpr_private_segment_size 0
		.amdhsa_uses_dynamic_stack 0
		.amdhsa_enable_private_segment 0
		.amdhsa_system_sgpr_workgroup_id_x 1
		.amdhsa_system_sgpr_workgroup_id_y 1
		.amdhsa_system_sgpr_workgroup_id_z 0
		.amdhsa_system_sgpr_workgroup_info 0
		.amdhsa_system_vgpr_workitem_id 1
		.amdhsa_next_free_vgpr 161
		.amdhsa_next_free_sgpr 16
		.amdhsa_accum_offset 164
		.amdhsa_reserve_vcc 1
		.amdhsa_float_round_mode_32 0
		.amdhsa_float_round_mode_16_64 0
		.amdhsa_float_denorm_mode_32 3
		.amdhsa_float_denorm_mode_16_64 3
		.amdhsa_dx10_clamp 1
		.amdhsa_ieee_mode 1
		.amdhsa_fp16_overflow 0
		.amdhsa_tg_split 0
		.amdhsa_exception_fp_ieee_invalid_op 0
		.amdhsa_exception_fp_denorm_src 0
		.amdhsa_exception_fp_ieee_div_zero 0
		.amdhsa_exception_fp_ieee_overflow 0
		.amdhsa_exception_fp_ieee_underflow 0
		.amdhsa_exception_fp_ieee_inexact 0
		.amdhsa_exception_int_div_zero 0
	.end_amdhsa_kernel
	.section	.text._ZN9rocsolver6v33100L23getf2_npvt_small_kernelILi38EfiiPfEEvT1_T3_lS3_lPT2_S3_S3_,"axG",@progbits,_ZN9rocsolver6v33100L23getf2_npvt_small_kernelILi38EfiiPfEEvT1_T3_lS3_lPT2_S3_S3_,comdat
.Lfunc_end75:
	.size	_ZN9rocsolver6v33100L23getf2_npvt_small_kernelILi38EfiiPfEEvT1_T3_lS3_lPT2_S3_S3_, .Lfunc_end75-_ZN9rocsolver6v33100L23getf2_npvt_small_kernelILi38EfiiPfEEvT1_T3_lS3_lPT2_S3_S3_
                                        ; -- End function
	.set _ZN9rocsolver6v33100L23getf2_npvt_small_kernelILi38EfiiPfEEvT1_T3_lS3_lPT2_S3_S3_.num_vgpr, 161
	.set _ZN9rocsolver6v33100L23getf2_npvt_small_kernelILi38EfiiPfEEvT1_T3_lS3_lPT2_S3_S3_.num_agpr, 0
	.set _ZN9rocsolver6v33100L23getf2_npvt_small_kernelILi38EfiiPfEEvT1_T3_lS3_lPT2_S3_S3_.numbered_sgpr, 16
	.set _ZN9rocsolver6v33100L23getf2_npvt_small_kernelILi38EfiiPfEEvT1_T3_lS3_lPT2_S3_S3_.num_named_barrier, 0
	.set _ZN9rocsolver6v33100L23getf2_npvt_small_kernelILi38EfiiPfEEvT1_T3_lS3_lPT2_S3_S3_.private_seg_size, 0
	.set _ZN9rocsolver6v33100L23getf2_npvt_small_kernelILi38EfiiPfEEvT1_T3_lS3_lPT2_S3_S3_.uses_vcc, 1
	.set _ZN9rocsolver6v33100L23getf2_npvt_small_kernelILi38EfiiPfEEvT1_T3_lS3_lPT2_S3_S3_.uses_flat_scratch, 0
	.set _ZN9rocsolver6v33100L23getf2_npvt_small_kernelILi38EfiiPfEEvT1_T3_lS3_lPT2_S3_S3_.has_dyn_sized_stack, 0
	.set _ZN9rocsolver6v33100L23getf2_npvt_small_kernelILi38EfiiPfEEvT1_T3_lS3_lPT2_S3_S3_.has_recursion, 0
	.set _ZN9rocsolver6v33100L23getf2_npvt_small_kernelILi38EfiiPfEEvT1_T3_lS3_lPT2_S3_S3_.has_indirect_call, 0
	.section	.AMDGPU.csdata,"",@progbits
; Kernel info:
; codeLenInByte = 20052
; TotalNumSgprs: 22
; NumVgprs: 161
; NumAgprs: 0
; TotalNumVgprs: 161
; ScratchSize: 0
; MemoryBound: 0
; FloatMode: 240
; IeeeMode: 1
; LDSByteSize: 0 bytes/workgroup (compile time only)
; SGPRBlocks: 2
; VGPRBlocks: 20
; NumSGPRsForWavesPerEU: 22
; NumVGPRsForWavesPerEU: 161
; AccumOffset: 164
; Occupancy: 3
; WaveLimiterHint : 0
; COMPUTE_PGM_RSRC2:SCRATCH_EN: 0
; COMPUTE_PGM_RSRC2:USER_SGPR: 2
; COMPUTE_PGM_RSRC2:TRAP_HANDLER: 0
; COMPUTE_PGM_RSRC2:TGID_X_EN: 1
; COMPUTE_PGM_RSRC2:TGID_Y_EN: 1
; COMPUTE_PGM_RSRC2:TGID_Z_EN: 0
; COMPUTE_PGM_RSRC2:TIDIG_COMP_CNT: 1
; COMPUTE_PGM_RSRC3_GFX90A:ACCUM_OFFSET: 40
; COMPUTE_PGM_RSRC3_GFX90A:TG_SPLIT: 0
	.section	.text._ZN9rocsolver6v33100L18getf2_small_kernelILi39EfiiPfEEvT1_T3_lS3_lPS3_llPT2_S3_S3_S5_l,"axG",@progbits,_ZN9rocsolver6v33100L18getf2_small_kernelILi39EfiiPfEEvT1_T3_lS3_lPS3_llPT2_S3_S3_S5_l,comdat
	.globl	_ZN9rocsolver6v33100L18getf2_small_kernelILi39EfiiPfEEvT1_T3_lS3_lPS3_llPT2_S3_S3_S5_l ; -- Begin function _ZN9rocsolver6v33100L18getf2_small_kernelILi39EfiiPfEEvT1_T3_lS3_lPS3_llPT2_S3_S3_S5_l
	.p2align	8
	.type	_ZN9rocsolver6v33100L18getf2_small_kernelILi39EfiiPfEEvT1_T3_lS3_lPS3_llPT2_S3_S3_S5_l,@function
_ZN9rocsolver6v33100L18getf2_small_kernelILi39EfiiPfEEvT1_T3_lS3_lPS3_llPT2_S3_S3_S5_l: ; @_ZN9rocsolver6v33100L18getf2_small_kernelILi39EfiiPfEEvT1_T3_lS3_lPS3_llPT2_S3_S3_S5_l
; %bb.0:
	s_load_dword s2, s[0:1], 0x6c
	s_load_dwordx2 s[14:15], s[0:1], 0x48
	v_bfe_u32 v21, v0, 10, 10
	s_waitcnt lgkmcnt(0)
	s_lshr_b32 s2, s2, 16
	s_mul_i32 s3, s3, s2
	v_add_u32_e32 v4, s3, v21
	v_cmp_gt_i32_e32 vcc, s14, v4
	s_and_saveexec_b64 s[2:3], vcc
	s_cbranch_execz .LBB76_660
; %bb.1:
	s_load_dwordx4 s[4:7], s[0:1], 0x50
	v_ashrrev_i32_e32 v5, 31, v4
	v_mov_b64_e32 v[22:23], 0
	s_waitcnt lgkmcnt(0)
	s_cmp_eq_u64 s[4:5], 0
	s_cselect_b64 s[16:17], -1, 0
	s_and_b64 vcc, exec, s[16:17]
	s_cbranch_vccnz .LBB76_3
; %bb.2:
	v_mul_lo_u32 v1, s7, v4
	v_mul_lo_u32 v6, s6, v5
	v_mad_u64_u32 v[2:3], s[2:3], s6, v4, 0
	v_add3_u32 v3, v3, v6, v1
	v_lshl_add_u64 v[22:23], v[2:3], 2, s[4:5]
.LBB76_3:
	s_load_dwordx4 s[20:23], s[0:1], 0x8
	s_load_dwordx8 s[4:11], s[0:1], 0x20
	s_load_dword s12, s[0:1], 0x18
	v_and_b32_e32 v50, 0x3ff, v0
	v_lshlrev_b32_e32 v46, 2, v50
	s_waitcnt lgkmcnt(0)
	v_mov_b32_e32 v2, s20
	v_mul_lo_u32 v1, s5, v4
	v_mul_lo_u32 v8, s4, v5
	v_mad_u64_u32 v[6:7], s[2:3], s4, v4, 0
	v_mov_b32_e32 v3, s21
	v_add3_u32 v7, v7, v8, v1
	s_add_i32 s14, s12, s12
	v_lshl_add_u64 v[2:3], v[6:7], 2, v[2:3]
	v_add_u32_e32 v0, s14, v50
	v_lshl_add_u64 v[2:3], s[22:23], 2, v[2:3]
	v_ashrrev_i32_e32 v1, 31, v0
	v_lshl_add_u64 v[16:17], v[0:1], 2, v[2:3]
	v_add_u32_e32 v0, s12, v0
	v_ashrrev_i32_e32 v1, 31, v0
	v_lshl_add_u64 v[18:19], v[0:1], 2, v[2:3]
	v_add_u32_e32 v0, s12, v0
	;; [unrolled: 3-line block ×4, first 2 shown]
	v_mov_b32_e32 v47, 0
	v_add_u32_e32 v30, s12, v0
	v_lshl_add_u64 v[8:9], v[2:3], 0, v[46:47]
	s_ashr_i32 s13, s12, 31
	v_ashrrev_i32_e32 v1, 31, v0
	v_ashrrev_i32_e32 v31, 31, v30
	v_lshl_add_u64 v[12:13], s[12:13], 2, v[8:9]
	v_lshl_add_u64 v[28:29], v[0:1], 2, v[2:3]
	;; [unrolled: 1-line block ×3, first 2 shown]
	global_load_dword v20, v[8:9], off
	global_load_dword v14, v[12:13], off
	global_load_dword v15, v[16:17], off
	global_load_dword v10, v[18:19], off
	global_load_dword v11, v[24:25], off
	global_load_dword v6, v[26:27], off
	global_load_dword v7, v[28:29], off
	global_load_dword v0, v[32:33], off
	v_add_u32_e32 v8, s12, v30
	v_ashrrev_i32_e32 v9, 31, v8
	v_lshl_add_u64 v[16:17], v[8:9], 2, v[2:3]
	v_add_u32_e32 v8, s12, v8
	v_ashrrev_i32_e32 v9, 31, v8
	v_lshl_add_u64 v[24:25], v[8:9], 2, v[2:3]
	v_add_u32_e32 v8, s12, v8
	v_ashrrev_i32_e32 v9, 31, v8
	v_lshl_add_u64 v[26:27], v[8:9], 2, v[2:3]
	v_add_u32_e32 v8, s12, v8
	v_ashrrev_i32_e32 v9, 31, v8
	v_lshl_add_u64 v[30:31], v[8:9], 2, v[2:3]
	v_add_u32_e32 v8, s12, v8
	v_ashrrev_i32_e32 v9, 31, v8
	v_lshl_add_u64 v[32:33], v[8:9], 2, v[2:3]
	v_add_u32_e32 v8, s12, v8
	v_ashrrev_i32_e32 v9, 31, v8
	v_lshl_add_u64 v[34:35], v[8:9], 2, v[2:3]
	v_add_u32_e32 v8, s12, v8
	v_add_u32_e32 v38, s12, v8
	v_ashrrev_i32_e32 v9, 31, v8
	v_ashrrev_i32_e32 v39, 31, v38
	v_lshl_add_u64 v[36:37], v[8:9], 2, v[2:3]
	v_lshl_add_u64 v[40:41], v[38:39], 2, v[2:3]
	global_load_dword v1, v[16:17], off
	global_load_dword v28, v[24:25], off
	global_load_dword v29, v[26:27], off
	global_load_dword v18, v[30:31], off
	global_load_dword v19, v[32:33], off
	global_load_dword v12, v[34:35], off
	global_load_dword v13, v[36:37], off
	global_load_dword v8, v[40:41], off
	v_add_u32_e32 v16, s12, v38
	v_ashrrev_i32_e32 v17, 31, v16
	v_lshl_add_u64 v[26:27], v[16:17], 2, v[2:3]
	v_add_u32_e32 v16, s12, v16
	v_ashrrev_i32_e32 v17, 31, v16
	v_lshl_add_u64 v[32:33], v[16:17], 2, v[2:3]
	v_add_u32_e32 v16, s12, v16
	v_ashrrev_i32_e32 v17, 31, v16
	v_lshl_add_u64 v[36:37], v[16:17], 2, v[2:3]
	v_add_u32_e32 v16, s12, v16
	v_ashrrev_i32_e32 v17, 31, v16
	v_lshl_add_u64 v[38:39], v[16:17], 2, v[2:3]
	v_add_u32_e32 v16, s12, v16
	v_ashrrev_i32_e32 v17, 31, v16
	v_lshl_add_u64 v[40:41], v[16:17], 2, v[2:3]
	v_add_u32_e32 v16, s12, v16
	v_ashrrev_i32_e32 v17, 31, v16
	v_lshl_add_u64 v[42:43], v[16:17], 2, v[2:3]
	v_add_u32_e32 v16, s12, v16
	v_add_u32_e32 v48, s12, v16
	v_ashrrev_i32_e32 v17, 31, v16
	v_ashrrev_i32_e32 v49, 31, v48
	v_lshl_add_u64 v[44:45], v[16:17], 2, v[2:3]
	v_lshl_add_u64 v[52:53], v[48:49], 2, v[2:3]
	;; [unrolled: 32-line block ×3, first 2 shown]
	global_load_dword v17, v[38:39], off
	global_load_dword v42, v[40:41], off
	;; [unrolled: 1-line block ×8, first 2 shown]
	v_add_u32_e32 v38, s12, v58
	v_ashrrev_i32_e32 v39, 31, v38
	v_lshl_add_u64 v[48:49], v[38:39], 2, v[2:3]
	v_add_u32_e32 v38, s12, v38
	v_ashrrev_i32_e32 v39, 31, v38
	v_lshl_add_u64 v[52:53], v[38:39], 2, v[2:3]
	;; [unrolled: 3-line block ×7, first 2 shown]
	global_load_dword v27, v[48:49], off
	global_load_dword v44, v[52:53], off
	global_load_dword v45, v[54:55], off
	global_load_dword v40, v[56:57], off
	global_load_dword v41, v[58:59], off
	global_load_dword v38, v[60:61], off
	global_load_dword v39, v[62:63], off
	s_load_dword s22, s[0:1], 0x0
	s_load_dwordx2 s[4:5], s[0:1], 0x40
	s_waitcnt lgkmcnt(0)
	s_max_i32 s0, s22, 39
	v_mul_lo_u32 v48, s0, v21
	v_lshl_add_u32 v21, v48, 2, 0
	v_add_u32_e32 v46, v21, v46
	s_waitcnt vmcnt(38)
	ds_write_b32 v46, v20
	s_waitcnt lgkmcnt(0)
	s_barrier
	ds_read_b32 v46, v21
	s_cmp_lt_i32 s22, 2
	v_lshlrev_b32_e32 v48, 2, v48
	s_cbranch_scc1 .LBB76_6
; %bb.4:
	v_add3_u32 v49, v48, 0, 4
	v_mov_b32_e32 v47, 0
	s_mov_b32 s0, 1
.LBB76_5:                               ; =>This Inner Loop Header: Depth=1
	ds_read_b32 v51, v49
	v_mov_b32_e32 v52, s0
	s_add_i32 s0, s0, 1
	v_add_u32_e32 v49, 4, v49
	s_cmp_eq_u32 s22, s0
	s_waitcnt lgkmcnt(0)
	v_cmp_lt_f32_e64 vcc, |v46|, |v51|
	s_nop 1
	v_cndmask_b32_e32 v46, v46, v51, vcc
	v_cndmask_b32_e32 v47, v47, v52, vcc
	s_cbranch_scc0 .LBB76_5
.LBB76_6:
	v_cmp_ne_u32_e32 vcc, v50, v47
                                        ; implicit-def: $vgpr49
	s_and_saveexec_b64 s[0:1], vcc
	s_xor_b64 s[0:1], exec, s[0:1]
	s_cbranch_execz .LBB76_12
; %bb.7:
	v_cmp_eq_u32_e32 vcc, 0, v50
	s_and_saveexec_b64 s[2:3], vcc
	s_cbranch_execz .LBB76_11
; %bb.8:
	v_cmp_ne_u32_e32 vcc, 0, v47
	s_xor_b64 s[18:19], s[16:17], -1
	s_and_b64 s[20:21], s[18:19], vcc
	s_and_saveexec_b64 s[18:19], s[20:21]
	s_cbranch_execz .LBB76_10
; %bb.9:
	v_ashrrev_i32_e32 v51, 31, v47
	v_mov_b32_e32 v50, v47
	v_lshl_add_u64 v[50:51], v[50:51], 2, v[22:23]
	global_load_dword v49, v[50:51], off
	global_load_dword v52, v[22:23], off
	s_waitcnt vmcnt(1)
	global_store_dword v[22:23], v49, off
	s_waitcnt vmcnt(1)
	global_store_dword v[50:51], v52, off
.LBB76_10:
	s_or_b64 exec, exec, s[18:19]
	v_mov_b32_e32 v50, v47
.LBB76_11:
	s_or_b64 exec, exec, s[2:3]
	v_mov_b32_e32 v49, v50
                                        ; implicit-def: $vgpr50
.LBB76_12:
	s_or_saveexec_b64 s[0:1], s[0:1]
	v_mov_b32_e32 v47, v49
	s_xor_b64 exec, exec, s[0:1]
	s_cbranch_execz .LBB76_14
; %bb.13:
	v_mov_b32_e32 v49, 0
	v_mov_b32_e32 v47, v50
	s_waitcnt vmcnt(36)
	ds_write2_b32 v21, v14, v15 offset0:1 offset1:2
	s_waitcnt vmcnt(34)
	ds_write2_b32 v21, v10, v11 offset0:3 offset1:4
	;; [unrolled: 2-line block ×19, first 2 shown]
.LBB76_14:
	s_or_b64 exec, exec, s[0:1]
	s_waitcnt lgkmcnt(0)
	v_cmp_eq_f32_e64 s[0:1], 0, v46
	v_cmp_lt_i32_e32 vcc, 0, v49
	s_barrier
	s_and_saveexec_b64 s[2:3], vcc
	s_cbranch_execz .LBB76_16
; %bb.15:
	v_div_scale_f32 v50, s[18:19], v46, v46, 1.0
	v_rcp_f32_e32 v51, v50
	v_div_scale_f32 v52, vcc, 1.0, v46, 1.0
	v_fma_f32 v53, -v50, v51, 1.0
	v_fmac_f32_e32 v51, v53, v51
	v_mul_f32_e32 v53, v52, v51
	v_fma_f32 v54, -v50, v53, v52
	v_fmac_f32_e32 v53, v54, v51
	v_fma_f32 v50, -v50, v53, v52
	v_div_fmas_f32 v50, v50, v51, v53
	v_div_fixup_f32 v50, v50, v46, 1.0
	v_cndmask_b32_e64 v46, v50, v46, s[0:1]
	ds_read2_b32 v[50:51], v21 offset0:1 offset1:2
	ds_read2_b32 v[52:53], v21 offset0:3 offset1:4
	;; [unrolled: 1-line block ×3, first 2 shown]
	v_mul_f32_e32 v20, v46, v20
	ds_read2_b32 v[56:57], v21 offset0:7 offset1:8
	s_waitcnt vmcnt(36) lgkmcnt(3)
	v_pk_fma_f32 v[14:15], v[20:21], v[50:51], v[14:15] op_sel_hi:[0,1,1] neg_lo:[1,0,0] neg_hi:[1,0,0]
	s_waitcnt vmcnt(34) lgkmcnt(2)
	v_pk_fma_f32 v[10:11], v[20:21], v[52:53], v[10:11] op_sel_hi:[0,1,1] neg_lo:[1,0,0] neg_hi:[1,0,0]
	;; [unrolled: 2-line block ×3, first 2 shown]
	ds_read2_b32 v[50:51], v21 offset0:9 offset1:10
	ds_read2_b32 v[52:53], v21 offset0:11 offset1:12
	;; [unrolled: 1-line block ×3, first 2 shown]
	s_waitcnt vmcnt(30) lgkmcnt(3)
	v_pk_fma_f32 v[0:1], v[20:21], v[56:57], v[0:1] op_sel_hi:[0,1,1] neg_lo:[1,0,0] neg_hi:[1,0,0]
	ds_read2_b32 v[56:57], v21 offset0:15 offset1:16
	s_waitcnt vmcnt(28) lgkmcnt(3)
	v_pk_fma_f32 v[28:29], v[20:21], v[50:51], v[28:29] op_sel_hi:[0,1,1] neg_lo:[1,0,0] neg_hi:[1,0,0]
	s_waitcnt vmcnt(26) lgkmcnt(2)
	v_pk_fma_f32 v[18:19], v[20:21], v[52:53], v[18:19] op_sel_hi:[0,1,1] neg_lo:[1,0,0] neg_hi:[1,0,0]
	;; [unrolled: 2-line block ×3, first 2 shown]
	ds_read2_b32 v[50:51], v21 offset0:17 offset1:18
	ds_read2_b32 v[52:53], v21 offset0:19 offset1:20
	;; [unrolled: 1-line block ×3, first 2 shown]
	s_waitcnt vmcnt(22) lgkmcnt(3)
	v_pk_fma_f32 v[8:9], v[20:21], v[56:57], v[8:9] op_sel_hi:[0,1,1] neg_lo:[1,0,0] neg_hi:[1,0,0]
	ds_read2_b32 v[56:57], v21 offset0:23 offset1:24
	s_waitcnt vmcnt(20) lgkmcnt(3)
	v_pk_fma_f32 v[34:35], v[20:21], v[50:51], v[34:35] op_sel_hi:[0,1,1] neg_lo:[1,0,0] neg_hi:[1,0,0]
	s_waitcnt vmcnt(18) lgkmcnt(2)
	v_pk_fma_f32 v[30:31], v[20:21], v[52:53], v[30:31] op_sel_hi:[0,1,1] neg_lo:[1,0,0] neg_hi:[1,0,0]
	ds_read2_b32 v[50:51], v21 offset0:25 offset1:26
	ds_read2_b32 v[52:53], v21 offset0:27 offset1:28
	s_waitcnt vmcnt(16) lgkmcnt(3)
	v_pk_fma_f32 v[24:25], v[20:21], v[54:55], v[24:25] op_sel_hi:[0,1,1] neg_lo:[1,0,0] neg_hi:[1,0,0]
	s_waitcnt vmcnt(14) lgkmcnt(2)
	v_pk_fma_f32 v[16:17], v[20:21], v[56:57], v[16:17] op_sel_hi:[0,1,1] neg_lo:[1,0,0] neg_hi:[1,0,0]
	ds_read2_b32 v[54:55], v21 offset0:29 offset1:30
	;; [unrolled: 6-line block ×3, first 2 shown]
	ds_read2_b32 v[52:53], v21 offset0:35 offset1:36
	ds_read2_b32 v[58:59], v21 offset0:37 offset1:38
	s_waitcnt vmcnt(8) lgkmcnt(4)
	v_pk_fma_f32 v[32:33], v[20:21], v[54:55], v[32:33] op_sel_hi:[0,1,1] neg_lo:[1,0,0] neg_hi:[1,0,0]
	s_waitcnt vmcnt(6) lgkmcnt(3)
	v_pk_fma_f32 v[26:27], v[20:21], v[56:57], v[26:27] op_sel_hi:[0,1,1] neg_lo:[1,0,0] neg_hi:[1,0,0]
	s_waitcnt vmcnt(4) lgkmcnt(2)
	v_pk_fma_f32 v[44:45], v[20:21], v[50:51], v[44:45] op_sel_hi:[0,1,1] neg_lo:[1,0,0] neg_hi:[1,0,0]
	s_waitcnt vmcnt(2) lgkmcnt(1)
	v_pk_fma_f32 v[40:41], v[20:21], v[52:53], v[40:41] op_sel_hi:[0,1,1] neg_lo:[1,0,0] neg_hi:[1,0,0]
	s_waitcnt vmcnt(0) lgkmcnt(0)
	v_pk_fma_f32 v[38:39], v[20:21], v[58:59], v[38:39] op_sel_hi:[0,1,1] neg_lo:[1,0,0] neg_hi:[1,0,0]
.LBB76_16:
	s_or_b64 exec, exec, s[2:3]
	v_lshl_add_u32 v46, v49, 2, v21
	s_barrier
	s_waitcnt vmcnt(37)
	ds_write_b32 v46, v14
	s_waitcnt lgkmcnt(0)
	s_barrier
	ds_read_b32 v50, v21 offset:4
	s_mov_b32 s2, 2
	s_cmp_lt_i32 s22, 3
	v_mov_b32_e32 v46, 1
	s_cbranch_scc1 .LBB76_19
; %bb.17:
	v_add3_u32 v51, v48, 0, 8
	v_mov_b32_e32 v46, 1
.LBB76_18:                              ; =>This Inner Loop Header: Depth=1
	ds_read_b32 v52, v51
	v_mov_b32_e32 v53, s2
	s_add_i32 s2, s2, 1
	v_add_u32_e32 v51, 4, v51
	s_cmp_lg_u32 s22, s2
	s_waitcnt lgkmcnt(0)
	v_cmp_lt_f32_e64 vcc, |v50|, |v52|
	s_nop 1
	v_cndmask_b32_e32 v50, v50, v52, vcc
	v_cndmask_b32_e32 v46, v46, v53, vcc
	s_cbranch_scc1 .LBB76_18
.LBB76_19:
	v_cmp_ne_u32_e32 vcc, v49, v46
	s_and_saveexec_b64 s[2:3], vcc
	s_xor_b64 s[2:3], exec, s[2:3]
	s_cbranch_execz .LBB76_25
; %bb.20:
	v_cmp_eq_u32_e32 vcc, 1, v49
	s_and_saveexec_b64 s[18:19], vcc
	s_cbranch_execz .LBB76_24
; %bb.21:
	v_cmp_ne_u32_e32 vcc, 1, v46
	s_xor_b64 s[20:21], s[16:17], -1
	s_and_b64 s[24:25], s[20:21], vcc
	s_and_saveexec_b64 s[20:21], s[24:25]
	s_cbranch_execz .LBB76_23
; %bb.22:
	v_ashrrev_i32_e32 v47, 31, v46
	v_lshl_add_u64 v[52:53], v[46:47], 2, v[22:23]
	global_load_dword v47, v[52:53], off
	global_load_dword v49, v[22:23], off offset:4
	s_waitcnt vmcnt(1)
	global_store_dword v[22:23], v47, off offset:4
	s_waitcnt vmcnt(1)
	global_store_dword v[52:53], v49, off
.LBB76_23:
	s_or_b64 exec, exec, s[20:21]
	v_mov_b32_e32 v47, v46
	v_mov_b32_e32 v49, v46
.LBB76_24:
	s_or_b64 exec, exec, s[18:19]
.LBB76_25:
	s_andn2_saveexec_b64 s[2:3], s[2:3]
	s_cbranch_execz .LBB76_27
; %bb.26:
	s_waitcnt vmcnt(34)
	v_pk_mov_b32 v[52:53], v[14:15], v[10:11] op_sel:[1,0]
	ds_write2_b32 v21, v52, v53 offset0:2 offset1:3
	s_waitcnt vmcnt(32)
	v_pk_mov_b32 v[52:53], v[10:11], v[6:7] op_sel:[1,0]
	ds_write2_b32 v21, v52, v53 offset0:4 offset1:5
	;; [unrolled: 3-line block ×17, first 2 shown]
	s_waitcnt vmcnt(0)
	v_pk_mov_b32 v[52:53], v[40:41], v[38:39] op_sel:[1,0]
	v_mov_b32_e32 v49, 1
	ds_write2_b32 v21, v52, v53 offset0:36 offset1:37
	ds_write_b32 v21, v39 offset:152
.LBB76_27:
	s_or_b64 exec, exec, s[2:3]
	s_waitcnt lgkmcnt(0)
	v_cmp_neq_f32_e64 s[2:3], 0, v50
	v_cmp_lt_i32_e32 vcc, 1, v49
	s_barrier
	s_and_saveexec_b64 s[18:19], vcc
	s_cbranch_execz .LBB76_29
; %bb.28:
	v_div_scale_f32 v46, s[20:21], v50, v50, 1.0
	v_rcp_f32_e32 v51, v46
	v_div_scale_f32 v52, vcc, 1.0, v50, 1.0
	v_fma_f32 v53, -v46, v51, 1.0
	v_fmac_f32_e32 v51, v53, v51
	v_mul_f32_e32 v53, v52, v51
	v_fma_f32 v54, -v46, v53, v52
	v_fmac_f32_e32 v53, v54, v51
	v_fma_f32 v46, -v46, v53, v52
	v_div_fmas_f32 v46, v46, v51, v53
	v_div_fixup_f32 v46, v46, v50, 1.0
	v_cndmask_b32_e64 v46, v50, v46, s[2:3]
	ds_read_b32 v56, v21 offset:8
	ds_read2_b32 v[50:51], v21 offset0:3 offset1:4
	ds_read2_b32 v[52:53], v21 offset0:5 offset1:6
	v_mul_f32_e32 v14, v46, v14
	ds_read2_b32 v[54:55], v21 offset0:7 offset1:8
	s_waitcnt vmcnt(36) lgkmcnt(3)
	v_fma_f32 v15, -v14, v56, v15
	s_waitcnt vmcnt(34) lgkmcnt(2)
	v_pk_fma_f32 v[10:11], v[14:15], v[50:51], v[10:11] op_sel_hi:[0,1,1] neg_lo:[1,0,0] neg_hi:[1,0,0]
	s_waitcnt vmcnt(32) lgkmcnt(1)
	v_pk_fma_f32 v[6:7], v[14:15], v[52:53], v[6:7] op_sel_hi:[0,1,1] neg_lo:[1,0,0] neg_hi:[1,0,0]
	ds_read2_b32 v[50:51], v21 offset0:9 offset1:10
	ds_read2_b32 v[52:53], v21 offset0:11 offset1:12
	ds_read2_b32 v[56:57], v21 offset0:13 offset1:14
	s_waitcnt vmcnt(30) lgkmcnt(3)
	v_pk_fma_f32 v[0:1], v[14:15], v[54:55], v[0:1] op_sel_hi:[0,1,1] neg_lo:[1,0,0] neg_hi:[1,0,0]
	ds_read2_b32 v[54:55], v21 offset0:15 offset1:16
	s_waitcnt vmcnt(28) lgkmcnt(3)
	v_pk_fma_f32 v[28:29], v[14:15], v[50:51], v[28:29] op_sel_hi:[0,1,1] neg_lo:[1,0,0] neg_hi:[1,0,0]
	s_waitcnt vmcnt(26) lgkmcnt(2)
	v_pk_fma_f32 v[18:19], v[14:15], v[52:53], v[18:19] op_sel_hi:[0,1,1] neg_lo:[1,0,0] neg_hi:[1,0,0]
	;; [unrolled: 2-line block ×3, first 2 shown]
	ds_read2_b32 v[50:51], v21 offset0:17 offset1:18
	ds_read2_b32 v[52:53], v21 offset0:19 offset1:20
	;; [unrolled: 1-line block ×3, first 2 shown]
	s_waitcnt vmcnt(22) lgkmcnt(3)
	v_pk_fma_f32 v[8:9], v[14:15], v[54:55], v[8:9] op_sel_hi:[0,1,1] neg_lo:[1,0,0] neg_hi:[1,0,0]
	ds_read2_b32 v[54:55], v21 offset0:23 offset1:24
	s_waitcnt vmcnt(20) lgkmcnt(3)
	v_pk_fma_f32 v[34:35], v[14:15], v[50:51], v[34:35] op_sel_hi:[0,1,1] neg_lo:[1,0,0] neg_hi:[1,0,0]
	s_waitcnt vmcnt(18) lgkmcnt(2)
	v_pk_fma_f32 v[30:31], v[14:15], v[52:53], v[30:31] op_sel_hi:[0,1,1] neg_lo:[1,0,0] neg_hi:[1,0,0]
	ds_read2_b32 v[50:51], v21 offset0:25 offset1:26
	ds_read2_b32 v[52:53], v21 offset0:27 offset1:28
	s_waitcnt vmcnt(16) lgkmcnt(3)
	v_pk_fma_f32 v[24:25], v[14:15], v[56:57], v[24:25] op_sel_hi:[0,1,1] neg_lo:[1,0,0] neg_hi:[1,0,0]
	s_waitcnt vmcnt(14) lgkmcnt(2)
	v_pk_fma_f32 v[16:17], v[14:15], v[54:55], v[16:17] op_sel_hi:[0,1,1] neg_lo:[1,0,0] neg_hi:[1,0,0]
	ds_read2_b32 v[54:55], v21 offset0:29 offset1:30
	;; [unrolled: 6-line block ×3, first 2 shown]
	ds_read2_b32 v[52:53], v21 offset0:35 offset1:36
	ds_read2_b32 v[58:59], v21 offset0:37 offset1:38
	s_waitcnt vmcnt(8) lgkmcnt(4)
	v_pk_fma_f32 v[32:33], v[14:15], v[54:55], v[32:33] op_sel_hi:[0,1,1] neg_lo:[1,0,0] neg_hi:[1,0,0]
	s_waitcnt vmcnt(6) lgkmcnt(3)
	v_pk_fma_f32 v[26:27], v[14:15], v[56:57], v[26:27] op_sel_hi:[0,1,1] neg_lo:[1,0,0] neg_hi:[1,0,0]
	;; [unrolled: 2-line block ×5, first 2 shown]
.LBB76_29:
	s_or_b64 exec, exec, s[18:19]
	v_lshl_add_u32 v46, v49, 2, v21
	s_barrier
	s_waitcnt vmcnt(36)
	ds_write_b32 v46, v15
	s_waitcnt lgkmcnt(0)
	s_barrier
	ds_read_b32 v51, v21 offset:8
	s_cmp_lt_i32 s22, 4
	v_mov_b32_e32 v46, 2
	s_cbranch_scc1 .LBB76_32
; %bb.30:
	v_mov_b32_e32 v46, 2
	v_add3_u32 v50, v48, 0, 12
	s_mov_b32 s18, 3
.LBB76_31:                              ; =>This Inner Loop Header: Depth=1
	ds_read_b32 v52, v50
	v_mov_b32_e32 v53, s18
	s_add_i32 s18, s18, 1
	v_add_u32_e32 v50, 4, v50
	s_cmp_lg_u32 s22, s18
	s_waitcnt lgkmcnt(0)
	v_cmp_lt_f32_e64 vcc, |v51|, |v52|
	s_nop 1
	v_cndmask_b32_e32 v51, v51, v52, vcc
	v_cndmask_b32_e32 v46, v46, v53, vcc
	s_cbranch_scc1 .LBB76_31
.LBB76_32:
	v_cndmask_b32_e64 v50, 2, 1, s[0:1]
	v_cndmask_b32_e64 v52, 0, 1, s[0:1]
	;; [unrolled: 1-line block ×3, first 2 shown]
	s_waitcnt lgkmcnt(0)
	v_cmp_eq_f32_e32 vcc, 0, v51
	s_and_saveexec_b64 s[0:1], vcc
	s_xor_b64 s[0:1], exec, s[0:1]
; %bb.33:
	v_cmp_ne_u32_e32 vcc, 0, v50
	s_nop 1
	v_cndmask_b32_e32 v50, 3, v50, vcc
; %bb.34:
	s_andn2_saveexec_b64 s[0:1], s[0:1]
	s_cbranch_execz .LBB76_36
; %bb.35:
	v_div_scale_f32 v52, s[2:3], v51, v51, 1.0
	v_rcp_f32_e32 v53, v52
	v_div_scale_f32 v54, vcc, 1.0, v51, 1.0
	v_fma_f32 v55, -v52, v53, 1.0
	v_fmac_f32_e32 v53, v55, v53
	v_mul_f32_e32 v55, v54, v53
	v_fma_f32 v56, -v52, v55, v54
	v_fmac_f32_e32 v55, v56, v53
	v_fma_f32 v52, -v52, v55, v54
	v_div_fmas_f32 v52, v52, v53, v55
	v_div_fixup_f32 v51, v52, v51, 1.0
.LBB76_36:
	s_or_b64 exec, exec, s[0:1]
	v_cmp_ne_u32_e32 vcc, v49, v46
	s_and_saveexec_b64 s[0:1], vcc
	s_xor_b64 s[0:1], exec, s[0:1]
	s_cbranch_execz .LBB76_42
; %bb.37:
	v_cmp_eq_u32_e32 vcc, 2, v49
	s_and_saveexec_b64 s[2:3], vcc
	s_cbranch_execz .LBB76_41
; %bb.38:
	v_cmp_ne_u32_e32 vcc, 2, v46
	s_xor_b64 s[18:19], s[16:17], -1
	s_and_b64 s[20:21], s[18:19], vcc
	s_and_saveexec_b64 s[18:19], s[20:21]
	s_cbranch_execz .LBB76_40
; %bb.39:
	v_ashrrev_i32_e32 v47, 31, v46
	v_lshl_add_u64 v[52:53], v[46:47], 2, v[22:23]
	global_load_dword v47, v[52:53], off
	global_load_dword v49, v[22:23], off offset:8
	s_waitcnt vmcnt(1)
	global_store_dword v[22:23], v47, off offset:8
	s_waitcnt vmcnt(1)
	global_store_dword v[52:53], v49, off
.LBB76_40:
	s_or_b64 exec, exec, s[18:19]
	v_mov_b32_e32 v47, v46
	v_mov_b32_e32 v49, v46
.LBB76_41:
	s_or_b64 exec, exec, s[2:3]
.LBB76_42:
	s_andn2_saveexec_b64 s[0:1], s[0:1]
	s_cbranch_execz .LBB76_44
; %bb.43:
	v_mov_b32_e32 v49, 2
	s_waitcnt vmcnt(34)
	ds_write2_b32 v21, v10, v11 offset0:3 offset1:4
	s_waitcnt vmcnt(32)
	ds_write2_b32 v21, v6, v7 offset0:5 offset1:6
	;; [unrolled: 2-line block ×18, first 2 shown]
.LBB76_44:
	s_or_b64 exec, exec, s[0:1]
	v_cmp_lt_i32_e32 vcc, 2, v49
	s_waitcnt lgkmcnt(0)
	s_barrier
	s_and_saveexec_b64 s[0:1], vcc
	s_cbranch_execz .LBB76_46
; %bb.45:
	ds_read2_b32 v[52:53], v21 offset0:3 offset1:4
	ds_read2_b32 v[54:55], v21 offset0:5 offset1:6
	;; [unrolled: 1-line block ×4, first 2 shown]
	v_mul_f32_e32 v46, v51, v15
	s_waitcnt vmcnt(34) lgkmcnt(3)
	v_pk_fma_f32 v[10:11], v[46:47], v[52:53], v[10:11] op_sel_hi:[0,1,1] neg_lo:[1,0,0] neg_hi:[1,0,0]
	s_waitcnt vmcnt(32) lgkmcnt(2)
	v_pk_fma_f32 v[6:7], v[46:47], v[54:55], v[6:7] op_sel_hi:[0,1,1] neg_lo:[1,0,0] neg_hi:[1,0,0]
	s_waitcnt vmcnt(30) lgkmcnt(1)
	v_pk_fma_f32 v[0:1], v[46:47], v[56:57], v[0:1] op_sel_hi:[0,1,1] neg_lo:[1,0,0] neg_hi:[1,0,0]
	ds_read2_b32 v[52:53], v21 offset0:11 offset1:12
	ds_read2_b32 v[54:55], v21 offset0:13 offset1:14
	;; [unrolled: 1-line block ×3, first 2 shown]
	s_waitcnt vmcnt(28) lgkmcnt(3)
	v_pk_fma_f32 v[28:29], v[46:47], v[58:59], v[28:29] op_sel_hi:[0,1,1] neg_lo:[1,0,0] neg_hi:[1,0,0]
	ds_read2_b32 v[58:59], v21 offset0:17 offset1:18
	s_waitcnt vmcnt(26) lgkmcnt(3)
	v_pk_fma_f32 v[18:19], v[46:47], v[52:53], v[18:19] op_sel_hi:[0,1,1] neg_lo:[1,0,0] neg_hi:[1,0,0]
	s_waitcnt vmcnt(24) lgkmcnt(2)
	v_pk_fma_f32 v[12:13], v[46:47], v[54:55], v[12:13] op_sel_hi:[0,1,1] neg_lo:[1,0,0] neg_hi:[1,0,0]
	;; [unrolled: 2-line block ×3, first 2 shown]
	ds_read2_b32 v[52:53], v21 offset0:19 offset1:20
	ds_read2_b32 v[54:55], v21 offset0:21 offset1:22
	ds_read2_b32 v[56:57], v21 offset0:23 offset1:24
	s_waitcnt vmcnt(20) lgkmcnt(3)
	v_pk_fma_f32 v[34:35], v[46:47], v[58:59], v[34:35] op_sel_hi:[0,1,1] neg_lo:[1,0,0] neg_hi:[1,0,0]
	ds_read2_b32 v[58:59], v21 offset0:25 offset1:26
	s_waitcnt vmcnt(18) lgkmcnt(3)
	v_pk_fma_f32 v[30:31], v[46:47], v[52:53], v[30:31] op_sel_hi:[0,1,1] neg_lo:[1,0,0] neg_hi:[1,0,0]
	ds_read2_b32 v[52:53], v21 offset0:27 offset1:28
	s_waitcnt vmcnt(16) lgkmcnt(3)
	v_pk_fma_f32 v[24:25], v[46:47], v[54:55], v[24:25] op_sel_hi:[0,1,1] neg_lo:[1,0,0] neg_hi:[1,0,0]
	s_waitcnt vmcnt(14) lgkmcnt(2)
	v_pk_fma_f32 v[16:17], v[46:47], v[56:57], v[16:17] op_sel_hi:[0,1,1] neg_lo:[1,0,0] neg_hi:[1,0,0]
	;; [unrolled: 2-line block ×3, first 2 shown]
	ds_read2_b32 v[54:55], v21 offset0:29 offset1:30
	ds_read2_b32 v[56:57], v21 offset0:31 offset1:32
	;; [unrolled: 1-line block ×3, first 2 shown]
	s_waitcnt vmcnt(10) lgkmcnt(3)
	v_pk_fma_f32 v[36:37], v[46:47], v[52:53], v[36:37] op_sel_hi:[0,1,1] neg_lo:[1,0,0] neg_hi:[1,0,0]
	ds_read2_b32 v[52:53], v21 offset0:35 offset1:36
	ds_read2_b32 v[60:61], v21 offset0:37 offset1:38
	s_waitcnt vmcnt(8) lgkmcnt(4)
	v_pk_fma_f32 v[32:33], v[46:47], v[54:55], v[32:33] op_sel_hi:[0,1,1] neg_lo:[1,0,0] neg_hi:[1,0,0]
	s_waitcnt vmcnt(6) lgkmcnt(3)
	v_pk_fma_f32 v[26:27], v[46:47], v[56:57], v[26:27] op_sel_hi:[0,1,1] neg_lo:[1,0,0] neg_hi:[1,0,0]
	;; [unrolled: 2-line block ×5, first 2 shown]
	v_mov_b32_e32 v15, v46
.LBB76_46:
	s_or_b64 exec, exec, s[0:1]
	v_lshl_add_u32 v46, v49, 2, v21
	s_barrier
	s_waitcnt vmcnt(35)
	ds_write_b32 v46, v10
	s_waitcnt lgkmcnt(0)
	s_barrier
	ds_read_b32 v51, v21 offset:12
	s_cmp_lt_i32 s22, 5
	v_mov_b32_e32 v46, 3
	s_cbranch_scc1 .LBB76_49
; %bb.47:
	v_add3_u32 v52, v48, 0, 16
	v_mov_b32_e32 v46, 3
	s_mov_b32 s0, 4
.LBB76_48:                              ; =>This Inner Loop Header: Depth=1
	ds_read_b32 v53, v52
	v_mov_b32_e32 v54, s0
	s_add_i32 s0, s0, 1
	v_add_u32_e32 v52, 4, v52
	s_cmp_lg_u32 s22, s0
	s_waitcnt lgkmcnt(0)
	v_cmp_lt_f32_e64 vcc, |v51|, |v53|
	s_nop 1
	v_cndmask_b32_e32 v51, v51, v53, vcc
	v_cndmask_b32_e32 v46, v46, v54, vcc
	s_cbranch_scc1 .LBB76_48
.LBB76_49:
	s_waitcnt lgkmcnt(0)
	v_cmp_eq_f32_e32 vcc, 0, v51
	s_and_saveexec_b64 s[0:1], vcc
	s_xor_b64 s[0:1], exec, s[0:1]
; %bb.50:
	v_cmp_ne_u32_e32 vcc, 0, v50
	s_nop 1
	v_cndmask_b32_e32 v50, 4, v50, vcc
; %bb.51:
	s_andn2_saveexec_b64 s[0:1], s[0:1]
	s_cbranch_execz .LBB76_53
; %bb.52:
	v_div_scale_f32 v52, s[2:3], v51, v51, 1.0
	v_rcp_f32_e32 v53, v52
	v_div_scale_f32 v54, vcc, 1.0, v51, 1.0
	v_fma_f32 v55, -v52, v53, 1.0
	v_fmac_f32_e32 v53, v55, v53
	v_mul_f32_e32 v55, v54, v53
	v_fma_f32 v56, -v52, v55, v54
	v_fmac_f32_e32 v55, v56, v53
	v_fma_f32 v52, -v52, v55, v54
	v_div_fmas_f32 v52, v52, v53, v55
	v_div_fixup_f32 v51, v52, v51, 1.0
.LBB76_53:
	s_or_b64 exec, exec, s[0:1]
	v_cmp_ne_u32_e32 vcc, v49, v46
	s_and_saveexec_b64 s[0:1], vcc
	s_xor_b64 s[0:1], exec, s[0:1]
	s_cbranch_execz .LBB76_59
; %bb.54:
	v_cmp_eq_u32_e32 vcc, 3, v49
	s_and_saveexec_b64 s[2:3], vcc
	s_cbranch_execz .LBB76_58
; %bb.55:
	v_cmp_ne_u32_e32 vcc, 3, v46
	s_xor_b64 s[18:19], s[16:17], -1
	s_and_b64 s[20:21], s[18:19], vcc
	s_and_saveexec_b64 s[18:19], s[20:21]
	s_cbranch_execz .LBB76_57
; %bb.56:
	v_ashrrev_i32_e32 v47, 31, v46
	v_lshl_add_u64 v[52:53], v[46:47], 2, v[22:23]
	global_load_dword v47, v[52:53], off
	global_load_dword v49, v[22:23], off offset:12
	s_waitcnt vmcnt(1)
	global_store_dword v[22:23], v47, off offset:12
	s_waitcnt vmcnt(1)
	global_store_dword v[52:53], v49, off
.LBB76_57:
	s_or_b64 exec, exec, s[18:19]
	v_mov_b32_e32 v47, v46
	v_mov_b32_e32 v49, v46
.LBB76_58:
	s_or_b64 exec, exec, s[2:3]
.LBB76_59:
	s_andn2_saveexec_b64 s[0:1], s[0:1]
	s_cbranch_execz .LBB76_61
; %bb.60:
	s_waitcnt vmcnt(32)
	v_pk_mov_b32 v[52:53], v[10:11], v[6:7] op_sel:[1,0]
	ds_write2_b32 v21, v52, v53 offset0:4 offset1:5
	s_waitcnt vmcnt(30)
	v_pk_mov_b32 v[52:53], v[6:7], v[0:1] op_sel:[1,0]
	ds_write2_b32 v21, v52, v53 offset0:6 offset1:7
	;; [unrolled: 3-line block ×16, first 2 shown]
	s_waitcnt vmcnt(0)
	v_pk_mov_b32 v[52:53], v[40:41], v[38:39] op_sel:[1,0]
	v_mov_b32_e32 v49, 3
	ds_write2_b32 v21, v52, v53 offset0:36 offset1:37
	ds_write_b32 v21, v39 offset:152
.LBB76_61:
	s_or_b64 exec, exec, s[0:1]
	v_cmp_lt_i32_e32 vcc, 3, v49
	s_waitcnt lgkmcnt(0)
	s_barrier
	s_and_saveexec_b64 s[0:1], vcc
	s_cbranch_execz .LBB76_63
; %bb.62:
	ds_read_b32 v46, v21 offset:16
	ds_read2_b32 v[52:53], v21 offset0:5 offset1:6
	ds_read2_b32 v[54:55], v21 offset0:7 offset1:8
	v_mul_f32_e32 v10, v51, v10
	ds_read2_b32 v[56:57], v21 offset0:9 offset1:10
	s_waitcnt vmcnt(34) lgkmcnt(3)
	v_fma_f32 v11, -v10, v46, v11
	s_waitcnt vmcnt(32) lgkmcnt(2)
	v_pk_fma_f32 v[6:7], v[10:11], v[52:53], v[6:7] op_sel_hi:[0,1,1] neg_lo:[1,0,0] neg_hi:[1,0,0]
	s_waitcnt vmcnt(30) lgkmcnt(1)
	v_pk_fma_f32 v[0:1], v[10:11], v[54:55], v[0:1] op_sel_hi:[0,1,1] neg_lo:[1,0,0] neg_hi:[1,0,0]
	ds_read2_b32 v[52:53], v21 offset0:11 offset1:12
	ds_read2_b32 v[54:55], v21 offset0:13 offset1:14
	;; [unrolled: 1-line block ×3, first 2 shown]
	s_waitcnt vmcnt(28) lgkmcnt(3)
	v_pk_fma_f32 v[28:29], v[10:11], v[56:57], v[28:29] op_sel_hi:[0,1,1] neg_lo:[1,0,0] neg_hi:[1,0,0]
	ds_read2_b32 v[56:57], v21 offset0:17 offset1:18
	s_waitcnt vmcnt(26) lgkmcnt(3)
	v_pk_fma_f32 v[18:19], v[10:11], v[52:53], v[18:19] op_sel_hi:[0,1,1] neg_lo:[1,0,0] neg_hi:[1,0,0]
	s_waitcnt vmcnt(24) lgkmcnt(2)
	v_pk_fma_f32 v[12:13], v[10:11], v[54:55], v[12:13] op_sel_hi:[0,1,1] neg_lo:[1,0,0] neg_hi:[1,0,0]
	;; [unrolled: 2-line block ×3, first 2 shown]
	ds_read2_b32 v[52:53], v21 offset0:19 offset1:20
	ds_read2_b32 v[54:55], v21 offset0:21 offset1:22
	;; [unrolled: 1-line block ×3, first 2 shown]
	s_waitcnt vmcnt(20) lgkmcnt(3)
	v_pk_fma_f32 v[34:35], v[10:11], v[56:57], v[34:35] op_sel_hi:[0,1,1] neg_lo:[1,0,0] neg_hi:[1,0,0]
	ds_read2_b32 v[56:57], v21 offset0:25 offset1:26
	s_waitcnt vmcnt(18) lgkmcnt(3)
	v_pk_fma_f32 v[30:31], v[10:11], v[52:53], v[30:31] op_sel_hi:[0,1,1] neg_lo:[1,0,0] neg_hi:[1,0,0]
	ds_read2_b32 v[52:53], v21 offset0:27 offset1:28
	s_waitcnt vmcnt(16) lgkmcnt(3)
	v_pk_fma_f32 v[24:25], v[10:11], v[54:55], v[24:25] op_sel_hi:[0,1,1] neg_lo:[1,0,0] neg_hi:[1,0,0]
	s_waitcnt vmcnt(14) lgkmcnt(2)
	v_pk_fma_f32 v[16:17], v[10:11], v[58:59], v[16:17] op_sel_hi:[0,1,1] neg_lo:[1,0,0] neg_hi:[1,0,0]
	;; [unrolled: 2-line block ×3, first 2 shown]
	ds_read2_b32 v[54:55], v21 offset0:29 offset1:30
	ds_read2_b32 v[56:57], v21 offset0:31 offset1:32
	;; [unrolled: 1-line block ×3, first 2 shown]
	s_waitcnt vmcnt(10) lgkmcnt(3)
	v_pk_fma_f32 v[36:37], v[10:11], v[52:53], v[36:37] op_sel_hi:[0,1,1] neg_lo:[1,0,0] neg_hi:[1,0,0]
	ds_read2_b32 v[52:53], v21 offset0:35 offset1:36
	ds_read2_b32 v[60:61], v21 offset0:37 offset1:38
	s_waitcnt vmcnt(8) lgkmcnt(4)
	v_pk_fma_f32 v[32:33], v[10:11], v[54:55], v[32:33] op_sel_hi:[0,1,1] neg_lo:[1,0,0] neg_hi:[1,0,0]
	s_waitcnt vmcnt(6) lgkmcnt(3)
	v_pk_fma_f32 v[26:27], v[10:11], v[56:57], v[26:27] op_sel_hi:[0,1,1] neg_lo:[1,0,0] neg_hi:[1,0,0]
	;; [unrolled: 2-line block ×5, first 2 shown]
.LBB76_63:
	s_or_b64 exec, exec, s[0:1]
	v_lshl_add_u32 v46, v49, 2, v21
	s_barrier
	s_waitcnt vmcnt(34)
	ds_write_b32 v46, v11
	s_waitcnt lgkmcnt(0)
	s_barrier
	ds_read_b32 v51, v21 offset:16
	s_cmp_lt_i32 s22, 6
	v_mov_b32_e32 v46, 4
	s_cbranch_scc1 .LBB76_66
; %bb.64:
	v_add3_u32 v52, v48, 0, 20
	v_mov_b32_e32 v46, 4
	s_mov_b32 s0, 5
.LBB76_65:                              ; =>This Inner Loop Header: Depth=1
	ds_read_b32 v53, v52
	v_mov_b32_e32 v54, s0
	s_add_i32 s0, s0, 1
	v_add_u32_e32 v52, 4, v52
	s_cmp_lg_u32 s22, s0
	s_waitcnt lgkmcnt(0)
	v_cmp_lt_f32_e64 vcc, |v51|, |v53|
	s_nop 1
	v_cndmask_b32_e32 v51, v51, v53, vcc
	v_cndmask_b32_e32 v46, v46, v54, vcc
	s_cbranch_scc1 .LBB76_65
.LBB76_66:
	s_waitcnt lgkmcnt(0)
	v_cmp_eq_f32_e32 vcc, 0, v51
	s_and_saveexec_b64 s[0:1], vcc
	s_xor_b64 s[0:1], exec, s[0:1]
; %bb.67:
	v_cmp_ne_u32_e32 vcc, 0, v50
	s_nop 1
	v_cndmask_b32_e32 v50, 5, v50, vcc
; %bb.68:
	s_andn2_saveexec_b64 s[0:1], s[0:1]
	s_cbranch_execz .LBB76_70
; %bb.69:
	v_div_scale_f32 v52, s[2:3], v51, v51, 1.0
	v_rcp_f32_e32 v53, v52
	v_div_scale_f32 v54, vcc, 1.0, v51, 1.0
	v_fma_f32 v55, -v52, v53, 1.0
	v_fmac_f32_e32 v53, v55, v53
	v_mul_f32_e32 v55, v54, v53
	v_fma_f32 v56, -v52, v55, v54
	v_fmac_f32_e32 v55, v56, v53
	v_fma_f32 v52, -v52, v55, v54
	v_div_fmas_f32 v52, v52, v53, v55
	v_div_fixup_f32 v51, v52, v51, 1.0
.LBB76_70:
	s_or_b64 exec, exec, s[0:1]
	v_cmp_ne_u32_e32 vcc, v49, v46
	s_and_saveexec_b64 s[0:1], vcc
	s_xor_b64 s[0:1], exec, s[0:1]
	s_cbranch_execz .LBB76_76
; %bb.71:
	v_cmp_eq_u32_e32 vcc, 4, v49
	s_and_saveexec_b64 s[2:3], vcc
	s_cbranch_execz .LBB76_75
; %bb.72:
	v_cmp_ne_u32_e32 vcc, 4, v46
	s_xor_b64 s[18:19], s[16:17], -1
	s_and_b64 s[20:21], s[18:19], vcc
	s_and_saveexec_b64 s[18:19], s[20:21]
	s_cbranch_execz .LBB76_74
; %bb.73:
	v_ashrrev_i32_e32 v47, 31, v46
	v_lshl_add_u64 v[52:53], v[46:47], 2, v[22:23]
	global_load_dword v47, v[52:53], off
	global_load_dword v49, v[22:23], off offset:16
	s_waitcnt vmcnt(1)
	global_store_dword v[22:23], v47, off offset:16
	s_waitcnt vmcnt(1)
	global_store_dword v[52:53], v49, off
.LBB76_74:
	s_or_b64 exec, exec, s[18:19]
	v_mov_b32_e32 v47, v46
	v_mov_b32_e32 v49, v46
.LBB76_75:
	s_or_b64 exec, exec, s[2:3]
.LBB76_76:
	s_andn2_saveexec_b64 s[0:1], s[0:1]
	s_cbranch_execz .LBB76_78
; %bb.77:
	v_mov_b32_e32 v49, 4
	s_waitcnt vmcnt(32)
	ds_write2_b32 v21, v6, v7 offset0:5 offset1:6
	s_waitcnt vmcnt(30)
	ds_write2_b32 v21, v0, v1 offset0:7 offset1:8
	;; [unrolled: 2-line block ×17, first 2 shown]
.LBB76_78:
	s_or_b64 exec, exec, s[0:1]
	v_cmp_lt_i32_e32 vcc, 4, v49
	s_waitcnt lgkmcnt(0)
	s_barrier
	s_and_saveexec_b64 s[0:1], vcc
	s_cbranch_execz .LBB76_80
; %bb.79:
	ds_read2_b32 v[52:53], v21 offset0:5 offset1:6
	ds_read2_b32 v[54:55], v21 offset0:7 offset1:8
	;; [unrolled: 1-line block ×3, first 2 shown]
	v_mul_f32_e32 v46, v51, v11
	ds_read2_b32 v[58:59], v21 offset0:11 offset1:12
	s_waitcnt vmcnt(32) lgkmcnt(3)
	v_pk_fma_f32 v[6:7], v[46:47], v[52:53], v[6:7] op_sel_hi:[0,1,1] neg_lo:[1,0,0] neg_hi:[1,0,0]
	s_waitcnt vmcnt(30) lgkmcnt(2)
	v_pk_fma_f32 v[0:1], v[46:47], v[54:55], v[0:1] op_sel_hi:[0,1,1] neg_lo:[1,0,0] neg_hi:[1,0,0]
	;; [unrolled: 2-line block ×3, first 2 shown]
	ds_read2_b32 v[52:53], v21 offset0:13 offset1:14
	ds_read2_b32 v[54:55], v21 offset0:15 offset1:16
	;; [unrolled: 1-line block ×3, first 2 shown]
	s_waitcnt vmcnt(26) lgkmcnt(3)
	v_pk_fma_f32 v[18:19], v[46:47], v[58:59], v[18:19] op_sel_hi:[0,1,1] neg_lo:[1,0,0] neg_hi:[1,0,0]
	ds_read2_b32 v[58:59], v21 offset0:19 offset1:20
	s_waitcnt vmcnt(24) lgkmcnt(3)
	v_pk_fma_f32 v[12:13], v[46:47], v[52:53], v[12:13] op_sel_hi:[0,1,1] neg_lo:[1,0,0] neg_hi:[1,0,0]
	s_waitcnt vmcnt(22) lgkmcnt(2)
	v_pk_fma_f32 v[8:9], v[46:47], v[54:55], v[8:9] op_sel_hi:[0,1,1] neg_lo:[1,0,0] neg_hi:[1,0,0]
	;; [unrolled: 2-line block ×3, first 2 shown]
	ds_read2_b32 v[52:53], v21 offset0:21 offset1:22
	ds_read2_b32 v[54:55], v21 offset0:23 offset1:24
	;; [unrolled: 1-line block ×4, first 2 shown]
	s_waitcnt vmcnt(18) lgkmcnt(4)
	v_pk_fma_f32 v[30:31], v[46:47], v[58:59], v[30:31] op_sel_hi:[0,1,1] neg_lo:[1,0,0] neg_hi:[1,0,0]
	s_waitcnt vmcnt(16) lgkmcnt(3)
	v_pk_fma_f32 v[24:25], v[46:47], v[52:53], v[24:25] op_sel_hi:[0,1,1] neg_lo:[1,0,0] neg_hi:[1,0,0]
	;; [unrolled: 2-line block ×5, first 2 shown]
	ds_read2_b32 v[52:53], v21 offset0:29 offset1:30
	ds_read2_b32 v[54:55], v21 offset0:31 offset1:32
	;; [unrolled: 1-line block ×5, first 2 shown]
	s_waitcnt vmcnt(8) lgkmcnt(4)
	v_pk_fma_f32 v[32:33], v[46:47], v[52:53], v[32:33] op_sel_hi:[0,1,1] neg_lo:[1,0,0] neg_hi:[1,0,0]
	s_waitcnt vmcnt(6) lgkmcnt(3)
	v_pk_fma_f32 v[26:27], v[46:47], v[54:55], v[26:27] op_sel_hi:[0,1,1] neg_lo:[1,0,0] neg_hi:[1,0,0]
	;; [unrolled: 2-line block ×5, first 2 shown]
	v_mov_b32_e32 v11, v46
.LBB76_80:
	s_or_b64 exec, exec, s[0:1]
	v_lshl_add_u32 v46, v49, 2, v21
	s_barrier
	s_waitcnt vmcnt(33)
	ds_write_b32 v46, v6
	s_waitcnt lgkmcnt(0)
	s_barrier
	ds_read_b32 v51, v21 offset:20
	s_cmp_lt_i32 s22, 7
	v_mov_b32_e32 v46, 5
	s_cbranch_scc1 .LBB76_83
; %bb.81:
	v_add3_u32 v52, v48, 0, 24
	v_mov_b32_e32 v46, 5
	s_mov_b32 s0, 6
.LBB76_82:                              ; =>This Inner Loop Header: Depth=1
	ds_read_b32 v53, v52
	v_mov_b32_e32 v54, s0
	s_add_i32 s0, s0, 1
	v_add_u32_e32 v52, 4, v52
	s_cmp_lg_u32 s22, s0
	s_waitcnt lgkmcnt(0)
	v_cmp_lt_f32_e64 vcc, |v51|, |v53|
	s_nop 1
	v_cndmask_b32_e32 v51, v51, v53, vcc
	v_cndmask_b32_e32 v46, v46, v54, vcc
	s_cbranch_scc1 .LBB76_82
.LBB76_83:
	s_waitcnt lgkmcnt(0)
	v_cmp_eq_f32_e32 vcc, 0, v51
	s_and_saveexec_b64 s[0:1], vcc
	s_xor_b64 s[0:1], exec, s[0:1]
; %bb.84:
	v_cmp_ne_u32_e32 vcc, 0, v50
	s_nop 1
	v_cndmask_b32_e32 v50, 6, v50, vcc
; %bb.85:
	s_andn2_saveexec_b64 s[0:1], s[0:1]
	s_cbranch_execz .LBB76_87
; %bb.86:
	v_div_scale_f32 v52, s[2:3], v51, v51, 1.0
	v_rcp_f32_e32 v53, v52
	v_div_scale_f32 v54, vcc, 1.0, v51, 1.0
	v_fma_f32 v55, -v52, v53, 1.0
	v_fmac_f32_e32 v53, v55, v53
	v_mul_f32_e32 v55, v54, v53
	v_fma_f32 v56, -v52, v55, v54
	v_fmac_f32_e32 v55, v56, v53
	v_fma_f32 v52, -v52, v55, v54
	v_div_fmas_f32 v52, v52, v53, v55
	v_div_fixup_f32 v51, v52, v51, 1.0
.LBB76_87:
	s_or_b64 exec, exec, s[0:1]
	v_cmp_ne_u32_e32 vcc, v49, v46
	s_and_saveexec_b64 s[0:1], vcc
	s_xor_b64 s[0:1], exec, s[0:1]
	s_cbranch_execz .LBB76_93
; %bb.88:
	v_cmp_eq_u32_e32 vcc, 5, v49
	s_and_saveexec_b64 s[2:3], vcc
	s_cbranch_execz .LBB76_92
; %bb.89:
	v_cmp_ne_u32_e32 vcc, 5, v46
	s_xor_b64 s[18:19], s[16:17], -1
	s_and_b64 s[20:21], s[18:19], vcc
	s_and_saveexec_b64 s[18:19], s[20:21]
	s_cbranch_execz .LBB76_91
; %bb.90:
	v_ashrrev_i32_e32 v47, 31, v46
	v_lshl_add_u64 v[52:53], v[46:47], 2, v[22:23]
	global_load_dword v47, v[52:53], off
	global_load_dword v49, v[22:23], off offset:20
	s_waitcnt vmcnt(1)
	global_store_dword v[22:23], v47, off offset:20
	s_waitcnt vmcnt(1)
	global_store_dword v[52:53], v49, off
.LBB76_91:
	s_or_b64 exec, exec, s[18:19]
	v_mov_b32_e32 v47, v46
	v_mov_b32_e32 v49, v46
.LBB76_92:
	s_or_b64 exec, exec, s[2:3]
.LBB76_93:
	s_andn2_saveexec_b64 s[0:1], s[0:1]
	s_cbranch_execz .LBB76_95
; %bb.94:
	s_waitcnt vmcnt(30)
	v_pk_mov_b32 v[52:53], v[6:7], v[0:1] op_sel:[1,0]
	ds_write2_b32 v21, v52, v53 offset0:6 offset1:7
	s_waitcnt vmcnt(28)
	v_pk_mov_b32 v[52:53], v[0:1], v[28:29] op_sel:[1,0]
	ds_write2_b32 v21, v52, v53 offset0:8 offset1:9
	;; [unrolled: 3-line block ×15, first 2 shown]
	s_waitcnt vmcnt(0)
	v_pk_mov_b32 v[52:53], v[40:41], v[38:39] op_sel:[1,0]
	v_mov_b32_e32 v49, 5
	ds_write2_b32 v21, v52, v53 offset0:36 offset1:37
	ds_write_b32 v21, v39 offset:152
.LBB76_95:
	s_or_b64 exec, exec, s[0:1]
	v_cmp_lt_i32_e32 vcc, 5, v49
	s_waitcnt lgkmcnt(0)
	s_barrier
	s_and_saveexec_b64 s[0:1], vcc
	s_cbranch_execz .LBB76_97
; %bb.96:
	ds_read_b32 v46, v21 offset:24
	ds_read2_b32 v[52:53], v21 offset0:7 offset1:8
	ds_read2_b32 v[54:55], v21 offset0:9 offset1:10
	v_mul_f32_e32 v6, v51, v6
	ds_read2_b32 v[56:57], v21 offset0:11 offset1:12
	s_waitcnt vmcnt(32) lgkmcnt(3)
	v_fma_f32 v7, -v6, v46, v7
	s_waitcnt vmcnt(30) lgkmcnt(2)
	v_pk_fma_f32 v[0:1], v[6:7], v[52:53], v[0:1] op_sel_hi:[0,1,1] neg_lo:[1,0,0] neg_hi:[1,0,0]
	s_waitcnt vmcnt(28) lgkmcnt(1)
	v_pk_fma_f32 v[28:29], v[6:7], v[54:55], v[28:29] op_sel_hi:[0,1,1] neg_lo:[1,0,0] neg_hi:[1,0,0]
	ds_read2_b32 v[52:53], v21 offset0:13 offset1:14
	ds_read2_b32 v[54:55], v21 offset0:15 offset1:16
	;; [unrolled: 1-line block ×3, first 2 shown]
	s_waitcnt vmcnt(26) lgkmcnt(3)
	v_pk_fma_f32 v[18:19], v[6:7], v[56:57], v[18:19] op_sel_hi:[0,1,1] neg_lo:[1,0,0] neg_hi:[1,0,0]
	ds_read2_b32 v[56:57], v21 offset0:19 offset1:20
	s_waitcnt vmcnt(24) lgkmcnt(3)
	v_pk_fma_f32 v[12:13], v[6:7], v[52:53], v[12:13] op_sel_hi:[0,1,1] neg_lo:[1,0,0] neg_hi:[1,0,0]
	s_waitcnt vmcnt(22) lgkmcnt(2)
	v_pk_fma_f32 v[8:9], v[6:7], v[54:55], v[8:9] op_sel_hi:[0,1,1] neg_lo:[1,0,0] neg_hi:[1,0,0]
	;; [unrolled: 2-line block ×3, first 2 shown]
	ds_read2_b32 v[52:53], v21 offset0:21 offset1:22
	ds_read2_b32 v[54:55], v21 offset0:23 offset1:24
	ds_read2_b32 v[58:59], v21 offset0:25 offset1:26
	ds_read2_b32 v[60:61], v21 offset0:27 offset1:28
	s_waitcnt vmcnt(18) lgkmcnt(4)
	v_pk_fma_f32 v[30:31], v[6:7], v[56:57], v[30:31] op_sel_hi:[0,1,1] neg_lo:[1,0,0] neg_hi:[1,0,0]
	s_waitcnt vmcnt(16) lgkmcnt(3)
	v_pk_fma_f32 v[24:25], v[6:7], v[52:53], v[24:25] op_sel_hi:[0,1,1] neg_lo:[1,0,0] neg_hi:[1,0,0]
	;; [unrolled: 2-line block ×5, first 2 shown]
	ds_read2_b32 v[52:53], v21 offset0:29 offset1:30
	ds_read2_b32 v[54:55], v21 offset0:31 offset1:32
	;; [unrolled: 1-line block ×5, first 2 shown]
	s_waitcnt vmcnt(8) lgkmcnt(4)
	v_pk_fma_f32 v[32:33], v[6:7], v[52:53], v[32:33] op_sel_hi:[0,1,1] neg_lo:[1,0,0] neg_hi:[1,0,0]
	s_waitcnt vmcnt(6) lgkmcnt(3)
	v_pk_fma_f32 v[26:27], v[6:7], v[54:55], v[26:27] op_sel_hi:[0,1,1] neg_lo:[1,0,0] neg_hi:[1,0,0]
	;; [unrolled: 2-line block ×5, first 2 shown]
.LBB76_97:
	s_or_b64 exec, exec, s[0:1]
	v_lshl_add_u32 v46, v49, 2, v21
	s_barrier
	s_waitcnt vmcnt(32)
	ds_write_b32 v46, v7
	s_waitcnt lgkmcnt(0)
	s_barrier
	ds_read_b32 v51, v21 offset:24
	s_cmp_lt_i32 s22, 8
	v_mov_b32_e32 v46, 6
	s_cbranch_scc1 .LBB76_100
; %bb.98:
	v_add3_u32 v52, v48, 0, 28
	v_mov_b32_e32 v46, 6
	s_mov_b32 s0, 7
.LBB76_99:                              ; =>This Inner Loop Header: Depth=1
	ds_read_b32 v53, v52
	v_mov_b32_e32 v54, s0
	s_add_i32 s0, s0, 1
	v_add_u32_e32 v52, 4, v52
	s_cmp_lg_u32 s22, s0
	s_waitcnt lgkmcnt(0)
	v_cmp_lt_f32_e64 vcc, |v51|, |v53|
	s_nop 1
	v_cndmask_b32_e32 v51, v51, v53, vcc
	v_cndmask_b32_e32 v46, v46, v54, vcc
	s_cbranch_scc1 .LBB76_99
.LBB76_100:
	s_waitcnt lgkmcnt(0)
	v_cmp_eq_f32_e32 vcc, 0, v51
	s_and_saveexec_b64 s[0:1], vcc
	s_xor_b64 s[0:1], exec, s[0:1]
; %bb.101:
	v_cmp_ne_u32_e32 vcc, 0, v50
	s_nop 1
	v_cndmask_b32_e32 v50, 7, v50, vcc
; %bb.102:
	s_andn2_saveexec_b64 s[0:1], s[0:1]
	s_cbranch_execz .LBB76_104
; %bb.103:
	v_div_scale_f32 v52, s[2:3], v51, v51, 1.0
	v_rcp_f32_e32 v53, v52
	v_div_scale_f32 v54, vcc, 1.0, v51, 1.0
	v_fma_f32 v55, -v52, v53, 1.0
	v_fmac_f32_e32 v53, v55, v53
	v_mul_f32_e32 v55, v54, v53
	v_fma_f32 v56, -v52, v55, v54
	v_fmac_f32_e32 v55, v56, v53
	v_fma_f32 v52, -v52, v55, v54
	v_div_fmas_f32 v52, v52, v53, v55
	v_div_fixup_f32 v51, v52, v51, 1.0
.LBB76_104:
	s_or_b64 exec, exec, s[0:1]
	v_cmp_ne_u32_e32 vcc, v49, v46
	s_and_saveexec_b64 s[0:1], vcc
	s_xor_b64 s[0:1], exec, s[0:1]
	s_cbranch_execz .LBB76_110
; %bb.105:
	v_cmp_eq_u32_e32 vcc, 6, v49
	s_and_saveexec_b64 s[2:3], vcc
	s_cbranch_execz .LBB76_109
; %bb.106:
	v_cmp_ne_u32_e32 vcc, 6, v46
	s_xor_b64 s[18:19], s[16:17], -1
	s_and_b64 s[20:21], s[18:19], vcc
	s_and_saveexec_b64 s[18:19], s[20:21]
	s_cbranch_execz .LBB76_108
; %bb.107:
	v_ashrrev_i32_e32 v47, 31, v46
	v_lshl_add_u64 v[52:53], v[46:47], 2, v[22:23]
	global_load_dword v47, v[52:53], off
	global_load_dword v49, v[22:23], off offset:24
	s_waitcnt vmcnt(1)
	global_store_dword v[22:23], v47, off offset:24
	s_waitcnt vmcnt(1)
	global_store_dword v[52:53], v49, off
.LBB76_108:
	s_or_b64 exec, exec, s[18:19]
	v_mov_b32_e32 v47, v46
	v_mov_b32_e32 v49, v46
.LBB76_109:
	s_or_b64 exec, exec, s[2:3]
.LBB76_110:
	s_andn2_saveexec_b64 s[0:1], s[0:1]
	s_cbranch_execz .LBB76_112
; %bb.111:
	v_mov_b32_e32 v49, 6
	s_waitcnt vmcnt(30)
	ds_write2_b32 v21, v0, v1 offset0:7 offset1:8
	s_waitcnt vmcnt(28)
	ds_write2_b32 v21, v28, v29 offset0:9 offset1:10
	;; [unrolled: 2-line block ×16, first 2 shown]
.LBB76_112:
	s_or_b64 exec, exec, s[0:1]
	v_cmp_lt_i32_e32 vcc, 6, v49
	s_waitcnt lgkmcnt(0)
	s_barrier
	s_and_saveexec_b64 s[0:1], vcc
	s_cbranch_execz .LBB76_114
; %bb.113:
	ds_read2_b32 v[52:53], v21 offset0:7 offset1:8
	ds_read2_b32 v[54:55], v21 offset0:9 offset1:10
	;; [unrolled: 1-line block ×3, first 2 shown]
	v_mul_f32_e32 v46, v51, v7
	ds_read2_b32 v[58:59], v21 offset0:13 offset1:14
	s_waitcnt vmcnt(30) lgkmcnt(3)
	v_pk_fma_f32 v[0:1], v[46:47], v[52:53], v[0:1] op_sel_hi:[0,1,1] neg_lo:[1,0,0] neg_hi:[1,0,0]
	s_waitcnt vmcnt(28) lgkmcnt(2)
	v_pk_fma_f32 v[28:29], v[46:47], v[54:55], v[28:29] op_sel_hi:[0,1,1] neg_lo:[1,0,0] neg_hi:[1,0,0]
	;; [unrolled: 2-line block ×3, first 2 shown]
	ds_read2_b32 v[52:53], v21 offset0:15 offset1:16
	ds_read2_b32 v[54:55], v21 offset0:17 offset1:18
	;; [unrolled: 1-line block ×3, first 2 shown]
	s_waitcnt vmcnt(24) lgkmcnt(3)
	v_pk_fma_f32 v[12:13], v[46:47], v[58:59], v[12:13] op_sel_hi:[0,1,1] neg_lo:[1,0,0] neg_hi:[1,0,0]
	ds_read2_b32 v[58:59], v21 offset0:21 offset1:22
	s_waitcnt vmcnt(22) lgkmcnt(3)
	v_pk_fma_f32 v[8:9], v[46:47], v[52:53], v[8:9] op_sel_hi:[0,1,1] neg_lo:[1,0,0] neg_hi:[1,0,0]
	s_waitcnt vmcnt(20) lgkmcnt(2)
	v_pk_fma_f32 v[34:35], v[46:47], v[54:55], v[34:35] op_sel_hi:[0,1,1] neg_lo:[1,0,0] neg_hi:[1,0,0]
	;; [unrolled: 2-line block ×3, first 2 shown]
	ds_read2_b32 v[52:53], v21 offset0:23 offset1:24
	ds_read2_b32 v[54:55], v21 offset0:25 offset1:26
	ds_read2_b32 v[56:57], v21 offset0:27 offset1:28
	s_waitcnt vmcnt(16) lgkmcnt(3)
	v_pk_fma_f32 v[24:25], v[46:47], v[58:59], v[24:25] op_sel_hi:[0,1,1] neg_lo:[1,0,0] neg_hi:[1,0,0]
	ds_read2_b32 v[58:59], v21 offset0:29 offset1:30
	s_waitcnt vmcnt(14) lgkmcnt(3)
	v_pk_fma_f32 v[16:17], v[46:47], v[52:53], v[16:17] op_sel_hi:[0,1,1] neg_lo:[1,0,0] neg_hi:[1,0,0]
	s_waitcnt vmcnt(12) lgkmcnt(2)
	v_pk_fma_f32 v[42:43], v[46:47], v[54:55], v[42:43] op_sel_hi:[0,1,1] neg_lo:[1,0,0] neg_hi:[1,0,0]
	;; [unrolled: 2-line block ×3, first 2 shown]
	ds_read2_b32 v[52:53], v21 offset0:31 offset1:32
	ds_read2_b32 v[54:55], v21 offset0:33 offset1:34
	;; [unrolled: 1-line block ×4, first 2 shown]
	s_waitcnt vmcnt(8) lgkmcnt(4)
	v_pk_fma_f32 v[32:33], v[46:47], v[58:59], v[32:33] op_sel_hi:[0,1,1] neg_lo:[1,0,0] neg_hi:[1,0,0]
	s_waitcnt vmcnt(6) lgkmcnt(3)
	v_pk_fma_f32 v[26:27], v[46:47], v[52:53], v[26:27] op_sel_hi:[0,1,1] neg_lo:[1,0,0] neg_hi:[1,0,0]
	;; [unrolled: 2-line block ×5, first 2 shown]
	v_mov_b32_e32 v7, v46
.LBB76_114:
	s_or_b64 exec, exec, s[0:1]
	v_lshl_add_u32 v46, v49, 2, v21
	s_barrier
	s_waitcnt vmcnt(31)
	ds_write_b32 v46, v0
	s_waitcnt lgkmcnt(0)
	s_barrier
	ds_read_b32 v51, v21 offset:28
	s_cmp_lt_i32 s22, 9
	v_mov_b32_e32 v46, 7
	s_cbranch_scc1 .LBB76_117
; %bb.115:
	v_add3_u32 v52, v48, 0, 32
	v_mov_b32_e32 v46, 7
	s_mov_b32 s0, 8
.LBB76_116:                             ; =>This Inner Loop Header: Depth=1
	ds_read_b32 v53, v52
	v_mov_b32_e32 v54, s0
	s_add_i32 s0, s0, 1
	v_add_u32_e32 v52, 4, v52
	s_cmp_lg_u32 s22, s0
	s_waitcnt lgkmcnt(0)
	v_cmp_lt_f32_e64 vcc, |v51|, |v53|
	s_nop 1
	v_cndmask_b32_e32 v51, v51, v53, vcc
	v_cndmask_b32_e32 v46, v46, v54, vcc
	s_cbranch_scc1 .LBB76_116
.LBB76_117:
	s_waitcnt lgkmcnt(0)
	v_cmp_eq_f32_e32 vcc, 0, v51
	s_and_saveexec_b64 s[0:1], vcc
	s_xor_b64 s[0:1], exec, s[0:1]
; %bb.118:
	v_cmp_ne_u32_e32 vcc, 0, v50
	s_nop 1
	v_cndmask_b32_e32 v50, 8, v50, vcc
; %bb.119:
	s_andn2_saveexec_b64 s[0:1], s[0:1]
	s_cbranch_execz .LBB76_121
; %bb.120:
	v_div_scale_f32 v52, s[2:3], v51, v51, 1.0
	v_rcp_f32_e32 v53, v52
	v_div_scale_f32 v54, vcc, 1.0, v51, 1.0
	v_fma_f32 v55, -v52, v53, 1.0
	v_fmac_f32_e32 v53, v55, v53
	v_mul_f32_e32 v55, v54, v53
	v_fma_f32 v56, -v52, v55, v54
	v_fmac_f32_e32 v55, v56, v53
	v_fma_f32 v52, -v52, v55, v54
	v_div_fmas_f32 v52, v52, v53, v55
	v_div_fixup_f32 v51, v52, v51, 1.0
.LBB76_121:
	s_or_b64 exec, exec, s[0:1]
	v_cmp_ne_u32_e32 vcc, v49, v46
	s_and_saveexec_b64 s[0:1], vcc
	s_xor_b64 s[0:1], exec, s[0:1]
	s_cbranch_execz .LBB76_127
; %bb.122:
	v_cmp_eq_u32_e32 vcc, 7, v49
	s_and_saveexec_b64 s[2:3], vcc
	s_cbranch_execz .LBB76_126
; %bb.123:
	v_cmp_ne_u32_e32 vcc, 7, v46
	s_xor_b64 s[18:19], s[16:17], -1
	s_and_b64 s[20:21], s[18:19], vcc
	s_and_saveexec_b64 s[18:19], s[20:21]
	s_cbranch_execz .LBB76_125
; %bb.124:
	v_ashrrev_i32_e32 v47, 31, v46
	v_lshl_add_u64 v[52:53], v[46:47], 2, v[22:23]
	global_load_dword v47, v[52:53], off
	global_load_dword v49, v[22:23], off offset:28
	s_waitcnt vmcnt(1)
	global_store_dword v[22:23], v47, off offset:28
	s_waitcnt vmcnt(1)
	global_store_dword v[52:53], v49, off
.LBB76_125:
	s_or_b64 exec, exec, s[18:19]
	v_mov_b32_e32 v47, v46
	v_mov_b32_e32 v49, v46
.LBB76_126:
	s_or_b64 exec, exec, s[2:3]
.LBB76_127:
	s_andn2_saveexec_b64 s[0:1], s[0:1]
	s_cbranch_execz .LBB76_129
; %bb.128:
	s_waitcnt vmcnt(28)
	v_pk_mov_b32 v[52:53], v[0:1], v[28:29] op_sel:[1,0]
	ds_write2_b32 v21, v52, v53 offset0:8 offset1:9
	s_waitcnt vmcnt(26)
	v_pk_mov_b32 v[52:53], v[28:29], v[18:19] op_sel:[1,0]
	ds_write2_b32 v21, v52, v53 offset0:10 offset1:11
	;; [unrolled: 3-line block ×14, first 2 shown]
	s_waitcnt vmcnt(0)
	v_pk_mov_b32 v[52:53], v[40:41], v[38:39] op_sel:[1,0]
	v_mov_b32_e32 v49, 7
	ds_write2_b32 v21, v52, v53 offset0:36 offset1:37
	ds_write_b32 v21, v39 offset:152
.LBB76_129:
	s_or_b64 exec, exec, s[0:1]
	v_cmp_lt_i32_e32 vcc, 7, v49
	s_waitcnt lgkmcnt(0)
	s_barrier
	s_and_saveexec_b64 s[0:1], vcc
	s_cbranch_execz .LBB76_131
; %bb.130:
	ds_read_b32 v46, v21 offset:32
	ds_read2_b32 v[52:53], v21 offset0:9 offset1:10
	ds_read2_b32 v[54:55], v21 offset0:11 offset1:12
	v_mul_f32_e32 v0, v51, v0
	ds_read2_b32 v[56:57], v21 offset0:13 offset1:14
	s_waitcnt vmcnt(30) lgkmcnt(3)
	v_fma_f32 v1, -v0, v46, v1
	s_waitcnt vmcnt(28) lgkmcnt(2)
	v_pk_fma_f32 v[28:29], v[0:1], v[52:53], v[28:29] op_sel_hi:[0,1,1] neg_lo:[1,0,0] neg_hi:[1,0,0]
	s_waitcnt vmcnt(26) lgkmcnt(1)
	v_pk_fma_f32 v[18:19], v[0:1], v[54:55], v[18:19] op_sel_hi:[0,1,1] neg_lo:[1,0,0] neg_hi:[1,0,0]
	ds_read2_b32 v[52:53], v21 offset0:15 offset1:16
	ds_read2_b32 v[54:55], v21 offset0:17 offset1:18
	;; [unrolled: 1-line block ×3, first 2 shown]
	s_waitcnt vmcnt(24) lgkmcnt(3)
	v_pk_fma_f32 v[12:13], v[0:1], v[56:57], v[12:13] op_sel_hi:[0,1,1] neg_lo:[1,0,0] neg_hi:[1,0,0]
	ds_read2_b32 v[56:57], v21 offset0:21 offset1:22
	s_waitcnt vmcnt(22) lgkmcnt(3)
	v_pk_fma_f32 v[8:9], v[0:1], v[52:53], v[8:9] op_sel_hi:[0,1,1] neg_lo:[1,0,0] neg_hi:[1,0,0]
	s_waitcnt vmcnt(20) lgkmcnt(2)
	v_pk_fma_f32 v[34:35], v[0:1], v[54:55], v[34:35] op_sel_hi:[0,1,1] neg_lo:[1,0,0] neg_hi:[1,0,0]
	;; [unrolled: 2-line block ×3, first 2 shown]
	ds_read2_b32 v[52:53], v21 offset0:23 offset1:24
	ds_read2_b32 v[54:55], v21 offset0:25 offset1:26
	ds_read2_b32 v[58:59], v21 offset0:27 offset1:28
	s_waitcnt vmcnt(16) lgkmcnt(3)
	v_pk_fma_f32 v[24:25], v[0:1], v[56:57], v[24:25] op_sel_hi:[0,1,1] neg_lo:[1,0,0] neg_hi:[1,0,0]
	ds_read2_b32 v[56:57], v21 offset0:29 offset1:30
	s_waitcnt vmcnt(14) lgkmcnt(3)
	v_pk_fma_f32 v[16:17], v[0:1], v[52:53], v[16:17] op_sel_hi:[0,1,1] neg_lo:[1,0,0] neg_hi:[1,0,0]
	s_waitcnt vmcnt(12) lgkmcnt(2)
	v_pk_fma_f32 v[42:43], v[0:1], v[54:55], v[42:43] op_sel_hi:[0,1,1] neg_lo:[1,0,0] neg_hi:[1,0,0]
	;; [unrolled: 2-line block ×3, first 2 shown]
	ds_read2_b32 v[52:53], v21 offset0:31 offset1:32
	ds_read2_b32 v[54:55], v21 offset0:33 offset1:34
	;; [unrolled: 1-line block ×4, first 2 shown]
	s_waitcnt vmcnt(8) lgkmcnt(4)
	v_pk_fma_f32 v[32:33], v[0:1], v[56:57], v[32:33] op_sel_hi:[0,1,1] neg_lo:[1,0,0] neg_hi:[1,0,0]
	s_waitcnt vmcnt(6) lgkmcnt(3)
	v_pk_fma_f32 v[26:27], v[0:1], v[52:53], v[26:27] op_sel_hi:[0,1,1] neg_lo:[1,0,0] neg_hi:[1,0,0]
	;; [unrolled: 2-line block ×5, first 2 shown]
.LBB76_131:
	s_or_b64 exec, exec, s[0:1]
	v_lshl_add_u32 v46, v49, 2, v21
	s_barrier
	s_waitcnt vmcnt(30)
	ds_write_b32 v46, v1
	s_waitcnt lgkmcnt(0)
	s_barrier
	ds_read_b32 v51, v21 offset:32
	s_cmp_lt_i32 s22, 10
	v_mov_b32_e32 v46, 8
	s_cbranch_scc1 .LBB76_134
; %bb.132:
	v_add3_u32 v52, v48, 0, 36
	v_mov_b32_e32 v46, 8
	s_mov_b32 s0, 9
.LBB76_133:                             ; =>This Inner Loop Header: Depth=1
	ds_read_b32 v53, v52
	v_mov_b32_e32 v54, s0
	s_add_i32 s0, s0, 1
	v_add_u32_e32 v52, 4, v52
	s_cmp_lg_u32 s22, s0
	s_waitcnt lgkmcnt(0)
	v_cmp_lt_f32_e64 vcc, |v51|, |v53|
	s_nop 1
	v_cndmask_b32_e32 v51, v51, v53, vcc
	v_cndmask_b32_e32 v46, v46, v54, vcc
	s_cbranch_scc1 .LBB76_133
.LBB76_134:
	s_waitcnt lgkmcnt(0)
	v_cmp_eq_f32_e32 vcc, 0, v51
	s_and_saveexec_b64 s[0:1], vcc
	s_xor_b64 s[0:1], exec, s[0:1]
; %bb.135:
	v_cmp_ne_u32_e32 vcc, 0, v50
	s_nop 1
	v_cndmask_b32_e32 v50, 9, v50, vcc
; %bb.136:
	s_andn2_saveexec_b64 s[0:1], s[0:1]
	s_cbranch_execz .LBB76_138
; %bb.137:
	v_div_scale_f32 v52, s[2:3], v51, v51, 1.0
	v_rcp_f32_e32 v53, v52
	v_div_scale_f32 v54, vcc, 1.0, v51, 1.0
	v_fma_f32 v55, -v52, v53, 1.0
	v_fmac_f32_e32 v53, v55, v53
	v_mul_f32_e32 v55, v54, v53
	v_fma_f32 v56, -v52, v55, v54
	v_fmac_f32_e32 v55, v56, v53
	v_fma_f32 v52, -v52, v55, v54
	v_div_fmas_f32 v52, v52, v53, v55
	v_div_fixup_f32 v51, v52, v51, 1.0
.LBB76_138:
	s_or_b64 exec, exec, s[0:1]
	v_cmp_ne_u32_e32 vcc, v49, v46
	s_and_saveexec_b64 s[0:1], vcc
	s_xor_b64 s[0:1], exec, s[0:1]
	s_cbranch_execz .LBB76_144
; %bb.139:
	v_cmp_eq_u32_e32 vcc, 8, v49
	s_and_saveexec_b64 s[2:3], vcc
	s_cbranch_execz .LBB76_143
; %bb.140:
	v_cmp_ne_u32_e32 vcc, 8, v46
	s_xor_b64 s[18:19], s[16:17], -1
	s_and_b64 s[20:21], s[18:19], vcc
	s_and_saveexec_b64 s[18:19], s[20:21]
	s_cbranch_execz .LBB76_142
; %bb.141:
	v_ashrrev_i32_e32 v47, 31, v46
	v_lshl_add_u64 v[52:53], v[46:47], 2, v[22:23]
	global_load_dword v47, v[52:53], off
	global_load_dword v49, v[22:23], off offset:32
	s_waitcnt vmcnt(1)
	global_store_dword v[22:23], v47, off offset:32
	s_waitcnt vmcnt(1)
	global_store_dword v[52:53], v49, off
.LBB76_142:
	s_or_b64 exec, exec, s[18:19]
	v_mov_b32_e32 v47, v46
	v_mov_b32_e32 v49, v46
.LBB76_143:
	s_or_b64 exec, exec, s[2:3]
.LBB76_144:
	s_andn2_saveexec_b64 s[0:1], s[0:1]
	s_cbranch_execz .LBB76_146
; %bb.145:
	v_mov_b32_e32 v49, 8
	s_waitcnt vmcnt(28)
	ds_write2_b32 v21, v28, v29 offset0:9 offset1:10
	s_waitcnt vmcnt(26)
	ds_write2_b32 v21, v18, v19 offset0:11 offset1:12
	;; [unrolled: 2-line block ×15, first 2 shown]
.LBB76_146:
	s_or_b64 exec, exec, s[0:1]
	v_cmp_lt_i32_e32 vcc, 8, v49
	s_waitcnt lgkmcnt(0)
	s_barrier
	s_and_saveexec_b64 s[0:1], vcc
	s_cbranch_execz .LBB76_148
; %bb.147:
	ds_read2_b32 v[52:53], v21 offset0:9 offset1:10
	ds_read2_b32 v[54:55], v21 offset0:11 offset1:12
	;; [unrolled: 1-line block ×3, first 2 shown]
	v_mul_f32_e32 v46, v51, v1
	ds_read2_b32 v[58:59], v21 offset0:15 offset1:16
	s_waitcnt vmcnt(28) lgkmcnt(3)
	v_pk_fma_f32 v[28:29], v[46:47], v[52:53], v[28:29] op_sel_hi:[0,1,1] neg_lo:[1,0,0] neg_hi:[1,0,0]
	s_waitcnt vmcnt(26) lgkmcnt(2)
	v_pk_fma_f32 v[18:19], v[46:47], v[54:55], v[18:19] op_sel_hi:[0,1,1] neg_lo:[1,0,0] neg_hi:[1,0,0]
	;; [unrolled: 2-line block ×3, first 2 shown]
	ds_read2_b32 v[52:53], v21 offset0:17 offset1:18
	ds_read2_b32 v[54:55], v21 offset0:19 offset1:20
	;; [unrolled: 1-line block ×3, first 2 shown]
	s_waitcnt vmcnt(22) lgkmcnt(3)
	v_pk_fma_f32 v[8:9], v[46:47], v[58:59], v[8:9] op_sel_hi:[0,1,1] neg_lo:[1,0,0] neg_hi:[1,0,0]
	ds_read2_b32 v[58:59], v21 offset0:23 offset1:24
	s_waitcnt vmcnt(20) lgkmcnt(3)
	v_pk_fma_f32 v[34:35], v[46:47], v[52:53], v[34:35] op_sel_hi:[0,1,1] neg_lo:[1,0,0] neg_hi:[1,0,0]
	s_waitcnt vmcnt(18) lgkmcnt(2)
	v_pk_fma_f32 v[30:31], v[46:47], v[54:55], v[30:31] op_sel_hi:[0,1,1] neg_lo:[1,0,0] neg_hi:[1,0,0]
	ds_read2_b32 v[52:53], v21 offset0:25 offset1:26
	ds_read2_b32 v[54:55], v21 offset0:27 offset1:28
	s_waitcnt vmcnt(16) lgkmcnt(3)
	v_pk_fma_f32 v[24:25], v[46:47], v[56:57], v[24:25] op_sel_hi:[0,1,1] neg_lo:[1,0,0] neg_hi:[1,0,0]
	s_waitcnt vmcnt(14) lgkmcnt(2)
	v_pk_fma_f32 v[16:17], v[46:47], v[58:59], v[16:17] op_sel_hi:[0,1,1] neg_lo:[1,0,0] neg_hi:[1,0,0]
	ds_read2_b32 v[56:57], v21 offset0:29 offset1:30
	;; [unrolled: 6-line block ×3, first 2 shown]
	ds_read2_b32 v[54:55], v21 offset0:35 offset1:36
	ds_read2_b32 v[60:61], v21 offset0:37 offset1:38
	s_waitcnt vmcnt(8) lgkmcnt(4)
	v_pk_fma_f32 v[32:33], v[46:47], v[56:57], v[32:33] op_sel_hi:[0,1,1] neg_lo:[1,0,0] neg_hi:[1,0,0]
	s_waitcnt vmcnt(6) lgkmcnt(3)
	v_pk_fma_f32 v[26:27], v[46:47], v[58:59], v[26:27] op_sel_hi:[0,1,1] neg_lo:[1,0,0] neg_hi:[1,0,0]
	;; [unrolled: 2-line block ×5, first 2 shown]
	v_mov_b32_e32 v1, v46
.LBB76_148:
	s_or_b64 exec, exec, s[0:1]
	v_lshl_add_u32 v46, v49, 2, v21
	s_barrier
	s_waitcnt vmcnt(29)
	ds_write_b32 v46, v28
	s_waitcnt lgkmcnt(0)
	s_barrier
	ds_read_b32 v51, v21 offset:36
	s_cmp_lt_i32 s22, 11
	v_mov_b32_e32 v46, 9
	s_cbranch_scc1 .LBB76_151
; %bb.149:
	v_add3_u32 v52, v48, 0, 40
	v_mov_b32_e32 v46, 9
	s_mov_b32 s0, 10
.LBB76_150:                             ; =>This Inner Loop Header: Depth=1
	ds_read_b32 v53, v52
	v_mov_b32_e32 v54, s0
	s_add_i32 s0, s0, 1
	v_add_u32_e32 v52, 4, v52
	s_cmp_lg_u32 s22, s0
	s_waitcnt lgkmcnt(0)
	v_cmp_lt_f32_e64 vcc, |v51|, |v53|
	s_nop 1
	v_cndmask_b32_e32 v51, v51, v53, vcc
	v_cndmask_b32_e32 v46, v46, v54, vcc
	s_cbranch_scc1 .LBB76_150
.LBB76_151:
	s_waitcnt lgkmcnt(0)
	v_cmp_eq_f32_e32 vcc, 0, v51
	s_and_saveexec_b64 s[0:1], vcc
	s_xor_b64 s[0:1], exec, s[0:1]
; %bb.152:
	v_cmp_ne_u32_e32 vcc, 0, v50
	s_nop 1
	v_cndmask_b32_e32 v50, 10, v50, vcc
; %bb.153:
	s_andn2_saveexec_b64 s[0:1], s[0:1]
	s_cbranch_execz .LBB76_155
; %bb.154:
	v_div_scale_f32 v52, s[2:3], v51, v51, 1.0
	v_rcp_f32_e32 v53, v52
	v_div_scale_f32 v54, vcc, 1.0, v51, 1.0
	v_fma_f32 v55, -v52, v53, 1.0
	v_fmac_f32_e32 v53, v55, v53
	v_mul_f32_e32 v55, v54, v53
	v_fma_f32 v56, -v52, v55, v54
	v_fmac_f32_e32 v55, v56, v53
	v_fma_f32 v52, -v52, v55, v54
	v_div_fmas_f32 v52, v52, v53, v55
	v_div_fixup_f32 v51, v52, v51, 1.0
.LBB76_155:
	s_or_b64 exec, exec, s[0:1]
	v_cmp_ne_u32_e32 vcc, v49, v46
	s_and_saveexec_b64 s[0:1], vcc
	s_xor_b64 s[0:1], exec, s[0:1]
	s_cbranch_execz .LBB76_161
; %bb.156:
	v_cmp_eq_u32_e32 vcc, 9, v49
	s_and_saveexec_b64 s[2:3], vcc
	s_cbranch_execz .LBB76_160
; %bb.157:
	v_cmp_ne_u32_e32 vcc, 9, v46
	s_xor_b64 s[18:19], s[16:17], -1
	s_and_b64 s[20:21], s[18:19], vcc
	s_and_saveexec_b64 s[18:19], s[20:21]
	s_cbranch_execz .LBB76_159
; %bb.158:
	v_ashrrev_i32_e32 v47, 31, v46
	v_lshl_add_u64 v[52:53], v[46:47], 2, v[22:23]
	global_load_dword v47, v[52:53], off
	global_load_dword v49, v[22:23], off offset:36
	s_waitcnt vmcnt(1)
	global_store_dword v[22:23], v47, off offset:36
	s_waitcnt vmcnt(1)
	global_store_dword v[52:53], v49, off
.LBB76_159:
	s_or_b64 exec, exec, s[18:19]
	v_mov_b32_e32 v47, v46
	v_mov_b32_e32 v49, v46
.LBB76_160:
	s_or_b64 exec, exec, s[2:3]
.LBB76_161:
	s_andn2_saveexec_b64 s[0:1], s[0:1]
	s_cbranch_execz .LBB76_163
; %bb.162:
	s_waitcnt vmcnt(26)
	v_pk_mov_b32 v[52:53], v[28:29], v[18:19] op_sel:[1,0]
	ds_write2_b32 v21, v52, v53 offset0:10 offset1:11
	s_waitcnt vmcnt(24)
	v_pk_mov_b32 v[52:53], v[18:19], v[12:13] op_sel:[1,0]
	ds_write2_b32 v21, v52, v53 offset0:12 offset1:13
	;; [unrolled: 3-line block ×13, first 2 shown]
	s_waitcnt vmcnt(0)
	v_pk_mov_b32 v[52:53], v[40:41], v[38:39] op_sel:[1,0]
	v_mov_b32_e32 v49, 9
	ds_write2_b32 v21, v52, v53 offset0:36 offset1:37
	ds_write_b32 v21, v39 offset:152
.LBB76_163:
	s_or_b64 exec, exec, s[0:1]
	v_cmp_lt_i32_e32 vcc, 9, v49
	s_waitcnt lgkmcnt(0)
	s_barrier
	s_and_saveexec_b64 s[0:1], vcc
	s_cbranch_execz .LBB76_165
; %bb.164:
	ds_read_b32 v46, v21 offset:40
	ds_read2_b32 v[52:53], v21 offset0:11 offset1:12
	ds_read2_b32 v[54:55], v21 offset0:13 offset1:14
	v_mul_f32_e32 v28, v51, v28
	ds_read2_b32 v[56:57], v21 offset0:15 offset1:16
	s_waitcnt vmcnt(28) lgkmcnt(3)
	v_fma_f32 v29, -v28, v46, v29
	s_waitcnt vmcnt(26) lgkmcnt(2)
	v_pk_fma_f32 v[18:19], v[28:29], v[52:53], v[18:19] op_sel_hi:[0,1,1] neg_lo:[1,0,0] neg_hi:[1,0,0]
	s_waitcnt vmcnt(24) lgkmcnt(1)
	v_pk_fma_f32 v[12:13], v[28:29], v[54:55], v[12:13] op_sel_hi:[0,1,1] neg_lo:[1,0,0] neg_hi:[1,0,0]
	ds_read2_b32 v[52:53], v21 offset0:17 offset1:18
	ds_read2_b32 v[54:55], v21 offset0:19 offset1:20
	;; [unrolled: 1-line block ×3, first 2 shown]
	s_waitcnt vmcnt(22) lgkmcnt(3)
	v_pk_fma_f32 v[8:9], v[28:29], v[56:57], v[8:9] op_sel_hi:[0,1,1] neg_lo:[1,0,0] neg_hi:[1,0,0]
	ds_read2_b32 v[56:57], v21 offset0:23 offset1:24
	s_waitcnt vmcnt(20) lgkmcnt(3)
	v_pk_fma_f32 v[34:35], v[28:29], v[52:53], v[34:35] op_sel_hi:[0,1,1] neg_lo:[1,0,0] neg_hi:[1,0,0]
	s_waitcnt vmcnt(18) lgkmcnt(2)
	v_pk_fma_f32 v[30:31], v[28:29], v[54:55], v[30:31] op_sel_hi:[0,1,1] neg_lo:[1,0,0] neg_hi:[1,0,0]
	ds_read2_b32 v[52:53], v21 offset0:25 offset1:26
	ds_read2_b32 v[54:55], v21 offset0:27 offset1:28
	s_waitcnt vmcnt(16) lgkmcnt(3)
	v_pk_fma_f32 v[24:25], v[28:29], v[58:59], v[24:25] op_sel_hi:[0,1,1] neg_lo:[1,0,0] neg_hi:[1,0,0]
	s_waitcnt vmcnt(14) lgkmcnt(2)
	v_pk_fma_f32 v[16:17], v[28:29], v[56:57], v[16:17] op_sel_hi:[0,1,1] neg_lo:[1,0,0] neg_hi:[1,0,0]
	ds_read2_b32 v[56:57], v21 offset0:29 offset1:30
	;; [unrolled: 6-line block ×3, first 2 shown]
	ds_read2_b32 v[54:55], v21 offset0:35 offset1:36
	ds_read2_b32 v[60:61], v21 offset0:37 offset1:38
	s_waitcnt vmcnt(8) lgkmcnt(4)
	v_pk_fma_f32 v[32:33], v[28:29], v[56:57], v[32:33] op_sel_hi:[0,1,1] neg_lo:[1,0,0] neg_hi:[1,0,0]
	s_waitcnt vmcnt(6) lgkmcnt(3)
	v_pk_fma_f32 v[26:27], v[28:29], v[58:59], v[26:27] op_sel_hi:[0,1,1] neg_lo:[1,0,0] neg_hi:[1,0,0]
	;; [unrolled: 2-line block ×5, first 2 shown]
.LBB76_165:
	s_or_b64 exec, exec, s[0:1]
	v_lshl_add_u32 v46, v49, 2, v21
	s_barrier
	s_waitcnt vmcnt(28)
	ds_write_b32 v46, v29
	s_waitcnt lgkmcnt(0)
	s_barrier
	ds_read_b32 v51, v21 offset:40
	s_cmp_lt_i32 s22, 12
	v_mov_b32_e32 v46, 10
	s_cbranch_scc1 .LBB76_168
; %bb.166:
	v_add3_u32 v52, v48, 0, 44
	v_mov_b32_e32 v46, 10
	s_mov_b32 s0, 11
.LBB76_167:                             ; =>This Inner Loop Header: Depth=1
	ds_read_b32 v53, v52
	v_mov_b32_e32 v54, s0
	s_add_i32 s0, s0, 1
	v_add_u32_e32 v52, 4, v52
	s_cmp_lg_u32 s22, s0
	s_waitcnt lgkmcnt(0)
	v_cmp_lt_f32_e64 vcc, |v51|, |v53|
	s_nop 1
	v_cndmask_b32_e32 v51, v51, v53, vcc
	v_cndmask_b32_e32 v46, v46, v54, vcc
	s_cbranch_scc1 .LBB76_167
.LBB76_168:
	s_waitcnt lgkmcnt(0)
	v_cmp_eq_f32_e32 vcc, 0, v51
	s_and_saveexec_b64 s[0:1], vcc
	s_xor_b64 s[0:1], exec, s[0:1]
; %bb.169:
	v_cmp_ne_u32_e32 vcc, 0, v50
	s_nop 1
	v_cndmask_b32_e32 v50, 11, v50, vcc
; %bb.170:
	s_andn2_saveexec_b64 s[0:1], s[0:1]
	s_cbranch_execz .LBB76_172
; %bb.171:
	v_div_scale_f32 v52, s[2:3], v51, v51, 1.0
	v_rcp_f32_e32 v53, v52
	v_div_scale_f32 v54, vcc, 1.0, v51, 1.0
	v_fma_f32 v55, -v52, v53, 1.0
	v_fmac_f32_e32 v53, v55, v53
	v_mul_f32_e32 v55, v54, v53
	v_fma_f32 v56, -v52, v55, v54
	v_fmac_f32_e32 v55, v56, v53
	v_fma_f32 v52, -v52, v55, v54
	v_div_fmas_f32 v52, v52, v53, v55
	v_div_fixup_f32 v51, v52, v51, 1.0
.LBB76_172:
	s_or_b64 exec, exec, s[0:1]
	v_cmp_ne_u32_e32 vcc, v49, v46
	s_and_saveexec_b64 s[0:1], vcc
	s_xor_b64 s[0:1], exec, s[0:1]
	s_cbranch_execz .LBB76_178
; %bb.173:
	v_cmp_eq_u32_e32 vcc, 10, v49
	s_and_saveexec_b64 s[2:3], vcc
	s_cbranch_execz .LBB76_177
; %bb.174:
	v_cmp_ne_u32_e32 vcc, 10, v46
	s_xor_b64 s[18:19], s[16:17], -1
	s_and_b64 s[20:21], s[18:19], vcc
	s_and_saveexec_b64 s[18:19], s[20:21]
	s_cbranch_execz .LBB76_176
; %bb.175:
	v_ashrrev_i32_e32 v47, 31, v46
	v_lshl_add_u64 v[52:53], v[46:47], 2, v[22:23]
	global_load_dword v47, v[52:53], off
	global_load_dword v49, v[22:23], off offset:40
	s_waitcnt vmcnt(1)
	global_store_dword v[22:23], v47, off offset:40
	s_waitcnt vmcnt(1)
	global_store_dword v[52:53], v49, off
.LBB76_176:
	s_or_b64 exec, exec, s[18:19]
	v_mov_b32_e32 v47, v46
	v_mov_b32_e32 v49, v46
.LBB76_177:
	s_or_b64 exec, exec, s[2:3]
.LBB76_178:
	s_andn2_saveexec_b64 s[0:1], s[0:1]
	s_cbranch_execz .LBB76_180
; %bb.179:
	v_mov_b32_e32 v49, 10
	s_waitcnt vmcnt(26)
	ds_write2_b32 v21, v18, v19 offset0:11 offset1:12
	s_waitcnt vmcnt(24)
	ds_write2_b32 v21, v12, v13 offset0:13 offset1:14
	;; [unrolled: 2-line block ×14, first 2 shown]
.LBB76_180:
	s_or_b64 exec, exec, s[0:1]
	v_cmp_lt_i32_e32 vcc, 10, v49
	s_waitcnt lgkmcnt(0)
	s_barrier
	s_and_saveexec_b64 s[0:1], vcc
	s_cbranch_execz .LBB76_182
; %bb.181:
	ds_read2_b32 v[52:53], v21 offset0:11 offset1:12
	ds_read2_b32 v[54:55], v21 offset0:13 offset1:14
	;; [unrolled: 1-line block ×4, first 2 shown]
	v_mul_f32_e32 v46, v51, v29
	s_waitcnt vmcnt(26) lgkmcnt(3)
	v_pk_fma_f32 v[18:19], v[46:47], v[52:53], v[18:19] op_sel_hi:[0,1,1] neg_lo:[1,0,0] neg_hi:[1,0,0]
	s_waitcnt vmcnt(24) lgkmcnt(2)
	v_pk_fma_f32 v[12:13], v[46:47], v[54:55], v[12:13] op_sel_hi:[0,1,1] neg_lo:[1,0,0] neg_hi:[1,0,0]
	;; [unrolled: 2-line block ×3, first 2 shown]
	ds_read2_b32 v[52:53], v21 offset0:19 offset1:20
	ds_read2_b32 v[54:55], v21 offset0:21 offset1:22
	;; [unrolled: 1-line block ×3, first 2 shown]
	s_waitcnt vmcnt(20) lgkmcnt(3)
	v_pk_fma_f32 v[34:35], v[46:47], v[58:59], v[34:35] op_sel_hi:[0,1,1] neg_lo:[1,0,0] neg_hi:[1,0,0]
	ds_read2_b32 v[58:59], v21 offset0:25 offset1:26
	s_waitcnt vmcnt(18) lgkmcnt(3)
	v_pk_fma_f32 v[30:31], v[46:47], v[52:53], v[30:31] op_sel_hi:[0,1,1] neg_lo:[1,0,0] neg_hi:[1,0,0]
	ds_read2_b32 v[52:53], v21 offset0:27 offset1:28
	s_waitcnt vmcnt(16) lgkmcnt(3)
	v_pk_fma_f32 v[24:25], v[46:47], v[54:55], v[24:25] op_sel_hi:[0,1,1] neg_lo:[1,0,0] neg_hi:[1,0,0]
	s_waitcnt vmcnt(14) lgkmcnt(2)
	v_pk_fma_f32 v[16:17], v[46:47], v[56:57], v[16:17] op_sel_hi:[0,1,1] neg_lo:[1,0,0] neg_hi:[1,0,0]
	;; [unrolled: 2-line block ×3, first 2 shown]
	ds_read2_b32 v[54:55], v21 offset0:29 offset1:30
	ds_read2_b32 v[56:57], v21 offset0:31 offset1:32
	ds_read2_b32 v[58:59], v21 offset0:33 offset1:34
	s_waitcnt vmcnt(10) lgkmcnt(3)
	v_pk_fma_f32 v[36:37], v[46:47], v[52:53], v[36:37] op_sel_hi:[0,1,1] neg_lo:[1,0,0] neg_hi:[1,0,0]
	ds_read2_b32 v[52:53], v21 offset0:35 offset1:36
	ds_read2_b32 v[60:61], v21 offset0:37 offset1:38
	s_waitcnt vmcnt(8) lgkmcnt(4)
	v_pk_fma_f32 v[32:33], v[46:47], v[54:55], v[32:33] op_sel_hi:[0,1,1] neg_lo:[1,0,0] neg_hi:[1,0,0]
	s_waitcnt vmcnt(6) lgkmcnt(3)
	v_pk_fma_f32 v[26:27], v[46:47], v[56:57], v[26:27] op_sel_hi:[0,1,1] neg_lo:[1,0,0] neg_hi:[1,0,0]
	;; [unrolled: 2-line block ×5, first 2 shown]
	v_mov_b32_e32 v29, v46
.LBB76_182:
	s_or_b64 exec, exec, s[0:1]
	v_lshl_add_u32 v46, v49, 2, v21
	s_barrier
	s_waitcnt vmcnt(27)
	ds_write_b32 v46, v18
	s_waitcnt lgkmcnt(0)
	s_barrier
	ds_read_b32 v51, v21 offset:44
	s_cmp_lt_i32 s22, 13
	v_mov_b32_e32 v46, 11
	s_cbranch_scc1 .LBB76_185
; %bb.183:
	v_add3_u32 v52, v48, 0, 48
	v_mov_b32_e32 v46, 11
	s_mov_b32 s0, 12
.LBB76_184:                             ; =>This Inner Loop Header: Depth=1
	ds_read_b32 v53, v52
	v_mov_b32_e32 v54, s0
	s_add_i32 s0, s0, 1
	v_add_u32_e32 v52, 4, v52
	s_cmp_lg_u32 s22, s0
	s_waitcnt lgkmcnt(0)
	v_cmp_lt_f32_e64 vcc, |v51|, |v53|
	s_nop 1
	v_cndmask_b32_e32 v51, v51, v53, vcc
	v_cndmask_b32_e32 v46, v46, v54, vcc
	s_cbranch_scc1 .LBB76_184
.LBB76_185:
	s_waitcnt lgkmcnt(0)
	v_cmp_eq_f32_e32 vcc, 0, v51
	s_and_saveexec_b64 s[0:1], vcc
	s_xor_b64 s[0:1], exec, s[0:1]
; %bb.186:
	v_cmp_ne_u32_e32 vcc, 0, v50
	s_nop 1
	v_cndmask_b32_e32 v50, 12, v50, vcc
; %bb.187:
	s_andn2_saveexec_b64 s[0:1], s[0:1]
	s_cbranch_execz .LBB76_189
; %bb.188:
	v_div_scale_f32 v52, s[2:3], v51, v51, 1.0
	v_rcp_f32_e32 v53, v52
	v_div_scale_f32 v54, vcc, 1.0, v51, 1.0
	v_fma_f32 v55, -v52, v53, 1.0
	v_fmac_f32_e32 v53, v55, v53
	v_mul_f32_e32 v55, v54, v53
	v_fma_f32 v56, -v52, v55, v54
	v_fmac_f32_e32 v55, v56, v53
	v_fma_f32 v52, -v52, v55, v54
	v_div_fmas_f32 v52, v52, v53, v55
	v_div_fixup_f32 v51, v52, v51, 1.0
.LBB76_189:
	s_or_b64 exec, exec, s[0:1]
	v_cmp_ne_u32_e32 vcc, v49, v46
	s_and_saveexec_b64 s[0:1], vcc
	s_xor_b64 s[0:1], exec, s[0:1]
	s_cbranch_execz .LBB76_195
; %bb.190:
	v_cmp_eq_u32_e32 vcc, 11, v49
	s_and_saveexec_b64 s[2:3], vcc
	s_cbranch_execz .LBB76_194
; %bb.191:
	v_cmp_ne_u32_e32 vcc, 11, v46
	s_xor_b64 s[18:19], s[16:17], -1
	s_and_b64 s[20:21], s[18:19], vcc
	s_and_saveexec_b64 s[18:19], s[20:21]
	s_cbranch_execz .LBB76_193
; %bb.192:
	v_ashrrev_i32_e32 v47, 31, v46
	v_lshl_add_u64 v[52:53], v[46:47], 2, v[22:23]
	global_load_dword v47, v[52:53], off
	global_load_dword v49, v[22:23], off offset:44
	s_waitcnt vmcnt(1)
	global_store_dword v[22:23], v47, off offset:44
	s_waitcnt vmcnt(1)
	global_store_dword v[52:53], v49, off
.LBB76_193:
	s_or_b64 exec, exec, s[18:19]
	v_mov_b32_e32 v47, v46
	v_mov_b32_e32 v49, v46
.LBB76_194:
	s_or_b64 exec, exec, s[2:3]
.LBB76_195:
	s_andn2_saveexec_b64 s[0:1], s[0:1]
	s_cbranch_execz .LBB76_197
; %bb.196:
	s_waitcnt vmcnt(24)
	v_pk_mov_b32 v[52:53], v[18:19], v[12:13] op_sel:[1,0]
	ds_write2_b32 v21, v52, v53 offset0:12 offset1:13
	s_waitcnt vmcnt(22)
	v_pk_mov_b32 v[52:53], v[12:13], v[8:9] op_sel:[1,0]
	ds_write2_b32 v21, v52, v53 offset0:14 offset1:15
	;; [unrolled: 3-line block ×12, first 2 shown]
	s_waitcnt vmcnt(0)
	v_pk_mov_b32 v[52:53], v[40:41], v[38:39] op_sel:[1,0]
	v_mov_b32_e32 v49, 11
	ds_write2_b32 v21, v52, v53 offset0:36 offset1:37
	ds_write_b32 v21, v39 offset:152
.LBB76_197:
	s_or_b64 exec, exec, s[0:1]
	v_cmp_lt_i32_e32 vcc, 11, v49
	s_waitcnt lgkmcnt(0)
	s_barrier
	s_and_saveexec_b64 s[0:1], vcc
	s_cbranch_execz .LBB76_199
; %bb.198:
	ds_read_b32 v46, v21 offset:48
	ds_read2_b32 v[52:53], v21 offset0:13 offset1:14
	ds_read2_b32 v[54:55], v21 offset0:15 offset1:16
	v_mul_f32_e32 v18, v51, v18
	ds_read2_b32 v[56:57], v21 offset0:17 offset1:18
	s_waitcnt vmcnt(26) lgkmcnt(3)
	v_fma_f32 v19, -v18, v46, v19
	s_waitcnt vmcnt(24) lgkmcnt(2)
	v_pk_fma_f32 v[12:13], v[18:19], v[52:53], v[12:13] op_sel_hi:[0,1,1] neg_lo:[1,0,0] neg_hi:[1,0,0]
	s_waitcnt vmcnt(22) lgkmcnt(1)
	v_pk_fma_f32 v[8:9], v[18:19], v[54:55], v[8:9] op_sel_hi:[0,1,1] neg_lo:[1,0,0] neg_hi:[1,0,0]
	ds_read2_b32 v[52:53], v21 offset0:19 offset1:20
	ds_read2_b32 v[54:55], v21 offset0:21 offset1:22
	;; [unrolled: 1-line block ×3, first 2 shown]
	s_waitcnt vmcnt(20) lgkmcnt(3)
	v_pk_fma_f32 v[34:35], v[18:19], v[56:57], v[34:35] op_sel_hi:[0,1,1] neg_lo:[1,0,0] neg_hi:[1,0,0]
	ds_read2_b32 v[56:57], v21 offset0:25 offset1:26
	s_waitcnt vmcnt(18) lgkmcnt(3)
	v_pk_fma_f32 v[30:31], v[18:19], v[52:53], v[30:31] op_sel_hi:[0,1,1] neg_lo:[1,0,0] neg_hi:[1,0,0]
	ds_read2_b32 v[52:53], v21 offset0:27 offset1:28
	s_waitcnt vmcnt(16) lgkmcnt(3)
	v_pk_fma_f32 v[24:25], v[18:19], v[54:55], v[24:25] op_sel_hi:[0,1,1] neg_lo:[1,0,0] neg_hi:[1,0,0]
	s_waitcnt vmcnt(14) lgkmcnt(2)
	v_pk_fma_f32 v[16:17], v[18:19], v[58:59], v[16:17] op_sel_hi:[0,1,1] neg_lo:[1,0,0] neg_hi:[1,0,0]
	;; [unrolled: 2-line block ×3, first 2 shown]
	ds_read2_b32 v[54:55], v21 offset0:29 offset1:30
	ds_read2_b32 v[56:57], v21 offset0:31 offset1:32
	;; [unrolled: 1-line block ×3, first 2 shown]
	s_waitcnt vmcnt(10) lgkmcnt(3)
	v_pk_fma_f32 v[36:37], v[18:19], v[52:53], v[36:37] op_sel_hi:[0,1,1] neg_lo:[1,0,0] neg_hi:[1,0,0]
	ds_read2_b32 v[52:53], v21 offset0:35 offset1:36
	ds_read2_b32 v[60:61], v21 offset0:37 offset1:38
	s_waitcnt vmcnt(8) lgkmcnt(4)
	v_pk_fma_f32 v[32:33], v[18:19], v[54:55], v[32:33] op_sel_hi:[0,1,1] neg_lo:[1,0,0] neg_hi:[1,0,0]
	s_waitcnt vmcnt(6) lgkmcnt(3)
	v_pk_fma_f32 v[26:27], v[18:19], v[56:57], v[26:27] op_sel_hi:[0,1,1] neg_lo:[1,0,0] neg_hi:[1,0,0]
	;; [unrolled: 2-line block ×5, first 2 shown]
.LBB76_199:
	s_or_b64 exec, exec, s[0:1]
	v_lshl_add_u32 v46, v49, 2, v21
	s_barrier
	s_waitcnt vmcnt(26)
	ds_write_b32 v46, v19
	s_waitcnt lgkmcnt(0)
	s_barrier
	ds_read_b32 v51, v21 offset:48
	s_cmp_lt_i32 s22, 14
	v_mov_b32_e32 v46, 12
	s_cbranch_scc1 .LBB76_202
; %bb.200:
	v_add3_u32 v52, v48, 0, 52
	v_mov_b32_e32 v46, 12
	s_mov_b32 s0, 13
.LBB76_201:                             ; =>This Inner Loop Header: Depth=1
	ds_read_b32 v53, v52
	v_mov_b32_e32 v54, s0
	s_add_i32 s0, s0, 1
	v_add_u32_e32 v52, 4, v52
	s_cmp_lg_u32 s22, s0
	s_waitcnt lgkmcnt(0)
	v_cmp_lt_f32_e64 vcc, |v51|, |v53|
	s_nop 1
	v_cndmask_b32_e32 v51, v51, v53, vcc
	v_cndmask_b32_e32 v46, v46, v54, vcc
	s_cbranch_scc1 .LBB76_201
.LBB76_202:
	s_waitcnt lgkmcnt(0)
	v_cmp_eq_f32_e32 vcc, 0, v51
	s_and_saveexec_b64 s[0:1], vcc
	s_xor_b64 s[0:1], exec, s[0:1]
; %bb.203:
	v_cmp_ne_u32_e32 vcc, 0, v50
	s_nop 1
	v_cndmask_b32_e32 v50, 13, v50, vcc
; %bb.204:
	s_andn2_saveexec_b64 s[0:1], s[0:1]
	s_cbranch_execz .LBB76_206
; %bb.205:
	v_div_scale_f32 v52, s[2:3], v51, v51, 1.0
	v_rcp_f32_e32 v53, v52
	v_div_scale_f32 v54, vcc, 1.0, v51, 1.0
	v_fma_f32 v55, -v52, v53, 1.0
	v_fmac_f32_e32 v53, v55, v53
	v_mul_f32_e32 v55, v54, v53
	v_fma_f32 v56, -v52, v55, v54
	v_fmac_f32_e32 v55, v56, v53
	v_fma_f32 v52, -v52, v55, v54
	v_div_fmas_f32 v52, v52, v53, v55
	v_div_fixup_f32 v51, v52, v51, 1.0
.LBB76_206:
	s_or_b64 exec, exec, s[0:1]
	v_cmp_ne_u32_e32 vcc, v49, v46
	s_and_saveexec_b64 s[0:1], vcc
	s_xor_b64 s[0:1], exec, s[0:1]
	s_cbranch_execz .LBB76_212
; %bb.207:
	v_cmp_eq_u32_e32 vcc, 12, v49
	s_and_saveexec_b64 s[2:3], vcc
	s_cbranch_execz .LBB76_211
; %bb.208:
	v_cmp_ne_u32_e32 vcc, 12, v46
	s_xor_b64 s[18:19], s[16:17], -1
	s_and_b64 s[20:21], s[18:19], vcc
	s_and_saveexec_b64 s[18:19], s[20:21]
	s_cbranch_execz .LBB76_210
; %bb.209:
	v_ashrrev_i32_e32 v47, 31, v46
	v_lshl_add_u64 v[52:53], v[46:47], 2, v[22:23]
	global_load_dword v47, v[52:53], off
	global_load_dword v49, v[22:23], off offset:48
	s_waitcnt vmcnt(1)
	global_store_dword v[22:23], v47, off offset:48
	s_waitcnt vmcnt(1)
	global_store_dword v[52:53], v49, off
.LBB76_210:
	s_or_b64 exec, exec, s[18:19]
	v_mov_b32_e32 v47, v46
	v_mov_b32_e32 v49, v46
.LBB76_211:
	s_or_b64 exec, exec, s[2:3]
.LBB76_212:
	s_andn2_saveexec_b64 s[0:1], s[0:1]
	s_cbranch_execz .LBB76_214
; %bb.213:
	v_mov_b32_e32 v49, 12
	s_waitcnt vmcnt(24)
	ds_write2_b32 v21, v12, v13 offset0:13 offset1:14
	s_waitcnt vmcnt(22)
	ds_write2_b32 v21, v8, v9 offset0:15 offset1:16
	;; [unrolled: 2-line block ×13, first 2 shown]
.LBB76_214:
	s_or_b64 exec, exec, s[0:1]
	v_cmp_lt_i32_e32 vcc, 12, v49
	s_waitcnt lgkmcnt(0)
	s_barrier
	s_and_saveexec_b64 s[0:1], vcc
	s_cbranch_execz .LBB76_216
; %bb.215:
	ds_read2_b32 v[52:53], v21 offset0:13 offset1:14
	ds_read2_b32 v[54:55], v21 offset0:15 offset1:16
	;; [unrolled: 1-line block ×3, first 2 shown]
	v_mul_f32_e32 v46, v51, v19
	ds_read2_b32 v[58:59], v21 offset0:19 offset1:20
	s_waitcnt vmcnt(24) lgkmcnt(3)
	v_pk_fma_f32 v[12:13], v[46:47], v[52:53], v[12:13] op_sel_hi:[0,1,1] neg_lo:[1,0,0] neg_hi:[1,0,0]
	s_waitcnt vmcnt(22) lgkmcnt(2)
	v_pk_fma_f32 v[8:9], v[46:47], v[54:55], v[8:9] op_sel_hi:[0,1,1] neg_lo:[1,0,0] neg_hi:[1,0,0]
	;; [unrolled: 2-line block ×3, first 2 shown]
	ds_read2_b32 v[52:53], v21 offset0:21 offset1:22
	ds_read2_b32 v[54:55], v21 offset0:23 offset1:24
	;; [unrolled: 1-line block ×4, first 2 shown]
	s_waitcnt vmcnt(18) lgkmcnt(4)
	v_pk_fma_f32 v[30:31], v[46:47], v[58:59], v[30:31] op_sel_hi:[0,1,1] neg_lo:[1,0,0] neg_hi:[1,0,0]
	s_waitcnt vmcnt(16) lgkmcnt(3)
	v_pk_fma_f32 v[24:25], v[46:47], v[52:53], v[24:25] op_sel_hi:[0,1,1] neg_lo:[1,0,0] neg_hi:[1,0,0]
	;; [unrolled: 2-line block ×5, first 2 shown]
	ds_read2_b32 v[52:53], v21 offset0:29 offset1:30
	ds_read2_b32 v[54:55], v21 offset0:31 offset1:32
	;; [unrolled: 1-line block ×5, first 2 shown]
	s_waitcnt vmcnt(8) lgkmcnt(4)
	v_pk_fma_f32 v[32:33], v[46:47], v[52:53], v[32:33] op_sel_hi:[0,1,1] neg_lo:[1,0,0] neg_hi:[1,0,0]
	s_waitcnt vmcnt(6) lgkmcnt(3)
	v_pk_fma_f32 v[26:27], v[46:47], v[54:55], v[26:27] op_sel_hi:[0,1,1] neg_lo:[1,0,0] neg_hi:[1,0,0]
	;; [unrolled: 2-line block ×5, first 2 shown]
	v_mov_b32_e32 v19, v46
.LBB76_216:
	s_or_b64 exec, exec, s[0:1]
	v_lshl_add_u32 v46, v49, 2, v21
	s_barrier
	s_waitcnt vmcnt(25)
	ds_write_b32 v46, v12
	s_waitcnt lgkmcnt(0)
	s_barrier
	ds_read_b32 v51, v21 offset:52
	s_cmp_lt_i32 s22, 15
	v_mov_b32_e32 v46, 13
	s_cbranch_scc1 .LBB76_219
; %bb.217:
	v_add3_u32 v52, v48, 0, 56
	v_mov_b32_e32 v46, 13
	s_mov_b32 s0, 14
.LBB76_218:                             ; =>This Inner Loop Header: Depth=1
	ds_read_b32 v53, v52
	v_mov_b32_e32 v54, s0
	s_add_i32 s0, s0, 1
	v_add_u32_e32 v52, 4, v52
	s_cmp_lg_u32 s22, s0
	s_waitcnt lgkmcnt(0)
	v_cmp_lt_f32_e64 vcc, |v51|, |v53|
	s_nop 1
	v_cndmask_b32_e32 v51, v51, v53, vcc
	v_cndmask_b32_e32 v46, v46, v54, vcc
	s_cbranch_scc1 .LBB76_218
.LBB76_219:
	s_waitcnt lgkmcnt(0)
	v_cmp_eq_f32_e32 vcc, 0, v51
	s_and_saveexec_b64 s[0:1], vcc
	s_xor_b64 s[0:1], exec, s[0:1]
; %bb.220:
	v_cmp_ne_u32_e32 vcc, 0, v50
	s_nop 1
	v_cndmask_b32_e32 v50, 14, v50, vcc
; %bb.221:
	s_andn2_saveexec_b64 s[0:1], s[0:1]
	s_cbranch_execz .LBB76_223
; %bb.222:
	v_div_scale_f32 v52, s[2:3], v51, v51, 1.0
	v_rcp_f32_e32 v53, v52
	v_div_scale_f32 v54, vcc, 1.0, v51, 1.0
	v_fma_f32 v55, -v52, v53, 1.0
	v_fmac_f32_e32 v53, v55, v53
	v_mul_f32_e32 v55, v54, v53
	v_fma_f32 v56, -v52, v55, v54
	v_fmac_f32_e32 v55, v56, v53
	v_fma_f32 v52, -v52, v55, v54
	v_div_fmas_f32 v52, v52, v53, v55
	v_div_fixup_f32 v51, v52, v51, 1.0
.LBB76_223:
	s_or_b64 exec, exec, s[0:1]
	v_cmp_ne_u32_e32 vcc, v49, v46
	s_and_saveexec_b64 s[0:1], vcc
	s_xor_b64 s[0:1], exec, s[0:1]
	s_cbranch_execz .LBB76_229
; %bb.224:
	v_cmp_eq_u32_e32 vcc, 13, v49
	s_and_saveexec_b64 s[2:3], vcc
	s_cbranch_execz .LBB76_228
; %bb.225:
	v_cmp_ne_u32_e32 vcc, 13, v46
	s_xor_b64 s[18:19], s[16:17], -1
	s_and_b64 s[20:21], s[18:19], vcc
	s_and_saveexec_b64 s[18:19], s[20:21]
	s_cbranch_execz .LBB76_227
; %bb.226:
	v_ashrrev_i32_e32 v47, 31, v46
	v_lshl_add_u64 v[52:53], v[46:47], 2, v[22:23]
	global_load_dword v47, v[52:53], off
	global_load_dword v49, v[22:23], off offset:52
	s_waitcnt vmcnt(1)
	global_store_dword v[22:23], v47, off offset:52
	s_waitcnt vmcnt(1)
	global_store_dword v[52:53], v49, off
.LBB76_227:
	s_or_b64 exec, exec, s[18:19]
	v_mov_b32_e32 v47, v46
	v_mov_b32_e32 v49, v46
.LBB76_228:
	s_or_b64 exec, exec, s[2:3]
.LBB76_229:
	s_andn2_saveexec_b64 s[0:1], s[0:1]
	s_cbranch_execz .LBB76_231
; %bb.230:
	s_waitcnt vmcnt(22)
	v_pk_mov_b32 v[52:53], v[12:13], v[8:9] op_sel:[1,0]
	ds_write2_b32 v21, v52, v53 offset0:14 offset1:15
	s_waitcnt vmcnt(20)
	v_pk_mov_b32 v[52:53], v[8:9], v[34:35] op_sel:[1,0]
	ds_write2_b32 v21, v52, v53 offset0:16 offset1:17
	;; [unrolled: 3-line block ×11, first 2 shown]
	s_waitcnt vmcnt(0)
	v_pk_mov_b32 v[52:53], v[40:41], v[38:39] op_sel:[1,0]
	v_mov_b32_e32 v49, 13
	ds_write2_b32 v21, v52, v53 offset0:36 offset1:37
	ds_write_b32 v21, v39 offset:152
.LBB76_231:
	s_or_b64 exec, exec, s[0:1]
	v_cmp_lt_i32_e32 vcc, 13, v49
	s_waitcnt lgkmcnt(0)
	s_barrier
	s_and_saveexec_b64 s[0:1], vcc
	s_cbranch_execz .LBB76_233
; %bb.232:
	ds_read_b32 v46, v21 offset:56
	ds_read2_b32 v[52:53], v21 offset0:15 offset1:16
	ds_read2_b32 v[54:55], v21 offset0:17 offset1:18
	v_mul_f32_e32 v12, v51, v12
	ds_read2_b32 v[56:57], v21 offset0:19 offset1:20
	s_waitcnt vmcnt(24) lgkmcnt(3)
	v_fma_f32 v13, -v12, v46, v13
	s_waitcnt vmcnt(22) lgkmcnt(2)
	v_pk_fma_f32 v[8:9], v[12:13], v[52:53], v[8:9] op_sel_hi:[0,1,1] neg_lo:[1,0,0] neg_hi:[1,0,0]
	s_waitcnt vmcnt(20) lgkmcnt(1)
	v_pk_fma_f32 v[34:35], v[12:13], v[54:55], v[34:35] op_sel_hi:[0,1,1] neg_lo:[1,0,0] neg_hi:[1,0,0]
	ds_read2_b32 v[52:53], v21 offset0:21 offset1:22
	ds_read2_b32 v[54:55], v21 offset0:23 offset1:24
	;; [unrolled: 1-line block ×4, first 2 shown]
	s_waitcnt vmcnt(18) lgkmcnt(4)
	v_pk_fma_f32 v[30:31], v[12:13], v[56:57], v[30:31] op_sel_hi:[0,1,1] neg_lo:[1,0,0] neg_hi:[1,0,0]
	s_waitcnt vmcnt(16) lgkmcnt(3)
	v_pk_fma_f32 v[24:25], v[12:13], v[52:53], v[24:25] op_sel_hi:[0,1,1] neg_lo:[1,0,0] neg_hi:[1,0,0]
	;; [unrolled: 2-line block ×5, first 2 shown]
	ds_read2_b32 v[52:53], v21 offset0:29 offset1:30
	ds_read2_b32 v[54:55], v21 offset0:31 offset1:32
	;; [unrolled: 1-line block ×5, first 2 shown]
	s_waitcnt vmcnt(8) lgkmcnt(4)
	v_pk_fma_f32 v[32:33], v[12:13], v[52:53], v[32:33] op_sel_hi:[0,1,1] neg_lo:[1,0,0] neg_hi:[1,0,0]
	s_waitcnt vmcnt(6) lgkmcnt(3)
	v_pk_fma_f32 v[26:27], v[12:13], v[54:55], v[26:27] op_sel_hi:[0,1,1] neg_lo:[1,0,0] neg_hi:[1,0,0]
	;; [unrolled: 2-line block ×5, first 2 shown]
.LBB76_233:
	s_or_b64 exec, exec, s[0:1]
	v_lshl_add_u32 v46, v49, 2, v21
	s_barrier
	s_waitcnt vmcnt(24)
	ds_write_b32 v46, v13
	s_waitcnt lgkmcnt(0)
	s_barrier
	ds_read_b32 v51, v21 offset:56
	s_cmp_lt_i32 s22, 16
	v_mov_b32_e32 v46, 14
	s_cbranch_scc1 .LBB76_236
; %bb.234:
	v_add3_u32 v52, v48, 0, 60
	v_mov_b32_e32 v46, 14
	s_mov_b32 s0, 15
.LBB76_235:                             ; =>This Inner Loop Header: Depth=1
	ds_read_b32 v53, v52
	v_mov_b32_e32 v54, s0
	s_add_i32 s0, s0, 1
	v_add_u32_e32 v52, 4, v52
	s_cmp_lg_u32 s22, s0
	s_waitcnt lgkmcnt(0)
	v_cmp_lt_f32_e64 vcc, |v51|, |v53|
	s_nop 1
	v_cndmask_b32_e32 v51, v51, v53, vcc
	v_cndmask_b32_e32 v46, v46, v54, vcc
	s_cbranch_scc1 .LBB76_235
.LBB76_236:
	s_waitcnt lgkmcnt(0)
	v_cmp_eq_f32_e32 vcc, 0, v51
	s_and_saveexec_b64 s[0:1], vcc
	s_xor_b64 s[0:1], exec, s[0:1]
; %bb.237:
	v_cmp_ne_u32_e32 vcc, 0, v50
	s_nop 1
	v_cndmask_b32_e32 v50, 15, v50, vcc
; %bb.238:
	s_andn2_saveexec_b64 s[0:1], s[0:1]
	s_cbranch_execz .LBB76_240
; %bb.239:
	v_div_scale_f32 v52, s[2:3], v51, v51, 1.0
	v_rcp_f32_e32 v53, v52
	v_div_scale_f32 v54, vcc, 1.0, v51, 1.0
	v_fma_f32 v55, -v52, v53, 1.0
	v_fmac_f32_e32 v53, v55, v53
	v_mul_f32_e32 v55, v54, v53
	v_fma_f32 v56, -v52, v55, v54
	v_fmac_f32_e32 v55, v56, v53
	v_fma_f32 v52, -v52, v55, v54
	v_div_fmas_f32 v52, v52, v53, v55
	v_div_fixup_f32 v51, v52, v51, 1.0
.LBB76_240:
	s_or_b64 exec, exec, s[0:1]
	v_cmp_ne_u32_e32 vcc, v49, v46
	s_and_saveexec_b64 s[0:1], vcc
	s_xor_b64 s[0:1], exec, s[0:1]
	s_cbranch_execz .LBB76_246
; %bb.241:
	v_cmp_eq_u32_e32 vcc, 14, v49
	s_and_saveexec_b64 s[2:3], vcc
	s_cbranch_execz .LBB76_245
; %bb.242:
	v_cmp_ne_u32_e32 vcc, 14, v46
	s_xor_b64 s[18:19], s[16:17], -1
	s_and_b64 s[20:21], s[18:19], vcc
	s_and_saveexec_b64 s[18:19], s[20:21]
	s_cbranch_execz .LBB76_244
; %bb.243:
	v_ashrrev_i32_e32 v47, 31, v46
	v_lshl_add_u64 v[52:53], v[46:47], 2, v[22:23]
	global_load_dword v47, v[52:53], off
	global_load_dword v49, v[22:23], off offset:56
	s_waitcnt vmcnt(1)
	global_store_dword v[22:23], v47, off offset:56
	s_waitcnt vmcnt(1)
	global_store_dword v[52:53], v49, off
.LBB76_244:
	s_or_b64 exec, exec, s[18:19]
	v_mov_b32_e32 v47, v46
	v_mov_b32_e32 v49, v46
.LBB76_245:
	s_or_b64 exec, exec, s[2:3]
.LBB76_246:
	s_andn2_saveexec_b64 s[0:1], s[0:1]
	s_cbranch_execz .LBB76_248
; %bb.247:
	v_mov_b32_e32 v49, 14
	s_waitcnt vmcnt(22)
	ds_write2_b32 v21, v8, v9 offset0:15 offset1:16
	s_waitcnt vmcnt(20)
	ds_write2_b32 v21, v34, v35 offset0:17 offset1:18
	;; [unrolled: 2-line block ×12, first 2 shown]
.LBB76_248:
	s_or_b64 exec, exec, s[0:1]
	v_cmp_lt_i32_e32 vcc, 14, v49
	s_waitcnt lgkmcnt(0)
	s_barrier
	s_and_saveexec_b64 s[0:1], vcc
	s_cbranch_execz .LBB76_250
; %bb.249:
	ds_read2_b32 v[52:53], v21 offset0:15 offset1:16
	ds_read2_b32 v[54:55], v21 offset0:17 offset1:18
	;; [unrolled: 1-line block ×3, first 2 shown]
	v_mul_f32_e32 v46, v51, v13
	ds_read2_b32 v[58:59], v21 offset0:21 offset1:22
	s_waitcnt vmcnt(22) lgkmcnt(3)
	v_pk_fma_f32 v[8:9], v[46:47], v[52:53], v[8:9] op_sel_hi:[0,1,1] neg_lo:[1,0,0] neg_hi:[1,0,0]
	s_waitcnt vmcnt(20) lgkmcnt(2)
	v_pk_fma_f32 v[34:35], v[46:47], v[54:55], v[34:35] op_sel_hi:[0,1,1] neg_lo:[1,0,0] neg_hi:[1,0,0]
	;; [unrolled: 2-line block ×3, first 2 shown]
	ds_read2_b32 v[52:53], v21 offset0:23 offset1:24
	ds_read2_b32 v[54:55], v21 offset0:25 offset1:26
	;; [unrolled: 1-line block ×3, first 2 shown]
	s_waitcnt vmcnt(16) lgkmcnt(3)
	v_pk_fma_f32 v[24:25], v[46:47], v[58:59], v[24:25] op_sel_hi:[0,1,1] neg_lo:[1,0,0] neg_hi:[1,0,0]
	ds_read2_b32 v[58:59], v21 offset0:29 offset1:30
	s_waitcnt vmcnt(14) lgkmcnt(3)
	v_pk_fma_f32 v[16:17], v[46:47], v[52:53], v[16:17] op_sel_hi:[0,1,1] neg_lo:[1,0,0] neg_hi:[1,0,0]
	s_waitcnt vmcnt(12) lgkmcnt(2)
	v_pk_fma_f32 v[42:43], v[46:47], v[54:55], v[42:43] op_sel_hi:[0,1,1] neg_lo:[1,0,0] neg_hi:[1,0,0]
	;; [unrolled: 2-line block ×3, first 2 shown]
	ds_read2_b32 v[52:53], v21 offset0:31 offset1:32
	ds_read2_b32 v[54:55], v21 offset0:33 offset1:34
	;; [unrolled: 1-line block ×4, first 2 shown]
	s_waitcnt vmcnt(8) lgkmcnt(4)
	v_pk_fma_f32 v[32:33], v[46:47], v[58:59], v[32:33] op_sel_hi:[0,1,1] neg_lo:[1,0,0] neg_hi:[1,0,0]
	s_waitcnt vmcnt(6) lgkmcnt(3)
	v_pk_fma_f32 v[26:27], v[46:47], v[52:53], v[26:27] op_sel_hi:[0,1,1] neg_lo:[1,0,0] neg_hi:[1,0,0]
	;; [unrolled: 2-line block ×5, first 2 shown]
	v_mov_b32_e32 v13, v46
.LBB76_250:
	s_or_b64 exec, exec, s[0:1]
	v_lshl_add_u32 v46, v49, 2, v21
	s_barrier
	s_waitcnt vmcnt(23)
	ds_write_b32 v46, v8
	s_waitcnt lgkmcnt(0)
	s_barrier
	ds_read_b32 v51, v21 offset:60
	s_cmp_lt_i32 s22, 17
	v_mov_b32_e32 v46, 15
	s_cbranch_scc1 .LBB76_253
; %bb.251:
	v_add3_u32 v48, v48, 0, 64
	v_mov_b32_e32 v46, 15
	s_mov_b32 s0, 16
.LBB76_252:                             ; =>This Inner Loop Header: Depth=1
	ds_read_b32 v52, v48
	v_mov_b32_e32 v53, s0
	s_add_i32 s0, s0, 1
	v_add_u32_e32 v48, 4, v48
	s_cmp_lg_u32 s22, s0
	s_waitcnt lgkmcnt(0)
	v_cmp_lt_f32_e64 vcc, |v51|, |v52|
	s_nop 1
	v_cndmask_b32_e32 v51, v51, v52, vcc
	v_cndmask_b32_e32 v46, v46, v53, vcc
	s_cbranch_scc1 .LBB76_252
.LBB76_253:
	s_waitcnt lgkmcnt(0)
	v_cmp_eq_f32_e32 vcc, 0, v51
	s_and_saveexec_b64 s[0:1], vcc
	s_xor_b64 s[0:1], exec, s[0:1]
; %bb.254:
	v_cmp_ne_u32_e32 vcc, 0, v50
	s_nop 1
	v_cndmask_b32_e32 v50, 16, v50, vcc
; %bb.255:
	s_andn2_saveexec_b64 s[0:1], s[0:1]
	s_cbranch_execz .LBB76_257
; %bb.256:
	v_div_scale_f32 v48, s[2:3], v51, v51, 1.0
	v_rcp_f32_e32 v52, v48
	v_div_scale_f32 v53, vcc, 1.0, v51, 1.0
	v_fma_f32 v54, -v48, v52, 1.0
	v_fmac_f32_e32 v52, v54, v52
	v_mul_f32_e32 v54, v53, v52
	v_fma_f32 v55, -v48, v54, v53
	v_fmac_f32_e32 v54, v55, v52
	v_fma_f32 v48, -v48, v54, v53
	v_div_fmas_f32 v48, v48, v52, v54
	v_div_fixup_f32 v51, v48, v51, 1.0
.LBB76_257:
	s_or_b64 exec, exec, s[0:1]
	v_cmp_ne_u32_e32 vcc, v49, v46
	s_and_saveexec_b64 s[0:1], vcc
	s_xor_b64 s[0:1], exec, s[0:1]
	s_cbranch_execz .LBB76_263
; %bb.258:
	v_cmp_eq_u32_e32 vcc, 15, v49
	s_and_saveexec_b64 s[2:3], vcc
	s_cbranch_execz .LBB76_262
; %bb.259:
	v_cmp_ne_u32_e32 vcc, 15, v46
	s_xor_b64 s[18:19], s[16:17], -1
	s_and_b64 s[20:21], s[18:19], vcc
	s_and_saveexec_b64 s[18:19], s[20:21]
	s_cbranch_execz .LBB76_261
; %bb.260:
	v_ashrrev_i32_e32 v47, 31, v46
	v_lshl_add_u64 v[48:49], v[46:47], 2, v[22:23]
	global_load_dword v47, v[48:49], off
	global_load_dword v52, v[22:23], off offset:60
	s_waitcnt vmcnt(1)
	global_store_dword v[22:23], v47, off offset:60
	s_waitcnt vmcnt(1)
	global_store_dword v[48:49], v52, off
.LBB76_261:
	s_or_b64 exec, exec, s[18:19]
	v_mov_b32_e32 v47, v46
	v_mov_b32_e32 v49, v46
.LBB76_262:
	s_or_b64 exec, exec, s[2:3]
.LBB76_263:
	s_andn2_saveexec_b64 s[0:1], s[0:1]
	s_cbranch_execz .LBB76_265
; %bb.264:
	s_waitcnt vmcnt(20)
	v_pk_mov_b32 v[48:49], v[8:9], v[34:35] op_sel:[1,0]
	ds_write2_b32 v21, v48, v49 offset0:16 offset1:17
	s_waitcnt vmcnt(18)
	v_pk_mov_b32 v[48:49], v[34:35], v[30:31] op_sel:[1,0]
	ds_write2_b32 v21, v48, v49 offset0:18 offset1:19
	;; [unrolled: 3-line block ×11, first 2 shown]
	ds_write_b32 v21, v39 offset:152
	v_mov_b32_e32 v49, 15
.LBB76_265:
	s_or_b64 exec, exec, s[0:1]
	v_cmp_lt_i32_e32 vcc, 15, v49
	s_waitcnt lgkmcnt(0)
	s_barrier
	s_and_saveexec_b64 s[0:1], vcc
	s_cbranch_execz .LBB76_267
; %bb.266:
	ds_read_b32 v46, v21 offset:64
	ds_read2_b32 v[52:53], v21 offset0:17 offset1:18
	ds_read2_b32 v[54:55], v21 offset0:19 offset1:20
	v_mul_f32_e32 v8, v51, v8
	ds_read2_b32 v[56:57], v21 offset0:21 offset1:22
	s_waitcnt vmcnt(22) lgkmcnt(3)
	v_fma_f32 v9, -v8, v46, v9
	s_waitcnt vmcnt(20) lgkmcnt(2)
	v_pk_fma_f32 v[34:35], v[8:9], v[52:53], v[34:35] op_sel_hi:[0,1,1] neg_lo:[1,0,0] neg_hi:[1,0,0]
	s_waitcnt vmcnt(18) lgkmcnt(1)
	v_pk_fma_f32 v[30:31], v[8:9], v[54:55], v[30:31] op_sel_hi:[0,1,1] neg_lo:[1,0,0] neg_hi:[1,0,0]
	ds_read2_b32 v[52:53], v21 offset0:23 offset1:24
	ds_read2_b32 v[54:55], v21 offset0:25 offset1:26
	ds_read2_b32 v[58:59], v21 offset0:27 offset1:28
	s_waitcnt vmcnt(16) lgkmcnt(3)
	v_pk_fma_f32 v[24:25], v[8:9], v[56:57], v[24:25] op_sel_hi:[0,1,1] neg_lo:[1,0,0] neg_hi:[1,0,0]
	ds_read2_b32 v[56:57], v21 offset0:29 offset1:30
	s_waitcnt vmcnt(14) lgkmcnt(3)
	v_pk_fma_f32 v[16:17], v[8:9], v[52:53], v[16:17] op_sel_hi:[0,1,1] neg_lo:[1,0,0] neg_hi:[1,0,0]
	s_waitcnt vmcnt(12) lgkmcnt(2)
	v_pk_fma_f32 v[42:43], v[8:9], v[54:55], v[42:43] op_sel_hi:[0,1,1] neg_lo:[1,0,0] neg_hi:[1,0,0]
	;; [unrolled: 2-line block ×3, first 2 shown]
	ds_read2_b32 v[52:53], v21 offset0:31 offset1:32
	ds_read2_b32 v[54:55], v21 offset0:33 offset1:34
	;; [unrolled: 1-line block ×4, first 2 shown]
	s_waitcnt vmcnt(8) lgkmcnt(4)
	v_pk_fma_f32 v[32:33], v[8:9], v[56:57], v[32:33] op_sel_hi:[0,1,1] neg_lo:[1,0,0] neg_hi:[1,0,0]
	s_waitcnt vmcnt(6) lgkmcnt(3)
	v_pk_fma_f32 v[26:27], v[8:9], v[52:53], v[26:27] op_sel_hi:[0,1,1] neg_lo:[1,0,0] neg_hi:[1,0,0]
	;; [unrolled: 2-line block ×5, first 2 shown]
.LBB76_267:
	s_or_b64 exec, exec, s[0:1]
	v_lshl_add_u32 v46, v49, 2, v21
	s_barrier
	s_waitcnt vmcnt(22)
	ds_write_b32 v46, v9
	s_waitcnt lgkmcnt(0)
	s_barrier
	ds_read_b32 v48, v21 offset:64
	s_cmp_lt_i32 s22, 18
	v_mov_b32_e32 v46, 16
	s_cbranch_scc1 .LBB76_270
; %bb.268:
	v_add_u32_e32 v51, 0x44, v21
	v_mov_b32_e32 v46, 16
	s_mov_b32 s0, 17
.LBB76_269:                             ; =>This Inner Loop Header: Depth=1
	ds_read_b32 v52, v51
	v_mov_b32_e32 v53, s0
	s_add_i32 s0, s0, 1
	v_add_u32_e32 v51, 4, v51
	s_cmp_lg_u32 s22, s0
	s_waitcnt lgkmcnt(0)
	v_cmp_lt_f32_e64 vcc, |v48|, |v52|
	s_nop 1
	v_cndmask_b32_e32 v48, v48, v52, vcc
	v_cndmask_b32_e32 v46, v46, v53, vcc
	s_cbranch_scc1 .LBB76_269
.LBB76_270:
	s_waitcnt lgkmcnt(0)
	v_cmp_eq_f32_e32 vcc, 0, v48
	s_and_saveexec_b64 s[0:1], vcc
	s_xor_b64 s[0:1], exec, s[0:1]
; %bb.271:
	v_cmp_ne_u32_e32 vcc, 0, v50
	s_nop 1
	v_cndmask_b32_e32 v50, 17, v50, vcc
; %bb.272:
	s_andn2_saveexec_b64 s[0:1], s[0:1]
	s_cbranch_execz .LBB76_274
; %bb.273:
	v_div_scale_f32 v51, s[2:3], v48, v48, 1.0
	v_rcp_f32_e32 v52, v51
	v_div_scale_f32 v53, vcc, 1.0, v48, 1.0
	v_fma_f32 v54, -v51, v52, 1.0
	v_fmac_f32_e32 v52, v54, v52
	v_mul_f32_e32 v54, v53, v52
	v_fma_f32 v55, -v51, v54, v53
	v_fmac_f32_e32 v54, v55, v52
	v_fma_f32 v51, -v51, v54, v53
	v_div_fmas_f32 v51, v51, v52, v54
	v_div_fixup_f32 v48, v51, v48, 1.0
.LBB76_274:
	s_or_b64 exec, exec, s[0:1]
	v_cmp_ne_u32_e32 vcc, v49, v46
	s_and_saveexec_b64 s[0:1], vcc
	s_xor_b64 s[0:1], exec, s[0:1]
	s_cbranch_execz .LBB76_280
; %bb.275:
	v_cmp_eq_u32_e32 vcc, 16, v49
	s_and_saveexec_b64 s[2:3], vcc
	s_cbranch_execz .LBB76_279
; %bb.276:
	v_cmp_ne_u32_e32 vcc, 16, v46
	s_xor_b64 s[18:19], s[16:17], -1
	s_and_b64 s[20:21], s[18:19], vcc
	s_and_saveexec_b64 s[18:19], s[20:21]
	s_cbranch_execz .LBB76_278
; %bb.277:
	v_ashrrev_i32_e32 v47, 31, v46
	v_lshl_add_u64 v[52:53], v[46:47], 2, v[22:23]
	global_load_dword v47, v[52:53], off
	global_load_dword v49, v[22:23], off offset:64
	s_waitcnt vmcnt(1)
	global_store_dword v[22:23], v47, off offset:64
	s_waitcnt vmcnt(1)
	global_store_dword v[52:53], v49, off
.LBB76_278:
	s_or_b64 exec, exec, s[18:19]
	v_mov_b32_e32 v47, v46
	v_mov_b32_e32 v49, v46
.LBB76_279:
	s_or_b64 exec, exec, s[2:3]
.LBB76_280:
	s_andn2_saveexec_b64 s[0:1], s[0:1]
	s_cbranch_execz .LBB76_282
; %bb.281:
	v_mov_b32_e32 v49, 16
	s_waitcnt vmcnt(20)
	ds_write2_b32 v21, v34, v35 offset0:17 offset1:18
	s_waitcnt vmcnt(18)
	ds_write2_b32 v21, v30, v31 offset0:19 offset1:20
	;; [unrolled: 2-line block ×11, first 2 shown]
.LBB76_282:
	s_or_b64 exec, exec, s[0:1]
	v_cmp_lt_i32_e32 vcc, 16, v49
	s_waitcnt lgkmcnt(0)
	s_barrier
	s_and_saveexec_b64 s[0:1], vcc
	s_cbranch_execz .LBB76_284
; %bb.283:
	ds_read2_b32 v[52:53], v21 offset0:17 offset1:18
	ds_read2_b32 v[54:55], v21 offset0:19 offset1:20
	;; [unrolled: 1-line block ×3, first 2 shown]
	v_mul_f32_e32 v46, v48, v9
	ds_read2_b32 v[58:59], v21 offset0:23 offset1:24
	s_waitcnt vmcnt(20) lgkmcnt(3)
	v_pk_fma_f32 v[34:35], v[46:47], v[52:53], v[34:35] op_sel_hi:[0,1,1] neg_lo:[1,0,0] neg_hi:[1,0,0]
	s_waitcnt vmcnt(18) lgkmcnt(2)
	v_pk_fma_f32 v[30:31], v[46:47], v[54:55], v[30:31] op_sel_hi:[0,1,1] neg_lo:[1,0,0] neg_hi:[1,0,0]
	ds_read2_b32 v[52:53], v21 offset0:25 offset1:26
	ds_read2_b32 v[54:55], v21 offset0:27 offset1:28
	s_waitcnt vmcnt(16) lgkmcnt(3)
	v_pk_fma_f32 v[24:25], v[46:47], v[56:57], v[24:25] op_sel_hi:[0,1,1] neg_lo:[1,0,0] neg_hi:[1,0,0]
	s_waitcnt vmcnt(14) lgkmcnt(2)
	v_pk_fma_f32 v[16:17], v[46:47], v[58:59], v[16:17] op_sel_hi:[0,1,1] neg_lo:[1,0,0] neg_hi:[1,0,0]
	ds_read2_b32 v[56:57], v21 offset0:29 offset1:30
	ds_read2_b32 v[58:59], v21 offset0:31 offset1:32
	s_waitcnt vmcnt(12) lgkmcnt(3)
	v_pk_fma_f32 v[42:43], v[46:47], v[52:53], v[42:43] op_sel_hi:[0,1,1] neg_lo:[1,0,0] neg_hi:[1,0,0]
	s_waitcnt vmcnt(10) lgkmcnt(2)
	v_pk_fma_f32 v[36:37], v[46:47], v[54:55], v[36:37] op_sel_hi:[0,1,1] neg_lo:[1,0,0] neg_hi:[1,0,0]
	ds_read2_b32 v[52:53], v21 offset0:33 offset1:34
	ds_read2_b32 v[54:55], v21 offset0:35 offset1:36
	ds_read2_b32 v[60:61], v21 offset0:37 offset1:38
	s_waitcnt vmcnt(8) lgkmcnt(4)
	v_pk_fma_f32 v[32:33], v[46:47], v[56:57], v[32:33] op_sel_hi:[0,1,1] neg_lo:[1,0,0] neg_hi:[1,0,0]
	s_waitcnt vmcnt(6) lgkmcnt(3)
	v_pk_fma_f32 v[26:27], v[46:47], v[58:59], v[26:27] op_sel_hi:[0,1,1] neg_lo:[1,0,0] neg_hi:[1,0,0]
	;; [unrolled: 2-line block ×5, first 2 shown]
	v_mov_b32_e32 v9, v46
.LBB76_284:
	s_or_b64 exec, exec, s[0:1]
	v_lshl_add_u32 v46, v49, 2, v21
	s_barrier
	s_waitcnt vmcnt(21)
	ds_write_b32 v46, v34
	s_waitcnt lgkmcnt(0)
	s_barrier
	ds_read_b32 v48, v21 offset:68
	s_cmp_lt_i32 s22, 19
	v_mov_b32_e32 v46, 17
	s_cbranch_scc1 .LBB76_287
; %bb.285:
	v_add_u32_e32 v51, 0x48, v21
	v_mov_b32_e32 v46, 17
	s_mov_b32 s0, 18
.LBB76_286:                             ; =>This Inner Loop Header: Depth=1
	ds_read_b32 v52, v51
	v_mov_b32_e32 v53, s0
	s_add_i32 s0, s0, 1
	v_add_u32_e32 v51, 4, v51
	s_cmp_lg_u32 s22, s0
	s_waitcnt lgkmcnt(0)
	v_cmp_lt_f32_e64 vcc, |v48|, |v52|
	s_nop 1
	v_cndmask_b32_e32 v48, v48, v52, vcc
	v_cndmask_b32_e32 v46, v46, v53, vcc
	s_cbranch_scc1 .LBB76_286
.LBB76_287:
	s_waitcnt lgkmcnt(0)
	v_cmp_eq_f32_e32 vcc, 0, v48
	s_and_saveexec_b64 s[0:1], vcc
	s_xor_b64 s[0:1], exec, s[0:1]
; %bb.288:
	v_cmp_ne_u32_e32 vcc, 0, v50
	s_nop 1
	v_cndmask_b32_e32 v50, 18, v50, vcc
; %bb.289:
	s_andn2_saveexec_b64 s[0:1], s[0:1]
	s_cbranch_execz .LBB76_291
; %bb.290:
	v_div_scale_f32 v51, s[2:3], v48, v48, 1.0
	v_rcp_f32_e32 v52, v51
	v_div_scale_f32 v53, vcc, 1.0, v48, 1.0
	v_fma_f32 v54, -v51, v52, 1.0
	v_fmac_f32_e32 v52, v54, v52
	v_mul_f32_e32 v54, v53, v52
	v_fma_f32 v55, -v51, v54, v53
	v_fmac_f32_e32 v54, v55, v52
	v_fma_f32 v51, -v51, v54, v53
	v_div_fmas_f32 v51, v51, v52, v54
	v_div_fixup_f32 v48, v51, v48, 1.0
.LBB76_291:
	s_or_b64 exec, exec, s[0:1]
	v_cmp_ne_u32_e32 vcc, v49, v46
	s_and_saveexec_b64 s[0:1], vcc
	s_xor_b64 s[0:1], exec, s[0:1]
	s_cbranch_execz .LBB76_297
; %bb.292:
	v_cmp_eq_u32_e32 vcc, 17, v49
	s_and_saveexec_b64 s[2:3], vcc
	s_cbranch_execz .LBB76_296
; %bb.293:
	v_cmp_ne_u32_e32 vcc, 17, v46
	s_xor_b64 s[18:19], s[16:17], -1
	s_and_b64 s[20:21], s[18:19], vcc
	s_and_saveexec_b64 s[18:19], s[20:21]
	s_cbranch_execz .LBB76_295
; %bb.294:
	v_ashrrev_i32_e32 v47, 31, v46
	v_lshl_add_u64 v[52:53], v[46:47], 2, v[22:23]
	global_load_dword v47, v[52:53], off
	global_load_dword v49, v[22:23], off offset:68
	s_waitcnt vmcnt(1)
	global_store_dword v[22:23], v47, off offset:68
	s_waitcnt vmcnt(1)
	global_store_dword v[52:53], v49, off
.LBB76_295:
	s_or_b64 exec, exec, s[18:19]
	v_mov_b32_e32 v47, v46
	v_mov_b32_e32 v49, v46
.LBB76_296:
	s_or_b64 exec, exec, s[2:3]
.LBB76_297:
	s_andn2_saveexec_b64 s[0:1], s[0:1]
	s_cbranch_execz .LBB76_299
; %bb.298:
	s_waitcnt vmcnt(18)
	v_pk_mov_b32 v[52:53], v[34:35], v[30:31] op_sel:[1,0]
	ds_write2_b32 v21, v52, v53 offset0:18 offset1:19
	s_waitcnt vmcnt(16)
	v_pk_mov_b32 v[52:53], v[30:31], v[24:25] op_sel:[1,0]
	ds_write2_b32 v21, v52, v53 offset0:20 offset1:21
	;; [unrolled: 3-line block ×9, first 2 shown]
	s_waitcnt vmcnt(0)
	v_pk_mov_b32 v[52:53], v[40:41], v[38:39] op_sel:[1,0]
	v_mov_b32_e32 v49, 17
	ds_write2_b32 v21, v52, v53 offset0:36 offset1:37
	ds_write_b32 v21, v39 offset:152
.LBB76_299:
	s_or_b64 exec, exec, s[0:1]
	v_cmp_lt_i32_e32 vcc, 17, v49
	s_waitcnt lgkmcnt(0)
	s_barrier
	s_and_saveexec_b64 s[0:1], vcc
	s_cbranch_execz .LBB76_301
; %bb.300:
	ds_read_b32 v46, v21 offset:72
	ds_read2_b32 v[52:53], v21 offset0:19 offset1:20
	ds_read2_b32 v[54:55], v21 offset0:21 offset1:22
	v_mul_f32_e32 v34, v48, v34
	ds_read2_b32 v[56:57], v21 offset0:23 offset1:24
	s_waitcnt vmcnt(20) lgkmcnt(3)
	v_fma_f32 v35, -v34, v46, v35
	s_waitcnt vmcnt(18) lgkmcnt(2)
	v_pk_fma_f32 v[30:31], v[34:35], v[52:53], v[30:31] op_sel_hi:[0,1,1] neg_lo:[1,0,0] neg_hi:[1,0,0]
	s_waitcnt vmcnt(16) lgkmcnt(1)
	v_pk_fma_f32 v[24:25], v[34:35], v[54:55], v[24:25] op_sel_hi:[0,1,1] neg_lo:[1,0,0] neg_hi:[1,0,0]
	ds_read2_b32 v[52:53], v21 offset0:25 offset1:26
	ds_read2_b32 v[54:55], v21 offset0:27 offset1:28
	s_waitcnt vmcnt(14) lgkmcnt(2)
	v_pk_fma_f32 v[16:17], v[34:35], v[56:57], v[16:17] op_sel_hi:[0,1,1] neg_lo:[1,0,0] neg_hi:[1,0,0]
	ds_read2_b32 v[56:57], v21 offset0:29 offset1:30
	ds_read2_b32 v[58:59], v21 offset0:31 offset1:32
	s_waitcnt vmcnt(12) lgkmcnt(3)
	v_pk_fma_f32 v[42:43], v[34:35], v[52:53], v[42:43] op_sel_hi:[0,1,1] neg_lo:[1,0,0] neg_hi:[1,0,0]
	s_waitcnt vmcnt(10) lgkmcnt(2)
	v_pk_fma_f32 v[36:37], v[34:35], v[54:55], v[36:37] op_sel_hi:[0,1,1] neg_lo:[1,0,0] neg_hi:[1,0,0]
	ds_read2_b32 v[52:53], v21 offset0:33 offset1:34
	ds_read2_b32 v[54:55], v21 offset0:35 offset1:36
	;; [unrolled: 1-line block ×3, first 2 shown]
	s_waitcnt vmcnt(8) lgkmcnt(4)
	v_pk_fma_f32 v[32:33], v[34:35], v[56:57], v[32:33] op_sel_hi:[0,1,1] neg_lo:[1,0,0] neg_hi:[1,0,0]
	s_waitcnt vmcnt(6) lgkmcnt(3)
	v_pk_fma_f32 v[26:27], v[34:35], v[58:59], v[26:27] op_sel_hi:[0,1,1] neg_lo:[1,0,0] neg_hi:[1,0,0]
	;; [unrolled: 2-line block ×5, first 2 shown]
.LBB76_301:
	s_or_b64 exec, exec, s[0:1]
	v_lshl_add_u32 v46, v49, 2, v21
	s_barrier
	s_waitcnt vmcnt(20)
	ds_write_b32 v46, v35
	s_waitcnt lgkmcnt(0)
	s_barrier
	ds_read_b32 v48, v21 offset:72
	s_cmp_lt_i32 s22, 20
	v_mov_b32_e32 v46, 18
	s_cbranch_scc1 .LBB76_304
; %bb.302:
	v_add_u32_e32 v51, 0x4c, v21
	v_mov_b32_e32 v46, 18
	s_mov_b32 s0, 19
.LBB76_303:                             ; =>This Inner Loop Header: Depth=1
	ds_read_b32 v52, v51
	v_mov_b32_e32 v53, s0
	s_add_i32 s0, s0, 1
	v_add_u32_e32 v51, 4, v51
	s_cmp_lg_u32 s22, s0
	s_waitcnt lgkmcnt(0)
	v_cmp_lt_f32_e64 vcc, |v48|, |v52|
	s_nop 1
	v_cndmask_b32_e32 v48, v48, v52, vcc
	v_cndmask_b32_e32 v46, v46, v53, vcc
	s_cbranch_scc1 .LBB76_303
.LBB76_304:
	s_waitcnt lgkmcnt(0)
	v_cmp_eq_f32_e32 vcc, 0, v48
	s_and_saveexec_b64 s[0:1], vcc
	s_xor_b64 s[0:1], exec, s[0:1]
; %bb.305:
	v_cmp_ne_u32_e32 vcc, 0, v50
	s_nop 1
	v_cndmask_b32_e32 v50, 19, v50, vcc
; %bb.306:
	s_andn2_saveexec_b64 s[0:1], s[0:1]
	s_cbranch_execz .LBB76_308
; %bb.307:
	v_div_scale_f32 v51, s[2:3], v48, v48, 1.0
	v_rcp_f32_e32 v52, v51
	v_div_scale_f32 v53, vcc, 1.0, v48, 1.0
	v_fma_f32 v54, -v51, v52, 1.0
	v_fmac_f32_e32 v52, v54, v52
	v_mul_f32_e32 v54, v53, v52
	v_fma_f32 v55, -v51, v54, v53
	v_fmac_f32_e32 v54, v55, v52
	v_fma_f32 v51, -v51, v54, v53
	v_div_fmas_f32 v51, v51, v52, v54
	v_div_fixup_f32 v48, v51, v48, 1.0
.LBB76_308:
	s_or_b64 exec, exec, s[0:1]
	v_cmp_ne_u32_e32 vcc, v49, v46
	s_and_saveexec_b64 s[0:1], vcc
	s_xor_b64 s[0:1], exec, s[0:1]
	s_cbranch_execz .LBB76_314
; %bb.309:
	v_cmp_eq_u32_e32 vcc, 18, v49
	s_and_saveexec_b64 s[2:3], vcc
	s_cbranch_execz .LBB76_313
; %bb.310:
	v_cmp_ne_u32_e32 vcc, 18, v46
	s_xor_b64 s[18:19], s[16:17], -1
	s_and_b64 s[20:21], s[18:19], vcc
	s_and_saveexec_b64 s[18:19], s[20:21]
	s_cbranch_execz .LBB76_312
; %bb.311:
	v_ashrrev_i32_e32 v47, 31, v46
	v_lshl_add_u64 v[52:53], v[46:47], 2, v[22:23]
	global_load_dword v47, v[52:53], off
	global_load_dword v49, v[22:23], off offset:72
	s_waitcnt vmcnt(1)
	global_store_dword v[22:23], v47, off offset:72
	s_waitcnt vmcnt(1)
	global_store_dword v[52:53], v49, off
.LBB76_312:
	s_or_b64 exec, exec, s[18:19]
	v_mov_b32_e32 v47, v46
	v_mov_b32_e32 v49, v46
.LBB76_313:
	s_or_b64 exec, exec, s[2:3]
.LBB76_314:
	s_andn2_saveexec_b64 s[0:1], s[0:1]
	s_cbranch_execz .LBB76_316
; %bb.315:
	v_mov_b32_e32 v49, 18
	s_waitcnt vmcnt(18)
	ds_write2_b32 v21, v30, v31 offset0:19 offset1:20
	s_waitcnt vmcnt(16)
	ds_write2_b32 v21, v24, v25 offset0:21 offset1:22
	;; [unrolled: 2-line block ×10, first 2 shown]
.LBB76_316:
	s_or_b64 exec, exec, s[0:1]
	v_cmp_lt_i32_e32 vcc, 18, v49
	s_waitcnt lgkmcnt(0)
	s_barrier
	s_and_saveexec_b64 s[0:1], vcc
	s_cbranch_execz .LBB76_318
; %bb.317:
	ds_read2_b32 v[52:53], v21 offset0:19 offset1:20
	ds_read2_b32 v[54:55], v21 offset0:21 offset1:22
	;; [unrolled: 1-line block ×3, first 2 shown]
	v_mul_f32_e32 v46, v48, v35
	ds_read2_b32 v[58:59], v21 offset0:25 offset1:26
	s_waitcnt vmcnt(18) lgkmcnt(3)
	v_pk_fma_f32 v[30:31], v[46:47], v[52:53], v[30:31] op_sel_hi:[0,1,1] neg_lo:[1,0,0] neg_hi:[1,0,0]
	ds_read2_b32 v[52:53], v21 offset0:27 offset1:28
	s_waitcnt vmcnt(16) lgkmcnt(3)
	v_pk_fma_f32 v[24:25], v[46:47], v[54:55], v[24:25] op_sel_hi:[0,1,1] neg_lo:[1,0,0] neg_hi:[1,0,0]
	s_waitcnt vmcnt(14) lgkmcnt(2)
	v_pk_fma_f32 v[16:17], v[46:47], v[56:57], v[16:17] op_sel_hi:[0,1,1] neg_lo:[1,0,0] neg_hi:[1,0,0]
	;; [unrolled: 2-line block ×3, first 2 shown]
	ds_read2_b32 v[54:55], v21 offset0:29 offset1:30
	ds_read2_b32 v[56:57], v21 offset0:31 offset1:32
	;; [unrolled: 1-line block ×3, first 2 shown]
	s_waitcnt vmcnt(10) lgkmcnt(3)
	v_pk_fma_f32 v[36:37], v[46:47], v[52:53], v[36:37] op_sel_hi:[0,1,1] neg_lo:[1,0,0] neg_hi:[1,0,0]
	ds_read2_b32 v[52:53], v21 offset0:35 offset1:36
	ds_read2_b32 v[60:61], v21 offset0:37 offset1:38
	s_waitcnt vmcnt(8) lgkmcnt(4)
	v_pk_fma_f32 v[32:33], v[46:47], v[54:55], v[32:33] op_sel_hi:[0,1,1] neg_lo:[1,0,0] neg_hi:[1,0,0]
	s_waitcnt vmcnt(6) lgkmcnt(3)
	v_pk_fma_f32 v[26:27], v[46:47], v[56:57], v[26:27] op_sel_hi:[0,1,1] neg_lo:[1,0,0] neg_hi:[1,0,0]
	;; [unrolled: 2-line block ×5, first 2 shown]
	v_mov_b32_e32 v35, v46
.LBB76_318:
	s_or_b64 exec, exec, s[0:1]
	v_lshl_add_u32 v46, v49, 2, v21
	s_barrier
	s_waitcnt vmcnt(19)
	ds_write_b32 v46, v30
	s_waitcnt lgkmcnt(0)
	s_barrier
	ds_read_b32 v48, v21 offset:76
	s_cmp_lt_i32 s22, 21
	v_mov_b32_e32 v46, 19
	s_cbranch_scc1 .LBB76_321
; %bb.319:
	v_add_u32_e32 v51, 0x50, v21
	v_mov_b32_e32 v46, 19
	s_mov_b32 s0, 20
.LBB76_320:                             ; =>This Inner Loop Header: Depth=1
	ds_read_b32 v52, v51
	v_mov_b32_e32 v53, s0
	s_add_i32 s0, s0, 1
	v_add_u32_e32 v51, 4, v51
	s_cmp_lg_u32 s22, s0
	s_waitcnt lgkmcnt(0)
	v_cmp_lt_f32_e64 vcc, |v48|, |v52|
	s_nop 1
	v_cndmask_b32_e32 v48, v48, v52, vcc
	v_cndmask_b32_e32 v46, v46, v53, vcc
	s_cbranch_scc1 .LBB76_320
.LBB76_321:
	s_waitcnt lgkmcnt(0)
	v_cmp_eq_f32_e32 vcc, 0, v48
	s_and_saveexec_b64 s[0:1], vcc
	s_xor_b64 s[0:1], exec, s[0:1]
; %bb.322:
	v_cmp_ne_u32_e32 vcc, 0, v50
	s_nop 1
	v_cndmask_b32_e32 v50, 20, v50, vcc
; %bb.323:
	s_andn2_saveexec_b64 s[0:1], s[0:1]
	s_cbranch_execz .LBB76_325
; %bb.324:
	v_div_scale_f32 v51, s[2:3], v48, v48, 1.0
	v_rcp_f32_e32 v52, v51
	v_div_scale_f32 v53, vcc, 1.0, v48, 1.0
	v_fma_f32 v54, -v51, v52, 1.0
	v_fmac_f32_e32 v52, v54, v52
	v_mul_f32_e32 v54, v53, v52
	v_fma_f32 v55, -v51, v54, v53
	v_fmac_f32_e32 v54, v55, v52
	v_fma_f32 v51, -v51, v54, v53
	v_div_fmas_f32 v51, v51, v52, v54
	v_div_fixup_f32 v48, v51, v48, 1.0
.LBB76_325:
	s_or_b64 exec, exec, s[0:1]
	v_cmp_ne_u32_e32 vcc, v49, v46
	s_and_saveexec_b64 s[0:1], vcc
	s_xor_b64 s[0:1], exec, s[0:1]
	s_cbranch_execz .LBB76_331
; %bb.326:
	v_cmp_eq_u32_e32 vcc, 19, v49
	s_and_saveexec_b64 s[2:3], vcc
	s_cbranch_execz .LBB76_330
; %bb.327:
	v_cmp_ne_u32_e32 vcc, 19, v46
	s_xor_b64 s[18:19], s[16:17], -1
	s_and_b64 s[20:21], s[18:19], vcc
	s_and_saveexec_b64 s[18:19], s[20:21]
	s_cbranch_execz .LBB76_329
; %bb.328:
	v_ashrrev_i32_e32 v47, 31, v46
	v_lshl_add_u64 v[52:53], v[46:47], 2, v[22:23]
	global_load_dword v47, v[52:53], off
	global_load_dword v49, v[22:23], off offset:76
	s_waitcnt vmcnt(1)
	global_store_dword v[22:23], v47, off offset:76
	s_waitcnt vmcnt(1)
	global_store_dword v[52:53], v49, off
.LBB76_329:
	s_or_b64 exec, exec, s[18:19]
	v_mov_b32_e32 v47, v46
	v_mov_b32_e32 v49, v46
.LBB76_330:
	s_or_b64 exec, exec, s[2:3]
.LBB76_331:
	s_andn2_saveexec_b64 s[0:1], s[0:1]
	s_cbranch_execz .LBB76_333
; %bb.332:
	s_waitcnt vmcnt(16)
	v_pk_mov_b32 v[52:53], v[30:31], v[24:25] op_sel:[1,0]
	ds_write2_b32 v21, v52, v53 offset0:20 offset1:21
	s_waitcnt vmcnt(14)
	v_pk_mov_b32 v[52:53], v[24:25], v[16:17] op_sel:[1,0]
	ds_write2_b32 v21, v52, v53 offset0:22 offset1:23
	;; [unrolled: 3-line block ×8, first 2 shown]
	s_waitcnt vmcnt(0)
	v_pk_mov_b32 v[52:53], v[40:41], v[38:39] op_sel:[1,0]
	v_mov_b32_e32 v49, 19
	ds_write2_b32 v21, v52, v53 offset0:36 offset1:37
	ds_write_b32 v21, v39 offset:152
.LBB76_333:
	s_or_b64 exec, exec, s[0:1]
	v_cmp_lt_i32_e32 vcc, 19, v49
	s_waitcnt lgkmcnt(0)
	s_barrier
	s_and_saveexec_b64 s[0:1], vcc
	s_cbranch_execz .LBB76_335
; %bb.334:
	ds_read_b32 v46, v21 offset:80
	ds_read2_b32 v[52:53], v21 offset0:21 offset1:22
	ds_read2_b32 v[54:55], v21 offset0:23 offset1:24
	v_mul_f32_e32 v30, v48, v30
	ds_read2_b32 v[56:57], v21 offset0:25 offset1:26
	s_waitcnt vmcnt(18) lgkmcnt(3)
	v_fma_f32 v31, -v30, v46, v31
	s_waitcnt vmcnt(16) lgkmcnt(2)
	v_pk_fma_f32 v[24:25], v[30:31], v[52:53], v[24:25] op_sel_hi:[0,1,1] neg_lo:[1,0,0] neg_hi:[1,0,0]
	ds_read2_b32 v[52:53], v21 offset0:27 offset1:28
	s_waitcnt vmcnt(14) lgkmcnt(2)
	v_pk_fma_f32 v[16:17], v[30:31], v[54:55], v[16:17] op_sel_hi:[0,1,1] neg_lo:[1,0,0] neg_hi:[1,0,0]
	s_waitcnt vmcnt(12) lgkmcnt(1)
	v_pk_fma_f32 v[42:43], v[30:31], v[56:57], v[42:43] op_sel_hi:[0,1,1] neg_lo:[1,0,0] neg_hi:[1,0,0]
	ds_read2_b32 v[54:55], v21 offset0:29 offset1:30
	ds_read2_b32 v[56:57], v21 offset0:31 offset1:32
	;; [unrolled: 1-line block ×3, first 2 shown]
	s_waitcnt vmcnt(10) lgkmcnt(3)
	v_pk_fma_f32 v[36:37], v[30:31], v[52:53], v[36:37] op_sel_hi:[0,1,1] neg_lo:[1,0,0] neg_hi:[1,0,0]
	ds_read2_b32 v[52:53], v21 offset0:35 offset1:36
	ds_read2_b32 v[60:61], v21 offset0:37 offset1:38
	s_waitcnt vmcnt(8) lgkmcnt(4)
	v_pk_fma_f32 v[32:33], v[30:31], v[54:55], v[32:33] op_sel_hi:[0,1,1] neg_lo:[1,0,0] neg_hi:[1,0,0]
	s_waitcnt vmcnt(6) lgkmcnt(3)
	v_pk_fma_f32 v[26:27], v[30:31], v[56:57], v[26:27] op_sel_hi:[0,1,1] neg_lo:[1,0,0] neg_hi:[1,0,0]
	;; [unrolled: 2-line block ×5, first 2 shown]
.LBB76_335:
	s_or_b64 exec, exec, s[0:1]
	v_lshl_add_u32 v46, v49, 2, v21
	s_barrier
	s_waitcnt vmcnt(18)
	ds_write_b32 v46, v31
	s_waitcnt lgkmcnt(0)
	s_barrier
	ds_read_b32 v48, v21 offset:80
	s_cmp_lt_i32 s22, 22
	v_mov_b32_e32 v46, 20
	s_cbranch_scc1 .LBB76_338
; %bb.336:
	v_add_u32_e32 v51, 0x54, v21
	v_mov_b32_e32 v46, 20
	s_mov_b32 s0, 21
.LBB76_337:                             ; =>This Inner Loop Header: Depth=1
	ds_read_b32 v52, v51
	v_mov_b32_e32 v53, s0
	s_add_i32 s0, s0, 1
	v_add_u32_e32 v51, 4, v51
	s_cmp_lg_u32 s22, s0
	s_waitcnt lgkmcnt(0)
	v_cmp_lt_f32_e64 vcc, |v48|, |v52|
	s_nop 1
	v_cndmask_b32_e32 v48, v48, v52, vcc
	v_cndmask_b32_e32 v46, v46, v53, vcc
	s_cbranch_scc1 .LBB76_337
.LBB76_338:
	s_waitcnt lgkmcnt(0)
	v_cmp_eq_f32_e32 vcc, 0, v48
	s_and_saveexec_b64 s[0:1], vcc
	s_xor_b64 s[0:1], exec, s[0:1]
; %bb.339:
	v_cmp_ne_u32_e32 vcc, 0, v50
	s_nop 1
	v_cndmask_b32_e32 v50, 21, v50, vcc
; %bb.340:
	s_andn2_saveexec_b64 s[0:1], s[0:1]
	s_cbranch_execz .LBB76_342
; %bb.341:
	v_div_scale_f32 v51, s[2:3], v48, v48, 1.0
	v_rcp_f32_e32 v52, v51
	v_div_scale_f32 v53, vcc, 1.0, v48, 1.0
	v_fma_f32 v54, -v51, v52, 1.0
	v_fmac_f32_e32 v52, v54, v52
	v_mul_f32_e32 v54, v53, v52
	v_fma_f32 v55, -v51, v54, v53
	v_fmac_f32_e32 v54, v55, v52
	v_fma_f32 v51, -v51, v54, v53
	v_div_fmas_f32 v51, v51, v52, v54
	v_div_fixup_f32 v48, v51, v48, 1.0
.LBB76_342:
	s_or_b64 exec, exec, s[0:1]
	v_cmp_ne_u32_e32 vcc, v49, v46
	s_and_saveexec_b64 s[0:1], vcc
	s_xor_b64 s[0:1], exec, s[0:1]
	s_cbranch_execz .LBB76_348
; %bb.343:
	v_cmp_eq_u32_e32 vcc, 20, v49
	s_and_saveexec_b64 s[2:3], vcc
	s_cbranch_execz .LBB76_347
; %bb.344:
	v_cmp_ne_u32_e32 vcc, 20, v46
	s_xor_b64 s[18:19], s[16:17], -1
	s_and_b64 s[20:21], s[18:19], vcc
	s_and_saveexec_b64 s[18:19], s[20:21]
	s_cbranch_execz .LBB76_346
; %bb.345:
	v_ashrrev_i32_e32 v47, 31, v46
	v_lshl_add_u64 v[52:53], v[46:47], 2, v[22:23]
	global_load_dword v47, v[52:53], off
	global_load_dword v49, v[22:23], off offset:80
	s_waitcnt vmcnt(1)
	global_store_dword v[22:23], v47, off offset:80
	s_waitcnt vmcnt(1)
	global_store_dword v[52:53], v49, off
.LBB76_346:
	s_or_b64 exec, exec, s[18:19]
	v_mov_b32_e32 v47, v46
	v_mov_b32_e32 v49, v46
.LBB76_347:
	s_or_b64 exec, exec, s[2:3]
.LBB76_348:
	s_andn2_saveexec_b64 s[0:1], s[0:1]
	s_cbranch_execz .LBB76_350
; %bb.349:
	v_mov_b32_e32 v49, 20
	s_waitcnt vmcnt(16)
	ds_write2_b32 v21, v24, v25 offset0:21 offset1:22
	s_waitcnt vmcnt(14)
	ds_write2_b32 v21, v16, v17 offset0:23 offset1:24
	;; [unrolled: 2-line block ×9, first 2 shown]
.LBB76_350:
	s_or_b64 exec, exec, s[0:1]
	v_cmp_lt_i32_e32 vcc, 20, v49
	s_waitcnt lgkmcnt(0)
	s_barrier
	s_and_saveexec_b64 s[0:1], vcc
	s_cbranch_execz .LBB76_352
; %bb.351:
	ds_read2_b32 v[52:53], v21 offset0:21 offset1:22
	ds_read2_b32 v[54:55], v21 offset0:23 offset1:24
	;; [unrolled: 1-line block ×4, first 2 shown]
	v_mul_f32_e32 v46, v48, v31
	s_waitcnt vmcnt(16) lgkmcnt(3)
	v_pk_fma_f32 v[24:25], v[46:47], v[52:53], v[24:25] op_sel_hi:[0,1,1] neg_lo:[1,0,0] neg_hi:[1,0,0]
	s_waitcnt vmcnt(14) lgkmcnt(2)
	v_pk_fma_f32 v[16:17], v[46:47], v[54:55], v[16:17] op_sel_hi:[0,1,1] neg_lo:[1,0,0] neg_hi:[1,0,0]
	;; [unrolled: 2-line block ×4, first 2 shown]
	ds_read2_b32 v[52:53], v21 offset0:29 offset1:30
	ds_read2_b32 v[54:55], v21 offset0:31 offset1:32
	;; [unrolled: 1-line block ×5, first 2 shown]
	s_waitcnt vmcnt(8) lgkmcnt(4)
	v_pk_fma_f32 v[32:33], v[46:47], v[52:53], v[32:33] op_sel_hi:[0,1,1] neg_lo:[1,0,0] neg_hi:[1,0,0]
	s_waitcnt vmcnt(6) lgkmcnt(3)
	v_pk_fma_f32 v[26:27], v[46:47], v[54:55], v[26:27] op_sel_hi:[0,1,1] neg_lo:[1,0,0] neg_hi:[1,0,0]
	;; [unrolled: 2-line block ×5, first 2 shown]
	v_mov_b32_e32 v31, v46
.LBB76_352:
	s_or_b64 exec, exec, s[0:1]
	v_lshl_add_u32 v46, v49, 2, v21
	s_barrier
	s_waitcnt vmcnt(17)
	ds_write_b32 v46, v24
	s_waitcnt lgkmcnt(0)
	s_barrier
	ds_read_b32 v48, v21 offset:84
	s_cmp_lt_i32 s22, 23
	v_mov_b32_e32 v46, 21
	s_cbranch_scc1 .LBB76_355
; %bb.353:
	v_add_u32_e32 v51, 0x58, v21
	v_mov_b32_e32 v46, 21
	s_mov_b32 s0, 22
.LBB76_354:                             ; =>This Inner Loop Header: Depth=1
	ds_read_b32 v52, v51
	v_mov_b32_e32 v53, s0
	s_add_i32 s0, s0, 1
	v_add_u32_e32 v51, 4, v51
	s_cmp_lg_u32 s22, s0
	s_waitcnt lgkmcnt(0)
	v_cmp_lt_f32_e64 vcc, |v48|, |v52|
	s_nop 1
	v_cndmask_b32_e32 v48, v48, v52, vcc
	v_cndmask_b32_e32 v46, v46, v53, vcc
	s_cbranch_scc1 .LBB76_354
.LBB76_355:
	s_waitcnt lgkmcnt(0)
	v_cmp_eq_f32_e32 vcc, 0, v48
	s_and_saveexec_b64 s[0:1], vcc
	s_xor_b64 s[0:1], exec, s[0:1]
; %bb.356:
	v_cmp_ne_u32_e32 vcc, 0, v50
	s_nop 1
	v_cndmask_b32_e32 v50, 22, v50, vcc
; %bb.357:
	s_andn2_saveexec_b64 s[0:1], s[0:1]
	s_cbranch_execz .LBB76_359
; %bb.358:
	v_div_scale_f32 v51, s[2:3], v48, v48, 1.0
	v_rcp_f32_e32 v52, v51
	v_div_scale_f32 v53, vcc, 1.0, v48, 1.0
	v_fma_f32 v54, -v51, v52, 1.0
	v_fmac_f32_e32 v52, v54, v52
	v_mul_f32_e32 v54, v53, v52
	v_fma_f32 v55, -v51, v54, v53
	v_fmac_f32_e32 v54, v55, v52
	v_fma_f32 v51, -v51, v54, v53
	v_div_fmas_f32 v51, v51, v52, v54
	v_div_fixup_f32 v48, v51, v48, 1.0
.LBB76_359:
	s_or_b64 exec, exec, s[0:1]
	v_cmp_ne_u32_e32 vcc, v49, v46
	s_and_saveexec_b64 s[0:1], vcc
	s_xor_b64 s[0:1], exec, s[0:1]
	s_cbranch_execz .LBB76_365
; %bb.360:
	v_cmp_eq_u32_e32 vcc, 21, v49
	s_and_saveexec_b64 s[2:3], vcc
	s_cbranch_execz .LBB76_364
; %bb.361:
	v_cmp_ne_u32_e32 vcc, 21, v46
	s_xor_b64 s[18:19], s[16:17], -1
	s_and_b64 s[20:21], s[18:19], vcc
	s_and_saveexec_b64 s[18:19], s[20:21]
	s_cbranch_execz .LBB76_363
; %bb.362:
	v_ashrrev_i32_e32 v47, 31, v46
	v_lshl_add_u64 v[52:53], v[46:47], 2, v[22:23]
	global_load_dword v47, v[52:53], off
	global_load_dword v49, v[22:23], off offset:84
	s_waitcnt vmcnt(1)
	global_store_dword v[22:23], v47, off offset:84
	s_waitcnt vmcnt(1)
	global_store_dword v[52:53], v49, off
.LBB76_363:
	s_or_b64 exec, exec, s[18:19]
	v_mov_b32_e32 v47, v46
	v_mov_b32_e32 v49, v46
.LBB76_364:
	s_or_b64 exec, exec, s[2:3]
.LBB76_365:
	s_andn2_saveexec_b64 s[0:1], s[0:1]
	s_cbranch_execz .LBB76_367
; %bb.366:
	s_waitcnt vmcnt(14)
	v_pk_mov_b32 v[52:53], v[24:25], v[16:17] op_sel:[1,0]
	ds_write2_b32 v21, v52, v53 offset0:22 offset1:23
	s_waitcnt vmcnt(12)
	v_pk_mov_b32 v[52:53], v[16:17], v[42:43] op_sel:[1,0]
	ds_write2_b32 v21, v52, v53 offset0:24 offset1:25
	;; [unrolled: 3-line block ×7, first 2 shown]
	s_waitcnt vmcnt(0)
	v_pk_mov_b32 v[52:53], v[40:41], v[38:39] op_sel:[1,0]
	v_mov_b32_e32 v49, 21
	ds_write2_b32 v21, v52, v53 offset0:36 offset1:37
	ds_write_b32 v21, v39 offset:152
.LBB76_367:
	s_or_b64 exec, exec, s[0:1]
	v_cmp_lt_i32_e32 vcc, 21, v49
	s_waitcnt lgkmcnt(0)
	s_barrier
	s_and_saveexec_b64 s[0:1], vcc
	s_cbranch_execz .LBB76_369
; %bb.368:
	ds_read_b32 v46, v21 offset:88
	ds_read2_b32 v[52:53], v21 offset0:23 offset1:24
	ds_read2_b32 v[54:55], v21 offset0:25 offset1:26
	;; [unrolled: 1-line block ×3, first 2 shown]
	v_mul_f32_e32 v24, v48, v24
	s_waitcnt vmcnt(16) lgkmcnt(3)
	v_fma_f32 v25, -v24, v46, v25
	s_waitcnt vmcnt(14) lgkmcnt(2)
	v_pk_fma_f32 v[16:17], v[24:25], v[52:53], v[16:17] op_sel_hi:[0,1,1] neg_lo:[1,0,0] neg_hi:[1,0,0]
	s_waitcnt vmcnt(12) lgkmcnt(1)
	v_pk_fma_f32 v[42:43], v[24:25], v[54:55], v[42:43] op_sel_hi:[0,1,1] neg_lo:[1,0,0] neg_hi:[1,0,0]
	s_waitcnt vmcnt(10) lgkmcnt(0)
	v_pk_fma_f32 v[36:37], v[24:25], v[56:57], v[36:37] op_sel_hi:[0,1,1] neg_lo:[1,0,0] neg_hi:[1,0,0]
	ds_read2_b32 v[52:53], v21 offset0:29 offset1:30
	ds_read2_b32 v[54:55], v21 offset0:31 offset1:32
	;; [unrolled: 1-line block ×5, first 2 shown]
	s_waitcnt vmcnt(8) lgkmcnt(4)
	v_pk_fma_f32 v[32:33], v[24:25], v[52:53], v[32:33] op_sel_hi:[0,1,1] neg_lo:[1,0,0] neg_hi:[1,0,0]
	s_waitcnt vmcnt(6) lgkmcnt(3)
	v_pk_fma_f32 v[26:27], v[24:25], v[54:55], v[26:27] op_sel_hi:[0,1,1] neg_lo:[1,0,0] neg_hi:[1,0,0]
	;; [unrolled: 2-line block ×5, first 2 shown]
.LBB76_369:
	s_or_b64 exec, exec, s[0:1]
	v_lshl_add_u32 v46, v49, 2, v21
	s_barrier
	s_waitcnt vmcnt(16)
	ds_write_b32 v46, v25
	s_waitcnt lgkmcnt(0)
	s_barrier
	ds_read_b32 v48, v21 offset:88
	s_cmp_lt_i32 s22, 24
	v_mov_b32_e32 v46, 22
	s_cbranch_scc1 .LBB76_372
; %bb.370:
	v_add_u32_e32 v51, 0x5c, v21
	v_mov_b32_e32 v46, 22
	s_mov_b32 s0, 23
.LBB76_371:                             ; =>This Inner Loop Header: Depth=1
	ds_read_b32 v52, v51
	v_mov_b32_e32 v53, s0
	s_add_i32 s0, s0, 1
	v_add_u32_e32 v51, 4, v51
	s_cmp_lg_u32 s22, s0
	s_waitcnt lgkmcnt(0)
	v_cmp_lt_f32_e64 vcc, |v48|, |v52|
	s_nop 1
	v_cndmask_b32_e32 v48, v48, v52, vcc
	v_cndmask_b32_e32 v46, v46, v53, vcc
	s_cbranch_scc1 .LBB76_371
.LBB76_372:
	s_waitcnt lgkmcnt(0)
	v_cmp_eq_f32_e32 vcc, 0, v48
	s_and_saveexec_b64 s[0:1], vcc
	s_xor_b64 s[0:1], exec, s[0:1]
; %bb.373:
	v_cmp_ne_u32_e32 vcc, 0, v50
	s_nop 1
	v_cndmask_b32_e32 v50, 23, v50, vcc
; %bb.374:
	s_andn2_saveexec_b64 s[0:1], s[0:1]
	s_cbranch_execz .LBB76_376
; %bb.375:
	v_div_scale_f32 v51, s[2:3], v48, v48, 1.0
	v_rcp_f32_e32 v52, v51
	v_div_scale_f32 v53, vcc, 1.0, v48, 1.0
	v_fma_f32 v54, -v51, v52, 1.0
	v_fmac_f32_e32 v52, v54, v52
	v_mul_f32_e32 v54, v53, v52
	v_fma_f32 v55, -v51, v54, v53
	v_fmac_f32_e32 v54, v55, v52
	v_fma_f32 v51, -v51, v54, v53
	v_div_fmas_f32 v51, v51, v52, v54
	v_div_fixup_f32 v48, v51, v48, 1.0
.LBB76_376:
	s_or_b64 exec, exec, s[0:1]
	v_cmp_ne_u32_e32 vcc, v49, v46
	s_and_saveexec_b64 s[0:1], vcc
	s_xor_b64 s[0:1], exec, s[0:1]
	s_cbranch_execz .LBB76_382
; %bb.377:
	v_cmp_eq_u32_e32 vcc, 22, v49
	s_and_saveexec_b64 s[2:3], vcc
	s_cbranch_execz .LBB76_381
; %bb.378:
	v_cmp_ne_u32_e32 vcc, 22, v46
	s_xor_b64 s[18:19], s[16:17], -1
	s_and_b64 s[20:21], s[18:19], vcc
	s_and_saveexec_b64 s[18:19], s[20:21]
	s_cbranch_execz .LBB76_380
; %bb.379:
	v_ashrrev_i32_e32 v47, 31, v46
	v_lshl_add_u64 v[52:53], v[46:47], 2, v[22:23]
	global_load_dword v47, v[52:53], off
	global_load_dword v49, v[22:23], off offset:88
	s_waitcnt vmcnt(1)
	global_store_dword v[22:23], v47, off offset:88
	s_waitcnt vmcnt(1)
	global_store_dword v[52:53], v49, off
.LBB76_380:
	s_or_b64 exec, exec, s[18:19]
	v_mov_b32_e32 v47, v46
	v_mov_b32_e32 v49, v46
.LBB76_381:
	s_or_b64 exec, exec, s[2:3]
.LBB76_382:
	s_andn2_saveexec_b64 s[0:1], s[0:1]
	s_cbranch_execz .LBB76_384
; %bb.383:
	v_mov_b32_e32 v49, 22
	s_waitcnt vmcnt(14)
	ds_write2_b32 v21, v16, v17 offset0:23 offset1:24
	s_waitcnt vmcnt(12)
	ds_write2_b32 v21, v42, v43 offset0:25 offset1:26
	;; [unrolled: 2-line block ×8, first 2 shown]
.LBB76_384:
	s_or_b64 exec, exec, s[0:1]
	v_cmp_lt_i32_e32 vcc, 22, v49
	s_waitcnt lgkmcnt(0)
	s_barrier
	s_and_saveexec_b64 s[0:1], vcc
	s_cbranch_execz .LBB76_386
; %bb.385:
	ds_read2_b32 v[52:53], v21 offset0:23 offset1:24
	ds_read2_b32 v[54:55], v21 offset0:25 offset1:26
	;; [unrolled: 1-line block ×3, first 2 shown]
	v_mul_f32_e32 v46, v48, v25
	ds_read2_b32 v[58:59], v21 offset0:29 offset1:30
	s_waitcnt vmcnt(14) lgkmcnt(3)
	v_pk_fma_f32 v[16:17], v[46:47], v[52:53], v[16:17] op_sel_hi:[0,1,1] neg_lo:[1,0,0] neg_hi:[1,0,0]
	s_waitcnt vmcnt(12) lgkmcnt(2)
	v_pk_fma_f32 v[42:43], v[46:47], v[54:55], v[42:43] op_sel_hi:[0,1,1] neg_lo:[1,0,0] neg_hi:[1,0,0]
	;; [unrolled: 2-line block ×3, first 2 shown]
	ds_read2_b32 v[52:53], v21 offset0:31 offset1:32
	ds_read2_b32 v[54:55], v21 offset0:33 offset1:34
	;; [unrolled: 1-line block ×4, first 2 shown]
	s_waitcnt vmcnt(8) lgkmcnt(4)
	v_pk_fma_f32 v[32:33], v[46:47], v[58:59], v[32:33] op_sel_hi:[0,1,1] neg_lo:[1,0,0] neg_hi:[1,0,0]
	s_waitcnt vmcnt(6) lgkmcnt(3)
	v_pk_fma_f32 v[26:27], v[46:47], v[52:53], v[26:27] op_sel_hi:[0,1,1] neg_lo:[1,0,0] neg_hi:[1,0,0]
	;; [unrolled: 2-line block ×5, first 2 shown]
	v_mov_b32_e32 v25, v46
.LBB76_386:
	s_or_b64 exec, exec, s[0:1]
	v_lshl_add_u32 v46, v49, 2, v21
	s_barrier
	s_waitcnt vmcnt(15)
	ds_write_b32 v46, v16
	s_waitcnt lgkmcnt(0)
	s_barrier
	ds_read_b32 v48, v21 offset:92
	s_cmp_lt_i32 s22, 25
	v_mov_b32_e32 v46, 23
	s_cbranch_scc1 .LBB76_389
; %bb.387:
	v_add_u32_e32 v51, 0x60, v21
	v_mov_b32_e32 v46, 23
	s_mov_b32 s0, 24
.LBB76_388:                             ; =>This Inner Loop Header: Depth=1
	ds_read_b32 v52, v51
	v_mov_b32_e32 v53, s0
	s_add_i32 s0, s0, 1
	v_add_u32_e32 v51, 4, v51
	s_cmp_lg_u32 s22, s0
	s_waitcnt lgkmcnt(0)
	v_cmp_lt_f32_e64 vcc, |v48|, |v52|
	s_nop 1
	v_cndmask_b32_e32 v48, v48, v52, vcc
	v_cndmask_b32_e32 v46, v46, v53, vcc
	s_cbranch_scc1 .LBB76_388
.LBB76_389:
	s_waitcnt lgkmcnt(0)
	v_cmp_eq_f32_e32 vcc, 0, v48
	s_and_saveexec_b64 s[0:1], vcc
	s_xor_b64 s[0:1], exec, s[0:1]
; %bb.390:
	v_cmp_ne_u32_e32 vcc, 0, v50
	s_nop 1
	v_cndmask_b32_e32 v50, 24, v50, vcc
; %bb.391:
	s_andn2_saveexec_b64 s[0:1], s[0:1]
	s_cbranch_execz .LBB76_393
; %bb.392:
	v_div_scale_f32 v51, s[2:3], v48, v48, 1.0
	v_rcp_f32_e32 v52, v51
	v_div_scale_f32 v53, vcc, 1.0, v48, 1.0
	v_fma_f32 v54, -v51, v52, 1.0
	v_fmac_f32_e32 v52, v54, v52
	v_mul_f32_e32 v54, v53, v52
	v_fma_f32 v55, -v51, v54, v53
	v_fmac_f32_e32 v54, v55, v52
	v_fma_f32 v51, -v51, v54, v53
	v_div_fmas_f32 v51, v51, v52, v54
	v_div_fixup_f32 v48, v51, v48, 1.0
.LBB76_393:
	s_or_b64 exec, exec, s[0:1]
	v_cmp_ne_u32_e32 vcc, v49, v46
	s_and_saveexec_b64 s[0:1], vcc
	s_xor_b64 s[0:1], exec, s[0:1]
	s_cbranch_execz .LBB76_399
; %bb.394:
	v_cmp_eq_u32_e32 vcc, 23, v49
	s_and_saveexec_b64 s[2:3], vcc
	s_cbranch_execz .LBB76_398
; %bb.395:
	v_cmp_ne_u32_e32 vcc, 23, v46
	s_xor_b64 s[18:19], s[16:17], -1
	s_and_b64 s[20:21], s[18:19], vcc
	s_and_saveexec_b64 s[18:19], s[20:21]
	s_cbranch_execz .LBB76_397
; %bb.396:
	v_ashrrev_i32_e32 v47, 31, v46
	v_lshl_add_u64 v[52:53], v[46:47], 2, v[22:23]
	global_load_dword v47, v[52:53], off
	global_load_dword v49, v[22:23], off offset:92
	s_waitcnt vmcnt(1)
	global_store_dword v[22:23], v47, off offset:92
	s_waitcnt vmcnt(1)
	global_store_dword v[52:53], v49, off
.LBB76_397:
	s_or_b64 exec, exec, s[18:19]
	v_mov_b32_e32 v47, v46
	v_mov_b32_e32 v49, v46
.LBB76_398:
	s_or_b64 exec, exec, s[2:3]
.LBB76_399:
	s_andn2_saveexec_b64 s[0:1], s[0:1]
	s_cbranch_execz .LBB76_401
; %bb.400:
	s_waitcnt vmcnt(12)
	v_pk_mov_b32 v[52:53], v[16:17], v[42:43] op_sel:[1,0]
	ds_write2_b32 v21, v52, v53 offset0:24 offset1:25
	s_waitcnt vmcnt(10)
	v_pk_mov_b32 v[52:53], v[42:43], v[36:37] op_sel:[1,0]
	ds_write2_b32 v21, v52, v53 offset0:26 offset1:27
	;; [unrolled: 3-line block ×6, first 2 shown]
	s_waitcnt vmcnt(0)
	v_pk_mov_b32 v[52:53], v[40:41], v[38:39] op_sel:[1,0]
	v_mov_b32_e32 v49, 23
	ds_write2_b32 v21, v52, v53 offset0:36 offset1:37
	ds_write_b32 v21, v39 offset:152
.LBB76_401:
	s_or_b64 exec, exec, s[0:1]
	v_cmp_lt_i32_e32 vcc, 23, v49
	s_waitcnt lgkmcnt(0)
	s_barrier
	s_and_saveexec_b64 s[0:1], vcc
	s_cbranch_execz .LBB76_403
; %bb.402:
	ds_read_b32 v46, v21 offset:96
	ds_read2_b32 v[52:53], v21 offset0:25 offset1:26
	ds_read2_b32 v[54:55], v21 offset0:27 offset1:28
	v_mul_f32_e32 v16, v48, v16
	ds_read2_b32 v[56:57], v21 offset0:29 offset1:30
	s_waitcnt vmcnt(14) lgkmcnt(3)
	v_fma_f32 v17, -v16, v46, v17
	s_waitcnt vmcnt(12) lgkmcnt(2)
	v_pk_fma_f32 v[42:43], v[16:17], v[52:53], v[42:43] op_sel_hi:[0,1,1] neg_lo:[1,0,0] neg_hi:[1,0,0]
	s_waitcnt vmcnt(10) lgkmcnt(1)
	v_pk_fma_f32 v[36:37], v[16:17], v[54:55], v[36:37] op_sel_hi:[0,1,1] neg_lo:[1,0,0] neg_hi:[1,0,0]
	ds_read2_b32 v[52:53], v21 offset0:31 offset1:32
	ds_read2_b32 v[54:55], v21 offset0:33 offset1:34
	;; [unrolled: 1-line block ×4, first 2 shown]
	s_waitcnt vmcnt(8) lgkmcnt(4)
	v_pk_fma_f32 v[32:33], v[16:17], v[56:57], v[32:33] op_sel_hi:[0,1,1] neg_lo:[1,0,0] neg_hi:[1,0,0]
	s_waitcnt vmcnt(6) lgkmcnt(3)
	v_pk_fma_f32 v[26:27], v[16:17], v[52:53], v[26:27] op_sel_hi:[0,1,1] neg_lo:[1,0,0] neg_hi:[1,0,0]
	s_waitcnt vmcnt(4) lgkmcnt(2)
	v_pk_fma_f32 v[44:45], v[16:17], v[54:55], v[44:45] op_sel_hi:[0,1,1] neg_lo:[1,0,0] neg_hi:[1,0,0]
	s_waitcnt vmcnt(2) lgkmcnt(1)
	v_pk_fma_f32 v[40:41], v[16:17], v[58:59], v[40:41] op_sel_hi:[0,1,1] neg_lo:[1,0,0] neg_hi:[1,0,0]
	s_waitcnt vmcnt(0) lgkmcnt(0)
	v_pk_fma_f32 v[38:39], v[16:17], v[60:61], v[38:39] op_sel_hi:[0,1,1] neg_lo:[1,0,0] neg_hi:[1,0,0]
.LBB76_403:
	s_or_b64 exec, exec, s[0:1]
	v_lshl_add_u32 v46, v49, 2, v21
	s_barrier
	s_waitcnt vmcnt(14)
	ds_write_b32 v46, v17
	s_waitcnt lgkmcnt(0)
	s_barrier
	ds_read_b32 v48, v21 offset:96
	s_cmp_lt_i32 s22, 26
	v_mov_b32_e32 v46, 24
	s_cbranch_scc1 .LBB76_406
; %bb.404:
	v_add_u32_e32 v51, 0x64, v21
	v_mov_b32_e32 v46, 24
	s_mov_b32 s0, 25
.LBB76_405:                             ; =>This Inner Loop Header: Depth=1
	ds_read_b32 v52, v51
	v_mov_b32_e32 v53, s0
	s_add_i32 s0, s0, 1
	v_add_u32_e32 v51, 4, v51
	s_cmp_lg_u32 s22, s0
	s_waitcnt lgkmcnt(0)
	v_cmp_lt_f32_e64 vcc, |v48|, |v52|
	s_nop 1
	v_cndmask_b32_e32 v48, v48, v52, vcc
	v_cndmask_b32_e32 v46, v46, v53, vcc
	s_cbranch_scc1 .LBB76_405
.LBB76_406:
	s_waitcnt lgkmcnt(0)
	v_cmp_eq_f32_e32 vcc, 0, v48
	s_and_saveexec_b64 s[0:1], vcc
	s_xor_b64 s[0:1], exec, s[0:1]
; %bb.407:
	v_cmp_ne_u32_e32 vcc, 0, v50
	s_nop 1
	v_cndmask_b32_e32 v50, 25, v50, vcc
; %bb.408:
	s_andn2_saveexec_b64 s[0:1], s[0:1]
	s_cbranch_execz .LBB76_410
; %bb.409:
	v_div_scale_f32 v51, s[2:3], v48, v48, 1.0
	v_rcp_f32_e32 v52, v51
	v_div_scale_f32 v53, vcc, 1.0, v48, 1.0
	v_fma_f32 v54, -v51, v52, 1.0
	v_fmac_f32_e32 v52, v54, v52
	v_mul_f32_e32 v54, v53, v52
	v_fma_f32 v55, -v51, v54, v53
	v_fmac_f32_e32 v54, v55, v52
	v_fma_f32 v51, -v51, v54, v53
	v_div_fmas_f32 v51, v51, v52, v54
	v_div_fixup_f32 v48, v51, v48, 1.0
.LBB76_410:
	s_or_b64 exec, exec, s[0:1]
	v_cmp_ne_u32_e32 vcc, v49, v46
	s_and_saveexec_b64 s[0:1], vcc
	s_xor_b64 s[0:1], exec, s[0:1]
	s_cbranch_execz .LBB76_416
; %bb.411:
	v_cmp_eq_u32_e32 vcc, 24, v49
	s_and_saveexec_b64 s[2:3], vcc
	s_cbranch_execz .LBB76_415
; %bb.412:
	v_cmp_ne_u32_e32 vcc, 24, v46
	s_xor_b64 s[18:19], s[16:17], -1
	s_and_b64 s[20:21], s[18:19], vcc
	s_and_saveexec_b64 s[18:19], s[20:21]
	s_cbranch_execz .LBB76_414
; %bb.413:
	v_ashrrev_i32_e32 v47, 31, v46
	v_lshl_add_u64 v[52:53], v[46:47], 2, v[22:23]
	global_load_dword v47, v[52:53], off
	global_load_dword v49, v[22:23], off offset:96
	s_waitcnt vmcnt(1)
	global_store_dword v[22:23], v47, off offset:96
	s_waitcnt vmcnt(1)
	global_store_dword v[52:53], v49, off
.LBB76_414:
	s_or_b64 exec, exec, s[18:19]
	v_mov_b32_e32 v47, v46
	v_mov_b32_e32 v49, v46
.LBB76_415:
	s_or_b64 exec, exec, s[2:3]
.LBB76_416:
	s_andn2_saveexec_b64 s[0:1], s[0:1]
	s_cbranch_execz .LBB76_418
; %bb.417:
	v_mov_b32_e32 v49, 24
	s_waitcnt vmcnt(12)
	ds_write2_b32 v21, v42, v43 offset0:25 offset1:26
	s_waitcnt vmcnt(10)
	ds_write2_b32 v21, v36, v37 offset0:27 offset1:28
	;; [unrolled: 2-line block ×7, first 2 shown]
.LBB76_418:
	s_or_b64 exec, exec, s[0:1]
	v_cmp_lt_i32_e32 vcc, 24, v49
	s_waitcnt lgkmcnt(0)
	s_barrier
	s_and_saveexec_b64 s[0:1], vcc
	s_cbranch_execz .LBB76_420
; %bb.419:
	ds_read2_b32 v[52:53], v21 offset0:25 offset1:26
	ds_read2_b32 v[54:55], v21 offset0:27 offset1:28
	v_mul_f32_e32 v46, v48, v17
	ds_read2_b32 v[56:57], v21 offset0:29 offset1:30
	ds_read2_b32 v[58:59], v21 offset0:31 offset1:32
	v_mov_b32_e32 v17, v46
	s_waitcnt vmcnt(12) lgkmcnt(3)
	v_pk_fma_f32 v[42:43], v[46:47], v[52:53], v[42:43] op_sel_hi:[0,1,1] neg_lo:[1,0,0] neg_hi:[1,0,0]
	s_waitcnt vmcnt(10) lgkmcnt(2)
	v_pk_fma_f32 v[36:37], v[46:47], v[54:55], v[36:37] op_sel_hi:[0,1,1] neg_lo:[1,0,0] neg_hi:[1,0,0]
	ds_read2_b32 v[52:53], v21 offset0:33 offset1:34
	ds_read2_b32 v[54:55], v21 offset0:35 offset1:36
	;; [unrolled: 1-line block ×3, first 2 shown]
	s_waitcnt vmcnt(8) lgkmcnt(4)
	v_pk_fma_f32 v[32:33], v[46:47], v[56:57], v[32:33] op_sel_hi:[0,1,1] neg_lo:[1,0,0] neg_hi:[1,0,0]
	s_waitcnt vmcnt(6) lgkmcnt(3)
	v_pk_fma_f32 v[26:27], v[46:47], v[58:59], v[26:27] op_sel_hi:[0,1,1] neg_lo:[1,0,0] neg_hi:[1,0,0]
	;; [unrolled: 2-line block ×5, first 2 shown]
.LBB76_420:
	s_or_b64 exec, exec, s[0:1]
	v_lshl_add_u32 v46, v49, 2, v21
	s_barrier
	s_waitcnt vmcnt(13)
	ds_write_b32 v46, v42
	s_waitcnt lgkmcnt(0)
	s_barrier
	ds_read_b32 v48, v21 offset:100
	s_cmp_lt_i32 s22, 27
	v_mov_b32_e32 v46, 25
	s_cbranch_scc1 .LBB76_423
; %bb.421:
	v_add_u32_e32 v51, 0x68, v21
	v_mov_b32_e32 v46, 25
	s_mov_b32 s0, 26
.LBB76_422:                             ; =>This Inner Loop Header: Depth=1
	ds_read_b32 v52, v51
	v_mov_b32_e32 v53, s0
	s_add_i32 s0, s0, 1
	v_add_u32_e32 v51, 4, v51
	s_cmp_lg_u32 s22, s0
	s_waitcnt lgkmcnt(0)
	v_cmp_lt_f32_e64 vcc, |v48|, |v52|
	s_nop 1
	v_cndmask_b32_e32 v48, v48, v52, vcc
	v_cndmask_b32_e32 v46, v46, v53, vcc
	s_cbranch_scc1 .LBB76_422
.LBB76_423:
	s_waitcnt lgkmcnt(0)
	v_cmp_eq_f32_e32 vcc, 0, v48
	s_and_saveexec_b64 s[0:1], vcc
	s_xor_b64 s[0:1], exec, s[0:1]
; %bb.424:
	v_cmp_ne_u32_e32 vcc, 0, v50
	s_nop 1
	v_cndmask_b32_e32 v50, 26, v50, vcc
; %bb.425:
	s_andn2_saveexec_b64 s[0:1], s[0:1]
	s_cbranch_execz .LBB76_427
; %bb.426:
	v_div_scale_f32 v51, s[2:3], v48, v48, 1.0
	v_rcp_f32_e32 v52, v51
	v_div_scale_f32 v53, vcc, 1.0, v48, 1.0
	v_fma_f32 v54, -v51, v52, 1.0
	v_fmac_f32_e32 v52, v54, v52
	v_mul_f32_e32 v54, v53, v52
	v_fma_f32 v55, -v51, v54, v53
	v_fmac_f32_e32 v54, v55, v52
	v_fma_f32 v51, -v51, v54, v53
	v_div_fmas_f32 v51, v51, v52, v54
	v_div_fixup_f32 v48, v51, v48, 1.0
.LBB76_427:
	s_or_b64 exec, exec, s[0:1]
	v_cmp_ne_u32_e32 vcc, v49, v46
	s_and_saveexec_b64 s[0:1], vcc
	s_xor_b64 s[0:1], exec, s[0:1]
	s_cbranch_execz .LBB76_433
; %bb.428:
	v_cmp_eq_u32_e32 vcc, 25, v49
	s_and_saveexec_b64 s[2:3], vcc
	s_cbranch_execz .LBB76_432
; %bb.429:
	v_cmp_ne_u32_e32 vcc, 25, v46
	s_xor_b64 s[18:19], s[16:17], -1
	s_and_b64 s[20:21], s[18:19], vcc
	s_and_saveexec_b64 s[18:19], s[20:21]
	s_cbranch_execz .LBB76_431
; %bb.430:
	v_ashrrev_i32_e32 v47, 31, v46
	v_lshl_add_u64 v[52:53], v[46:47], 2, v[22:23]
	global_load_dword v47, v[52:53], off
	global_load_dword v49, v[22:23], off offset:100
	s_waitcnt vmcnt(1)
	global_store_dword v[22:23], v47, off offset:100
	s_waitcnt vmcnt(1)
	global_store_dword v[52:53], v49, off
.LBB76_431:
	s_or_b64 exec, exec, s[18:19]
	v_mov_b32_e32 v47, v46
	v_mov_b32_e32 v49, v46
.LBB76_432:
	s_or_b64 exec, exec, s[2:3]
.LBB76_433:
	s_andn2_saveexec_b64 s[0:1], s[0:1]
	s_cbranch_execz .LBB76_435
; %bb.434:
	s_waitcnt vmcnt(10)
	v_pk_mov_b32 v[52:53], v[42:43], v[36:37] op_sel:[1,0]
	ds_write2_b32 v21, v52, v53 offset0:26 offset1:27
	s_waitcnt vmcnt(8)
	v_pk_mov_b32 v[52:53], v[36:37], v[32:33] op_sel:[1,0]
	ds_write2_b32 v21, v52, v53 offset0:28 offset1:29
	;; [unrolled: 3-line block ×5, first 2 shown]
	s_waitcnt vmcnt(0)
	v_pk_mov_b32 v[52:53], v[40:41], v[38:39] op_sel:[1,0]
	v_mov_b32_e32 v49, 25
	ds_write2_b32 v21, v52, v53 offset0:36 offset1:37
	ds_write_b32 v21, v39 offset:152
.LBB76_435:
	s_or_b64 exec, exec, s[0:1]
	v_cmp_lt_i32_e32 vcc, 25, v49
	s_waitcnt lgkmcnt(0)
	s_barrier
	s_and_saveexec_b64 s[0:1], vcc
	s_cbranch_execz .LBB76_437
; %bb.436:
	ds_read_b32 v46, v21 offset:104
	ds_read2_b32 v[52:53], v21 offset0:27 offset1:28
	v_mul_f32_e32 v42, v48, v42
	ds_read2_b32 v[54:55], v21 offset0:29 offset1:30
	ds_read2_b32 v[56:57], v21 offset0:31 offset1:32
	s_waitcnt vmcnt(12) lgkmcnt(3)
	v_fma_f32 v43, -v42, v46, v43
	s_waitcnt vmcnt(10) lgkmcnt(2)
	v_pk_fma_f32 v[36:37], v[42:43], v[52:53], v[36:37] op_sel_hi:[0,1,1] neg_lo:[1,0,0] neg_hi:[1,0,0]
	ds_read2_b32 v[52:53], v21 offset0:33 offset1:34
	ds_read2_b32 v[58:59], v21 offset0:35 offset1:36
	;; [unrolled: 1-line block ×3, first 2 shown]
	s_waitcnt vmcnt(8) lgkmcnt(4)
	v_pk_fma_f32 v[32:33], v[42:43], v[54:55], v[32:33] op_sel_hi:[0,1,1] neg_lo:[1,0,0] neg_hi:[1,0,0]
	s_waitcnt vmcnt(6) lgkmcnt(3)
	v_pk_fma_f32 v[26:27], v[42:43], v[56:57], v[26:27] op_sel_hi:[0,1,1] neg_lo:[1,0,0] neg_hi:[1,0,0]
	;; [unrolled: 2-line block ×5, first 2 shown]
.LBB76_437:
	s_or_b64 exec, exec, s[0:1]
	v_lshl_add_u32 v46, v49, 2, v21
	s_barrier
	s_waitcnt vmcnt(12)
	ds_write_b32 v46, v43
	s_waitcnt lgkmcnt(0)
	s_barrier
	ds_read_b32 v48, v21 offset:104
	s_cmp_lt_i32 s22, 28
	v_mov_b32_e32 v46, 26
	s_cbranch_scc1 .LBB76_440
; %bb.438:
	v_add_u32_e32 v51, 0x6c, v21
	v_mov_b32_e32 v46, 26
	s_mov_b32 s0, 27
.LBB76_439:                             ; =>This Inner Loop Header: Depth=1
	ds_read_b32 v52, v51
	v_mov_b32_e32 v53, s0
	s_add_i32 s0, s0, 1
	v_add_u32_e32 v51, 4, v51
	s_cmp_lg_u32 s22, s0
	s_waitcnt lgkmcnt(0)
	v_cmp_lt_f32_e64 vcc, |v48|, |v52|
	s_nop 1
	v_cndmask_b32_e32 v48, v48, v52, vcc
	v_cndmask_b32_e32 v46, v46, v53, vcc
	s_cbranch_scc1 .LBB76_439
.LBB76_440:
	s_waitcnt lgkmcnt(0)
	v_cmp_eq_f32_e32 vcc, 0, v48
	s_and_saveexec_b64 s[0:1], vcc
	s_xor_b64 s[0:1], exec, s[0:1]
; %bb.441:
	v_cmp_ne_u32_e32 vcc, 0, v50
	s_nop 1
	v_cndmask_b32_e32 v50, 27, v50, vcc
; %bb.442:
	s_andn2_saveexec_b64 s[0:1], s[0:1]
	s_cbranch_execz .LBB76_444
; %bb.443:
	v_div_scale_f32 v51, s[2:3], v48, v48, 1.0
	v_rcp_f32_e32 v52, v51
	v_div_scale_f32 v53, vcc, 1.0, v48, 1.0
	v_fma_f32 v54, -v51, v52, 1.0
	v_fmac_f32_e32 v52, v54, v52
	v_mul_f32_e32 v54, v53, v52
	v_fma_f32 v55, -v51, v54, v53
	v_fmac_f32_e32 v54, v55, v52
	v_fma_f32 v51, -v51, v54, v53
	v_div_fmas_f32 v51, v51, v52, v54
	v_div_fixup_f32 v48, v51, v48, 1.0
.LBB76_444:
	s_or_b64 exec, exec, s[0:1]
	v_cmp_ne_u32_e32 vcc, v49, v46
	s_and_saveexec_b64 s[0:1], vcc
	s_xor_b64 s[0:1], exec, s[0:1]
	s_cbranch_execz .LBB76_450
; %bb.445:
	v_cmp_eq_u32_e32 vcc, 26, v49
	s_and_saveexec_b64 s[2:3], vcc
	s_cbranch_execz .LBB76_449
; %bb.446:
	v_cmp_ne_u32_e32 vcc, 26, v46
	s_xor_b64 s[18:19], s[16:17], -1
	s_and_b64 s[20:21], s[18:19], vcc
	s_and_saveexec_b64 s[18:19], s[20:21]
	s_cbranch_execz .LBB76_448
; %bb.447:
	v_ashrrev_i32_e32 v47, 31, v46
	v_lshl_add_u64 v[52:53], v[46:47], 2, v[22:23]
	global_load_dword v47, v[52:53], off
	global_load_dword v49, v[22:23], off offset:104
	s_waitcnt vmcnt(1)
	global_store_dword v[22:23], v47, off offset:104
	s_waitcnt vmcnt(1)
	global_store_dword v[52:53], v49, off
.LBB76_448:
	s_or_b64 exec, exec, s[18:19]
	v_mov_b32_e32 v47, v46
	v_mov_b32_e32 v49, v46
.LBB76_449:
	s_or_b64 exec, exec, s[2:3]
.LBB76_450:
	s_andn2_saveexec_b64 s[0:1], s[0:1]
	s_cbranch_execz .LBB76_452
; %bb.451:
	v_mov_b32_e32 v49, 26
	s_waitcnt vmcnt(10)
	ds_write2_b32 v21, v36, v37 offset0:27 offset1:28
	s_waitcnt vmcnt(8)
	ds_write2_b32 v21, v32, v33 offset0:29 offset1:30
	;; [unrolled: 2-line block ×6, first 2 shown]
.LBB76_452:
	s_or_b64 exec, exec, s[0:1]
	v_cmp_lt_i32_e32 vcc, 26, v49
	s_waitcnt lgkmcnt(0)
	s_barrier
	s_and_saveexec_b64 s[0:1], vcc
	s_cbranch_execz .LBB76_454
; %bb.453:
	ds_read2_b32 v[52:53], v21 offset0:27 offset1:28
	v_mul_f32_e32 v46, v48, v43
	ds_read2_b32 v[54:55], v21 offset0:29 offset1:30
	ds_read2_b32 v[56:57], v21 offset0:31 offset1:32
	;; [unrolled: 1-line block ×3, first 2 shown]
	v_mov_b32_e32 v43, v46
	s_waitcnt vmcnt(8) lgkmcnt(2)
	v_pk_fma_f32 v[32:33], v[46:47], v[54:55], v[32:33] op_sel_hi:[0,1,1] neg_lo:[1,0,0] neg_hi:[1,0,0]
	v_pk_fma_f32 v[36:37], v[46:47], v[52:53], v[36:37] op_sel_hi:[0,1,1] neg_lo:[1,0,0] neg_hi:[1,0,0]
	ds_read2_b32 v[52:53], v21 offset0:35 offset1:36
	ds_read2_b32 v[60:61], v21 offset0:37 offset1:38
	s_waitcnt vmcnt(6) lgkmcnt(3)
	v_pk_fma_f32 v[26:27], v[46:47], v[56:57], v[26:27] op_sel_hi:[0,1,1] neg_lo:[1,0,0] neg_hi:[1,0,0]
	s_waitcnt vmcnt(4) lgkmcnt(2)
	v_pk_fma_f32 v[44:45], v[46:47], v[58:59], v[44:45] op_sel_hi:[0,1,1] neg_lo:[1,0,0] neg_hi:[1,0,0]
	;; [unrolled: 2-line block ×4, first 2 shown]
.LBB76_454:
	s_or_b64 exec, exec, s[0:1]
	v_lshl_add_u32 v46, v49, 2, v21
	s_barrier
	s_waitcnt vmcnt(11)
	ds_write_b32 v46, v36
	s_waitcnt lgkmcnt(0)
	s_barrier
	ds_read_b32 v48, v21 offset:108
	s_cmp_lt_i32 s22, 29
	v_mov_b32_e32 v46, 27
	s_cbranch_scc1 .LBB76_457
; %bb.455:
	v_add_u32_e32 v51, 0x70, v21
	v_mov_b32_e32 v46, 27
	s_mov_b32 s0, 28
.LBB76_456:                             ; =>This Inner Loop Header: Depth=1
	ds_read_b32 v52, v51
	v_mov_b32_e32 v53, s0
	s_add_i32 s0, s0, 1
	v_add_u32_e32 v51, 4, v51
	s_cmp_lg_u32 s22, s0
	s_waitcnt lgkmcnt(0)
	v_cmp_lt_f32_e64 vcc, |v48|, |v52|
	s_nop 1
	v_cndmask_b32_e32 v48, v48, v52, vcc
	v_cndmask_b32_e32 v46, v46, v53, vcc
	s_cbranch_scc1 .LBB76_456
.LBB76_457:
	s_waitcnt lgkmcnt(0)
	v_cmp_eq_f32_e32 vcc, 0, v48
	s_and_saveexec_b64 s[0:1], vcc
	s_xor_b64 s[0:1], exec, s[0:1]
; %bb.458:
	v_cmp_ne_u32_e32 vcc, 0, v50
	s_nop 1
	v_cndmask_b32_e32 v50, 28, v50, vcc
; %bb.459:
	s_andn2_saveexec_b64 s[0:1], s[0:1]
	s_cbranch_execz .LBB76_461
; %bb.460:
	v_div_scale_f32 v51, s[2:3], v48, v48, 1.0
	v_rcp_f32_e32 v52, v51
	v_div_scale_f32 v53, vcc, 1.0, v48, 1.0
	v_fma_f32 v54, -v51, v52, 1.0
	v_fmac_f32_e32 v52, v54, v52
	v_mul_f32_e32 v54, v53, v52
	v_fma_f32 v55, -v51, v54, v53
	v_fmac_f32_e32 v54, v55, v52
	v_fma_f32 v51, -v51, v54, v53
	v_div_fmas_f32 v51, v51, v52, v54
	v_div_fixup_f32 v48, v51, v48, 1.0
.LBB76_461:
	s_or_b64 exec, exec, s[0:1]
	v_cmp_ne_u32_e32 vcc, v49, v46
	s_and_saveexec_b64 s[0:1], vcc
	s_xor_b64 s[0:1], exec, s[0:1]
	s_cbranch_execz .LBB76_467
; %bb.462:
	v_cmp_eq_u32_e32 vcc, 27, v49
	s_and_saveexec_b64 s[2:3], vcc
	s_cbranch_execz .LBB76_466
; %bb.463:
	v_cmp_ne_u32_e32 vcc, 27, v46
	s_xor_b64 s[18:19], s[16:17], -1
	s_and_b64 s[20:21], s[18:19], vcc
	s_and_saveexec_b64 s[18:19], s[20:21]
	s_cbranch_execz .LBB76_465
; %bb.464:
	v_ashrrev_i32_e32 v47, 31, v46
	v_lshl_add_u64 v[52:53], v[46:47], 2, v[22:23]
	global_load_dword v47, v[52:53], off
	global_load_dword v49, v[22:23], off offset:108
	s_waitcnt vmcnt(1)
	global_store_dword v[22:23], v47, off offset:108
	s_waitcnt vmcnt(1)
	global_store_dword v[52:53], v49, off
.LBB76_465:
	s_or_b64 exec, exec, s[18:19]
	v_mov_b32_e32 v47, v46
	v_mov_b32_e32 v49, v46
.LBB76_466:
	s_or_b64 exec, exec, s[2:3]
.LBB76_467:
	s_andn2_saveexec_b64 s[0:1], s[0:1]
	s_cbranch_execz .LBB76_469
; %bb.468:
	s_waitcnt vmcnt(8)
	v_pk_mov_b32 v[52:53], v[36:37], v[32:33] op_sel:[1,0]
	ds_write2_b32 v21, v52, v53 offset0:28 offset1:29
	s_waitcnt vmcnt(6)
	v_pk_mov_b32 v[52:53], v[32:33], v[26:27] op_sel:[1,0]
	ds_write2_b32 v21, v52, v53 offset0:30 offset1:31
	;; [unrolled: 3-line block ×4, first 2 shown]
	s_waitcnt vmcnt(0)
	v_pk_mov_b32 v[52:53], v[40:41], v[38:39] op_sel:[1,0]
	v_mov_b32_e32 v49, 27
	ds_write2_b32 v21, v52, v53 offset0:36 offset1:37
	ds_write_b32 v21, v39 offset:152
.LBB76_469:
	s_or_b64 exec, exec, s[0:1]
	v_cmp_lt_i32_e32 vcc, 27, v49
	s_waitcnt lgkmcnt(0)
	s_barrier
	s_and_saveexec_b64 s[0:1], vcc
	s_cbranch_execz .LBB76_471
; %bb.470:
	ds_read_b32 v46, v21 offset:112
	ds_read2_b32 v[52:53], v21 offset0:29 offset1:30
	ds_read2_b32 v[54:55], v21 offset0:31 offset1:32
	;; [unrolled: 1-line block ×5, first 2 shown]
	v_mul_f32_e32 v36, v48, v36
	s_waitcnt vmcnt(10) lgkmcnt(5)
	v_fma_f32 v37, -v36, v46, v37
	s_waitcnt vmcnt(8) lgkmcnt(4)
	v_pk_fma_f32 v[32:33], v[36:37], v[52:53], v[32:33] op_sel_hi:[0,1,1] neg_lo:[1,0,0] neg_hi:[1,0,0]
	s_waitcnt vmcnt(6) lgkmcnt(3)
	v_pk_fma_f32 v[26:27], v[36:37], v[54:55], v[26:27] op_sel_hi:[0,1,1] neg_lo:[1,0,0] neg_hi:[1,0,0]
	;; [unrolled: 2-line block ×5, first 2 shown]
.LBB76_471:
	s_or_b64 exec, exec, s[0:1]
	v_lshl_add_u32 v46, v49, 2, v21
	s_barrier
	s_waitcnt vmcnt(10)
	ds_write_b32 v46, v37
	s_waitcnt lgkmcnt(0)
	s_barrier
	ds_read_b32 v48, v21 offset:112
	s_cmp_lt_i32 s22, 30
	v_mov_b32_e32 v46, 28
	s_cbranch_scc1 .LBB76_474
; %bb.472:
	v_add_u32_e32 v51, 0x74, v21
	v_mov_b32_e32 v46, 28
	s_mov_b32 s0, 29
.LBB76_473:                             ; =>This Inner Loop Header: Depth=1
	ds_read_b32 v52, v51
	v_mov_b32_e32 v53, s0
	s_add_i32 s0, s0, 1
	v_add_u32_e32 v51, 4, v51
	s_cmp_lg_u32 s22, s0
	s_waitcnt lgkmcnt(0)
	v_cmp_lt_f32_e64 vcc, |v48|, |v52|
	s_nop 1
	v_cndmask_b32_e32 v48, v48, v52, vcc
	v_cndmask_b32_e32 v46, v46, v53, vcc
	s_cbranch_scc1 .LBB76_473
.LBB76_474:
	s_waitcnt lgkmcnt(0)
	v_cmp_eq_f32_e32 vcc, 0, v48
	s_and_saveexec_b64 s[0:1], vcc
	s_xor_b64 s[0:1], exec, s[0:1]
; %bb.475:
	v_cmp_ne_u32_e32 vcc, 0, v50
	s_nop 1
	v_cndmask_b32_e32 v50, 29, v50, vcc
; %bb.476:
	s_andn2_saveexec_b64 s[0:1], s[0:1]
	s_cbranch_execz .LBB76_478
; %bb.477:
	v_div_scale_f32 v51, s[2:3], v48, v48, 1.0
	v_rcp_f32_e32 v52, v51
	v_div_scale_f32 v53, vcc, 1.0, v48, 1.0
	v_fma_f32 v54, -v51, v52, 1.0
	v_fmac_f32_e32 v52, v54, v52
	v_mul_f32_e32 v54, v53, v52
	v_fma_f32 v55, -v51, v54, v53
	v_fmac_f32_e32 v54, v55, v52
	v_fma_f32 v51, -v51, v54, v53
	v_div_fmas_f32 v51, v51, v52, v54
	v_div_fixup_f32 v48, v51, v48, 1.0
.LBB76_478:
	s_or_b64 exec, exec, s[0:1]
	v_cmp_ne_u32_e32 vcc, v49, v46
	s_and_saveexec_b64 s[0:1], vcc
	s_xor_b64 s[0:1], exec, s[0:1]
	s_cbranch_execz .LBB76_484
; %bb.479:
	v_cmp_eq_u32_e32 vcc, 28, v49
	s_and_saveexec_b64 s[2:3], vcc
	s_cbranch_execz .LBB76_483
; %bb.480:
	v_cmp_ne_u32_e32 vcc, 28, v46
	s_xor_b64 s[18:19], s[16:17], -1
	s_and_b64 s[20:21], s[18:19], vcc
	s_and_saveexec_b64 s[18:19], s[20:21]
	s_cbranch_execz .LBB76_482
; %bb.481:
	v_ashrrev_i32_e32 v47, 31, v46
	v_lshl_add_u64 v[52:53], v[46:47], 2, v[22:23]
	global_load_dword v47, v[52:53], off
	global_load_dword v49, v[22:23], off offset:112
	s_waitcnt vmcnt(1)
	global_store_dword v[22:23], v47, off offset:112
	s_waitcnt vmcnt(1)
	global_store_dword v[52:53], v49, off
.LBB76_482:
	s_or_b64 exec, exec, s[18:19]
	v_mov_b32_e32 v47, v46
	v_mov_b32_e32 v49, v46
.LBB76_483:
	s_or_b64 exec, exec, s[2:3]
.LBB76_484:
	s_andn2_saveexec_b64 s[0:1], s[0:1]
	s_cbranch_execz .LBB76_486
; %bb.485:
	v_mov_b32_e32 v49, 28
	s_waitcnt vmcnt(8)
	ds_write2_b32 v21, v32, v33 offset0:29 offset1:30
	s_waitcnt vmcnt(6)
	ds_write2_b32 v21, v26, v27 offset0:31 offset1:32
	;; [unrolled: 2-line block ×5, first 2 shown]
.LBB76_486:
	s_or_b64 exec, exec, s[0:1]
	v_cmp_lt_i32_e32 vcc, 28, v49
	s_waitcnt lgkmcnt(0)
	s_barrier
	s_and_saveexec_b64 s[0:1], vcc
	s_cbranch_execz .LBB76_488
; %bb.487:
	ds_read2_b32 v[52:53], v21 offset0:29 offset1:30
	ds_read2_b32 v[54:55], v21 offset0:31 offset1:32
	;; [unrolled: 1-line block ×5, first 2 shown]
	v_mul_f32_e32 v46, v48, v37
	s_waitcnt vmcnt(8) lgkmcnt(4)
	v_pk_fma_f32 v[32:33], v[46:47], v[52:53], v[32:33] op_sel_hi:[0,1,1] neg_lo:[1,0,0] neg_hi:[1,0,0]
	s_waitcnt vmcnt(6) lgkmcnt(3)
	v_pk_fma_f32 v[26:27], v[46:47], v[54:55], v[26:27] op_sel_hi:[0,1,1] neg_lo:[1,0,0] neg_hi:[1,0,0]
	;; [unrolled: 2-line block ×5, first 2 shown]
	v_mov_b32_e32 v37, v46
.LBB76_488:
	s_or_b64 exec, exec, s[0:1]
	v_lshl_add_u32 v46, v49, 2, v21
	s_barrier
	s_waitcnt vmcnt(9)
	ds_write_b32 v46, v32
	s_waitcnt lgkmcnt(0)
	s_barrier
	ds_read_b32 v48, v21 offset:116
	s_cmp_lt_i32 s22, 31
	v_mov_b32_e32 v46, 29
	s_cbranch_scc1 .LBB76_491
; %bb.489:
	v_add_u32_e32 v51, 0x78, v21
	v_mov_b32_e32 v46, 29
	s_mov_b32 s0, 30
.LBB76_490:                             ; =>This Inner Loop Header: Depth=1
	ds_read_b32 v52, v51
	v_mov_b32_e32 v53, s0
	s_add_i32 s0, s0, 1
	v_add_u32_e32 v51, 4, v51
	s_cmp_lg_u32 s22, s0
	s_waitcnt lgkmcnt(0)
	v_cmp_lt_f32_e64 vcc, |v48|, |v52|
	s_nop 1
	v_cndmask_b32_e32 v48, v48, v52, vcc
	v_cndmask_b32_e32 v46, v46, v53, vcc
	s_cbranch_scc1 .LBB76_490
.LBB76_491:
	s_waitcnt lgkmcnt(0)
	v_cmp_eq_f32_e32 vcc, 0, v48
	s_and_saveexec_b64 s[0:1], vcc
	s_xor_b64 s[0:1], exec, s[0:1]
; %bb.492:
	v_cmp_ne_u32_e32 vcc, 0, v50
	s_nop 1
	v_cndmask_b32_e32 v50, 30, v50, vcc
; %bb.493:
	s_andn2_saveexec_b64 s[0:1], s[0:1]
	s_cbranch_execz .LBB76_495
; %bb.494:
	v_div_scale_f32 v51, s[2:3], v48, v48, 1.0
	v_rcp_f32_e32 v52, v51
	v_div_scale_f32 v53, vcc, 1.0, v48, 1.0
	v_fma_f32 v54, -v51, v52, 1.0
	v_fmac_f32_e32 v52, v54, v52
	v_mul_f32_e32 v54, v53, v52
	v_fma_f32 v55, -v51, v54, v53
	v_fmac_f32_e32 v54, v55, v52
	v_fma_f32 v51, -v51, v54, v53
	v_div_fmas_f32 v51, v51, v52, v54
	v_div_fixup_f32 v48, v51, v48, 1.0
.LBB76_495:
	s_or_b64 exec, exec, s[0:1]
	v_cmp_ne_u32_e32 vcc, v49, v46
	s_and_saveexec_b64 s[0:1], vcc
	s_xor_b64 s[0:1], exec, s[0:1]
	s_cbranch_execz .LBB76_501
; %bb.496:
	v_cmp_eq_u32_e32 vcc, 29, v49
	s_and_saveexec_b64 s[2:3], vcc
	s_cbranch_execz .LBB76_500
; %bb.497:
	v_cmp_ne_u32_e32 vcc, 29, v46
	s_xor_b64 s[18:19], s[16:17], -1
	s_and_b64 s[20:21], s[18:19], vcc
	s_and_saveexec_b64 s[18:19], s[20:21]
	s_cbranch_execz .LBB76_499
; %bb.498:
	v_ashrrev_i32_e32 v47, 31, v46
	v_lshl_add_u64 v[52:53], v[46:47], 2, v[22:23]
	global_load_dword v47, v[52:53], off
	global_load_dword v49, v[22:23], off offset:116
	s_waitcnt vmcnt(1)
	global_store_dword v[22:23], v47, off offset:116
	s_waitcnt vmcnt(1)
	global_store_dword v[52:53], v49, off
.LBB76_499:
	s_or_b64 exec, exec, s[18:19]
	v_mov_b32_e32 v47, v46
	v_mov_b32_e32 v49, v46
.LBB76_500:
	s_or_b64 exec, exec, s[2:3]
.LBB76_501:
	s_andn2_saveexec_b64 s[0:1], s[0:1]
	s_cbranch_execz .LBB76_503
; %bb.502:
	s_waitcnt vmcnt(6)
	v_pk_mov_b32 v[52:53], v[32:33], v[26:27] op_sel:[1,0]
	ds_write2_b32 v21, v52, v53 offset0:30 offset1:31
	s_waitcnt vmcnt(4)
	v_pk_mov_b32 v[52:53], v[26:27], v[44:45] op_sel:[1,0]
	ds_write2_b32 v21, v52, v53 offset0:32 offset1:33
	;; [unrolled: 3-line block ×3, first 2 shown]
	s_waitcnt vmcnt(0)
	v_pk_mov_b32 v[52:53], v[40:41], v[38:39] op_sel:[1,0]
	v_mov_b32_e32 v49, 29
	ds_write2_b32 v21, v52, v53 offset0:36 offset1:37
	ds_write_b32 v21, v39 offset:152
.LBB76_503:
	s_or_b64 exec, exec, s[0:1]
	v_cmp_lt_i32_e32 vcc, 29, v49
	s_waitcnt lgkmcnt(0)
	s_barrier
	s_and_saveexec_b64 s[0:1], vcc
	s_cbranch_execz .LBB76_505
; %bb.504:
	ds_read_b32 v46, v21 offset:120
	ds_read2_b32 v[52:53], v21 offset0:31 offset1:32
	ds_read2_b32 v[54:55], v21 offset0:33 offset1:34
	;; [unrolled: 1-line block ×4, first 2 shown]
	v_mul_f32_e32 v32, v48, v32
	s_waitcnt vmcnt(8) lgkmcnt(4)
	v_fma_f32 v33, -v32, v46, v33
	s_waitcnt vmcnt(6) lgkmcnt(3)
	v_pk_fma_f32 v[26:27], v[32:33], v[52:53], v[26:27] op_sel_hi:[0,1,1] neg_lo:[1,0,0] neg_hi:[1,0,0]
	s_waitcnt vmcnt(4) lgkmcnt(2)
	v_pk_fma_f32 v[44:45], v[32:33], v[54:55], v[44:45] op_sel_hi:[0,1,1] neg_lo:[1,0,0] neg_hi:[1,0,0]
	s_waitcnt vmcnt(2) lgkmcnt(1)
	v_pk_fma_f32 v[40:41], v[32:33], v[56:57], v[40:41] op_sel_hi:[0,1,1] neg_lo:[1,0,0] neg_hi:[1,0,0]
	s_waitcnt vmcnt(0) lgkmcnt(0)
	v_pk_fma_f32 v[38:39], v[32:33], v[58:59], v[38:39] op_sel_hi:[0,1,1] neg_lo:[1,0,0] neg_hi:[1,0,0]
.LBB76_505:
	s_or_b64 exec, exec, s[0:1]
	v_lshl_add_u32 v46, v49, 2, v21
	s_barrier
	s_waitcnt vmcnt(8)
	ds_write_b32 v46, v33
	s_waitcnt lgkmcnt(0)
	s_barrier
	ds_read_b32 v48, v21 offset:120
	s_cmp_lt_i32 s22, 32
	v_mov_b32_e32 v46, 30
	s_cbranch_scc1 .LBB76_508
; %bb.506:
	v_add_u32_e32 v51, 0x7c, v21
	v_mov_b32_e32 v46, 30
	s_mov_b32 s0, 31
.LBB76_507:                             ; =>This Inner Loop Header: Depth=1
	ds_read_b32 v52, v51
	v_mov_b32_e32 v53, s0
	s_add_i32 s0, s0, 1
	v_add_u32_e32 v51, 4, v51
	s_cmp_lg_u32 s22, s0
	s_waitcnt lgkmcnt(0)
	v_cmp_lt_f32_e64 vcc, |v48|, |v52|
	s_nop 1
	v_cndmask_b32_e32 v48, v48, v52, vcc
	v_cndmask_b32_e32 v46, v46, v53, vcc
	s_cbranch_scc1 .LBB76_507
.LBB76_508:
	s_waitcnt lgkmcnt(0)
	v_cmp_eq_f32_e32 vcc, 0, v48
	s_and_saveexec_b64 s[0:1], vcc
	s_xor_b64 s[0:1], exec, s[0:1]
; %bb.509:
	v_cmp_ne_u32_e32 vcc, 0, v50
	s_nop 1
	v_cndmask_b32_e32 v50, 31, v50, vcc
; %bb.510:
	s_andn2_saveexec_b64 s[0:1], s[0:1]
	s_cbranch_execz .LBB76_512
; %bb.511:
	v_div_scale_f32 v51, s[2:3], v48, v48, 1.0
	v_rcp_f32_e32 v52, v51
	v_div_scale_f32 v53, vcc, 1.0, v48, 1.0
	v_fma_f32 v54, -v51, v52, 1.0
	v_fmac_f32_e32 v52, v54, v52
	v_mul_f32_e32 v54, v53, v52
	v_fma_f32 v55, -v51, v54, v53
	v_fmac_f32_e32 v54, v55, v52
	v_fma_f32 v51, -v51, v54, v53
	v_div_fmas_f32 v51, v51, v52, v54
	v_div_fixup_f32 v48, v51, v48, 1.0
.LBB76_512:
	s_or_b64 exec, exec, s[0:1]
	v_cmp_ne_u32_e32 vcc, v49, v46
	s_and_saveexec_b64 s[0:1], vcc
	s_xor_b64 s[0:1], exec, s[0:1]
	s_cbranch_execz .LBB76_518
; %bb.513:
	v_cmp_eq_u32_e32 vcc, 30, v49
	s_and_saveexec_b64 s[2:3], vcc
	s_cbranch_execz .LBB76_517
; %bb.514:
	v_cmp_ne_u32_e32 vcc, 30, v46
	s_xor_b64 s[18:19], s[16:17], -1
	s_and_b64 s[20:21], s[18:19], vcc
	s_and_saveexec_b64 s[18:19], s[20:21]
	s_cbranch_execz .LBB76_516
; %bb.515:
	v_ashrrev_i32_e32 v47, 31, v46
	v_lshl_add_u64 v[52:53], v[46:47], 2, v[22:23]
	global_load_dword v47, v[52:53], off
	global_load_dword v49, v[22:23], off offset:120
	s_waitcnt vmcnt(1)
	global_store_dword v[22:23], v47, off offset:120
	s_waitcnt vmcnt(1)
	global_store_dword v[52:53], v49, off
.LBB76_516:
	s_or_b64 exec, exec, s[18:19]
	v_mov_b32_e32 v47, v46
	v_mov_b32_e32 v49, v46
.LBB76_517:
	s_or_b64 exec, exec, s[2:3]
.LBB76_518:
	s_andn2_saveexec_b64 s[0:1], s[0:1]
	s_cbranch_execz .LBB76_520
; %bb.519:
	v_mov_b32_e32 v49, 30
	s_waitcnt vmcnt(6)
	ds_write2_b32 v21, v26, v27 offset0:31 offset1:32
	s_waitcnt vmcnt(4)
	ds_write2_b32 v21, v44, v45 offset0:33 offset1:34
	;; [unrolled: 2-line block ×4, first 2 shown]
.LBB76_520:
	s_or_b64 exec, exec, s[0:1]
	v_cmp_lt_i32_e32 vcc, 30, v49
	s_waitcnt lgkmcnt(0)
	s_barrier
	s_and_saveexec_b64 s[0:1], vcc
	s_cbranch_execz .LBB76_522
; %bb.521:
	ds_read2_b32 v[52:53], v21 offset0:31 offset1:32
	ds_read2_b32 v[54:55], v21 offset0:33 offset1:34
	;; [unrolled: 1-line block ×4, first 2 shown]
	v_mul_f32_e32 v46, v48, v33
	s_waitcnt vmcnt(6) lgkmcnt(3)
	v_pk_fma_f32 v[26:27], v[46:47], v[52:53], v[26:27] op_sel_hi:[0,1,1] neg_lo:[1,0,0] neg_hi:[1,0,0]
	s_waitcnt vmcnt(4) lgkmcnt(2)
	v_pk_fma_f32 v[44:45], v[46:47], v[54:55], v[44:45] op_sel_hi:[0,1,1] neg_lo:[1,0,0] neg_hi:[1,0,0]
	;; [unrolled: 2-line block ×4, first 2 shown]
	v_mov_b32_e32 v33, v46
.LBB76_522:
	s_or_b64 exec, exec, s[0:1]
	v_lshl_add_u32 v46, v49, 2, v21
	s_barrier
	s_waitcnt vmcnt(7)
	ds_write_b32 v46, v26
	s_waitcnt lgkmcnt(0)
	s_barrier
	ds_read_b32 v48, v21 offset:124
	s_cmp_lt_i32 s22, 33
	v_mov_b32_e32 v46, 31
	s_cbranch_scc1 .LBB76_525
; %bb.523:
	v_add_u32_e32 v51, 0x80, v21
	v_mov_b32_e32 v46, 31
	s_mov_b32 s0, 32
.LBB76_524:                             ; =>This Inner Loop Header: Depth=1
	ds_read_b32 v52, v51
	v_mov_b32_e32 v53, s0
	s_add_i32 s0, s0, 1
	v_add_u32_e32 v51, 4, v51
	s_cmp_lg_u32 s22, s0
	s_waitcnt lgkmcnt(0)
	v_cmp_lt_f32_e64 vcc, |v48|, |v52|
	s_nop 1
	v_cndmask_b32_e32 v48, v48, v52, vcc
	v_cndmask_b32_e32 v46, v46, v53, vcc
	s_cbranch_scc1 .LBB76_524
.LBB76_525:
	s_waitcnt lgkmcnt(0)
	v_cmp_eq_f32_e32 vcc, 0, v48
	s_and_saveexec_b64 s[0:1], vcc
	s_xor_b64 s[0:1], exec, s[0:1]
; %bb.526:
	v_cmp_ne_u32_e32 vcc, 0, v50
	s_nop 1
	v_cndmask_b32_e32 v50, 32, v50, vcc
; %bb.527:
	s_andn2_saveexec_b64 s[0:1], s[0:1]
	s_cbranch_execz .LBB76_529
; %bb.528:
	v_div_scale_f32 v51, s[2:3], v48, v48, 1.0
	v_rcp_f32_e32 v52, v51
	v_div_scale_f32 v53, vcc, 1.0, v48, 1.0
	v_fma_f32 v54, -v51, v52, 1.0
	v_fmac_f32_e32 v52, v54, v52
	v_mul_f32_e32 v54, v53, v52
	v_fma_f32 v55, -v51, v54, v53
	v_fmac_f32_e32 v54, v55, v52
	v_fma_f32 v51, -v51, v54, v53
	v_div_fmas_f32 v51, v51, v52, v54
	v_div_fixup_f32 v48, v51, v48, 1.0
.LBB76_529:
	s_or_b64 exec, exec, s[0:1]
	v_cmp_ne_u32_e32 vcc, v49, v46
	s_and_saveexec_b64 s[0:1], vcc
	s_xor_b64 s[0:1], exec, s[0:1]
	s_cbranch_execz .LBB76_535
; %bb.530:
	v_cmp_eq_u32_e32 vcc, 31, v49
	s_and_saveexec_b64 s[2:3], vcc
	s_cbranch_execz .LBB76_534
; %bb.531:
	v_cmp_ne_u32_e32 vcc, 31, v46
	s_xor_b64 s[18:19], s[16:17], -1
	s_and_b64 s[20:21], s[18:19], vcc
	s_and_saveexec_b64 s[18:19], s[20:21]
	s_cbranch_execz .LBB76_533
; %bb.532:
	v_ashrrev_i32_e32 v47, 31, v46
	v_lshl_add_u64 v[52:53], v[46:47], 2, v[22:23]
	global_load_dword v47, v[52:53], off
	global_load_dword v49, v[22:23], off offset:124
	s_waitcnt vmcnt(1)
	global_store_dword v[22:23], v47, off offset:124
	s_waitcnt vmcnt(1)
	global_store_dword v[52:53], v49, off
.LBB76_533:
	s_or_b64 exec, exec, s[18:19]
	v_mov_b32_e32 v47, v46
	v_mov_b32_e32 v49, v46
.LBB76_534:
	s_or_b64 exec, exec, s[2:3]
.LBB76_535:
	s_andn2_saveexec_b64 s[0:1], s[0:1]
	s_cbranch_execz .LBB76_537
; %bb.536:
	s_waitcnt vmcnt(4)
	v_pk_mov_b32 v[52:53], v[26:27], v[44:45] op_sel:[1,0]
	ds_write2_b32 v21, v52, v53 offset0:32 offset1:33
	s_waitcnt vmcnt(2)
	v_pk_mov_b32 v[52:53], v[44:45], v[40:41] op_sel:[1,0]
	ds_write2_b32 v21, v52, v53 offset0:34 offset1:35
	s_waitcnt vmcnt(0)
	v_pk_mov_b32 v[52:53], v[40:41], v[38:39] op_sel:[1,0]
	v_mov_b32_e32 v49, 31
	ds_write2_b32 v21, v52, v53 offset0:36 offset1:37
	ds_write_b32 v21, v39 offset:152
.LBB76_537:
	s_or_b64 exec, exec, s[0:1]
	v_cmp_lt_i32_e32 vcc, 31, v49
	s_waitcnt lgkmcnt(0)
	s_barrier
	s_and_saveexec_b64 s[0:1], vcc
	s_cbranch_execz .LBB76_539
; %bb.538:
	ds_read_b32 v46, v21 offset:128
	ds_read2_b32 v[52:53], v21 offset0:33 offset1:34
	ds_read2_b32 v[54:55], v21 offset0:35 offset1:36
	;; [unrolled: 1-line block ×3, first 2 shown]
	v_mul_f32_e32 v26, v48, v26
	s_waitcnt vmcnt(6) lgkmcnt(3)
	v_fma_f32 v27, -v26, v46, v27
	s_waitcnt vmcnt(4) lgkmcnt(2)
	v_pk_fma_f32 v[44:45], v[26:27], v[52:53], v[44:45] op_sel_hi:[0,1,1] neg_lo:[1,0,0] neg_hi:[1,0,0]
	s_waitcnt vmcnt(2) lgkmcnt(1)
	v_pk_fma_f32 v[40:41], v[26:27], v[54:55], v[40:41] op_sel_hi:[0,1,1] neg_lo:[1,0,0] neg_hi:[1,0,0]
	s_waitcnt vmcnt(0) lgkmcnt(0)
	v_pk_fma_f32 v[38:39], v[26:27], v[56:57], v[38:39] op_sel_hi:[0,1,1] neg_lo:[1,0,0] neg_hi:[1,0,0]
.LBB76_539:
	s_or_b64 exec, exec, s[0:1]
	v_lshl_add_u32 v46, v49, 2, v21
	s_barrier
	s_waitcnt vmcnt(6)
	ds_write_b32 v46, v27
	s_waitcnt lgkmcnt(0)
	s_barrier
	ds_read_b32 v48, v21 offset:128
	s_cmp_lt_i32 s22, 34
	v_mov_b32_e32 v46, 32
	s_cbranch_scc1 .LBB76_542
; %bb.540:
	v_add_u32_e32 v51, 0x84, v21
	v_mov_b32_e32 v46, 32
	s_mov_b32 s0, 33
.LBB76_541:                             ; =>This Inner Loop Header: Depth=1
	ds_read_b32 v52, v51
	v_mov_b32_e32 v53, s0
	s_add_i32 s0, s0, 1
	v_add_u32_e32 v51, 4, v51
	s_cmp_lg_u32 s22, s0
	s_waitcnt lgkmcnt(0)
	v_cmp_lt_f32_e64 vcc, |v48|, |v52|
	s_nop 1
	v_cndmask_b32_e32 v48, v48, v52, vcc
	v_cndmask_b32_e32 v46, v46, v53, vcc
	s_cbranch_scc1 .LBB76_541
.LBB76_542:
	s_waitcnt lgkmcnt(0)
	v_cmp_eq_f32_e32 vcc, 0, v48
	s_and_saveexec_b64 s[0:1], vcc
	s_xor_b64 s[0:1], exec, s[0:1]
; %bb.543:
	v_cmp_ne_u32_e32 vcc, 0, v50
	s_nop 1
	v_cndmask_b32_e32 v50, 33, v50, vcc
; %bb.544:
	s_andn2_saveexec_b64 s[0:1], s[0:1]
	s_cbranch_execz .LBB76_546
; %bb.545:
	v_div_scale_f32 v51, s[2:3], v48, v48, 1.0
	v_rcp_f32_e32 v52, v51
	v_div_scale_f32 v53, vcc, 1.0, v48, 1.0
	v_fma_f32 v54, -v51, v52, 1.0
	v_fmac_f32_e32 v52, v54, v52
	v_mul_f32_e32 v54, v53, v52
	v_fma_f32 v55, -v51, v54, v53
	v_fmac_f32_e32 v54, v55, v52
	v_fma_f32 v51, -v51, v54, v53
	v_div_fmas_f32 v51, v51, v52, v54
	v_div_fixup_f32 v48, v51, v48, 1.0
.LBB76_546:
	s_or_b64 exec, exec, s[0:1]
	v_cmp_ne_u32_e32 vcc, v49, v46
	s_and_saveexec_b64 s[0:1], vcc
	s_xor_b64 s[0:1], exec, s[0:1]
	s_cbranch_execz .LBB76_552
; %bb.547:
	v_cmp_eq_u32_e32 vcc, 32, v49
	s_and_saveexec_b64 s[2:3], vcc
	s_cbranch_execz .LBB76_551
; %bb.548:
	v_cmp_ne_u32_e32 vcc, 32, v46
	s_xor_b64 s[18:19], s[16:17], -1
	s_and_b64 s[20:21], s[18:19], vcc
	s_and_saveexec_b64 s[18:19], s[20:21]
	s_cbranch_execz .LBB76_550
; %bb.549:
	v_ashrrev_i32_e32 v47, 31, v46
	v_lshl_add_u64 v[52:53], v[46:47], 2, v[22:23]
	global_load_dword v47, v[52:53], off
	global_load_dword v49, v[22:23], off offset:128
	s_waitcnt vmcnt(1)
	global_store_dword v[22:23], v47, off offset:128
	s_waitcnt vmcnt(1)
	global_store_dword v[52:53], v49, off
.LBB76_550:
	s_or_b64 exec, exec, s[18:19]
	v_mov_b32_e32 v47, v46
	v_mov_b32_e32 v49, v46
.LBB76_551:
	s_or_b64 exec, exec, s[2:3]
.LBB76_552:
	s_andn2_saveexec_b64 s[0:1], s[0:1]
	s_cbranch_execz .LBB76_554
; %bb.553:
	v_mov_b32_e32 v49, 32
	s_waitcnt vmcnt(4)
	ds_write2_b32 v21, v44, v45 offset0:33 offset1:34
	s_waitcnt vmcnt(2)
	ds_write2_b32 v21, v40, v41 offset0:35 offset1:36
	;; [unrolled: 2-line block ×3, first 2 shown]
.LBB76_554:
	s_or_b64 exec, exec, s[0:1]
	v_cmp_lt_i32_e32 vcc, 32, v49
	s_waitcnt lgkmcnt(0)
	s_barrier
	s_and_saveexec_b64 s[0:1], vcc
	s_cbranch_execz .LBB76_556
; %bb.555:
	ds_read2_b32 v[52:53], v21 offset0:33 offset1:34
	ds_read2_b32 v[54:55], v21 offset0:35 offset1:36
	;; [unrolled: 1-line block ×3, first 2 shown]
	v_mul_f32_e32 v46, v48, v27
	v_mov_b32_e32 v27, v46
	s_waitcnt vmcnt(4) lgkmcnt(2)
	v_pk_fma_f32 v[44:45], v[46:47], v[52:53], v[44:45] op_sel_hi:[0,1,1] neg_lo:[1,0,0] neg_hi:[1,0,0]
	s_waitcnt vmcnt(2) lgkmcnt(1)
	v_pk_fma_f32 v[40:41], v[46:47], v[54:55], v[40:41] op_sel_hi:[0,1,1] neg_lo:[1,0,0] neg_hi:[1,0,0]
	;; [unrolled: 2-line block ×3, first 2 shown]
.LBB76_556:
	s_or_b64 exec, exec, s[0:1]
	v_lshl_add_u32 v46, v49, 2, v21
	s_barrier
	s_waitcnt vmcnt(5)
	ds_write_b32 v46, v44
	s_waitcnt lgkmcnt(0)
	s_barrier
	ds_read_b32 v48, v21 offset:132
	s_cmp_lt_i32 s22, 35
	v_mov_b32_e32 v46, 33
	s_cbranch_scc1 .LBB76_559
; %bb.557:
	v_add_u32_e32 v51, 0x88, v21
	v_mov_b32_e32 v46, 33
	s_mov_b32 s0, 34
.LBB76_558:                             ; =>This Inner Loop Header: Depth=1
	ds_read_b32 v52, v51
	v_mov_b32_e32 v53, s0
	s_add_i32 s0, s0, 1
	v_add_u32_e32 v51, 4, v51
	s_cmp_lg_u32 s22, s0
	s_waitcnt lgkmcnt(0)
	v_cmp_lt_f32_e64 vcc, |v48|, |v52|
	s_nop 1
	v_cndmask_b32_e32 v48, v48, v52, vcc
	v_cndmask_b32_e32 v46, v46, v53, vcc
	s_cbranch_scc1 .LBB76_558
.LBB76_559:
	s_waitcnt lgkmcnt(0)
	v_cmp_eq_f32_e32 vcc, 0, v48
	s_and_saveexec_b64 s[0:1], vcc
	s_xor_b64 s[0:1], exec, s[0:1]
; %bb.560:
	v_cmp_ne_u32_e32 vcc, 0, v50
	s_nop 1
	v_cndmask_b32_e32 v50, 34, v50, vcc
; %bb.561:
	s_andn2_saveexec_b64 s[0:1], s[0:1]
	s_cbranch_execz .LBB76_563
; %bb.562:
	v_div_scale_f32 v51, s[2:3], v48, v48, 1.0
	v_rcp_f32_e32 v52, v51
	v_div_scale_f32 v53, vcc, 1.0, v48, 1.0
	v_fma_f32 v54, -v51, v52, 1.0
	v_fmac_f32_e32 v52, v54, v52
	v_mul_f32_e32 v54, v53, v52
	v_fma_f32 v55, -v51, v54, v53
	v_fmac_f32_e32 v54, v55, v52
	v_fma_f32 v51, -v51, v54, v53
	v_div_fmas_f32 v51, v51, v52, v54
	v_div_fixup_f32 v48, v51, v48, 1.0
.LBB76_563:
	s_or_b64 exec, exec, s[0:1]
	v_cmp_ne_u32_e32 vcc, v49, v46
	s_and_saveexec_b64 s[0:1], vcc
	s_xor_b64 s[0:1], exec, s[0:1]
	s_cbranch_execz .LBB76_569
; %bb.564:
	v_cmp_eq_u32_e32 vcc, 33, v49
	s_and_saveexec_b64 s[2:3], vcc
	s_cbranch_execz .LBB76_568
; %bb.565:
	v_cmp_ne_u32_e32 vcc, 33, v46
	s_xor_b64 s[18:19], s[16:17], -1
	s_and_b64 s[20:21], s[18:19], vcc
	s_and_saveexec_b64 s[18:19], s[20:21]
	s_cbranch_execz .LBB76_567
; %bb.566:
	v_ashrrev_i32_e32 v47, 31, v46
	v_lshl_add_u64 v[52:53], v[46:47], 2, v[22:23]
	global_load_dword v47, v[52:53], off
	global_load_dword v49, v[22:23], off offset:132
	s_waitcnt vmcnt(1)
	global_store_dword v[22:23], v47, off offset:132
	s_waitcnt vmcnt(1)
	global_store_dword v[52:53], v49, off
.LBB76_567:
	s_or_b64 exec, exec, s[18:19]
	v_mov_b32_e32 v47, v46
	v_mov_b32_e32 v49, v46
.LBB76_568:
	s_or_b64 exec, exec, s[2:3]
.LBB76_569:
	s_andn2_saveexec_b64 s[0:1], s[0:1]
	s_cbranch_execz .LBB76_571
; %bb.570:
	s_waitcnt vmcnt(2)
	v_pk_mov_b32 v[52:53], v[44:45], v[40:41] op_sel:[1,0]
	ds_write2_b32 v21, v52, v53 offset0:34 offset1:35
	s_waitcnt vmcnt(0)
	v_pk_mov_b32 v[52:53], v[40:41], v[38:39] op_sel:[1,0]
	v_mov_b32_e32 v49, 33
	ds_write2_b32 v21, v52, v53 offset0:36 offset1:37
	ds_write_b32 v21, v39 offset:152
.LBB76_571:
	s_or_b64 exec, exec, s[0:1]
	v_cmp_lt_i32_e32 vcc, 33, v49
	s_waitcnt lgkmcnt(0)
	s_barrier
	s_and_saveexec_b64 s[0:1], vcc
	s_cbranch_execz .LBB76_573
; %bb.572:
	ds_read_b32 v46, v21 offset:136
	ds_read2_b32 v[52:53], v21 offset0:35 offset1:36
	ds_read2_b32 v[54:55], v21 offset0:37 offset1:38
	v_mul_f32_e32 v44, v48, v44
	s_waitcnt vmcnt(4) lgkmcnt(2)
	v_fma_f32 v45, -v44, v46, v45
	s_waitcnt vmcnt(2) lgkmcnt(1)
	v_pk_fma_f32 v[40:41], v[44:45], v[52:53], v[40:41] op_sel_hi:[0,1,1] neg_lo:[1,0,0] neg_hi:[1,0,0]
	s_waitcnt vmcnt(0) lgkmcnt(0)
	v_pk_fma_f32 v[38:39], v[44:45], v[54:55], v[38:39] op_sel_hi:[0,1,1] neg_lo:[1,0,0] neg_hi:[1,0,0]
.LBB76_573:
	s_or_b64 exec, exec, s[0:1]
	v_lshl_add_u32 v46, v49, 2, v21
	s_barrier
	s_waitcnt vmcnt(4)
	ds_write_b32 v46, v45
	s_waitcnt lgkmcnt(0)
	s_barrier
	ds_read_b32 v48, v21 offset:136
	s_cmp_lt_i32 s22, 36
	v_mov_b32_e32 v46, 34
	s_cbranch_scc1 .LBB76_576
; %bb.574:
	v_add_u32_e32 v51, 0x8c, v21
	v_mov_b32_e32 v46, 34
	s_mov_b32 s0, 35
.LBB76_575:                             ; =>This Inner Loop Header: Depth=1
	ds_read_b32 v52, v51
	v_mov_b32_e32 v53, s0
	s_add_i32 s0, s0, 1
	v_add_u32_e32 v51, 4, v51
	s_cmp_lg_u32 s22, s0
	s_waitcnt lgkmcnt(0)
	v_cmp_lt_f32_e64 vcc, |v48|, |v52|
	s_nop 1
	v_cndmask_b32_e32 v48, v48, v52, vcc
	v_cndmask_b32_e32 v46, v46, v53, vcc
	s_cbranch_scc1 .LBB76_575
.LBB76_576:
	s_waitcnt lgkmcnt(0)
	v_cmp_eq_f32_e32 vcc, 0, v48
	s_and_saveexec_b64 s[0:1], vcc
	s_xor_b64 s[0:1], exec, s[0:1]
; %bb.577:
	v_cmp_ne_u32_e32 vcc, 0, v50
	s_nop 1
	v_cndmask_b32_e32 v50, 35, v50, vcc
; %bb.578:
	s_andn2_saveexec_b64 s[0:1], s[0:1]
	s_cbranch_execz .LBB76_580
; %bb.579:
	v_div_scale_f32 v51, s[2:3], v48, v48, 1.0
	v_rcp_f32_e32 v52, v51
	v_div_scale_f32 v53, vcc, 1.0, v48, 1.0
	v_fma_f32 v54, -v51, v52, 1.0
	v_fmac_f32_e32 v52, v54, v52
	v_mul_f32_e32 v54, v53, v52
	v_fma_f32 v55, -v51, v54, v53
	v_fmac_f32_e32 v54, v55, v52
	v_fma_f32 v51, -v51, v54, v53
	v_div_fmas_f32 v51, v51, v52, v54
	v_div_fixup_f32 v48, v51, v48, 1.0
.LBB76_580:
	s_or_b64 exec, exec, s[0:1]
	v_cmp_ne_u32_e32 vcc, v49, v46
	s_and_saveexec_b64 s[0:1], vcc
	s_xor_b64 s[0:1], exec, s[0:1]
	s_cbranch_execz .LBB76_586
; %bb.581:
	v_cmp_eq_u32_e32 vcc, 34, v49
	s_and_saveexec_b64 s[2:3], vcc
	s_cbranch_execz .LBB76_585
; %bb.582:
	v_cmp_ne_u32_e32 vcc, 34, v46
	s_xor_b64 s[18:19], s[16:17], -1
	s_and_b64 s[20:21], s[18:19], vcc
	s_and_saveexec_b64 s[18:19], s[20:21]
	s_cbranch_execz .LBB76_584
; %bb.583:
	v_ashrrev_i32_e32 v47, 31, v46
	v_lshl_add_u64 v[52:53], v[46:47], 2, v[22:23]
	global_load_dword v47, v[52:53], off
	global_load_dword v49, v[22:23], off offset:136
	s_waitcnt vmcnt(1)
	global_store_dword v[22:23], v47, off offset:136
	s_waitcnt vmcnt(1)
	global_store_dword v[52:53], v49, off
.LBB76_584:
	s_or_b64 exec, exec, s[18:19]
	v_mov_b32_e32 v47, v46
	v_mov_b32_e32 v49, v46
.LBB76_585:
	s_or_b64 exec, exec, s[2:3]
.LBB76_586:
	s_andn2_saveexec_b64 s[0:1], s[0:1]
	s_cbranch_execz .LBB76_588
; %bb.587:
	v_mov_b32_e32 v49, 34
	s_waitcnt vmcnt(2)
	ds_write2_b32 v21, v40, v41 offset0:35 offset1:36
	s_waitcnt vmcnt(0)
	ds_write2_b32 v21, v38, v39 offset0:37 offset1:38
.LBB76_588:
	s_or_b64 exec, exec, s[0:1]
	v_cmp_lt_i32_e32 vcc, 34, v49
	s_waitcnt lgkmcnt(0)
	s_barrier
	s_and_saveexec_b64 s[0:1], vcc
	s_cbranch_execz .LBB76_590
; %bb.589:
	ds_read2_b32 v[52:53], v21 offset0:35 offset1:36
	ds_read2_b32 v[54:55], v21 offset0:37 offset1:38
	v_mul_f32_e32 v46, v48, v45
	v_mov_b32_e32 v45, v46
	s_waitcnt vmcnt(2) lgkmcnt(1)
	v_pk_fma_f32 v[40:41], v[46:47], v[52:53], v[40:41] op_sel_hi:[0,1,1] neg_lo:[1,0,0] neg_hi:[1,0,0]
	s_waitcnt vmcnt(0) lgkmcnt(0)
	v_pk_fma_f32 v[38:39], v[46:47], v[54:55], v[38:39] op_sel_hi:[0,1,1] neg_lo:[1,0,0] neg_hi:[1,0,0]
.LBB76_590:
	s_or_b64 exec, exec, s[0:1]
	v_lshl_add_u32 v46, v49, 2, v21
	s_barrier
	s_waitcnt vmcnt(3)
	ds_write_b32 v46, v40
	s_waitcnt lgkmcnt(0)
	s_barrier
	ds_read_b32 v48, v21 offset:140
	s_cmp_lt_i32 s22, 37
	v_mov_b32_e32 v46, 35
	s_cbranch_scc1 .LBB76_593
; %bb.591:
	v_add_u32_e32 v51, 0x90, v21
	v_mov_b32_e32 v46, 35
	s_mov_b32 s0, 36
.LBB76_592:                             ; =>This Inner Loop Header: Depth=1
	ds_read_b32 v52, v51
	v_mov_b32_e32 v53, s0
	s_add_i32 s0, s0, 1
	v_add_u32_e32 v51, 4, v51
	s_cmp_lg_u32 s22, s0
	s_waitcnt lgkmcnt(0)
	v_cmp_lt_f32_e64 vcc, |v48|, |v52|
	s_nop 1
	v_cndmask_b32_e32 v48, v48, v52, vcc
	v_cndmask_b32_e32 v46, v46, v53, vcc
	s_cbranch_scc1 .LBB76_592
.LBB76_593:
	s_waitcnt lgkmcnt(0)
	v_cmp_eq_f32_e32 vcc, 0, v48
	s_and_saveexec_b64 s[0:1], vcc
	s_xor_b64 s[0:1], exec, s[0:1]
; %bb.594:
	v_cmp_ne_u32_e32 vcc, 0, v50
	s_nop 1
	v_cndmask_b32_e32 v50, 36, v50, vcc
; %bb.595:
	s_andn2_saveexec_b64 s[0:1], s[0:1]
	s_cbranch_execz .LBB76_597
; %bb.596:
	v_div_scale_f32 v51, s[2:3], v48, v48, 1.0
	v_rcp_f32_e32 v52, v51
	v_div_scale_f32 v53, vcc, 1.0, v48, 1.0
	v_fma_f32 v54, -v51, v52, 1.0
	v_fmac_f32_e32 v52, v54, v52
	v_mul_f32_e32 v54, v53, v52
	v_fma_f32 v55, -v51, v54, v53
	v_fmac_f32_e32 v54, v55, v52
	v_fma_f32 v51, -v51, v54, v53
	v_div_fmas_f32 v51, v51, v52, v54
	v_div_fixup_f32 v48, v51, v48, 1.0
.LBB76_597:
	s_or_b64 exec, exec, s[0:1]
	v_cmp_ne_u32_e32 vcc, v49, v46
	s_and_saveexec_b64 s[0:1], vcc
	s_xor_b64 s[0:1], exec, s[0:1]
	s_cbranch_execz .LBB76_603
; %bb.598:
	v_cmp_eq_u32_e32 vcc, 35, v49
	s_and_saveexec_b64 s[2:3], vcc
	s_cbranch_execz .LBB76_602
; %bb.599:
	v_cmp_ne_u32_e32 vcc, 35, v46
	s_xor_b64 s[18:19], s[16:17], -1
	s_and_b64 s[20:21], s[18:19], vcc
	s_and_saveexec_b64 s[18:19], s[20:21]
	s_cbranch_execz .LBB76_601
; %bb.600:
	v_ashrrev_i32_e32 v47, 31, v46
	v_lshl_add_u64 v[52:53], v[46:47], 2, v[22:23]
	global_load_dword v47, v[52:53], off
	global_load_dword v49, v[22:23], off offset:140
	s_waitcnt vmcnt(1)
	global_store_dword v[22:23], v47, off offset:140
	s_waitcnt vmcnt(1)
	global_store_dword v[52:53], v49, off
.LBB76_601:
	s_or_b64 exec, exec, s[18:19]
	v_mov_b32_e32 v47, v46
	v_mov_b32_e32 v49, v46
.LBB76_602:
	s_or_b64 exec, exec, s[2:3]
.LBB76_603:
	s_andn2_saveexec_b64 s[0:1], s[0:1]
	s_cbranch_execz .LBB76_605
; %bb.604:
	s_waitcnt vmcnt(0)
	v_pk_mov_b32 v[52:53], v[40:41], v[38:39] op_sel:[1,0]
	v_mov_b32_e32 v49, 35
	ds_write2_b32 v21, v52, v53 offset0:36 offset1:37
	ds_write_b32 v21, v39 offset:152
.LBB76_605:
	s_or_b64 exec, exec, s[0:1]
	v_cmp_lt_i32_e32 vcc, 35, v49
	s_waitcnt lgkmcnt(0)
	s_barrier
	s_and_saveexec_b64 s[0:1], vcc
	s_cbranch_execz .LBB76_607
; %bb.606:
	ds_read_b32 v46, v21 offset:144
	ds_read2_b32 v[52:53], v21 offset0:37 offset1:38
	v_mul_f32_e32 v40, v48, v40
	s_waitcnt vmcnt(2) lgkmcnt(1)
	v_fma_f32 v41, -v40, v46, v41
	s_waitcnt vmcnt(0) lgkmcnt(0)
	v_pk_fma_f32 v[38:39], v[40:41], v[52:53], v[38:39] op_sel_hi:[0,1,1] neg_lo:[1,0,0] neg_hi:[1,0,0]
.LBB76_607:
	s_or_b64 exec, exec, s[0:1]
	v_lshl_add_u32 v46, v49, 2, v21
	s_barrier
	s_waitcnt vmcnt(2)
	ds_write_b32 v46, v41
	s_waitcnt lgkmcnt(0)
	s_barrier
	ds_read_b32 v48, v21 offset:144
	s_cmp_lt_i32 s22, 38
	v_mov_b32_e32 v46, 36
	s_cbranch_scc1 .LBB76_610
; %bb.608:
	v_add_u32_e32 v51, 0x94, v21
	v_mov_b32_e32 v46, 36
	s_mov_b32 s0, 37
.LBB76_609:                             ; =>This Inner Loop Header: Depth=1
	ds_read_b32 v52, v51
	v_mov_b32_e32 v53, s0
	s_add_i32 s0, s0, 1
	v_add_u32_e32 v51, 4, v51
	s_cmp_lg_u32 s22, s0
	s_waitcnt lgkmcnt(0)
	v_cmp_lt_f32_e64 vcc, |v48|, |v52|
	s_nop 1
	v_cndmask_b32_e32 v48, v48, v52, vcc
	v_cndmask_b32_e32 v46, v46, v53, vcc
	s_cbranch_scc1 .LBB76_609
.LBB76_610:
	s_waitcnt lgkmcnt(0)
	v_cmp_eq_f32_e32 vcc, 0, v48
	s_and_saveexec_b64 s[0:1], vcc
	s_xor_b64 s[0:1], exec, s[0:1]
; %bb.611:
	v_cmp_ne_u32_e32 vcc, 0, v50
	s_nop 1
	v_cndmask_b32_e32 v50, 37, v50, vcc
; %bb.612:
	s_andn2_saveexec_b64 s[0:1], s[0:1]
	s_cbranch_execz .LBB76_614
; %bb.613:
	v_div_scale_f32 v51, s[2:3], v48, v48, 1.0
	v_rcp_f32_e32 v52, v51
	v_div_scale_f32 v53, vcc, 1.0, v48, 1.0
	v_fma_f32 v54, -v51, v52, 1.0
	v_fmac_f32_e32 v52, v54, v52
	v_mul_f32_e32 v54, v53, v52
	v_fma_f32 v55, -v51, v54, v53
	v_fmac_f32_e32 v54, v55, v52
	v_fma_f32 v51, -v51, v54, v53
	v_div_fmas_f32 v51, v51, v52, v54
	v_div_fixup_f32 v48, v51, v48, 1.0
.LBB76_614:
	s_or_b64 exec, exec, s[0:1]
	v_cmp_ne_u32_e32 vcc, v49, v46
	s_and_saveexec_b64 s[0:1], vcc
	s_xor_b64 s[0:1], exec, s[0:1]
	s_cbranch_execz .LBB76_620
; %bb.615:
	v_cmp_eq_u32_e32 vcc, 36, v49
	s_and_saveexec_b64 s[2:3], vcc
	s_cbranch_execz .LBB76_619
; %bb.616:
	v_cmp_ne_u32_e32 vcc, 36, v46
	s_xor_b64 s[18:19], s[16:17], -1
	s_and_b64 s[20:21], s[18:19], vcc
	s_and_saveexec_b64 s[18:19], s[20:21]
	s_cbranch_execz .LBB76_618
; %bb.617:
	v_ashrrev_i32_e32 v47, 31, v46
	v_lshl_add_u64 v[52:53], v[46:47], 2, v[22:23]
	global_load_dword v47, v[52:53], off
	global_load_dword v49, v[22:23], off offset:144
	s_waitcnt vmcnt(1)
	global_store_dword v[22:23], v47, off offset:144
	s_waitcnt vmcnt(1)
	global_store_dword v[52:53], v49, off
.LBB76_618:
	s_or_b64 exec, exec, s[18:19]
	v_mov_b32_e32 v47, v46
	v_mov_b32_e32 v49, v46
.LBB76_619:
	s_or_b64 exec, exec, s[2:3]
.LBB76_620:
	s_andn2_saveexec_b64 s[0:1], s[0:1]
	s_cbranch_execz .LBB76_622
; %bb.621:
	v_mov_b32_e32 v49, 36
	s_waitcnt vmcnt(0)
	ds_write2_b32 v21, v38, v39 offset0:37 offset1:38
.LBB76_622:
	s_or_b64 exec, exec, s[0:1]
	v_cmp_lt_i32_e32 vcc, 36, v49
	s_waitcnt lgkmcnt(0)
	s_barrier
	s_and_saveexec_b64 s[0:1], vcc
	s_cbranch_execz .LBB76_624
; %bb.623:
	ds_read2_b32 v[52:53], v21 offset0:37 offset1:38
	v_mul_f32_e32 v46, v48, v41
	v_mov_b32_e32 v41, v46
	s_waitcnt vmcnt(0) lgkmcnt(0)
	v_pk_fma_f32 v[38:39], v[46:47], v[52:53], v[38:39] op_sel_hi:[0,1,1] neg_lo:[1,0,0] neg_hi:[1,0,0]
.LBB76_624:
	s_or_b64 exec, exec, s[0:1]
	v_lshl_add_u32 v46, v49, 2, v21
	s_barrier
	s_waitcnt vmcnt(1)
	ds_write_b32 v46, v38
	s_waitcnt lgkmcnt(0)
	s_barrier
	ds_read_b32 v48, v21 offset:148
	s_cmp_lt_i32 s22, 39
	v_mov_b32_e32 v46, 37
	s_cbranch_scc1 .LBB76_627
; %bb.625:
	v_add_u32_e32 v51, 0x98, v21
	v_mov_b32_e32 v46, 37
	s_mov_b32 s0, 38
.LBB76_626:                             ; =>This Inner Loop Header: Depth=1
	ds_read_b32 v52, v51
	v_mov_b32_e32 v53, s0
	s_add_i32 s0, s0, 1
	v_add_u32_e32 v51, 4, v51
	s_cmp_lg_u32 s22, s0
	s_waitcnt lgkmcnt(0)
	v_cmp_lt_f32_e64 vcc, |v48|, |v52|
	s_nop 1
	v_cndmask_b32_e32 v48, v48, v52, vcc
	v_cndmask_b32_e32 v46, v46, v53, vcc
	s_cbranch_scc1 .LBB76_626
.LBB76_627:
	s_waitcnt lgkmcnt(0)
	v_cmp_eq_f32_e32 vcc, 0, v48
	s_and_saveexec_b64 s[0:1], vcc
	s_xor_b64 s[0:1], exec, s[0:1]
; %bb.628:
	v_cmp_ne_u32_e32 vcc, 0, v50
	s_nop 1
	v_cndmask_b32_e32 v50, 38, v50, vcc
; %bb.629:
	s_andn2_saveexec_b64 s[0:1], s[0:1]
	s_cbranch_execz .LBB76_631
; %bb.630:
	v_div_scale_f32 v51, s[2:3], v48, v48, 1.0
	v_rcp_f32_e32 v52, v51
	v_div_scale_f32 v53, vcc, 1.0, v48, 1.0
	v_fma_f32 v54, -v51, v52, 1.0
	v_fmac_f32_e32 v52, v54, v52
	v_mul_f32_e32 v54, v53, v52
	v_fma_f32 v55, -v51, v54, v53
	v_fmac_f32_e32 v54, v55, v52
	v_fma_f32 v51, -v51, v54, v53
	v_div_fmas_f32 v51, v51, v52, v54
	v_div_fixup_f32 v48, v51, v48, 1.0
.LBB76_631:
	s_or_b64 exec, exec, s[0:1]
	v_cmp_ne_u32_e32 vcc, v49, v46
	s_and_saveexec_b64 s[0:1], vcc
	s_xor_b64 s[0:1], exec, s[0:1]
	s_cbranch_execz .LBB76_637
; %bb.632:
	v_cmp_eq_u32_e32 vcc, 37, v49
	s_and_saveexec_b64 s[2:3], vcc
	s_cbranch_execz .LBB76_636
; %bb.633:
	v_cmp_ne_u32_e32 vcc, 37, v46
	s_xor_b64 s[18:19], s[16:17], -1
	s_and_b64 s[20:21], s[18:19], vcc
	s_and_saveexec_b64 s[18:19], s[20:21]
	s_cbranch_execz .LBB76_635
; %bb.634:
	v_ashrrev_i32_e32 v47, 31, v46
	v_lshl_add_u64 v[52:53], v[46:47], 2, v[22:23]
	global_load_dword v47, v[52:53], off
	global_load_dword v49, v[22:23], off offset:148
	s_waitcnt vmcnt(1)
	global_store_dword v[22:23], v47, off offset:148
	s_waitcnt vmcnt(1)
	global_store_dword v[52:53], v49, off
.LBB76_635:
	s_or_b64 exec, exec, s[18:19]
	v_mov_b32_e32 v47, v46
	v_mov_b32_e32 v49, v46
.LBB76_636:
	s_or_b64 exec, exec, s[2:3]
.LBB76_637:
	s_andn2_saveexec_b64 s[0:1], s[0:1]
	s_cbranch_execz .LBB76_639
; %bb.638:
	v_mov_b32_e32 v49, 37
	s_waitcnt vmcnt(0)
	ds_write_b32 v21, v39 offset:152
.LBB76_639:
	s_or_b64 exec, exec, s[0:1]
	v_cmp_lt_i32_e32 vcc, 37, v49
	s_waitcnt lgkmcnt(0)
	s_barrier
	s_and_saveexec_b64 s[0:1], vcc
	s_cbranch_execz .LBB76_641
; %bb.640:
	ds_read_b32 v46, v21 offset:152
	v_mul_f32_e32 v38, v48, v38
	s_waitcnt vmcnt(0) lgkmcnt(0)
	v_fma_f32 v39, -v38, v46, v39
.LBB76_641:
	s_or_b64 exec, exec, s[0:1]
	v_lshl_add_u32 v46, v49, 2, v21
	s_barrier
	s_waitcnt vmcnt(0)
	ds_write_b32 v46, v39
	s_waitcnt lgkmcnt(0)
	s_barrier
	ds_read_b32 v51, v21 offset:152
	s_cmp_lt_i32 s22, 40
	v_mov_b32_e32 v46, 38
	s_cbranch_scc1 .LBB76_644
; %bb.642:
	v_add_u32_e32 v21, 0x9c, v21
	v_mov_b32_e32 v46, 38
	s_mov_b32 s0, 39
.LBB76_643:                             ; =>This Inner Loop Header: Depth=1
	ds_read_b32 v48, v21
	v_mov_b32_e32 v52, s0
	s_add_i32 s0, s0, 1
	v_add_u32_e32 v21, 4, v21
	s_cmp_lg_u32 s22, s0
	s_waitcnt lgkmcnt(0)
	v_cmp_lt_f32_e64 vcc, |v51|, |v48|
	s_nop 1
	v_cndmask_b32_e32 v51, v51, v48, vcc
	v_cndmask_b32_e32 v46, v46, v52, vcc
	s_cbranch_scc1 .LBB76_643
.LBB76_644:
	s_waitcnt lgkmcnt(0)
	v_cmp_eq_f32_e32 vcc, 0, v51
	s_and_saveexec_b64 s[0:1], vcc
	s_xor_b64 s[0:1], exec, s[0:1]
; %bb.645:
	v_cmp_ne_u32_e32 vcc, 0, v50
	s_nop 1
	v_cndmask_b32_e32 v50, 39, v50, vcc
; %bb.646:
	s_andn2_saveexec_b64 s[0:1], s[0:1]
	s_cbranch_execz .LBB76_648
; %bb.647:
	v_div_scale_f32 v21, s[2:3], v51, v51, 1.0
	v_rcp_f32_e32 v48, v21
	v_div_scale_f32 v52, vcc, 1.0, v51, 1.0
	v_fma_f32 v53, -v21, v48, 1.0
	v_fmac_f32_e32 v48, v53, v48
	v_mul_f32_e32 v53, v52, v48
	v_fma_f32 v54, -v21, v53, v52
	v_fmac_f32_e32 v53, v54, v48
	v_fma_f32 v21, -v21, v53, v52
	v_div_fmas_f32 v21, v21, v48, v53
	v_div_fixup_f32 v51, v21, v51, 1.0
.LBB76_648:
	s_or_b64 exec, exec, s[0:1]
	v_cmp_ne_u32_e32 vcc, v49, v46
	v_mov_b32_e32 v48, 38
	s_and_saveexec_b64 s[0:1], vcc
	s_cbranch_execz .LBB76_654
; %bb.649:
	v_cmp_eq_u32_e32 vcc, 38, v49
	s_and_saveexec_b64 s[2:3], vcc
	s_cbranch_execz .LBB76_653
; %bb.650:
	v_cmp_ne_u32_e32 vcc, 38, v46
	s_xor_b64 s[16:17], s[16:17], -1
	s_and_b64 s[18:19], s[16:17], vcc
	s_and_saveexec_b64 s[16:17], s[18:19]
	s_cbranch_execz .LBB76_652
; %bb.651:
	v_ashrrev_i32_e32 v47, 31, v46
	v_lshl_add_u64 v[48:49], v[46:47], 2, v[22:23]
	global_load_dword v21, v[48:49], off
	global_load_dword v47, v[22:23], off offset:152
	s_waitcnt vmcnt(1)
	global_store_dword v[22:23], v21, off offset:152
	s_waitcnt vmcnt(1)
	global_store_dword v[48:49], v47, off
.LBB76_652:
	s_or_b64 exec, exec, s[16:17]
	v_mov_b32_e32 v47, v46
	v_mov_b32_e32 v49, v46
.LBB76_653:
	s_or_b64 exec, exec, s[2:3]
	v_mov_b32_e32 v48, v49
.LBB76_654:
	s_or_b64 exec, exec, s[0:1]
	v_cmp_gt_i32_e32 vcc, 39, v48
	v_ashrrev_i32_e32 v49, 31, v48
	s_barrier
	s_barrier
	s_and_saveexec_b64 s[0:1], vcc
	s_cbranch_execz .LBB76_656
; %bb.655:
	v_mul_lo_u32 v21, s11, v4
	v_mul_lo_u32 v46, s10, v5
	v_mad_u64_u32 v[52:53], s[2:3], s10, v4, 0
	v_mov_b32_e32 v22, s6
	v_mov_b32_e32 v23, s7
	v_add3_u32 v53, v53, v46, v21
	v_lshl_add_u64 v[22:23], v[52:53], 2, v[22:23]
	v_lshl_add_u64 v[22:23], s[8:9], 2, v[22:23]
	;; [unrolled: 1-line block ×3, first 2 shown]
	v_add3_u32 v21, v47, s15, 1
	global_store_dword v[22:23], v21, off
.LBB76_656:
	s_or_b64 exec, exec, s[0:1]
	v_cmp_eq_u32_e32 vcc, 0, v48
	s_and_saveexec_b64 s[2:3], vcc
	s_cbranch_execz .LBB76_659
; %bb.657:
	v_mov_b32_e32 v22, s4
	v_mov_b32_e32 v23, s5
	v_lshl_add_u64 v[4:5], v[4:5], 2, v[22:23]
	global_load_dword v21, v[4:5], off
	v_cmp_ne_u32_e64 s[0:1], 0, v50
	s_waitcnt vmcnt(0)
	v_cmp_eq_u32_e32 vcc, 0, v21
	s_and_b64 s[0:1], vcc, s[0:1]
	s_and_b64 exec, exec, s[0:1]
	s_cbranch_execz .LBB76_659
; %bb.658:
	v_add_u32_e32 v21, s15, v50
	global_store_dword v[4:5], v21, off
.LBB76_659:
	s_or_b64 exec, exec, s[2:3]
	v_mul_f32_e32 v4, v51, v39
	v_cmp_lt_i32_e32 vcc, 38, v48
	s_nop 1
	v_cndmask_b32_e32 v22, v39, v4, vcc
	v_lshl_add_u64 v[4:5], v[48:49], 2, v[2:3]
	global_store_dword v[4:5], v20, off
	v_lshl_add_u64 v[4:5], s[12:13], 2, v[4:5]
	global_store_dword v[4:5], v14, off
	v_add_u32_e32 v4, s14, v48
	v_ashrrev_i32_e32 v5, 31, v4
	v_lshl_add_u64 v[20:21], v[4:5], 2, v[2:3]
	v_add_u32_e32 v4, s12, v4
	v_ashrrev_i32_e32 v5, 31, v4
	global_store_dword v[20:21], v15, off
	v_lshl_add_u64 v[14:15], v[4:5], 2, v[2:3]
	v_add_u32_e32 v4, s12, v4
	v_ashrrev_i32_e32 v5, 31, v4
	global_store_dword v[14:15], v10, off
	;; [unrolled: 4-line block ×6, first 2 shown]
	v_lshl_add_u64 v[6:7], v[4:5], 2, v[2:3]
	v_add_u32_e32 v0, s12, v4
	global_store_dword v[6:7], v1, off
	v_ashrrev_i32_e32 v1, 31, v0
	v_lshl_add_u64 v[4:5], v[0:1], 2, v[2:3]
	v_add_u32_e32 v0, s12, v0
	v_ashrrev_i32_e32 v1, 31, v0
	global_store_dword v[4:5], v28, off
	v_lshl_add_u64 v[4:5], v[0:1], 2, v[2:3]
	v_add_u32_e32 v0, s12, v0
	v_ashrrev_i32_e32 v1, 31, v0
	global_store_dword v[4:5], v29, off
	;; [unrolled: 4-line block ×28, first 2 shown]
	v_lshl_add_u64 v[4:5], v[0:1], 2, v[2:3]
	v_add_u32_e32 v0, s12, v0
	v_ashrrev_i32_e32 v1, 31, v0
	v_lshl_add_u64 v[0:1], v[0:1], 2, v[2:3]
	global_store_dword v[4:5], v38, off
	global_store_dword v[0:1], v22, off
.LBB76_660:
	s_endpgm
	.section	.rodata,"a",@progbits
	.p2align	6, 0x0
	.amdhsa_kernel _ZN9rocsolver6v33100L18getf2_small_kernelILi39EfiiPfEEvT1_T3_lS3_lPS3_llPT2_S3_S3_S5_l
		.amdhsa_group_segment_fixed_size 0
		.amdhsa_private_segment_fixed_size 0
		.amdhsa_kernarg_size 352
		.amdhsa_user_sgpr_count 2
		.amdhsa_user_sgpr_dispatch_ptr 0
		.amdhsa_user_sgpr_queue_ptr 0
		.amdhsa_user_sgpr_kernarg_segment_ptr 1
		.amdhsa_user_sgpr_dispatch_id 0
		.amdhsa_user_sgpr_kernarg_preload_length 0
		.amdhsa_user_sgpr_kernarg_preload_offset 0
		.amdhsa_user_sgpr_private_segment_size 0
		.amdhsa_uses_dynamic_stack 0
		.amdhsa_enable_private_segment 0
		.amdhsa_system_sgpr_workgroup_id_x 1
		.amdhsa_system_sgpr_workgroup_id_y 1
		.amdhsa_system_sgpr_workgroup_id_z 0
		.amdhsa_system_sgpr_workgroup_info 0
		.amdhsa_system_vgpr_workitem_id 1
		.amdhsa_next_free_vgpr 64
		.amdhsa_next_free_sgpr 26
		.amdhsa_accum_offset 64
		.amdhsa_reserve_vcc 1
		.amdhsa_float_round_mode_32 0
		.amdhsa_float_round_mode_16_64 0
		.amdhsa_float_denorm_mode_32 3
		.amdhsa_float_denorm_mode_16_64 3
		.amdhsa_dx10_clamp 1
		.amdhsa_ieee_mode 1
		.amdhsa_fp16_overflow 0
		.amdhsa_tg_split 0
		.amdhsa_exception_fp_ieee_invalid_op 0
		.amdhsa_exception_fp_denorm_src 0
		.amdhsa_exception_fp_ieee_div_zero 0
		.amdhsa_exception_fp_ieee_overflow 0
		.amdhsa_exception_fp_ieee_underflow 0
		.amdhsa_exception_fp_ieee_inexact 0
		.amdhsa_exception_int_div_zero 0
	.end_amdhsa_kernel
	.section	.text._ZN9rocsolver6v33100L18getf2_small_kernelILi39EfiiPfEEvT1_T3_lS3_lPS3_llPT2_S3_S3_S5_l,"axG",@progbits,_ZN9rocsolver6v33100L18getf2_small_kernelILi39EfiiPfEEvT1_T3_lS3_lPS3_llPT2_S3_S3_S5_l,comdat
.Lfunc_end76:
	.size	_ZN9rocsolver6v33100L18getf2_small_kernelILi39EfiiPfEEvT1_T3_lS3_lPS3_llPT2_S3_S3_S5_l, .Lfunc_end76-_ZN9rocsolver6v33100L18getf2_small_kernelILi39EfiiPfEEvT1_T3_lS3_lPS3_llPT2_S3_S3_S5_l
                                        ; -- End function
	.set _ZN9rocsolver6v33100L18getf2_small_kernelILi39EfiiPfEEvT1_T3_lS3_lPS3_llPT2_S3_S3_S5_l.num_vgpr, 64
	.set _ZN9rocsolver6v33100L18getf2_small_kernelILi39EfiiPfEEvT1_T3_lS3_lPS3_llPT2_S3_S3_S5_l.num_agpr, 0
	.set _ZN9rocsolver6v33100L18getf2_small_kernelILi39EfiiPfEEvT1_T3_lS3_lPS3_llPT2_S3_S3_S5_l.numbered_sgpr, 26
	.set _ZN9rocsolver6v33100L18getf2_small_kernelILi39EfiiPfEEvT1_T3_lS3_lPS3_llPT2_S3_S3_S5_l.num_named_barrier, 0
	.set _ZN9rocsolver6v33100L18getf2_small_kernelILi39EfiiPfEEvT1_T3_lS3_lPS3_llPT2_S3_S3_S5_l.private_seg_size, 0
	.set _ZN9rocsolver6v33100L18getf2_small_kernelILi39EfiiPfEEvT1_T3_lS3_lPS3_llPT2_S3_S3_S5_l.uses_vcc, 1
	.set _ZN9rocsolver6v33100L18getf2_small_kernelILi39EfiiPfEEvT1_T3_lS3_lPS3_llPT2_S3_S3_S5_l.uses_flat_scratch, 0
	.set _ZN9rocsolver6v33100L18getf2_small_kernelILi39EfiiPfEEvT1_T3_lS3_lPS3_llPT2_S3_S3_S5_l.has_dyn_sized_stack, 0
	.set _ZN9rocsolver6v33100L18getf2_small_kernelILi39EfiiPfEEvT1_T3_lS3_lPS3_llPT2_S3_S3_S5_l.has_recursion, 0
	.set _ZN9rocsolver6v33100L18getf2_small_kernelILi39EfiiPfEEvT1_T3_lS3_lPS3_llPT2_S3_S3_S5_l.has_indirect_call, 0
	.section	.AMDGPU.csdata,"",@progbits
; Kernel info:
; codeLenInByte = 31084
; TotalNumSgprs: 32
; NumVgprs: 64
; NumAgprs: 0
; TotalNumVgprs: 64
; ScratchSize: 0
; MemoryBound: 0
; FloatMode: 240
; IeeeMode: 1
; LDSByteSize: 0 bytes/workgroup (compile time only)
; SGPRBlocks: 3
; VGPRBlocks: 7
; NumSGPRsForWavesPerEU: 32
; NumVGPRsForWavesPerEU: 64
; AccumOffset: 64
; Occupancy: 8
; WaveLimiterHint : 0
; COMPUTE_PGM_RSRC2:SCRATCH_EN: 0
; COMPUTE_PGM_RSRC2:USER_SGPR: 2
; COMPUTE_PGM_RSRC2:TRAP_HANDLER: 0
; COMPUTE_PGM_RSRC2:TGID_X_EN: 1
; COMPUTE_PGM_RSRC2:TGID_Y_EN: 1
; COMPUTE_PGM_RSRC2:TGID_Z_EN: 0
; COMPUTE_PGM_RSRC2:TIDIG_COMP_CNT: 1
; COMPUTE_PGM_RSRC3_GFX90A:ACCUM_OFFSET: 15
; COMPUTE_PGM_RSRC3_GFX90A:TG_SPLIT: 0
	.section	.text._ZN9rocsolver6v33100L23getf2_npvt_small_kernelILi39EfiiPfEEvT1_T3_lS3_lPT2_S3_S3_,"axG",@progbits,_ZN9rocsolver6v33100L23getf2_npvt_small_kernelILi39EfiiPfEEvT1_T3_lS3_lPT2_S3_S3_,comdat
	.globl	_ZN9rocsolver6v33100L23getf2_npvt_small_kernelILi39EfiiPfEEvT1_T3_lS3_lPT2_S3_S3_ ; -- Begin function _ZN9rocsolver6v33100L23getf2_npvt_small_kernelILi39EfiiPfEEvT1_T3_lS3_lPT2_S3_S3_
	.p2align	8
	.type	_ZN9rocsolver6v33100L23getf2_npvt_small_kernelILi39EfiiPfEEvT1_T3_lS3_lPT2_S3_S3_,@function
_ZN9rocsolver6v33100L23getf2_npvt_small_kernelILi39EfiiPfEEvT1_T3_lS3_lPT2_S3_S3_: ; @_ZN9rocsolver6v33100L23getf2_npvt_small_kernelILi39EfiiPfEEvT1_T3_lS3_lPT2_S3_S3_
; %bb.0:
	s_load_dword s2, s[0:1], 0x44
	s_load_dwordx2 s[8:9], s[0:1], 0x30
	v_bfe_u32 v120, v0, 10, 10
	s_waitcnt lgkmcnt(0)
	s_lshr_b32 s10, s2, 16
	s_mul_i32 s3, s3, s10
	v_add_u32_e32 v34, s3, v120
	v_cmp_gt_i32_e32 vcc, s8, v34
	s_and_saveexec_b64 s[2:3], vcc
	s_cbranch_execz .LBB77_217
; %bb.1:
	s_load_dwordx4 s[12:15], s[0:1], 0x8
	s_load_dword s2, s[0:1], 0x18
	s_load_dwordx4 s[4:7], s[0:1], 0x20
	v_and_b32_e32 v25, 0x3ff, v0
	v_ashrrev_i32_e32 v35, 31, v34
	s_waitcnt lgkmcnt(0)
	v_mov_b32_e32 v2, s12
	v_mov_b32_e32 v3, s13
	v_mad_u64_u32 v[0:1], s[0:1], s4, v34, 0
	s_add_i32 s0, s2, s2
	s_nop 0
	v_add_u32_e32 v6, s0, v25
	v_add_u32_e32 v8, s2, v6
	;; [unrolled: 1-line block ×33, first 2 shown]
	v_mul_lo_u32 v4, s5, v34
	v_mul_lo_u32 v5, s4, v35
	v_add_u32_e32 v108, s2, v106
	v_add3_u32 v1, v1, v5, v4
	v_add_u32_e32 v110, s2, v108
	v_lshl_add_u64 v[0:1], v[0:1], 2, v[2:3]
	v_add_u32_e32 v114, s2, v110
	v_lshl_add_u64 v[112:113], s[14:15], 2, v[0:1]
	v_lshlrev_b32_e32 v0, 2, v25
	v_mov_b32_e32 v1, 0
	v_ashrrev_i32_e32 v7, 31, v6
	v_ashrrev_i32_e32 v9, 31, v8
	;; [unrolled: 1-line block ×36, first 2 shown]
	s_ashr_i32 s3, s2, 31
	v_lshl_add_u64 v[0:1], v[112:113], 0, v[0:1]
	v_lshl_add_u64 v[4:5], v[6:7], 2, v[112:113]
	;; [unrolled: 1-line block ×37, first 2 shown]
	v_add_u32_e32 v114, s2, v114
	v_lshl_add_u64 v[2:3], s[2:3], 2, v[0:1]
	global_load_dword v24, v[0:1], off
	global_load_dword v18, v[2:3], off
	;; [unrolled: 1-line block ×32, first 2 shown]
	v_ashrrev_i32_e32 v115, 31, v114
	v_lshl_add_u64 v[112:113], v[114:115], 2, v[112:113]
	global_load_dword v93, v[100:101], off
	global_load_dword v114, v[102:103], off
	;; [unrolled: 1-line block ×7, first 2 shown]
	s_mulk_i32 s10, 0x9c
	v_cmp_eq_u32_e64 s[0:1], 0, v25
	v_cmp_ne_u32_e64 s[2:3], 0, v25
	s_movk_i32 s11, 0x9c
	s_add_i32 s8, s10, 0
	s_and_saveexec_b64 s[4:5], s[2:3]
	s_xor_b64 s[4:5], exec, s[4:5]
	s_or_saveexec_b64 s[4:5], s[4:5]
	v_mad_u32_u24 v121, v120, s11, 0
	v_lshl_add_u32 v120, v120, 2, s8
	s_xor_b64 exec, exec, s[4:5]
	s_cbranch_execz .LBB77_5
; %bb.2:
	s_waitcnt vmcnt(38)
	ds_write_b32 v120, v24
	s_waitcnt vmcnt(36)
	ds_write2_b32 v121, v18, v19 offset0:1 offset1:2
	s_waitcnt vmcnt(34)
	ds_write2_b32 v121, v20, v21 offset0:3 offset1:4
	;; [unrolled: 2-line block ×19, first 2 shown]
	ds_read_b32 v122, v120
	s_waitcnt lgkmcnt(0)
	v_cmp_neq_f32_e32 vcc, 0, v122
	s_and_saveexec_b64 s[10:11], vcc
	s_cbranch_execz .LBB77_4
; %bb.3:
	v_div_scale_f32 v123, s[12:13], v122, v122, 1.0
	v_rcp_f32_e32 v124, v123
	v_div_scale_f32 v125, vcc, 1.0, v122, 1.0
	v_fma_f32 v126, -v123, v124, 1.0
	v_fmac_f32_e32 v124, v126, v124
	v_mul_f32_e32 v126, v125, v124
	v_fma_f32 v127, -v123, v126, v125
	v_fmac_f32_e32 v126, v127, v124
	v_fma_f32 v123, -v123, v126, v125
	v_div_fmas_f32 v123, v123, v124, v126
	v_div_fixup_f32 v122, v123, v122, 1.0
	ds_write_b32 v120, v122
.LBB77_4:
	s_or_b64 exec, exec, s[10:11]
.LBB77_5:
	s_or_b64 exec, exec, s[4:5]
	s_waitcnt lgkmcnt(0)
	s_barrier
	ds_read_b32 v122, v120
	s_and_saveexec_b64 s[4:5], s[2:3]
	s_cbranch_execz .LBB77_7
; %bb.6:
	ds_read2_b32 v[124:125], v121 offset0:1 offset1:2
	s_waitcnt vmcnt(38) lgkmcnt(1)
	v_mul_f32_e32 v24, v122, v24
	s_waitcnt vmcnt(36) lgkmcnt(0)
	v_pk_fma_f32 v[18:19], v[24:25], v[124:125], v[18:19] op_sel_hi:[0,1,1] neg_lo:[1,0,0] neg_hi:[1,0,0]
	ds_read2_b32 v[124:125], v121 offset0:3 offset1:4
	s_waitcnt vmcnt(34) lgkmcnt(0)
	v_pk_fma_f32 v[20:21], v[24:25], v[124:125], v[20:21] op_sel_hi:[0,1,1] neg_lo:[1,0,0] neg_hi:[1,0,0]
	ds_read2_b32 v[124:125], v121 offset0:5 offset1:6
	;; [unrolled: 3-line block ×18, first 2 shown]
	s_waitcnt vmcnt(0) lgkmcnt(0)
	v_pk_fma_f32 v[118:119], v[24:25], v[124:125], v[118:119] op_sel_hi:[0,1,1] neg_lo:[1,0,0] neg_hi:[1,0,0]
.LBB77_7:
	s_or_b64 exec, exec, s[4:5]
	v_cmp_eq_u32_e32 vcc, 1, v25
	s_waitcnt lgkmcnt(0)
	s_barrier
	s_and_saveexec_b64 s[2:3], vcc
	s_cbranch_execz .LBB77_10
; %bb.8:
	s_waitcnt vmcnt(34)
	v_pk_mov_b32 v[124:125], v[18:19], v[20:21] op_sel:[1,0]
	ds_write_b32 v120, v18
	ds_write2_b32 v121, v124, v125 offset0:2 offset1:3
	s_waitcnt vmcnt(32)
	v_pk_mov_b32 v[124:125], v[20:21], v[22:23] op_sel:[1,0]
	ds_write2_b32 v121, v124, v125 offset0:4 offset1:5
	s_waitcnt vmcnt(30)
	v_pk_mov_b32 v[124:125], v[22:23], v[16:17] op_sel:[1,0]
	;; [unrolled: 3-line block ×17, first 2 shown]
	ds_write2_b32 v121, v124, v125 offset0:36 offset1:37
	ds_write_b32 v121, v119 offset:152
	ds_read_b32 v123, v120
	s_waitcnt lgkmcnt(0)
	v_cmp_neq_f32_e32 vcc, 0, v123
	s_and_b64 exec, exec, vcc
	s_cbranch_execz .LBB77_10
; %bb.9:
	v_div_scale_f32 v124, s[4:5], v123, v123, 1.0
	v_rcp_f32_e32 v125, v124
	v_div_scale_f32 v126, vcc, 1.0, v123, 1.0
	v_fma_f32 v127, -v124, v125, 1.0
	v_fmac_f32_e32 v125, v127, v125
	v_mul_f32_e32 v127, v126, v125
	v_fma_f32 v128, -v124, v127, v126
	v_fmac_f32_e32 v127, v128, v125
	v_fma_f32 v124, -v124, v127, v126
	v_div_fmas_f32 v124, v124, v125, v127
	v_div_fixup_f32 v123, v124, v123, 1.0
	ds_write_b32 v120, v123
.LBB77_10:
	s_or_b64 exec, exec, s[2:3]
	s_waitcnt lgkmcnt(0)
	s_barrier
	ds_read_b32 v123, v120
	v_cmp_lt_u32_e32 vcc, 1, v25
	s_and_saveexec_b64 s[2:3], vcc
	s_cbranch_execz .LBB77_12
; %bb.11:
	ds_read_b32 v130, v121 offset:8
	ds_read2_b32 v[124:125], v121 offset0:3 offset1:4
	ds_read2_b32 v[126:127], v121 offset0:5 offset1:6
	s_waitcnt vmcnt(37) lgkmcnt(3)
	v_mul_f32_e32 v18, v123, v18
	ds_read2_b32 v[128:129], v121 offset0:7 offset1:8
	s_waitcnt vmcnt(36) lgkmcnt(3)
	v_fma_f32 v19, -v18, v130, v19
	s_waitcnt vmcnt(34) lgkmcnt(2)
	v_pk_fma_f32 v[20:21], v[18:19], v[124:125], v[20:21] op_sel_hi:[0,1,1] neg_lo:[1,0,0] neg_hi:[1,0,0]
	s_waitcnt vmcnt(32) lgkmcnt(1)
	v_pk_fma_f32 v[22:23], v[18:19], v[126:127], v[22:23] op_sel_hi:[0,1,1] neg_lo:[1,0,0] neg_hi:[1,0,0]
	ds_read2_b32 v[124:125], v121 offset0:9 offset1:10
	ds_read2_b32 v[126:127], v121 offset0:11 offset1:12
	;; [unrolled: 1-line block ×3, first 2 shown]
	s_waitcnt vmcnt(30) lgkmcnt(3)
	v_pk_fma_f32 v[16:17], v[18:19], v[128:129], v[16:17] op_sel_hi:[0,1,1] neg_lo:[1,0,0] neg_hi:[1,0,0]
	ds_read2_b32 v[128:129], v121 offset0:15 offset1:16
	s_waitcnt vmcnt(28) lgkmcnt(3)
	v_pk_fma_f32 v[46:47], v[18:19], v[124:125], v[46:47] op_sel_hi:[0,1,1] neg_lo:[1,0,0] neg_hi:[1,0,0]
	s_waitcnt vmcnt(26) lgkmcnt(2)
	v_pk_fma_f32 v[50:51], v[18:19], v[126:127], v[50:51] op_sel_hi:[0,1,1] neg_lo:[1,0,0] neg_hi:[1,0,0]
	;; [unrolled: 2-line block ×3, first 2 shown]
	ds_read2_b32 v[124:125], v121 offset0:17 offset1:18
	ds_read2_b32 v[126:127], v121 offset0:19 offset1:20
	;; [unrolled: 1-line block ×3, first 2 shown]
	s_waitcnt vmcnt(22) lgkmcnt(3)
	v_pk_fma_f32 v[48:49], v[18:19], v[128:129], v[48:49] op_sel_hi:[0,1,1] neg_lo:[1,0,0] neg_hi:[1,0,0]
	ds_read2_b32 v[128:129], v121 offset0:23 offset1:24
	s_waitcnt vmcnt(20) lgkmcnt(3)
	v_pk_fma_f32 v[74:75], v[18:19], v[124:125], v[74:75] op_sel_hi:[0,1,1] neg_lo:[1,0,0] neg_hi:[1,0,0]
	s_waitcnt vmcnt(18) lgkmcnt(2)
	v_pk_fma_f32 v[68:69], v[18:19], v[126:127], v[68:69] op_sel_hi:[0,1,1] neg_lo:[1,0,0] neg_hi:[1,0,0]
	ds_read2_b32 v[124:125], v121 offset0:25 offset1:26
	ds_read2_b32 v[126:127], v121 offset0:27 offset1:28
	s_waitcnt vmcnt(16) lgkmcnt(3)
	v_pk_fma_f32 v[70:71], v[18:19], v[130:131], v[70:71] op_sel_hi:[0,1,1] neg_lo:[1,0,0] neg_hi:[1,0,0]
	s_waitcnt vmcnt(14) lgkmcnt(2)
	v_pk_fma_f32 v[72:73], v[18:19], v[128:129], v[72:73] op_sel_hi:[0,1,1] neg_lo:[1,0,0] neg_hi:[1,0,0]
	ds_read2_b32 v[128:129], v121 offset0:29 offset1:30
	;; [unrolled: 6-line block ×3, first 2 shown]
	ds_read2_b32 v[126:127], v121 offset0:35 offset1:36
	ds_read2_b32 v[132:133], v121 offset0:37 offset1:38
	s_waitcnt vmcnt(8) lgkmcnt(4)
	v_pk_fma_f32 v[98:99], v[18:19], v[128:129], v[98:99] op_sel_hi:[0,1,1] neg_lo:[1,0,0] neg_hi:[1,0,0]
	s_waitcnt vmcnt(6) lgkmcnt(3)
	v_pk_fma_f32 v[92:93], v[18:19], v[130:131], v[92:93] op_sel_hi:[0,1,1] neg_lo:[1,0,0] neg_hi:[1,0,0]
	s_waitcnt vmcnt(4) lgkmcnt(2)
	v_pk_fma_f32 v[114:115], v[18:19], v[124:125], v[114:115] op_sel_hi:[0,1,1] neg_lo:[1,0,0] neg_hi:[1,0,0]
	s_waitcnt vmcnt(2) lgkmcnt(1)
	v_pk_fma_f32 v[116:117], v[18:19], v[126:127], v[116:117] op_sel_hi:[0,1,1] neg_lo:[1,0,0] neg_hi:[1,0,0]
	s_waitcnt vmcnt(0) lgkmcnt(0)
	v_pk_fma_f32 v[118:119], v[18:19], v[132:133], v[118:119] op_sel_hi:[0,1,1] neg_lo:[1,0,0] neg_hi:[1,0,0]
.LBB77_12:
	s_or_b64 exec, exec, s[2:3]
	v_cmp_eq_u32_e32 vcc, 2, v25
	s_waitcnt lgkmcnt(0)
	s_barrier
	s_and_saveexec_b64 s[2:3], vcc
	s_cbranch_execz .LBB77_15
; %bb.13:
	s_waitcnt vmcnt(36)
	ds_write_b32 v120, v19
	s_waitcnt vmcnt(34)
	ds_write2_b32 v121, v20, v21 offset0:3 offset1:4
	s_waitcnt vmcnt(32)
	ds_write2_b32 v121, v22, v23 offset0:5 offset1:6
	;; [unrolled: 2-line block ×18, first 2 shown]
	ds_read_b32 v124, v120
	s_waitcnt lgkmcnt(0)
	v_cmp_neq_f32_e32 vcc, 0, v124
	s_and_b64 exec, exec, vcc
	s_cbranch_execz .LBB77_15
; %bb.14:
	v_div_scale_f32 v125, s[4:5], v124, v124, 1.0
	v_rcp_f32_e32 v126, v125
	v_div_scale_f32 v127, vcc, 1.0, v124, 1.0
	v_fma_f32 v128, -v125, v126, 1.0
	v_fmac_f32_e32 v126, v128, v126
	v_mul_f32_e32 v128, v127, v126
	v_fma_f32 v129, -v125, v128, v127
	v_fmac_f32_e32 v128, v129, v126
	v_fma_f32 v125, -v125, v128, v127
	v_div_fmas_f32 v125, v125, v126, v128
	v_div_fixup_f32 v124, v125, v124, 1.0
	ds_write_b32 v120, v124
.LBB77_15:
	s_or_b64 exec, exec, s[2:3]
	s_waitcnt lgkmcnt(0)
	s_barrier
	ds_read_b32 v124, v120
	v_cmp_lt_u32_e32 vcc, 2, v25
	s_and_saveexec_b64 s[2:3], vcc
	s_cbranch_execz .LBB77_17
; %bb.16:
	ds_read2_b32 v[126:127], v121 offset0:3 offset1:4
	ds_read2_b32 v[128:129], v121 offset0:5 offset1:6
	;; [unrolled: 1-line block ×4, first 2 shown]
	s_waitcnt vmcnt(36) lgkmcnt(4)
	v_mul_f32_e32 v132, v124, v19
	s_waitcnt vmcnt(34) lgkmcnt(3)
	v_pk_fma_f32 v[20:21], v[132:133], v[126:127], v[20:21] op_sel_hi:[0,1,1] neg_lo:[1,0,0] neg_hi:[1,0,0]
	s_waitcnt vmcnt(32) lgkmcnt(2)
	v_pk_fma_f32 v[22:23], v[132:133], v[128:129], v[22:23] op_sel_hi:[0,1,1] neg_lo:[1,0,0] neg_hi:[1,0,0]
	;; [unrolled: 2-line block ×3, first 2 shown]
	ds_read2_b32 v[126:127], v121 offset0:11 offset1:12
	ds_read2_b32 v[128:129], v121 offset0:13 offset1:14
	;; [unrolled: 1-line block ×3, first 2 shown]
	s_waitcnt vmcnt(28) lgkmcnt(3)
	v_pk_fma_f32 v[46:47], v[132:133], v[134:135], v[46:47] op_sel_hi:[0,1,1] neg_lo:[1,0,0] neg_hi:[1,0,0]
	ds_read2_b32 v[134:135], v121 offset0:17 offset1:18
	s_waitcnt vmcnt(26) lgkmcnt(3)
	v_pk_fma_f32 v[50:51], v[132:133], v[126:127], v[50:51] op_sel_hi:[0,1,1] neg_lo:[1,0,0] neg_hi:[1,0,0]
	s_waitcnt vmcnt(24) lgkmcnt(2)
	v_pk_fma_f32 v[44:45], v[132:133], v[128:129], v[44:45] op_sel_hi:[0,1,1] neg_lo:[1,0,0] neg_hi:[1,0,0]
	;; [unrolled: 2-line block ×3, first 2 shown]
	ds_read2_b32 v[126:127], v121 offset0:19 offset1:20
	ds_read2_b32 v[128:129], v121 offset0:21 offset1:22
	;; [unrolled: 1-line block ×3, first 2 shown]
	s_waitcnt vmcnt(20) lgkmcnt(3)
	v_pk_fma_f32 v[74:75], v[132:133], v[134:135], v[74:75] op_sel_hi:[0,1,1] neg_lo:[1,0,0] neg_hi:[1,0,0]
	ds_read2_b32 v[134:135], v121 offset0:25 offset1:26
	s_waitcnt vmcnt(18) lgkmcnt(3)
	v_pk_fma_f32 v[68:69], v[132:133], v[126:127], v[68:69] op_sel_hi:[0,1,1] neg_lo:[1,0,0] neg_hi:[1,0,0]
	ds_read2_b32 v[126:127], v121 offset0:27 offset1:28
	s_waitcnt vmcnt(16) lgkmcnt(3)
	v_pk_fma_f32 v[70:71], v[132:133], v[128:129], v[70:71] op_sel_hi:[0,1,1] neg_lo:[1,0,0] neg_hi:[1,0,0]
	s_waitcnt vmcnt(14) lgkmcnt(2)
	v_pk_fma_f32 v[72:73], v[132:133], v[130:131], v[72:73] op_sel_hi:[0,1,1] neg_lo:[1,0,0] neg_hi:[1,0,0]
	;; [unrolled: 2-line block ×3, first 2 shown]
	ds_read2_b32 v[128:129], v121 offset0:29 offset1:30
	ds_read2_b32 v[130:131], v121 offset0:31 offset1:32
	;; [unrolled: 1-line block ×3, first 2 shown]
	s_waitcnt vmcnt(10) lgkmcnt(3)
	v_pk_fma_f32 v[96:97], v[132:133], v[126:127], v[96:97] op_sel_hi:[0,1,1] neg_lo:[1,0,0] neg_hi:[1,0,0]
	ds_read2_b32 v[126:127], v121 offset0:35 offset1:36
	ds_read2_b32 v[136:137], v121 offset0:37 offset1:38
	s_waitcnt vmcnt(8) lgkmcnt(4)
	v_pk_fma_f32 v[98:99], v[132:133], v[128:129], v[98:99] op_sel_hi:[0,1,1] neg_lo:[1,0,0] neg_hi:[1,0,0]
	s_waitcnt vmcnt(6) lgkmcnt(3)
	v_pk_fma_f32 v[92:93], v[132:133], v[130:131], v[92:93] op_sel_hi:[0,1,1] neg_lo:[1,0,0] neg_hi:[1,0,0]
	;; [unrolled: 2-line block ×5, first 2 shown]
	v_mov_b32_e32 v19, v132
.LBB77_17:
	s_or_b64 exec, exec, s[2:3]
	v_cmp_eq_u32_e32 vcc, 3, v25
	s_waitcnt lgkmcnt(0)
	s_barrier
	s_and_saveexec_b64 s[2:3], vcc
	s_cbranch_execz .LBB77_20
; %bb.18:
	s_waitcnt vmcnt(32)
	v_pk_mov_b32 v[126:127], v[20:21], v[22:23] op_sel:[1,0]
	ds_write_b32 v120, v20
	ds_write2_b32 v121, v126, v127 offset0:4 offset1:5
	s_waitcnt vmcnt(30)
	v_pk_mov_b32 v[126:127], v[22:23], v[16:17] op_sel:[1,0]
	ds_write2_b32 v121, v126, v127 offset0:6 offset1:7
	s_waitcnt vmcnt(28)
	v_pk_mov_b32 v[126:127], v[16:17], v[46:47] op_sel:[1,0]
	;; [unrolled: 3-line block ×16, first 2 shown]
	ds_write2_b32 v121, v126, v127 offset0:36 offset1:37
	ds_write_b32 v121, v119 offset:152
	ds_read_b32 v125, v120
	s_waitcnt lgkmcnt(0)
	v_cmp_neq_f32_e32 vcc, 0, v125
	s_and_b64 exec, exec, vcc
	s_cbranch_execz .LBB77_20
; %bb.19:
	v_div_scale_f32 v126, s[4:5], v125, v125, 1.0
	v_rcp_f32_e32 v127, v126
	v_div_scale_f32 v128, vcc, 1.0, v125, 1.0
	v_fma_f32 v129, -v126, v127, 1.0
	v_fmac_f32_e32 v127, v129, v127
	v_mul_f32_e32 v129, v128, v127
	v_fma_f32 v130, -v126, v129, v128
	v_fmac_f32_e32 v129, v130, v127
	v_fma_f32 v126, -v126, v129, v128
	v_div_fmas_f32 v126, v126, v127, v129
	v_div_fixup_f32 v125, v126, v125, 1.0
	ds_write_b32 v120, v125
.LBB77_20:
	s_or_b64 exec, exec, s[2:3]
	s_waitcnt lgkmcnt(0)
	s_barrier
	ds_read_b32 v125, v120
	v_cmp_lt_u32_e32 vcc, 3, v25
	s_and_saveexec_b64 s[2:3], vcc
	s_cbranch_execz .LBB77_22
; %bb.21:
	ds_read_b32 v132, v121 offset:16
	ds_read2_b32 v[126:127], v121 offset0:5 offset1:6
	ds_read2_b32 v[128:129], v121 offset0:7 offset1:8
	s_waitcnt vmcnt(35) lgkmcnt(3)
	v_mul_f32_e32 v20, v125, v20
	ds_read2_b32 v[130:131], v121 offset0:9 offset1:10
	s_waitcnt vmcnt(34) lgkmcnt(3)
	v_fma_f32 v21, -v20, v132, v21
	s_waitcnt vmcnt(32) lgkmcnt(2)
	v_pk_fma_f32 v[22:23], v[20:21], v[126:127], v[22:23] op_sel_hi:[0,1,1] neg_lo:[1,0,0] neg_hi:[1,0,0]
	s_waitcnt vmcnt(30) lgkmcnt(1)
	v_pk_fma_f32 v[16:17], v[20:21], v[128:129], v[16:17] op_sel_hi:[0,1,1] neg_lo:[1,0,0] neg_hi:[1,0,0]
	ds_read2_b32 v[126:127], v121 offset0:11 offset1:12
	ds_read2_b32 v[128:129], v121 offset0:13 offset1:14
	;; [unrolled: 1-line block ×3, first 2 shown]
	s_waitcnt vmcnt(28) lgkmcnt(3)
	v_pk_fma_f32 v[46:47], v[20:21], v[130:131], v[46:47] op_sel_hi:[0,1,1] neg_lo:[1,0,0] neg_hi:[1,0,0]
	ds_read2_b32 v[130:131], v121 offset0:17 offset1:18
	s_waitcnt vmcnt(26) lgkmcnt(3)
	v_pk_fma_f32 v[50:51], v[20:21], v[126:127], v[50:51] op_sel_hi:[0,1,1] neg_lo:[1,0,0] neg_hi:[1,0,0]
	s_waitcnt vmcnt(24) lgkmcnt(2)
	v_pk_fma_f32 v[44:45], v[20:21], v[128:129], v[44:45] op_sel_hi:[0,1,1] neg_lo:[1,0,0] neg_hi:[1,0,0]
	;; [unrolled: 2-line block ×3, first 2 shown]
	ds_read2_b32 v[126:127], v121 offset0:19 offset1:20
	ds_read2_b32 v[128:129], v121 offset0:21 offset1:22
	;; [unrolled: 1-line block ×3, first 2 shown]
	s_waitcnt vmcnt(20) lgkmcnt(3)
	v_pk_fma_f32 v[74:75], v[20:21], v[130:131], v[74:75] op_sel_hi:[0,1,1] neg_lo:[1,0,0] neg_hi:[1,0,0]
	ds_read2_b32 v[130:131], v121 offset0:25 offset1:26
	s_waitcnt vmcnt(18) lgkmcnt(3)
	v_pk_fma_f32 v[68:69], v[20:21], v[126:127], v[68:69] op_sel_hi:[0,1,1] neg_lo:[1,0,0] neg_hi:[1,0,0]
	ds_read2_b32 v[126:127], v121 offset0:27 offset1:28
	s_waitcnt vmcnt(16) lgkmcnt(3)
	v_pk_fma_f32 v[70:71], v[20:21], v[128:129], v[70:71] op_sel_hi:[0,1,1] neg_lo:[1,0,0] neg_hi:[1,0,0]
	s_waitcnt vmcnt(14) lgkmcnt(2)
	v_pk_fma_f32 v[72:73], v[20:21], v[132:133], v[72:73] op_sel_hi:[0,1,1] neg_lo:[1,0,0] neg_hi:[1,0,0]
	;; [unrolled: 2-line block ×3, first 2 shown]
	ds_read2_b32 v[128:129], v121 offset0:29 offset1:30
	ds_read2_b32 v[130:131], v121 offset0:31 offset1:32
	;; [unrolled: 1-line block ×3, first 2 shown]
	s_waitcnt vmcnt(10) lgkmcnt(3)
	v_pk_fma_f32 v[96:97], v[20:21], v[126:127], v[96:97] op_sel_hi:[0,1,1] neg_lo:[1,0,0] neg_hi:[1,0,0]
	ds_read2_b32 v[126:127], v121 offset0:35 offset1:36
	ds_read2_b32 v[134:135], v121 offset0:37 offset1:38
	s_waitcnt vmcnt(8) lgkmcnt(4)
	v_pk_fma_f32 v[98:99], v[20:21], v[128:129], v[98:99] op_sel_hi:[0,1,1] neg_lo:[1,0,0] neg_hi:[1,0,0]
	s_waitcnt vmcnt(6) lgkmcnt(3)
	v_pk_fma_f32 v[92:93], v[20:21], v[130:131], v[92:93] op_sel_hi:[0,1,1] neg_lo:[1,0,0] neg_hi:[1,0,0]
	s_waitcnt vmcnt(4) lgkmcnt(2)
	v_pk_fma_f32 v[114:115], v[20:21], v[132:133], v[114:115] op_sel_hi:[0,1,1] neg_lo:[1,0,0] neg_hi:[1,0,0]
	s_waitcnt vmcnt(2) lgkmcnt(1)
	v_pk_fma_f32 v[116:117], v[20:21], v[126:127], v[116:117] op_sel_hi:[0,1,1] neg_lo:[1,0,0] neg_hi:[1,0,0]
	s_waitcnt vmcnt(0) lgkmcnt(0)
	v_pk_fma_f32 v[118:119], v[20:21], v[134:135], v[118:119] op_sel_hi:[0,1,1] neg_lo:[1,0,0] neg_hi:[1,0,0]
.LBB77_22:
	s_or_b64 exec, exec, s[2:3]
	v_cmp_ne_u32_e32 vcc, 4, v25
	s_waitcnt lgkmcnt(0)
	s_barrier
	s_and_saveexec_b64 s[2:3], vcc
	s_xor_b64 s[2:3], exec, s[2:3]
	s_andn2_saveexec_b64 s[2:3], s[2:3]
	s_cbranch_execz .LBB77_26
; %bb.23:
	s_waitcnt vmcnt(34)
	ds_write_b32 v120, v21
	s_waitcnt vmcnt(32)
	ds_write2_b32 v121, v22, v23 offset0:5 offset1:6
	s_waitcnt vmcnt(30)
	ds_write2_b32 v121, v16, v17 offset0:7 offset1:8
	;; [unrolled: 2-line block ×17, first 2 shown]
	ds_read_b32 v126, v120
	s_waitcnt lgkmcnt(0)
	v_cmp_neq_f32_e32 vcc, 0, v126
	s_and_saveexec_b64 s[4:5], vcc
	s_cbranch_execz .LBB77_25
; %bb.24:
	v_div_scale_f32 v127, s[10:11], v126, v126, 1.0
	v_rcp_f32_e32 v128, v127
	v_div_scale_f32 v129, vcc, 1.0, v126, 1.0
	v_fma_f32 v130, -v127, v128, 1.0
	v_fmac_f32_e32 v128, v130, v128
	v_mul_f32_e32 v130, v129, v128
	v_fma_f32 v131, -v127, v130, v129
	v_fmac_f32_e32 v130, v131, v128
	v_fma_f32 v127, -v127, v130, v129
	v_div_fmas_f32 v127, v127, v128, v130
	v_div_fixup_f32 v126, v127, v126, 1.0
	ds_write_b32 v120, v126
.LBB77_25:
	s_or_b64 exec, exec, s[4:5]
.LBB77_26:
	s_or_b64 exec, exec, s[2:3]
	s_waitcnt lgkmcnt(0)
	s_barrier
	ds_read_b32 v126, v120
	v_cmp_lt_u32_e32 vcc, 4, v25
	s_and_saveexec_b64 s[2:3], vcc
	s_cbranch_execz .LBB77_28
; %bb.27:
	ds_read2_b32 v[128:129], v121 offset0:5 offset1:6
	ds_read2_b32 v[130:131], v121 offset0:7 offset1:8
	;; [unrolled: 1-line block ×3, first 2 shown]
	s_waitcnt vmcnt(34) lgkmcnt(3)
	v_mul_f32_e32 v134, v126, v21
	ds_read2_b32 v[136:137], v121 offset0:11 offset1:12
	s_waitcnt vmcnt(32) lgkmcnt(3)
	v_pk_fma_f32 v[22:23], v[134:135], v[128:129], v[22:23] op_sel_hi:[0,1,1] neg_lo:[1,0,0] neg_hi:[1,0,0]
	s_waitcnt vmcnt(30) lgkmcnt(2)
	v_pk_fma_f32 v[16:17], v[134:135], v[130:131], v[16:17] op_sel_hi:[0,1,1] neg_lo:[1,0,0] neg_hi:[1,0,0]
	;; [unrolled: 2-line block ×3, first 2 shown]
	ds_read2_b32 v[128:129], v121 offset0:13 offset1:14
	ds_read2_b32 v[130:131], v121 offset0:15 offset1:16
	;; [unrolled: 1-line block ×3, first 2 shown]
	s_waitcnt vmcnt(26) lgkmcnt(3)
	v_pk_fma_f32 v[50:51], v[134:135], v[136:137], v[50:51] op_sel_hi:[0,1,1] neg_lo:[1,0,0] neg_hi:[1,0,0]
	ds_read2_b32 v[136:137], v121 offset0:19 offset1:20
	s_waitcnt vmcnt(24) lgkmcnt(3)
	v_pk_fma_f32 v[44:45], v[134:135], v[128:129], v[44:45] op_sel_hi:[0,1,1] neg_lo:[1,0,0] neg_hi:[1,0,0]
	s_waitcnt vmcnt(22) lgkmcnt(2)
	v_pk_fma_f32 v[48:49], v[134:135], v[130:131], v[48:49] op_sel_hi:[0,1,1] neg_lo:[1,0,0] neg_hi:[1,0,0]
	;; [unrolled: 2-line block ×3, first 2 shown]
	ds_read2_b32 v[128:129], v121 offset0:21 offset1:22
	ds_read2_b32 v[130:131], v121 offset0:23 offset1:24
	;; [unrolled: 1-line block ×4, first 2 shown]
	s_waitcnt vmcnt(18) lgkmcnt(4)
	v_pk_fma_f32 v[68:69], v[134:135], v[136:137], v[68:69] op_sel_hi:[0,1,1] neg_lo:[1,0,0] neg_hi:[1,0,0]
	s_waitcnt vmcnt(16) lgkmcnt(3)
	v_pk_fma_f32 v[70:71], v[134:135], v[128:129], v[70:71] op_sel_hi:[0,1,1] neg_lo:[1,0,0] neg_hi:[1,0,0]
	;; [unrolled: 2-line block ×5, first 2 shown]
	ds_read2_b32 v[128:129], v121 offset0:29 offset1:30
	ds_read2_b32 v[130:131], v121 offset0:31 offset1:32
	;; [unrolled: 1-line block ×5, first 2 shown]
	s_waitcnt vmcnt(8) lgkmcnt(4)
	v_pk_fma_f32 v[98:99], v[134:135], v[128:129], v[98:99] op_sel_hi:[0,1,1] neg_lo:[1,0,0] neg_hi:[1,0,0]
	s_waitcnt vmcnt(6) lgkmcnt(3)
	v_pk_fma_f32 v[92:93], v[134:135], v[130:131], v[92:93] op_sel_hi:[0,1,1] neg_lo:[1,0,0] neg_hi:[1,0,0]
	;; [unrolled: 2-line block ×5, first 2 shown]
	v_mov_b32_e32 v21, v134
.LBB77_28:
	s_or_b64 exec, exec, s[2:3]
	v_cmp_eq_u32_e32 vcc, 5, v25
	s_waitcnt lgkmcnt(0)
	s_barrier
	s_and_saveexec_b64 s[2:3], vcc
	s_cbranch_execz .LBB77_31
; %bb.29:
	s_waitcnt vmcnt(30)
	v_pk_mov_b32 v[128:129], v[22:23], v[16:17] op_sel:[1,0]
	ds_write_b32 v120, v22
	ds_write2_b32 v121, v128, v129 offset0:6 offset1:7
	s_waitcnt vmcnt(28)
	v_pk_mov_b32 v[128:129], v[16:17], v[46:47] op_sel:[1,0]
	ds_write2_b32 v121, v128, v129 offset0:8 offset1:9
	s_waitcnt vmcnt(26)
	v_pk_mov_b32 v[128:129], v[46:47], v[50:51] op_sel:[1,0]
	ds_write2_b32 v121, v128, v129 offset0:10 offset1:11
	s_waitcnt vmcnt(24)
	v_pk_mov_b32 v[128:129], v[50:51], v[44:45] op_sel:[1,0]
	ds_write2_b32 v121, v128, v129 offset0:12 offset1:13
	s_waitcnt vmcnt(22)
	v_pk_mov_b32 v[128:129], v[44:45], v[48:49] op_sel:[1,0]
	ds_write2_b32 v121, v128, v129 offset0:14 offset1:15
	s_waitcnt vmcnt(20)
	v_pk_mov_b32 v[128:129], v[48:49], v[74:75] op_sel:[1,0]
	ds_write2_b32 v121, v128, v129 offset0:16 offset1:17
	s_waitcnt vmcnt(18)
	v_pk_mov_b32 v[128:129], v[74:75], v[68:69] op_sel:[1,0]
	ds_write2_b32 v121, v128, v129 offset0:18 offset1:19
	s_waitcnt vmcnt(16)
	v_pk_mov_b32 v[128:129], v[68:69], v[70:71] op_sel:[1,0]
	ds_write2_b32 v121, v128, v129 offset0:20 offset1:21
	s_waitcnt vmcnt(14)
	v_pk_mov_b32 v[128:129], v[70:71], v[72:73] op_sel:[1,0]
	ds_write2_b32 v121, v128, v129 offset0:22 offset1:23
	s_waitcnt vmcnt(12)
	v_pk_mov_b32 v[128:129], v[72:73], v[94:95] op_sel:[1,0]
	ds_write2_b32 v121, v128, v129 offset0:24 offset1:25
	s_waitcnt vmcnt(10)
	v_pk_mov_b32 v[128:129], v[94:95], v[96:97] op_sel:[1,0]
	ds_write2_b32 v121, v128, v129 offset0:26 offset1:27
	s_waitcnt vmcnt(8)
	v_pk_mov_b32 v[128:129], v[96:97], v[98:99] op_sel:[1,0]
	ds_write2_b32 v121, v128, v129 offset0:28 offset1:29
	s_waitcnt vmcnt(6)
	v_pk_mov_b32 v[128:129], v[98:99], v[92:93] op_sel:[1,0]
	ds_write2_b32 v121, v128, v129 offset0:30 offset1:31
	s_waitcnt vmcnt(4)
	v_pk_mov_b32 v[128:129], v[92:93], v[114:115] op_sel:[1,0]
	ds_write2_b32 v121, v128, v129 offset0:32 offset1:33
	s_waitcnt vmcnt(2)
	v_pk_mov_b32 v[128:129], v[114:115], v[116:117] op_sel:[1,0]
	ds_write2_b32 v121, v128, v129 offset0:34 offset1:35
	s_waitcnt vmcnt(0)
	v_pk_mov_b32 v[128:129], v[116:117], v[118:119] op_sel:[1,0]
	ds_write2_b32 v121, v128, v129 offset0:36 offset1:37
	ds_write_b32 v121, v119 offset:152
	ds_read_b32 v127, v120
	s_waitcnt lgkmcnt(0)
	v_cmp_neq_f32_e32 vcc, 0, v127
	s_and_b64 exec, exec, vcc
	s_cbranch_execz .LBB77_31
; %bb.30:
	v_div_scale_f32 v128, s[4:5], v127, v127, 1.0
	v_rcp_f32_e32 v129, v128
	v_div_scale_f32 v130, vcc, 1.0, v127, 1.0
	v_fma_f32 v131, -v128, v129, 1.0
	v_fmac_f32_e32 v129, v131, v129
	v_mul_f32_e32 v131, v130, v129
	v_fma_f32 v132, -v128, v131, v130
	v_fmac_f32_e32 v131, v132, v129
	v_fma_f32 v128, -v128, v131, v130
	v_div_fmas_f32 v128, v128, v129, v131
	v_div_fixup_f32 v127, v128, v127, 1.0
	ds_write_b32 v120, v127
.LBB77_31:
	s_or_b64 exec, exec, s[2:3]
	s_waitcnt lgkmcnt(0)
	s_barrier
	ds_read_b32 v127, v120
	v_cmp_lt_u32_e32 vcc, 5, v25
	s_and_saveexec_b64 s[2:3], vcc
	s_cbranch_execz .LBB77_33
; %bb.32:
	ds_read_b32 v134, v121 offset:24
	ds_read2_b32 v[128:129], v121 offset0:7 offset1:8
	ds_read2_b32 v[130:131], v121 offset0:9 offset1:10
	s_waitcnt vmcnt(33) lgkmcnt(3)
	v_mul_f32_e32 v22, v127, v22
	ds_read2_b32 v[132:133], v121 offset0:11 offset1:12
	s_waitcnt vmcnt(32) lgkmcnt(3)
	v_fma_f32 v23, -v22, v134, v23
	s_waitcnt vmcnt(30) lgkmcnt(2)
	v_pk_fma_f32 v[16:17], v[22:23], v[128:129], v[16:17] op_sel_hi:[0,1,1] neg_lo:[1,0,0] neg_hi:[1,0,0]
	s_waitcnt vmcnt(28) lgkmcnt(1)
	v_pk_fma_f32 v[46:47], v[22:23], v[130:131], v[46:47] op_sel_hi:[0,1,1] neg_lo:[1,0,0] neg_hi:[1,0,0]
	ds_read2_b32 v[128:129], v121 offset0:13 offset1:14
	ds_read2_b32 v[130:131], v121 offset0:15 offset1:16
	;; [unrolled: 1-line block ×3, first 2 shown]
	s_waitcnt vmcnt(26) lgkmcnt(3)
	v_pk_fma_f32 v[50:51], v[22:23], v[132:133], v[50:51] op_sel_hi:[0,1,1] neg_lo:[1,0,0] neg_hi:[1,0,0]
	ds_read2_b32 v[132:133], v121 offset0:19 offset1:20
	s_waitcnt vmcnt(24) lgkmcnt(3)
	v_pk_fma_f32 v[44:45], v[22:23], v[128:129], v[44:45] op_sel_hi:[0,1,1] neg_lo:[1,0,0] neg_hi:[1,0,0]
	s_waitcnt vmcnt(22) lgkmcnt(2)
	v_pk_fma_f32 v[48:49], v[22:23], v[130:131], v[48:49] op_sel_hi:[0,1,1] neg_lo:[1,0,0] neg_hi:[1,0,0]
	;; [unrolled: 2-line block ×3, first 2 shown]
	ds_read2_b32 v[128:129], v121 offset0:21 offset1:22
	ds_read2_b32 v[130:131], v121 offset0:23 offset1:24
	;; [unrolled: 1-line block ×4, first 2 shown]
	s_waitcnt vmcnt(18) lgkmcnt(4)
	v_pk_fma_f32 v[68:69], v[22:23], v[132:133], v[68:69] op_sel_hi:[0,1,1] neg_lo:[1,0,0] neg_hi:[1,0,0]
	s_waitcnt vmcnt(16) lgkmcnt(3)
	v_pk_fma_f32 v[70:71], v[22:23], v[128:129], v[70:71] op_sel_hi:[0,1,1] neg_lo:[1,0,0] neg_hi:[1,0,0]
	s_waitcnt vmcnt(14) lgkmcnt(2)
	v_pk_fma_f32 v[72:73], v[22:23], v[130:131], v[72:73] op_sel_hi:[0,1,1] neg_lo:[1,0,0] neg_hi:[1,0,0]
	s_waitcnt vmcnt(12) lgkmcnt(1)
	v_pk_fma_f32 v[94:95], v[22:23], v[134:135], v[94:95] op_sel_hi:[0,1,1] neg_lo:[1,0,0] neg_hi:[1,0,0]
	s_waitcnt vmcnt(10) lgkmcnt(0)
	v_pk_fma_f32 v[96:97], v[22:23], v[136:137], v[96:97] op_sel_hi:[0,1,1] neg_lo:[1,0,0] neg_hi:[1,0,0]
	ds_read2_b32 v[128:129], v121 offset0:29 offset1:30
	ds_read2_b32 v[130:131], v121 offset0:31 offset1:32
	;; [unrolled: 1-line block ×5, first 2 shown]
	s_waitcnt vmcnt(8) lgkmcnt(4)
	v_pk_fma_f32 v[98:99], v[22:23], v[128:129], v[98:99] op_sel_hi:[0,1,1] neg_lo:[1,0,0] neg_hi:[1,0,0]
	s_waitcnt vmcnt(6) lgkmcnt(3)
	v_pk_fma_f32 v[92:93], v[22:23], v[130:131], v[92:93] op_sel_hi:[0,1,1] neg_lo:[1,0,0] neg_hi:[1,0,0]
	;; [unrolled: 2-line block ×5, first 2 shown]
.LBB77_33:
	s_or_b64 exec, exec, s[2:3]
	v_cmp_ne_u32_e32 vcc, 6, v25
	s_waitcnt lgkmcnt(0)
	s_barrier
	s_and_saveexec_b64 s[2:3], vcc
	s_xor_b64 s[2:3], exec, s[2:3]
	s_andn2_saveexec_b64 s[2:3], s[2:3]
	s_cbranch_execz .LBB77_37
; %bb.34:
	s_waitcnt vmcnt(32)
	ds_write_b32 v120, v23
	s_waitcnt vmcnt(30)
	ds_write2_b32 v121, v16, v17 offset0:7 offset1:8
	s_waitcnt vmcnt(28)
	ds_write2_b32 v121, v46, v47 offset0:9 offset1:10
	;; [unrolled: 2-line block ×16, first 2 shown]
	ds_read_b32 v128, v120
	s_waitcnt lgkmcnt(0)
	v_cmp_neq_f32_e32 vcc, 0, v128
	s_and_saveexec_b64 s[4:5], vcc
	s_cbranch_execz .LBB77_36
; %bb.35:
	v_div_scale_f32 v129, s[10:11], v128, v128, 1.0
	v_rcp_f32_e32 v130, v129
	v_div_scale_f32 v131, vcc, 1.0, v128, 1.0
	v_fma_f32 v132, -v129, v130, 1.0
	v_fmac_f32_e32 v130, v132, v130
	v_mul_f32_e32 v132, v131, v130
	v_fma_f32 v133, -v129, v132, v131
	v_fmac_f32_e32 v132, v133, v130
	v_fma_f32 v129, -v129, v132, v131
	v_div_fmas_f32 v129, v129, v130, v132
	v_div_fixup_f32 v128, v129, v128, 1.0
	ds_write_b32 v120, v128
.LBB77_36:
	s_or_b64 exec, exec, s[4:5]
.LBB77_37:
	s_or_b64 exec, exec, s[2:3]
	s_waitcnt lgkmcnt(0)
	s_barrier
	ds_read_b32 v128, v120
	v_cmp_lt_u32_e32 vcc, 6, v25
	s_and_saveexec_b64 s[2:3], vcc
	s_cbranch_execz .LBB77_39
; %bb.38:
	ds_read2_b32 v[130:131], v121 offset0:7 offset1:8
	ds_read2_b32 v[132:133], v121 offset0:9 offset1:10
	;; [unrolled: 1-line block ×3, first 2 shown]
	s_waitcnt vmcnt(32) lgkmcnt(3)
	v_mul_f32_e32 v136, v128, v23
	ds_read2_b32 v[138:139], v121 offset0:13 offset1:14
	s_waitcnt vmcnt(30) lgkmcnt(3)
	v_pk_fma_f32 v[16:17], v[136:137], v[130:131], v[16:17] op_sel_hi:[0,1,1] neg_lo:[1,0,0] neg_hi:[1,0,0]
	s_waitcnt vmcnt(28) lgkmcnt(2)
	v_pk_fma_f32 v[46:47], v[136:137], v[132:133], v[46:47] op_sel_hi:[0,1,1] neg_lo:[1,0,0] neg_hi:[1,0,0]
	;; [unrolled: 2-line block ×3, first 2 shown]
	ds_read2_b32 v[130:131], v121 offset0:15 offset1:16
	ds_read2_b32 v[132:133], v121 offset0:17 offset1:18
	;; [unrolled: 1-line block ×3, first 2 shown]
	s_waitcnt vmcnt(24) lgkmcnt(3)
	v_pk_fma_f32 v[44:45], v[136:137], v[138:139], v[44:45] op_sel_hi:[0,1,1] neg_lo:[1,0,0] neg_hi:[1,0,0]
	ds_read2_b32 v[138:139], v121 offset0:21 offset1:22
	s_waitcnt vmcnt(22) lgkmcnt(3)
	v_pk_fma_f32 v[48:49], v[136:137], v[130:131], v[48:49] op_sel_hi:[0,1,1] neg_lo:[1,0,0] neg_hi:[1,0,0]
	s_waitcnt vmcnt(20) lgkmcnt(2)
	v_pk_fma_f32 v[74:75], v[136:137], v[132:133], v[74:75] op_sel_hi:[0,1,1] neg_lo:[1,0,0] neg_hi:[1,0,0]
	;; [unrolled: 2-line block ×3, first 2 shown]
	ds_read2_b32 v[130:131], v121 offset0:23 offset1:24
	ds_read2_b32 v[132:133], v121 offset0:25 offset1:26
	;; [unrolled: 1-line block ×3, first 2 shown]
	s_waitcnt vmcnt(16) lgkmcnt(3)
	v_pk_fma_f32 v[70:71], v[136:137], v[138:139], v[70:71] op_sel_hi:[0,1,1] neg_lo:[1,0,0] neg_hi:[1,0,0]
	ds_read2_b32 v[138:139], v121 offset0:29 offset1:30
	s_waitcnt vmcnt(14) lgkmcnt(3)
	v_pk_fma_f32 v[72:73], v[136:137], v[130:131], v[72:73] op_sel_hi:[0,1,1] neg_lo:[1,0,0] neg_hi:[1,0,0]
	s_waitcnt vmcnt(12) lgkmcnt(2)
	v_pk_fma_f32 v[94:95], v[136:137], v[132:133], v[94:95] op_sel_hi:[0,1,1] neg_lo:[1,0,0] neg_hi:[1,0,0]
	;; [unrolled: 2-line block ×3, first 2 shown]
	ds_read2_b32 v[130:131], v121 offset0:31 offset1:32
	ds_read2_b32 v[132:133], v121 offset0:33 offset1:34
	;; [unrolled: 1-line block ×4, first 2 shown]
	s_waitcnt vmcnt(8) lgkmcnt(4)
	v_pk_fma_f32 v[98:99], v[136:137], v[138:139], v[98:99] op_sel_hi:[0,1,1] neg_lo:[1,0,0] neg_hi:[1,0,0]
	s_waitcnt vmcnt(6) lgkmcnt(3)
	v_pk_fma_f32 v[92:93], v[136:137], v[130:131], v[92:93] op_sel_hi:[0,1,1] neg_lo:[1,0,0] neg_hi:[1,0,0]
	s_waitcnt vmcnt(4) lgkmcnt(2)
	v_pk_fma_f32 v[114:115], v[136:137], v[132:133], v[114:115] op_sel_hi:[0,1,1] neg_lo:[1,0,0] neg_hi:[1,0,0]
	s_waitcnt vmcnt(2) lgkmcnt(1)
	v_pk_fma_f32 v[116:117], v[136:137], v[134:135], v[116:117] op_sel_hi:[0,1,1] neg_lo:[1,0,0] neg_hi:[1,0,0]
	s_waitcnt vmcnt(0) lgkmcnt(0)
	v_pk_fma_f32 v[118:119], v[136:137], v[140:141], v[118:119] op_sel_hi:[0,1,1] neg_lo:[1,0,0] neg_hi:[1,0,0]
	v_mov_b32_e32 v23, v136
.LBB77_39:
	s_or_b64 exec, exec, s[2:3]
	v_cmp_eq_u32_e32 vcc, 7, v25
	s_waitcnt lgkmcnt(0)
	s_barrier
	s_and_saveexec_b64 s[2:3], vcc
	s_cbranch_execz .LBB77_42
; %bb.40:
	s_waitcnt vmcnt(28)
	v_pk_mov_b32 v[130:131], v[16:17], v[46:47] op_sel:[1,0]
	ds_write_b32 v120, v16
	ds_write2_b32 v121, v130, v131 offset0:8 offset1:9
	s_waitcnt vmcnt(26)
	v_pk_mov_b32 v[130:131], v[46:47], v[50:51] op_sel:[1,0]
	ds_write2_b32 v121, v130, v131 offset0:10 offset1:11
	s_waitcnt vmcnt(24)
	v_pk_mov_b32 v[130:131], v[50:51], v[44:45] op_sel:[1,0]
	;; [unrolled: 3-line block ×14, first 2 shown]
	ds_write2_b32 v121, v130, v131 offset0:36 offset1:37
	ds_write_b32 v121, v119 offset:152
	ds_read_b32 v129, v120
	s_waitcnt lgkmcnt(0)
	v_cmp_neq_f32_e32 vcc, 0, v129
	s_and_b64 exec, exec, vcc
	s_cbranch_execz .LBB77_42
; %bb.41:
	v_div_scale_f32 v130, s[4:5], v129, v129, 1.0
	v_rcp_f32_e32 v131, v130
	v_div_scale_f32 v132, vcc, 1.0, v129, 1.0
	v_fma_f32 v133, -v130, v131, 1.0
	v_fmac_f32_e32 v131, v133, v131
	v_mul_f32_e32 v133, v132, v131
	v_fma_f32 v134, -v130, v133, v132
	v_fmac_f32_e32 v133, v134, v131
	v_fma_f32 v130, -v130, v133, v132
	v_div_fmas_f32 v130, v130, v131, v133
	v_div_fixup_f32 v129, v130, v129, 1.0
	ds_write_b32 v120, v129
.LBB77_42:
	s_or_b64 exec, exec, s[2:3]
	s_waitcnt lgkmcnt(0)
	s_barrier
	ds_read_b32 v129, v120
	v_cmp_lt_u32_e32 vcc, 7, v25
	s_and_saveexec_b64 s[2:3], vcc
	s_cbranch_execz .LBB77_44
; %bb.43:
	ds_read_b32 v136, v121 offset:32
	ds_read2_b32 v[130:131], v121 offset0:9 offset1:10
	ds_read2_b32 v[132:133], v121 offset0:11 offset1:12
	s_waitcnt vmcnt(31) lgkmcnt(3)
	v_mul_f32_e32 v16, v129, v16
	ds_read2_b32 v[134:135], v121 offset0:13 offset1:14
	s_waitcnt vmcnt(30) lgkmcnt(3)
	v_fma_f32 v17, -v16, v136, v17
	s_waitcnt vmcnt(28) lgkmcnt(2)
	v_pk_fma_f32 v[46:47], v[16:17], v[130:131], v[46:47] op_sel_hi:[0,1,1] neg_lo:[1,0,0] neg_hi:[1,0,0]
	s_waitcnt vmcnt(26) lgkmcnt(1)
	v_pk_fma_f32 v[50:51], v[16:17], v[132:133], v[50:51] op_sel_hi:[0,1,1] neg_lo:[1,0,0] neg_hi:[1,0,0]
	ds_read2_b32 v[130:131], v121 offset0:15 offset1:16
	ds_read2_b32 v[132:133], v121 offset0:17 offset1:18
	;; [unrolled: 1-line block ×3, first 2 shown]
	s_waitcnt vmcnt(24) lgkmcnt(3)
	v_pk_fma_f32 v[44:45], v[16:17], v[134:135], v[44:45] op_sel_hi:[0,1,1] neg_lo:[1,0,0] neg_hi:[1,0,0]
	ds_read2_b32 v[134:135], v121 offset0:21 offset1:22
	s_waitcnt vmcnt(22) lgkmcnt(3)
	v_pk_fma_f32 v[48:49], v[16:17], v[130:131], v[48:49] op_sel_hi:[0,1,1] neg_lo:[1,0,0] neg_hi:[1,0,0]
	s_waitcnt vmcnt(20) lgkmcnt(2)
	v_pk_fma_f32 v[74:75], v[16:17], v[132:133], v[74:75] op_sel_hi:[0,1,1] neg_lo:[1,0,0] neg_hi:[1,0,0]
	;; [unrolled: 2-line block ×3, first 2 shown]
	ds_read2_b32 v[130:131], v121 offset0:23 offset1:24
	ds_read2_b32 v[132:133], v121 offset0:25 offset1:26
	;; [unrolled: 1-line block ×3, first 2 shown]
	s_waitcnt vmcnt(16) lgkmcnt(3)
	v_pk_fma_f32 v[70:71], v[16:17], v[134:135], v[70:71] op_sel_hi:[0,1,1] neg_lo:[1,0,0] neg_hi:[1,0,0]
	ds_read2_b32 v[134:135], v121 offset0:29 offset1:30
	s_waitcnt vmcnt(14) lgkmcnt(3)
	v_pk_fma_f32 v[72:73], v[16:17], v[130:131], v[72:73] op_sel_hi:[0,1,1] neg_lo:[1,0,0] neg_hi:[1,0,0]
	s_waitcnt vmcnt(12) lgkmcnt(2)
	v_pk_fma_f32 v[94:95], v[16:17], v[132:133], v[94:95] op_sel_hi:[0,1,1] neg_lo:[1,0,0] neg_hi:[1,0,0]
	;; [unrolled: 2-line block ×3, first 2 shown]
	ds_read2_b32 v[130:131], v121 offset0:31 offset1:32
	ds_read2_b32 v[132:133], v121 offset0:33 offset1:34
	ds_read2_b32 v[136:137], v121 offset0:35 offset1:36
	ds_read2_b32 v[138:139], v121 offset0:37 offset1:38
	s_waitcnt vmcnt(8) lgkmcnt(4)
	v_pk_fma_f32 v[98:99], v[16:17], v[134:135], v[98:99] op_sel_hi:[0,1,1] neg_lo:[1,0,0] neg_hi:[1,0,0]
	s_waitcnt vmcnt(6) lgkmcnt(3)
	v_pk_fma_f32 v[92:93], v[16:17], v[130:131], v[92:93] op_sel_hi:[0,1,1] neg_lo:[1,0,0] neg_hi:[1,0,0]
	s_waitcnt vmcnt(4) lgkmcnt(2)
	v_pk_fma_f32 v[114:115], v[16:17], v[132:133], v[114:115] op_sel_hi:[0,1,1] neg_lo:[1,0,0] neg_hi:[1,0,0]
	s_waitcnt vmcnt(2) lgkmcnt(1)
	v_pk_fma_f32 v[116:117], v[16:17], v[136:137], v[116:117] op_sel_hi:[0,1,1] neg_lo:[1,0,0] neg_hi:[1,0,0]
	s_waitcnt vmcnt(0) lgkmcnt(0)
	v_pk_fma_f32 v[118:119], v[16:17], v[138:139], v[118:119] op_sel_hi:[0,1,1] neg_lo:[1,0,0] neg_hi:[1,0,0]
.LBB77_44:
	s_or_b64 exec, exec, s[2:3]
	v_cmp_ne_u32_e32 vcc, 8, v25
	s_waitcnt lgkmcnt(0)
	s_barrier
	s_and_saveexec_b64 s[2:3], vcc
	s_xor_b64 s[2:3], exec, s[2:3]
	s_andn2_saveexec_b64 s[2:3], s[2:3]
	s_cbranch_execz .LBB77_48
; %bb.45:
	s_waitcnt vmcnt(30)
	ds_write_b32 v120, v17
	s_waitcnt vmcnt(28)
	ds_write2_b32 v121, v46, v47 offset0:9 offset1:10
	s_waitcnt vmcnt(26)
	ds_write2_b32 v121, v50, v51 offset0:11 offset1:12
	;; [unrolled: 2-line block ×15, first 2 shown]
	ds_read_b32 v130, v120
	s_waitcnt lgkmcnt(0)
	v_cmp_neq_f32_e32 vcc, 0, v130
	s_and_saveexec_b64 s[4:5], vcc
	s_cbranch_execz .LBB77_47
; %bb.46:
	v_div_scale_f32 v131, s[10:11], v130, v130, 1.0
	v_rcp_f32_e32 v132, v131
	v_div_scale_f32 v133, vcc, 1.0, v130, 1.0
	v_fma_f32 v134, -v131, v132, 1.0
	v_fmac_f32_e32 v132, v134, v132
	v_mul_f32_e32 v134, v133, v132
	v_fma_f32 v135, -v131, v134, v133
	v_fmac_f32_e32 v134, v135, v132
	v_fma_f32 v131, -v131, v134, v133
	v_div_fmas_f32 v131, v131, v132, v134
	v_div_fixup_f32 v130, v131, v130, 1.0
	ds_write_b32 v120, v130
.LBB77_47:
	s_or_b64 exec, exec, s[4:5]
.LBB77_48:
	s_or_b64 exec, exec, s[2:3]
	s_waitcnt lgkmcnt(0)
	s_barrier
	ds_read_b32 v130, v120
	v_cmp_lt_u32_e32 vcc, 8, v25
	s_and_saveexec_b64 s[2:3], vcc
	s_cbranch_execz .LBB77_50
; %bb.49:
	ds_read2_b32 v[132:133], v121 offset0:9 offset1:10
	ds_read2_b32 v[134:135], v121 offset0:11 offset1:12
	ds_read2_b32 v[136:137], v121 offset0:13 offset1:14
	s_waitcnt vmcnt(30) lgkmcnt(3)
	v_mul_f32_e32 v138, v130, v17
	ds_read2_b32 v[140:141], v121 offset0:15 offset1:16
	s_waitcnt vmcnt(28) lgkmcnt(3)
	v_pk_fma_f32 v[46:47], v[138:139], v[132:133], v[46:47] op_sel_hi:[0,1,1] neg_lo:[1,0,0] neg_hi:[1,0,0]
	s_waitcnt vmcnt(26) lgkmcnt(2)
	v_pk_fma_f32 v[50:51], v[138:139], v[134:135], v[50:51] op_sel_hi:[0,1,1] neg_lo:[1,0,0] neg_hi:[1,0,0]
	;; [unrolled: 2-line block ×3, first 2 shown]
	ds_read2_b32 v[132:133], v121 offset0:17 offset1:18
	ds_read2_b32 v[134:135], v121 offset0:19 offset1:20
	;; [unrolled: 1-line block ×3, first 2 shown]
	s_waitcnt vmcnt(22) lgkmcnt(3)
	v_pk_fma_f32 v[48:49], v[138:139], v[140:141], v[48:49] op_sel_hi:[0,1,1] neg_lo:[1,0,0] neg_hi:[1,0,0]
	ds_read2_b32 v[140:141], v121 offset0:23 offset1:24
	s_waitcnt vmcnt(20) lgkmcnt(3)
	v_pk_fma_f32 v[74:75], v[138:139], v[132:133], v[74:75] op_sel_hi:[0,1,1] neg_lo:[1,0,0] neg_hi:[1,0,0]
	s_waitcnt vmcnt(18) lgkmcnt(2)
	v_pk_fma_f32 v[68:69], v[138:139], v[134:135], v[68:69] op_sel_hi:[0,1,1] neg_lo:[1,0,0] neg_hi:[1,0,0]
	ds_read2_b32 v[132:133], v121 offset0:25 offset1:26
	ds_read2_b32 v[134:135], v121 offset0:27 offset1:28
	s_waitcnt vmcnt(16) lgkmcnt(3)
	v_pk_fma_f32 v[70:71], v[138:139], v[136:137], v[70:71] op_sel_hi:[0,1,1] neg_lo:[1,0,0] neg_hi:[1,0,0]
	s_waitcnt vmcnt(14) lgkmcnt(2)
	v_pk_fma_f32 v[72:73], v[138:139], v[140:141], v[72:73] op_sel_hi:[0,1,1] neg_lo:[1,0,0] neg_hi:[1,0,0]
	ds_read2_b32 v[136:137], v121 offset0:29 offset1:30
	;; [unrolled: 6-line block ×3, first 2 shown]
	ds_read2_b32 v[134:135], v121 offset0:35 offset1:36
	ds_read2_b32 v[142:143], v121 offset0:37 offset1:38
	s_waitcnt vmcnt(8) lgkmcnt(4)
	v_pk_fma_f32 v[98:99], v[138:139], v[136:137], v[98:99] op_sel_hi:[0,1,1] neg_lo:[1,0,0] neg_hi:[1,0,0]
	s_waitcnt vmcnt(6) lgkmcnt(3)
	v_pk_fma_f32 v[92:93], v[138:139], v[140:141], v[92:93] op_sel_hi:[0,1,1] neg_lo:[1,0,0] neg_hi:[1,0,0]
	;; [unrolled: 2-line block ×5, first 2 shown]
	v_mov_b32_e32 v17, v138
.LBB77_50:
	s_or_b64 exec, exec, s[2:3]
	v_cmp_eq_u32_e32 vcc, 9, v25
	s_waitcnt lgkmcnt(0)
	s_barrier
	s_and_saveexec_b64 s[2:3], vcc
	s_cbranch_execz .LBB77_53
; %bb.51:
	s_waitcnt vmcnt(26)
	v_pk_mov_b32 v[132:133], v[46:47], v[50:51] op_sel:[1,0]
	ds_write_b32 v120, v46
	ds_write2_b32 v121, v132, v133 offset0:10 offset1:11
	s_waitcnt vmcnt(24)
	v_pk_mov_b32 v[132:133], v[50:51], v[44:45] op_sel:[1,0]
	ds_write2_b32 v121, v132, v133 offset0:12 offset1:13
	s_waitcnt vmcnt(22)
	v_pk_mov_b32 v[132:133], v[44:45], v[48:49] op_sel:[1,0]
	;; [unrolled: 3-line block ×13, first 2 shown]
	ds_write2_b32 v121, v132, v133 offset0:36 offset1:37
	ds_write_b32 v121, v119 offset:152
	ds_read_b32 v131, v120
	s_waitcnt lgkmcnt(0)
	v_cmp_neq_f32_e32 vcc, 0, v131
	s_and_b64 exec, exec, vcc
	s_cbranch_execz .LBB77_53
; %bb.52:
	v_div_scale_f32 v132, s[4:5], v131, v131, 1.0
	v_rcp_f32_e32 v133, v132
	v_div_scale_f32 v134, vcc, 1.0, v131, 1.0
	v_fma_f32 v135, -v132, v133, 1.0
	v_fmac_f32_e32 v133, v135, v133
	v_mul_f32_e32 v135, v134, v133
	v_fma_f32 v136, -v132, v135, v134
	v_fmac_f32_e32 v135, v136, v133
	v_fma_f32 v132, -v132, v135, v134
	v_div_fmas_f32 v132, v132, v133, v135
	v_div_fixup_f32 v131, v132, v131, 1.0
	ds_write_b32 v120, v131
.LBB77_53:
	s_or_b64 exec, exec, s[2:3]
	s_waitcnt lgkmcnt(0)
	s_barrier
	ds_read_b32 v131, v120
	v_cmp_lt_u32_e32 vcc, 9, v25
	s_and_saveexec_b64 s[2:3], vcc
	s_cbranch_execz .LBB77_55
; %bb.54:
	ds_read_b32 v138, v121 offset:40
	ds_read2_b32 v[132:133], v121 offset0:11 offset1:12
	ds_read2_b32 v[134:135], v121 offset0:13 offset1:14
	s_waitcnt vmcnt(29) lgkmcnt(3)
	v_mul_f32_e32 v46, v131, v46
	ds_read2_b32 v[136:137], v121 offset0:15 offset1:16
	s_waitcnt vmcnt(28) lgkmcnt(3)
	v_fma_f32 v47, -v46, v138, v47
	s_waitcnt vmcnt(26) lgkmcnt(2)
	v_pk_fma_f32 v[50:51], v[46:47], v[132:133], v[50:51] op_sel_hi:[0,1,1] neg_lo:[1,0,0] neg_hi:[1,0,0]
	s_waitcnt vmcnt(24) lgkmcnt(1)
	v_pk_fma_f32 v[44:45], v[46:47], v[134:135], v[44:45] op_sel_hi:[0,1,1] neg_lo:[1,0,0] neg_hi:[1,0,0]
	ds_read2_b32 v[132:133], v121 offset0:17 offset1:18
	ds_read2_b32 v[134:135], v121 offset0:19 offset1:20
	;; [unrolled: 1-line block ×3, first 2 shown]
	s_waitcnt vmcnt(22) lgkmcnt(3)
	v_pk_fma_f32 v[48:49], v[46:47], v[136:137], v[48:49] op_sel_hi:[0,1,1] neg_lo:[1,0,0] neg_hi:[1,0,0]
	ds_read2_b32 v[136:137], v121 offset0:23 offset1:24
	s_waitcnt vmcnt(20) lgkmcnt(3)
	v_pk_fma_f32 v[74:75], v[46:47], v[132:133], v[74:75] op_sel_hi:[0,1,1] neg_lo:[1,0,0] neg_hi:[1,0,0]
	s_waitcnt vmcnt(18) lgkmcnt(2)
	v_pk_fma_f32 v[68:69], v[46:47], v[134:135], v[68:69] op_sel_hi:[0,1,1] neg_lo:[1,0,0] neg_hi:[1,0,0]
	ds_read2_b32 v[132:133], v121 offset0:25 offset1:26
	ds_read2_b32 v[134:135], v121 offset0:27 offset1:28
	s_waitcnt vmcnt(16) lgkmcnt(3)
	v_pk_fma_f32 v[70:71], v[46:47], v[138:139], v[70:71] op_sel_hi:[0,1,1] neg_lo:[1,0,0] neg_hi:[1,0,0]
	s_waitcnt vmcnt(14) lgkmcnt(2)
	v_pk_fma_f32 v[72:73], v[46:47], v[136:137], v[72:73] op_sel_hi:[0,1,1] neg_lo:[1,0,0] neg_hi:[1,0,0]
	ds_read2_b32 v[136:137], v121 offset0:29 offset1:30
	;; [unrolled: 6-line block ×3, first 2 shown]
	ds_read2_b32 v[134:135], v121 offset0:35 offset1:36
	ds_read2_b32 v[140:141], v121 offset0:37 offset1:38
	s_waitcnt vmcnt(8) lgkmcnt(4)
	v_pk_fma_f32 v[98:99], v[46:47], v[136:137], v[98:99] op_sel_hi:[0,1,1] neg_lo:[1,0,0] neg_hi:[1,0,0]
	s_waitcnt vmcnt(6) lgkmcnt(3)
	v_pk_fma_f32 v[92:93], v[46:47], v[138:139], v[92:93] op_sel_hi:[0,1,1] neg_lo:[1,0,0] neg_hi:[1,0,0]
	;; [unrolled: 2-line block ×5, first 2 shown]
.LBB77_55:
	s_or_b64 exec, exec, s[2:3]
	v_cmp_ne_u32_e32 vcc, 10, v25
	s_waitcnt lgkmcnt(0)
	s_barrier
	s_and_saveexec_b64 s[2:3], vcc
	s_xor_b64 s[2:3], exec, s[2:3]
	s_andn2_saveexec_b64 s[2:3], s[2:3]
	s_cbranch_execz .LBB77_59
; %bb.56:
	s_waitcnt vmcnt(28)
	ds_write_b32 v120, v47
	s_waitcnt vmcnt(26)
	ds_write2_b32 v121, v50, v51 offset0:11 offset1:12
	s_waitcnt vmcnt(24)
	ds_write2_b32 v121, v44, v45 offset0:13 offset1:14
	s_waitcnt vmcnt(22)
	ds_write2_b32 v121, v48, v49 offset0:15 offset1:16
	s_waitcnt vmcnt(20)
	ds_write2_b32 v121, v74, v75 offset0:17 offset1:18
	s_waitcnt vmcnt(18)
	ds_write2_b32 v121, v68, v69 offset0:19 offset1:20
	s_waitcnt vmcnt(16)
	ds_write2_b32 v121, v70, v71 offset0:21 offset1:22
	s_waitcnt vmcnt(14)
	ds_write2_b32 v121, v72, v73 offset0:23 offset1:24
	s_waitcnt vmcnt(12)
	ds_write2_b32 v121, v94, v95 offset0:25 offset1:26
	s_waitcnt vmcnt(10)
	ds_write2_b32 v121, v96, v97 offset0:27 offset1:28
	s_waitcnt vmcnt(8)
	ds_write2_b32 v121, v98, v99 offset0:29 offset1:30
	s_waitcnt vmcnt(6)
	ds_write2_b32 v121, v92, v93 offset0:31 offset1:32
	s_waitcnt vmcnt(4)
	ds_write2_b32 v121, v114, v115 offset0:33 offset1:34
	s_waitcnt vmcnt(2)
	ds_write2_b32 v121, v116, v117 offset0:35 offset1:36
	s_waitcnt vmcnt(0)
	ds_write2_b32 v121, v118, v119 offset0:37 offset1:38
	ds_read_b32 v132, v120
	s_waitcnt lgkmcnt(0)
	v_cmp_neq_f32_e32 vcc, 0, v132
	s_and_saveexec_b64 s[4:5], vcc
	s_cbranch_execz .LBB77_58
; %bb.57:
	v_div_scale_f32 v133, s[10:11], v132, v132, 1.0
	v_rcp_f32_e32 v134, v133
	v_div_scale_f32 v135, vcc, 1.0, v132, 1.0
	v_fma_f32 v136, -v133, v134, 1.0
	v_fmac_f32_e32 v134, v136, v134
	v_mul_f32_e32 v136, v135, v134
	v_fma_f32 v137, -v133, v136, v135
	v_fmac_f32_e32 v136, v137, v134
	v_fma_f32 v133, -v133, v136, v135
	v_div_fmas_f32 v133, v133, v134, v136
	v_div_fixup_f32 v132, v133, v132, 1.0
	ds_write_b32 v120, v132
.LBB77_58:
	s_or_b64 exec, exec, s[4:5]
.LBB77_59:
	s_or_b64 exec, exec, s[2:3]
	s_waitcnt lgkmcnt(0)
	s_barrier
	ds_read_b32 v132, v120
	v_cmp_lt_u32_e32 vcc, 10, v25
	s_and_saveexec_b64 s[2:3], vcc
	s_cbranch_execz .LBB77_61
; %bb.60:
	ds_read2_b32 v[134:135], v121 offset0:11 offset1:12
	ds_read2_b32 v[136:137], v121 offset0:13 offset1:14
	;; [unrolled: 1-line block ×4, first 2 shown]
	s_waitcnt vmcnt(28) lgkmcnt(4)
	v_mul_f32_e32 v140, v132, v47
	s_waitcnt vmcnt(26) lgkmcnt(3)
	v_pk_fma_f32 v[50:51], v[140:141], v[134:135], v[50:51] op_sel_hi:[0,1,1] neg_lo:[1,0,0] neg_hi:[1,0,0]
	s_waitcnt vmcnt(24) lgkmcnt(2)
	v_pk_fma_f32 v[44:45], v[140:141], v[136:137], v[44:45] op_sel_hi:[0,1,1] neg_lo:[1,0,0] neg_hi:[1,0,0]
	;; [unrolled: 2-line block ×3, first 2 shown]
	ds_read2_b32 v[134:135], v121 offset0:19 offset1:20
	ds_read2_b32 v[136:137], v121 offset0:21 offset1:22
	;; [unrolled: 1-line block ×3, first 2 shown]
	s_waitcnt vmcnt(20) lgkmcnt(3)
	v_pk_fma_f32 v[74:75], v[140:141], v[142:143], v[74:75] op_sel_hi:[0,1,1] neg_lo:[1,0,0] neg_hi:[1,0,0]
	ds_read2_b32 v[142:143], v121 offset0:25 offset1:26
	s_waitcnt vmcnt(18) lgkmcnt(3)
	v_pk_fma_f32 v[68:69], v[140:141], v[134:135], v[68:69] op_sel_hi:[0,1,1] neg_lo:[1,0,0] neg_hi:[1,0,0]
	ds_read2_b32 v[134:135], v121 offset0:27 offset1:28
	s_waitcnt vmcnt(16) lgkmcnt(3)
	v_pk_fma_f32 v[70:71], v[140:141], v[136:137], v[70:71] op_sel_hi:[0,1,1] neg_lo:[1,0,0] neg_hi:[1,0,0]
	s_waitcnt vmcnt(14) lgkmcnt(2)
	v_pk_fma_f32 v[72:73], v[140:141], v[138:139], v[72:73] op_sel_hi:[0,1,1] neg_lo:[1,0,0] neg_hi:[1,0,0]
	;; [unrolled: 2-line block ×3, first 2 shown]
	ds_read2_b32 v[136:137], v121 offset0:29 offset1:30
	ds_read2_b32 v[138:139], v121 offset0:31 offset1:32
	ds_read2_b32 v[142:143], v121 offset0:33 offset1:34
	s_waitcnt vmcnt(10) lgkmcnt(3)
	v_pk_fma_f32 v[96:97], v[140:141], v[134:135], v[96:97] op_sel_hi:[0,1,1] neg_lo:[1,0,0] neg_hi:[1,0,0]
	ds_read2_b32 v[134:135], v121 offset0:35 offset1:36
	ds_read2_b32 v[144:145], v121 offset0:37 offset1:38
	s_waitcnt vmcnt(8) lgkmcnt(4)
	v_pk_fma_f32 v[98:99], v[140:141], v[136:137], v[98:99] op_sel_hi:[0,1,1] neg_lo:[1,0,0] neg_hi:[1,0,0]
	s_waitcnt vmcnt(6) lgkmcnt(3)
	v_pk_fma_f32 v[92:93], v[140:141], v[138:139], v[92:93] op_sel_hi:[0,1,1] neg_lo:[1,0,0] neg_hi:[1,0,0]
	;; [unrolled: 2-line block ×5, first 2 shown]
	v_mov_b32_e32 v47, v140
.LBB77_61:
	s_or_b64 exec, exec, s[2:3]
	v_cmp_eq_u32_e32 vcc, 11, v25
	s_waitcnt lgkmcnt(0)
	s_barrier
	s_and_saveexec_b64 s[2:3], vcc
	s_cbranch_execz .LBB77_64
; %bb.62:
	s_waitcnt vmcnt(24)
	v_pk_mov_b32 v[134:135], v[50:51], v[44:45] op_sel:[1,0]
	ds_write_b32 v120, v50
	ds_write2_b32 v121, v134, v135 offset0:12 offset1:13
	s_waitcnt vmcnt(22)
	v_pk_mov_b32 v[134:135], v[44:45], v[48:49] op_sel:[1,0]
	ds_write2_b32 v121, v134, v135 offset0:14 offset1:15
	s_waitcnt vmcnt(20)
	v_pk_mov_b32 v[134:135], v[48:49], v[74:75] op_sel:[1,0]
	;; [unrolled: 3-line block ×12, first 2 shown]
	ds_write2_b32 v121, v134, v135 offset0:36 offset1:37
	ds_write_b32 v121, v119 offset:152
	ds_read_b32 v133, v120
	s_waitcnt lgkmcnt(0)
	v_cmp_neq_f32_e32 vcc, 0, v133
	s_and_b64 exec, exec, vcc
	s_cbranch_execz .LBB77_64
; %bb.63:
	v_div_scale_f32 v134, s[4:5], v133, v133, 1.0
	v_rcp_f32_e32 v135, v134
	v_div_scale_f32 v136, vcc, 1.0, v133, 1.0
	v_fma_f32 v137, -v134, v135, 1.0
	v_fmac_f32_e32 v135, v137, v135
	v_mul_f32_e32 v137, v136, v135
	v_fma_f32 v138, -v134, v137, v136
	v_fmac_f32_e32 v137, v138, v135
	v_fma_f32 v134, -v134, v137, v136
	v_div_fmas_f32 v134, v134, v135, v137
	v_div_fixup_f32 v133, v134, v133, 1.0
	ds_write_b32 v120, v133
.LBB77_64:
	s_or_b64 exec, exec, s[2:3]
	s_waitcnt lgkmcnt(0)
	s_barrier
	ds_read_b32 v133, v120
	v_cmp_lt_u32_e32 vcc, 11, v25
	s_and_saveexec_b64 s[2:3], vcc
	s_cbranch_execz .LBB77_66
; %bb.65:
	ds_read_b32 v140, v121 offset:48
	ds_read2_b32 v[134:135], v121 offset0:13 offset1:14
	ds_read2_b32 v[136:137], v121 offset0:15 offset1:16
	s_waitcnt vmcnt(27) lgkmcnt(3)
	v_mul_f32_e32 v50, v133, v50
	ds_read2_b32 v[138:139], v121 offset0:17 offset1:18
	s_waitcnt vmcnt(26) lgkmcnt(3)
	v_fma_f32 v51, -v50, v140, v51
	s_waitcnt vmcnt(24) lgkmcnt(2)
	v_pk_fma_f32 v[44:45], v[50:51], v[134:135], v[44:45] op_sel_hi:[0,1,1] neg_lo:[1,0,0] neg_hi:[1,0,0]
	s_waitcnt vmcnt(22) lgkmcnt(1)
	v_pk_fma_f32 v[48:49], v[50:51], v[136:137], v[48:49] op_sel_hi:[0,1,1] neg_lo:[1,0,0] neg_hi:[1,0,0]
	ds_read2_b32 v[134:135], v121 offset0:19 offset1:20
	ds_read2_b32 v[136:137], v121 offset0:21 offset1:22
	;; [unrolled: 1-line block ×3, first 2 shown]
	s_waitcnt vmcnt(20) lgkmcnt(3)
	v_pk_fma_f32 v[74:75], v[50:51], v[138:139], v[74:75] op_sel_hi:[0,1,1] neg_lo:[1,0,0] neg_hi:[1,0,0]
	ds_read2_b32 v[138:139], v121 offset0:25 offset1:26
	s_waitcnt vmcnt(18) lgkmcnt(3)
	v_pk_fma_f32 v[68:69], v[50:51], v[134:135], v[68:69] op_sel_hi:[0,1,1] neg_lo:[1,0,0] neg_hi:[1,0,0]
	ds_read2_b32 v[134:135], v121 offset0:27 offset1:28
	s_waitcnt vmcnt(16) lgkmcnt(3)
	v_pk_fma_f32 v[70:71], v[50:51], v[136:137], v[70:71] op_sel_hi:[0,1,1] neg_lo:[1,0,0] neg_hi:[1,0,0]
	s_waitcnt vmcnt(14) lgkmcnt(2)
	v_pk_fma_f32 v[72:73], v[50:51], v[140:141], v[72:73] op_sel_hi:[0,1,1] neg_lo:[1,0,0] neg_hi:[1,0,0]
	;; [unrolled: 2-line block ×3, first 2 shown]
	ds_read2_b32 v[136:137], v121 offset0:29 offset1:30
	ds_read2_b32 v[138:139], v121 offset0:31 offset1:32
	;; [unrolled: 1-line block ×3, first 2 shown]
	s_waitcnt vmcnt(10) lgkmcnt(3)
	v_pk_fma_f32 v[96:97], v[50:51], v[134:135], v[96:97] op_sel_hi:[0,1,1] neg_lo:[1,0,0] neg_hi:[1,0,0]
	ds_read2_b32 v[134:135], v121 offset0:35 offset1:36
	ds_read2_b32 v[142:143], v121 offset0:37 offset1:38
	s_waitcnt vmcnt(8) lgkmcnt(4)
	v_pk_fma_f32 v[98:99], v[50:51], v[136:137], v[98:99] op_sel_hi:[0,1,1] neg_lo:[1,0,0] neg_hi:[1,0,0]
	s_waitcnt vmcnt(6) lgkmcnt(3)
	v_pk_fma_f32 v[92:93], v[50:51], v[138:139], v[92:93] op_sel_hi:[0,1,1] neg_lo:[1,0,0] neg_hi:[1,0,0]
	s_waitcnt vmcnt(4) lgkmcnt(2)
	v_pk_fma_f32 v[114:115], v[50:51], v[140:141], v[114:115] op_sel_hi:[0,1,1] neg_lo:[1,0,0] neg_hi:[1,0,0]
	s_waitcnt vmcnt(2) lgkmcnt(1)
	v_pk_fma_f32 v[116:117], v[50:51], v[134:135], v[116:117] op_sel_hi:[0,1,1] neg_lo:[1,0,0] neg_hi:[1,0,0]
	s_waitcnt vmcnt(0) lgkmcnt(0)
	v_pk_fma_f32 v[118:119], v[50:51], v[142:143], v[118:119] op_sel_hi:[0,1,1] neg_lo:[1,0,0] neg_hi:[1,0,0]
.LBB77_66:
	s_or_b64 exec, exec, s[2:3]
	v_cmp_ne_u32_e32 vcc, 12, v25
	s_waitcnt lgkmcnt(0)
	s_barrier
	s_and_saveexec_b64 s[2:3], vcc
	s_xor_b64 s[2:3], exec, s[2:3]
	s_andn2_saveexec_b64 s[2:3], s[2:3]
	s_cbranch_execz .LBB77_70
; %bb.67:
	s_waitcnt vmcnt(26)
	ds_write_b32 v120, v51
	s_waitcnt vmcnt(24)
	ds_write2_b32 v121, v44, v45 offset0:13 offset1:14
	s_waitcnt vmcnt(22)
	ds_write2_b32 v121, v48, v49 offset0:15 offset1:16
	;; [unrolled: 2-line block ×13, first 2 shown]
	ds_read_b32 v134, v120
	s_waitcnt lgkmcnt(0)
	v_cmp_neq_f32_e32 vcc, 0, v134
	s_and_saveexec_b64 s[4:5], vcc
	s_cbranch_execz .LBB77_69
; %bb.68:
	v_div_scale_f32 v135, s[10:11], v134, v134, 1.0
	v_rcp_f32_e32 v136, v135
	v_div_scale_f32 v137, vcc, 1.0, v134, 1.0
	v_fma_f32 v138, -v135, v136, 1.0
	v_fmac_f32_e32 v136, v138, v136
	v_mul_f32_e32 v138, v137, v136
	v_fma_f32 v139, -v135, v138, v137
	v_fmac_f32_e32 v138, v139, v136
	v_fma_f32 v135, -v135, v138, v137
	v_div_fmas_f32 v135, v135, v136, v138
	v_div_fixup_f32 v134, v135, v134, 1.0
	ds_write_b32 v120, v134
.LBB77_69:
	s_or_b64 exec, exec, s[4:5]
.LBB77_70:
	s_or_b64 exec, exec, s[2:3]
	s_waitcnt lgkmcnt(0)
	s_barrier
	ds_read_b32 v134, v120
	v_cmp_lt_u32_e32 vcc, 12, v25
	s_and_saveexec_b64 s[2:3], vcc
	s_cbranch_execz .LBB77_72
; %bb.71:
	ds_read2_b32 v[136:137], v121 offset0:13 offset1:14
	ds_read2_b32 v[138:139], v121 offset0:15 offset1:16
	;; [unrolled: 1-line block ×3, first 2 shown]
	s_waitcnt vmcnt(26) lgkmcnt(3)
	v_mul_f32_e32 v142, v134, v51
	ds_read2_b32 v[144:145], v121 offset0:19 offset1:20
	s_waitcnt vmcnt(24) lgkmcnt(3)
	v_pk_fma_f32 v[44:45], v[142:143], v[136:137], v[44:45] op_sel_hi:[0,1,1] neg_lo:[1,0,0] neg_hi:[1,0,0]
	s_waitcnt vmcnt(22) lgkmcnt(2)
	v_pk_fma_f32 v[48:49], v[142:143], v[138:139], v[48:49] op_sel_hi:[0,1,1] neg_lo:[1,0,0] neg_hi:[1,0,0]
	;; [unrolled: 2-line block ×3, first 2 shown]
	ds_read2_b32 v[136:137], v121 offset0:21 offset1:22
	ds_read2_b32 v[138:139], v121 offset0:23 offset1:24
	ds_read2_b32 v[140:141], v121 offset0:25 offset1:26
	ds_read2_b32 v[146:147], v121 offset0:27 offset1:28
	s_waitcnt vmcnt(18) lgkmcnt(4)
	v_pk_fma_f32 v[68:69], v[142:143], v[144:145], v[68:69] op_sel_hi:[0,1,1] neg_lo:[1,0,0] neg_hi:[1,0,0]
	s_waitcnt vmcnt(16) lgkmcnt(3)
	v_pk_fma_f32 v[70:71], v[142:143], v[136:137], v[70:71] op_sel_hi:[0,1,1] neg_lo:[1,0,0] neg_hi:[1,0,0]
	;; [unrolled: 2-line block ×5, first 2 shown]
	ds_read2_b32 v[136:137], v121 offset0:29 offset1:30
	ds_read2_b32 v[138:139], v121 offset0:31 offset1:32
	;; [unrolled: 1-line block ×5, first 2 shown]
	s_waitcnt vmcnt(8) lgkmcnt(4)
	v_pk_fma_f32 v[98:99], v[142:143], v[136:137], v[98:99] op_sel_hi:[0,1,1] neg_lo:[1,0,0] neg_hi:[1,0,0]
	s_waitcnt vmcnt(6) lgkmcnt(3)
	v_pk_fma_f32 v[92:93], v[142:143], v[138:139], v[92:93] op_sel_hi:[0,1,1] neg_lo:[1,0,0] neg_hi:[1,0,0]
	;; [unrolled: 2-line block ×5, first 2 shown]
	v_mov_b32_e32 v51, v142
.LBB77_72:
	s_or_b64 exec, exec, s[2:3]
	v_cmp_eq_u32_e32 vcc, 13, v25
	s_waitcnt lgkmcnt(0)
	s_barrier
	s_and_saveexec_b64 s[2:3], vcc
	s_cbranch_execz .LBB77_75
; %bb.73:
	s_waitcnt vmcnt(22)
	v_pk_mov_b32 v[136:137], v[44:45], v[48:49] op_sel:[1,0]
	ds_write_b32 v120, v44
	ds_write2_b32 v121, v136, v137 offset0:14 offset1:15
	s_waitcnt vmcnt(20)
	v_pk_mov_b32 v[136:137], v[48:49], v[74:75] op_sel:[1,0]
	ds_write2_b32 v121, v136, v137 offset0:16 offset1:17
	s_waitcnt vmcnt(18)
	v_pk_mov_b32 v[136:137], v[74:75], v[68:69] op_sel:[1,0]
	;; [unrolled: 3-line block ×11, first 2 shown]
	ds_write2_b32 v121, v136, v137 offset0:36 offset1:37
	ds_write_b32 v121, v119 offset:152
	ds_read_b32 v135, v120
	s_waitcnt lgkmcnt(0)
	v_cmp_neq_f32_e32 vcc, 0, v135
	s_and_b64 exec, exec, vcc
	s_cbranch_execz .LBB77_75
; %bb.74:
	v_div_scale_f32 v136, s[4:5], v135, v135, 1.0
	v_rcp_f32_e32 v137, v136
	v_div_scale_f32 v138, vcc, 1.0, v135, 1.0
	v_fma_f32 v139, -v136, v137, 1.0
	v_fmac_f32_e32 v137, v139, v137
	v_mul_f32_e32 v139, v138, v137
	v_fma_f32 v140, -v136, v139, v138
	v_fmac_f32_e32 v139, v140, v137
	v_fma_f32 v136, -v136, v139, v138
	v_div_fmas_f32 v136, v136, v137, v139
	v_div_fixup_f32 v135, v136, v135, 1.0
	ds_write_b32 v120, v135
.LBB77_75:
	s_or_b64 exec, exec, s[2:3]
	s_waitcnt lgkmcnt(0)
	s_barrier
	ds_read_b32 v135, v120
	v_cmp_lt_u32_e32 vcc, 13, v25
	s_and_saveexec_b64 s[2:3], vcc
	s_cbranch_execz .LBB77_77
; %bb.76:
	ds_read_b32 v142, v121 offset:56
	ds_read2_b32 v[136:137], v121 offset0:15 offset1:16
	ds_read2_b32 v[138:139], v121 offset0:17 offset1:18
	s_waitcnt vmcnt(25) lgkmcnt(3)
	v_mul_f32_e32 v44, v135, v44
	ds_read2_b32 v[140:141], v121 offset0:19 offset1:20
	s_waitcnt vmcnt(24) lgkmcnt(3)
	v_fma_f32 v45, -v44, v142, v45
	s_waitcnt vmcnt(22) lgkmcnt(2)
	v_pk_fma_f32 v[48:49], v[44:45], v[136:137], v[48:49] op_sel_hi:[0,1,1] neg_lo:[1,0,0] neg_hi:[1,0,0]
	s_waitcnt vmcnt(20) lgkmcnt(1)
	v_pk_fma_f32 v[74:75], v[44:45], v[138:139], v[74:75] op_sel_hi:[0,1,1] neg_lo:[1,0,0] neg_hi:[1,0,0]
	ds_read2_b32 v[136:137], v121 offset0:21 offset1:22
	ds_read2_b32 v[138:139], v121 offset0:23 offset1:24
	;; [unrolled: 1-line block ×4, first 2 shown]
	s_waitcnt vmcnt(18) lgkmcnt(4)
	v_pk_fma_f32 v[68:69], v[44:45], v[140:141], v[68:69] op_sel_hi:[0,1,1] neg_lo:[1,0,0] neg_hi:[1,0,0]
	s_waitcnt vmcnt(16) lgkmcnt(3)
	v_pk_fma_f32 v[70:71], v[44:45], v[136:137], v[70:71] op_sel_hi:[0,1,1] neg_lo:[1,0,0] neg_hi:[1,0,0]
	;; [unrolled: 2-line block ×5, first 2 shown]
	ds_read2_b32 v[136:137], v121 offset0:29 offset1:30
	ds_read2_b32 v[138:139], v121 offset0:31 offset1:32
	;; [unrolled: 1-line block ×5, first 2 shown]
	s_waitcnt vmcnt(8) lgkmcnt(4)
	v_pk_fma_f32 v[98:99], v[44:45], v[136:137], v[98:99] op_sel_hi:[0,1,1] neg_lo:[1,0,0] neg_hi:[1,0,0]
	s_waitcnt vmcnt(6) lgkmcnt(3)
	v_pk_fma_f32 v[92:93], v[44:45], v[138:139], v[92:93] op_sel_hi:[0,1,1] neg_lo:[1,0,0] neg_hi:[1,0,0]
	;; [unrolled: 2-line block ×5, first 2 shown]
.LBB77_77:
	s_or_b64 exec, exec, s[2:3]
	v_cmp_ne_u32_e32 vcc, 14, v25
	s_waitcnt lgkmcnt(0)
	s_barrier
	s_and_saveexec_b64 s[2:3], vcc
	s_xor_b64 s[2:3], exec, s[2:3]
	s_andn2_saveexec_b64 s[2:3], s[2:3]
	s_cbranch_execz .LBB77_81
; %bb.78:
	s_waitcnt vmcnt(24)
	ds_write_b32 v120, v45
	s_waitcnt vmcnt(22)
	ds_write2_b32 v121, v48, v49 offset0:15 offset1:16
	s_waitcnt vmcnt(20)
	ds_write2_b32 v121, v74, v75 offset0:17 offset1:18
	;; [unrolled: 2-line block ×12, first 2 shown]
	ds_read_b32 v136, v120
	s_waitcnt lgkmcnt(0)
	v_cmp_neq_f32_e32 vcc, 0, v136
	s_and_saveexec_b64 s[4:5], vcc
	s_cbranch_execz .LBB77_80
; %bb.79:
	v_div_scale_f32 v137, s[10:11], v136, v136, 1.0
	v_rcp_f32_e32 v138, v137
	v_div_scale_f32 v139, vcc, 1.0, v136, 1.0
	v_fma_f32 v140, -v137, v138, 1.0
	v_fmac_f32_e32 v138, v140, v138
	v_mul_f32_e32 v140, v139, v138
	v_fma_f32 v141, -v137, v140, v139
	v_fmac_f32_e32 v140, v141, v138
	v_fma_f32 v137, -v137, v140, v139
	v_div_fmas_f32 v137, v137, v138, v140
	v_div_fixup_f32 v136, v137, v136, 1.0
	ds_write_b32 v120, v136
.LBB77_80:
	s_or_b64 exec, exec, s[4:5]
.LBB77_81:
	s_or_b64 exec, exec, s[2:3]
	s_waitcnt lgkmcnt(0)
	s_barrier
	ds_read_b32 v136, v120
	v_cmp_lt_u32_e32 vcc, 14, v25
	s_and_saveexec_b64 s[2:3], vcc
	s_cbranch_execz .LBB77_83
; %bb.82:
	ds_read2_b32 v[138:139], v121 offset0:15 offset1:16
	ds_read2_b32 v[140:141], v121 offset0:17 offset1:18
	;; [unrolled: 1-line block ×3, first 2 shown]
	s_waitcnt vmcnt(24) lgkmcnt(3)
	v_mul_f32_e32 v144, v136, v45
	ds_read2_b32 v[146:147], v121 offset0:21 offset1:22
	s_waitcnt vmcnt(22) lgkmcnt(3)
	v_pk_fma_f32 v[48:49], v[144:145], v[138:139], v[48:49] op_sel_hi:[0,1,1] neg_lo:[1,0,0] neg_hi:[1,0,0]
	s_waitcnt vmcnt(20) lgkmcnt(2)
	v_pk_fma_f32 v[74:75], v[144:145], v[140:141], v[74:75] op_sel_hi:[0,1,1] neg_lo:[1,0,0] neg_hi:[1,0,0]
	;; [unrolled: 2-line block ×3, first 2 shown]
	ds_read2_b32 v[138:139], v121 offset0:23 offset1:24
	ds_read2_b32 v[140:141], v121 offset0:25 offset1:26
	;; [unrolled: 1-line block ×3, first 2 shown]
	s_waitcnt vmcnt(16) lgkmcnt(3)
	v_pk_fma_f32 v[70:71], v[144:145], v[146:147], v[70:71] op_sel_hi:[0,1,1] neg_lo:[1,0,0] neg_hi:[1,0,0]
	ds_read2_b32 v[146:147], v121 offset0:29 offset1:30
	s_waitcnt vmcnt(14) lgkmcnt(3)
	v_pk_fma_f32 v[72:73], v[144:145], v[138:139], v[72:73] op_sel_hi:[0,1,1] neg_lo:[1,0,0] neg_hi:[1,0,0]
	s_waitcnt vmcnt(12) lgkmcnt(2)
	v_pk_fma_f32 v[94:95], v[144:145], v[140:141], v[94:95] op_sel_hi:[0,1,1] neg_lo:[1,0,0] neg_hi:[1,0,0]
	s_waitcnt vmcnt(10) lgkmcnt(1)
	v_pk_fma_f32 v[96:97], v[144:145], v[142:143], v[96:97] op_sel_hi:[0,1,1] neg_lo:[1,0,0] neg_hi:[1,0,0]
	ds_read2_b32 v[138:139], v121 offset0:31 offset1:32
	ds_read2_b32 v[140:141], v121 offset0:33 offset1:34
	;; [unrolled: 1-line block ×4, first 2 shown]
	s_waitcnt vmcnt(8) lgkmcnt(4)
	v_pk_fma_f32 v[98:99], v[144:145], v[146:147], v[98:99] op_sel_hi:[0,1,1] neg_lo:[1,0,0] neg_hi:[1,0,0]
	s_waitcnt vmcnt(6) lgkmcnt(3)
	v_pk_fma_f32 v[92:93], v[144:145], v[138:139], v[92:93] op_sel_hi:[0,1,1] neg_lo:[1,0,0] neg_hi:[1,0,0]
	;; [unrolled: 2-line block ×5, first 2 shown]
	v_mov_b32_e32 v45, v144
.LBB77_83:
	s_or_b64 exec, exec, s[2:3]
	v_cmp_eq_u32_e32 vcc, 15, v25
	s_waitcnt lgkmcnt(0)
	s_barrier
	s_and_saveexec_b64 s[2:3], vcc
	s_cbranch_execz .LBB77_86
; %bb.84:
	s_waitcnt vmcnt(20)
	v_pk_mov_b32 v[138:139], v[48:49], v[74:75] op_sel:[1,0]
	ds_write_b32 v120, v48
	ds_write2_b32 v121, v138, v139 offset0:16 offset1:17
	s_waitcnt vmcnt(18)
	v_pk_mov_b32 v[138:139], v[74:75], v[68:69] op_sel:[1,0]
	ds_write2_b32 v121, v138, v139 offset0:18 offset1:19
	s_waitcnt vmcnt(16)
	v_pk_mov_b32 v[138:139], v[68:69], v[70:71] op_sel:[1,0]
	;; [unrolled: 3-line block ×10, first 2 shown]
	ds_write2_b32 v121, v138, v139 offset0:36 offset1:37
	ds_write_b32 v121, v119 offset:152
	ds_read_b32 v137, v120
	s_waitcnt lgkmcnt(0)
	v_cmp_neq_f32_e32 vcc, 0, v137
	s_and_b64 exec, exec, vcc
	s_cbranch_execz .LBB77_86
; %bb.85:
	v_div_scale_f32 v138, s[4:5], v137, v137, 1.0
	v_rcp_f32_e32 v139, v138
	v_div_scale_f32 v140, vcc, 1.0, v137, 1.0
	v_fma_f32 v141, -v138, v139, 1.0
	v_fmac_f32_e32 v139, v141, v139
	v_mul_f32_e32 v141, v140, v139
	v_fma_f32 v142, -v138, v141, v140
	v_fmac_f32_e32 v141, v142, v139
	v_fma_f32 v138, -v138, v141, v140
	v_div_fmas_f32 v138, v138, v139, v141
	v_div_fixup_f32 v137, v138, v137, 1.0
	ds_write_b32 v120, v137
.LBB77_86:
	s_or_b64 exec, exec, s[2:3]
	s_waitcnt lgkmcnt(0)
	s_barrier
	ds_read_b32 v137, v120
	v_cmp_lt_u32_e32 vcc, 15, v25
	s_and_saveexec_b64 s[2:3], vcc
	s_cbranch_execz .LBB77_88
; %bb.87:
	ds_read_b32 v144, v121 offset:64
	ds_read2_b32 v[138:139], v121 offset0:17 offset1:18
	ds_read2_b32 v[140:141], v121 offset0:19 offset1:20
	s_waitcnt vmcnt(23) lgkmcnt(3)
	v_mul_f32_e32 v48, v137, v48
	ds_read2_b32 v[142:143], v121 offset0:21 offset1:22
	s_waitcnt vmcnt(22) lgkmcnt(3)
	v_fma_f32 v49, -v48, v144, v49
	s_waitcnt vmcnt(20) lgkmcnt(2)
	v_pk_fma_f32 v[74:75], v[48:49], v[138:139], v[74:75] op_sel_hi:[0,1,1] neg_lo:[1,0,0] neg_hi:[1,0,0]
	s_waitcnt vmcnt(18) lgkmcnt(1)
	v_pk_fma_f32 v[68:69], v[48:49], v[140:141], v[68:69] op_sel_hi:[0,1,1] neg_lo:[1,0,0] neg_hi:[1,0,0]
	ds_read2_b32 v[138:139], v121 offset0:23 offset1:24
	ds_read2_b32 v[140:141], v121 offset0:25 offset1:26
	;; [unrolled: 1-line block ×3, first 2 shown]
	s_waitcnt vmcnt(16) lgkmcnt(3)
	v_pk_fma_f32 v[70:71], v[48:49], v[142:143], v[70:71] op_sel_hi:[0,1,1] neg_lo:[1,0,0] neg_hi:[1,0,0]
	ds_read2_b32 v[142:143], v121 offset0:29 offset1:30
	s_waitcnt vmcnt(14) lgkmcnt(3)
	v_pk_fma_f32 v[72:73], v[48:49], v[138:139], v[72:73] op_sel_hi:[0,1,1] neg_lo:[1,0,0] neg_hi:[1,0,0]
	s_waitcnt vmcnt(12) lgkmcnt(2)
	v_pk_fma_f32 v[94:95], v[48:49], v[140:141], v[94:95] op_sel_hi:[0,1,1] neg_lo:[1,0,0] neg_hi:[1,0,0]
	;; [unrolled: 2-line block ×3, first 2 shown]
	ds_read2_b32 v[138:139], v121 offset0:31 offset1:32
	ds_read2_b32 v[140:141], v121 offset0:33 offset1:34
	;; [unrolled: 1-line block ×4, first 2 shown]
	s_waitcnt vmcnt(8) lgkmcnt(4)
	v_pk_fma_f32 v[98:99], v[48:49], v[142:143], v[98:99] op_sel_hi:[0,1,1] neg_lo:[1,0,0] neg_hi:[1,0,0]
	s_waitcnt vmcnt(6) lgkmcnt(3)
	v_pk_fma_f32 v[92:93], v[48:49], v[138:139], v[92:93] op_sel_hi:[0,1,1] neg_lo:[1,0,0] neg_hi:[1,0,0]
	;; [unrolled: 2-line block ×5, first 2 shown]
.LBB77_88:
	s_or_b64 exec, exec, s[2:3]
	v_cmp_ne_u32_e32 vcc, 16, v25
	s_waitcnt lgkmcnt(0)
	s_barrier
	s_and_saveexec_b64 s[2:3], vcc
	s_xor_b64 s[2:3], exec, s[2:3]
	s_andn2_saveexec_b64 s[2:3], s[2:3]
	s_cbranch_execz .LBB77_92
; %bb.89:
	s_waitcnt vmcnt(22)
	ds_write_b32 v120, v49
	s_waitcnt vmcnt(20)
	ds_write2_b32 v121, v74, v75 offset0:17 offset1:18
	s_waitcnt vmcnt(18)
	ds_write2_b32 v121, v68, v69 offset0:19 offset1:20
	;; [unrolled: 2-line block ×11, first 2 shown]
	ds_read_b32 v138, v120
	s_waitcnt lgkmcnt(0)
	v_cmp_neq_f32_e32 vcc, 0, v138
	s_and_saveexec_b64 s[4:5], vcc
	s_cbranch_execz .LBB77_91
; %bb.90:
	v_div_scale_f32 v139, s[10:11], v138, v138, 1.0
	v_rcp_f32_e32 v140, v139
	v_div_scale_f32 v141, vcc, 1.0, v138, 1.0
	v_fma_f32 v142, -v139, v140, 1.0
	v_fmac_f32_e32 v140, v142, v140
	v_mul_f32_e32 v142, v141, v140
	v_fma_f32 v143, -v139, v142, v141
	v_fmac_f32_e32 v142, v143, v140
	v_fma_f32 v139, -v139, v142, v141
	v_div_fmas_f32 v139, v139, v140, v142
	v_div_fixup_f32 v138, v139, v138, 1.0
	ds_write_b32 v120, v138
.LBB77_91:
	s_or_b64 exec, exec, s[4:5]
.LBB77_92:
	s_or_b64 exec, exec, s[2:3]
	s_waitcnt lgkmcnt(0)
	s_barrier
	ds_read_b32 v138, v120
	v_cmp_lt_u32_e32 vcc, 16, v25
	s_and_saveexec_b64 s[2:3], vcc
	s_cbranch_execz .LBB77_94
; %bb.93:
	ds_read2_b32 v[140:141], v121 offset0:17 offset1:18
	ds_read2_b32 v[142:143], v121 offset0:19 offset1:20
	ds_read2_b32 v[144:145], v121 offset0:21 offset1:22
	s_waitcnt vmcnt(22) lgkmcnt(3)
	v_mul_f32_e32 v146, v138, v49
	ds_read2_b32 v[148:149], v121 offset0:23 offset1:24
	s_waitcnt vmcnt(20) lgkmcnt(3)
	v_pk_fma_f32 v[74:75], v[146:147], v[140:141], v[74:75] op_sel_hi:[0,1,1] neg_lo:[1,0,0] neg_hi:[1,0,0]
	s_waitcnt vmcnt(18) lgkmcnt(2)
	v_pk_fma_f32 v[68:69], v[146:147], v[142:143], v[68:69] op_sel_hi:[0,1,1] neg_lo:[1,0,0] neg_hi:[1,0,0]
	ds_read2_b32 v[140:141], v121 offset0:25 offset1:26
	ds_read2_b32 v[142:143], v121 offset0:27 offset1:28
	s_waitcnt vmcnt(16) lgkmcnt(3)
	v_pk_fma_f32 v[70:71], v[146:147], v[144:145], v[70:71] op_sel_hi:[0,1,1] neg_lo:[1,0,0] neg_hi:[1,0,0]
	s_waitcnt vmcnt(14) lgkmcnt(2)
	v_pk_fma_f32 v[72:73], v[146:147], v[148:149], v[72:73] op_sel_hi:[0,1,1] neg_lo:[1,0,0] neg_hi:[1,0,0]
	ds_read2_b32 v[144:145], v121 offset0:29 offset1:30
	;; [unrolled: 6-line block ×3, first 2 shown]
	ds_read2_b32 v[142:143], v121 offset0:35 offset1:36
	ds_read2_b32 v[150:151], v121 offset0:37 offset1:38
	s_waitcnt vmcnt(8) lgkmcnt(4)
	v_pk_fma_f32 v[98:99], v[146:147], v[144:145], v[98:99] op_sel_hi:[0,1,1] neg_lo:[1,0,0] neg_hi:[1,0,0]
	s_waitcnt vmcnt(6) lgkmcnt(3)
	v_pk_fma_f32 v[92:93], v[146:147], v[148:149], v[92:93] op_sel_hi:[0,1,1] neg_lo:[1,0,0] neg_hi:[1,0,0]
	;; [unrolled: 2-line block ×5, first 2 shown]
	v_mov_b32_e32 v49, v146
.LBB77_94:
	s_or_b64 exec, exec, s[2:3]
	v_cmp_eq_u32_e32 vcc, 17, v25
	s_waitcnt lgkmcnt(0)
	s_barrier
	s_and_saveexec_b64 s[2:3], vcc
	s_cbranch_execz .LBB77_97
; %bb.95:
	s_waitcnt vmcnt(18)
	v_pk_mov_b32 v[140:141], v[74:75], v[68:69] op_sel:[1,0]
	ds_write_b32 v120, v74
	ds_write2_b32 v121, v140, v141 offset0:18 offset1:19
	s_waitcnt vmcnt(16)
	v_pk_mov_b32 v[140:141], v[68:69], v[70:71] op_sel:[1,0]
	ds_write2_b32 v121, v140, v141 offset0:20 offset1:21
	s_waitcnt vmcnt(14)
	v_pk_mov_b32 v[140:141], v[70:71], v[72:73] op_sel:[1,0]
	;; [unrolled: 3-line block ×9, first 2 shown]
	ds_write2_b32 v121, v140, v141 offset0:36 offset1:37
	ds_write_b32 v121, v119 offset:152
	ds_read_b32 v139, v120
	s_waitcnt lgkmcnt(0)
	v_cmp_neq_f32_e32 vcc, 0, v139
	s_and_b64 exec, exec, vcc
	s_cbranch_execz .LBB77_97
; %bb.96:
	v_div_scale_f32 v140, s[4:5], v139, v139, 1.0
	v_rcp_f32_e32 v141, v140
	v_div_scale_f32 v142, vcc, 1.0, v139, 1.0
	v_fma_f32 v143, -v140, v141, 1.0
	v_fmac_f32_e32 v141, v143, v141
	v_mul_f32_e32 v143, v142, v141
	v_fma_f32 v144, -v140, v143, v142
	v_fmac_f32_e32 v143, v144, v141
	v_fma_f32 v140, -v140, v143, v142
	v_div_fmas_f32 v140, v140, v141, v143
	v_div_fixup_f32 v139, v140, v139, 1.0
	ds_write_b32 v120, v139
.LBB77_97:
	s_or_b64 exec, exec, s[2:3]
	s_waitcnt lgkmcnt(0)
	s_barrier
	ds_read_b32 v139, v120
	v_cmp_lt_u32_e32 vcc, 17, v25
	s_and_saveexec_b64 s[2:3], vcc
	s_cbranch_execz .LBB77_99
; %bb.98:
	ds_read_b32 v146, v121 offset:72
	ds_read2_b32 v[140:141], v121 offset0:19 offset1:20
	ds_read2_b32 v[142:143], v121 offset0:21 offset1:22
	s_waitcnt vmcnt(21) lgkmcnt(3)
	v_mul_f32_e32 v74, v139, v74
	ds_read2_b32 v[144:145], v121 offset0:23 offset1:24
	s_waitcnt vmcnt(20) lgkmcnt(3)
	v_fma_f32 v75, -v74, v146, v75
	s_waitcnt vmcnt(18) lgkmcnt(2)
	v_pk_fma_f32 v[68:69], v[74:75], v[140:141], v[68:69] op_sel_hi:[0,1,1] neg_lo:[1,0,0] neg_hi:[1,0,0]
	s_waitcnt vmcnt(16) lgkmcnt(1)
	v_pk_fma_f32 v[70:71], v[74:75], v[142:143], v[70:71] op_sel_hi:[0,1,1] neg_lo:[1,0,0] neg_hi:[1,0,0]
	ds_read2_b32 v[140:141], v121 offset0:25 offset1:26
	ds_read2_b32 v[142:143], v121 offset0:27 offset1:28
	s_waitcnt vmcnt(14) lgkmcnt(2)
	v_pk_fma_f32 v[72:73], v[74:75], v[144:145], v[72:73] op_sel_hi:[0,1,1] neg_lo:[1,0,0] neg_hi:[1,0,0]
	ds_read2_b32 v[144:145], v121 offset0:29 offset1:30
	ds_read2_b32 v[146:147], v121 offset0:31 offset1:32
	s_waitcnt vmcnt(12) lgkmcnt(3)
	v_pk_fma_f32 v[94:95], v[74:75], v[140:141], v[94:95] op_sel_hi:[0,1,1] neg_lo:[1,0,0] neg_hi:[1,0,0]
	s_waitcnt vmcnt(10) lgkmcnt(2)
	v_pk_fma_f32 v[96:97], v[74:75], v[142:143], v[96:97] op_sel_hi:[0,1,1] neg_lo:[1,0,0] neg_hi:[1,0,0]
	ds_read2_b32 v[140:141], v121 offset0:33 offset1:34
	ds_read2_b32 v[142:143], v121 offset0:35 offset1:36
	;; [unrolled: 1-line block ×3, first 2 shown]
	s_waitcnt vmcnt(8) lgkmcnt(4)
	v_pk_fma_f32 v[98:99], v[74:75], v[144:145], v[98:99] op_sel_hi:[0,1,1] neg_lo:[1,0,0] neg_hi:[1,0,0]
	s_waitcnt vmcnt(6) lgkmcnt(3)
	v_pk_fma_f32 v[92:93], v[74:75], v[146:147], v[92:93] op_sel_hi:[0,1,1] neg_lo:[1,0,0] neg_hi:[1,0,0]
	;; [unrolled: 2-line block ×5, first 2 shown]
.LBB77_99:
	s_or_b64 exec, exec, s[2:3]
	v_cmp_ne_u32_e32 vcc, 18, v25
	s_waitcnt lgkmcnt(0)
	s_barrier
	s_and_saveexec_b64 s[2:3], vcc
	s_xor_b64 s[2:3], exec, s[2:3]
	s_andn2_saveexec_b64 s[2:3], s[2:3]
	s_cbranch_execz .LBB77_103
; %bb.100:
	s_waitcnt vmcnt(20)
	ds_write_b32 v120, v75
	s_waitcnt vmcnt(18)
	ds_write2_b32 v121, v68, v69 offset0:19 offset1:20
	s_waitcnt vmcnt(16)
	ds_write2_b32 v121, v70, v71 offset0:21 offset1:22
	;; [unrolled: 2-line block ×10, first 2 shown]
	ds_read_b32 v140, v120
	s_waitcnt lgkmcnt(0)
	v_cmp_neq_f32_e32 vcc, 0, v140
	s_and_saveexec_b64 s[4:5], vcc
	s_cbranch_execz .LBB77_102
; %bb.101:
	v_div_scale_f32 v141, s[10:11], v140, v140, 1.0
	v_rcp_f32_e32 v142, v141
	v_div_scale_f32 v143, vcc, 1.0, v140, 1.0
	v_fma_f32 v144, -v141, v142, 1.0
	v_fmac_f32_e32 v142, v144, v142
	v_mul_f32_e32 v144, v143, v142
	v_fma_f32 v145, -v141, v144, v143
	v_fmac_f32_e32 v144, v145, v142
	v_fma_f32 v141, -v141, v144, v143
	v_div_fmas_f32 v141, v141, v142, v144
	v_div_fixup_f32 v140, v141, v140, 1.0
	ds_write_b32 v120, v140
.LBB77_102:
	s_or_b64 exec, exec, s[4:5]
.LBB77_103:
	s_or_b64 exec, exec, s[2:3]
	s_waitcnt lgkmcnt(0)
	s_barrier
	ds_read_b32 v140, v120
	v_cmp_lt_u32_e32 vcc, 18, v25
	s_and_saveexec_b64 s[2:3], vcc
	s_cbranch_execz .LBB77_105
; %bb.104:
	ds_read2_b32 v[142:143], v121 offset0:19 offset1:20
	ds_read2_b32 v[144:145], v121 offset0:21 offset1:22
	;; [unrolled: 1-line block ×3, first 2 shown]
	s_waitcnt vmcnt(20) lgkmcnt(3)
	v_mul_f32_e32 v148, v140, v75
	ds_read2_b32 v[150:151], v121 offset0:25 offset1:26
	s_waitcnt vmcnt(18) lgkmcnt(3)
	v_pk_fma_f32 v[68:69], v[148:149], v[142:143], v[68:69] op_sel_hi:[0,1,1] neg_lo:[1,0,0] neg_hi:[1,0,0]
	ds_read2_b32 v[142:143], v121 offset0:27 offset1:28
	s_waitcnt vmcnt(16) lgkmcnt(3)
	v_pk_fma_f32 v[70:71], v[148:149], v[144:145], v[70:71] op_sel_hi:[0,1,1] neg_lo:[1,0,0] neg_hi:[1,0,0]
	s_waitcnt vmcnt(14) lgkmcnt(2)
	v_pk_fma_f32 v[72:73], v[148:149], v[146:147], v[72:73] op_sel_hi:[0,1,1] neg_lo:[1,0,0] neg_hi:[1,0,0]
	;; [unrolled: 2-line block ×3, first 2 shown]
	ds_read2_b32 v[144:145], v121 offset0:29 offset1:30
	ds_read2_b32 v[146:147], v121 offset0:31 offset1:32
	;; [unrolled: 1-line block ×3, first 2 shown]
	s_waitcnt vmcnt(10) lgkmcnt(3)
	v_pk_fma_f32 v[96:97], v[148:149], v[142:143], v[96:97] op_sel_hi:[0,1,1] neg_lo:[1,0,0] neg_hi:[1,0,0]
	ds_read2_b32 v[142:143], v121 offset0:35 offset1:36
	ds_read2_b32 v[152:153], v121 offset0:37 offset1:38
	s_waitcnt vmcnt(8) lgkmcnt(4)
	v_pk_fma_f32 v[98:99], v[148:149], v[144:145], v[98:99] op_sel_hi:[0,1,1] neg_lo:[1,0,0] neg_hi:[1,0,0]
	s_waitcnt vmcnt(6) lgkmcnt(3)
	v_pk_fma_f32 v[92:93], v[148:149], v[146:147], v[92:93] op_sel_hi:[0,1,1] neg_lo:[1,0,0] neg_hi:[1,0,0]
	;; [unrolled: 2-line block ×5, first 2 shown]
	v_mov_b32_e32 v75, v148
.LBB77_105:
	s_or_b64 exec, exec, s[2:3]
	v_cmp_eq_u32_e32 vcc, 19, v25
	s_waitcnt lgkmcnt(0)
	s_barrier
	s_and_saveexec_b64 s[2:3], vcc
	s_cbranch_execz .LBB77_108
; %bb.106:
	s_waitcnt vmcnt(16)
	v_pk_mov_b32 v[142:143], v[68:69], v[70:71] op_sel:[1,0]
	ds_write_b32 v120, v68
	ds_write2_b32 v121, v142, v143 offset0:20 offset1:21
	s_waitcnt vmcnt(14)
	v_pk_mov_b32 v[142:143], v[70:71], v[72:73] op_sel:[1,0]
	ds_write2_b32 v121, v142, v143 offset0:22 offset1:23
	s_waitcnt vmcnt(12)
	v_pk_mov_b32 v[142:143], v[72:73], v[94:95] op_sel:[1,0]
	;; [unrolled: 3-line block ×8, first 2 shown]
	ds_write2_b32 v121, v142, v143 offset0:36 offset1:37
	ds_write_b32 v121, v119 offset:152
	ds_read_b32 v141, v120
	s_waitcnt lgkmcnt(0)
	v_cmp_neq_f32_e32 vcc, 0, v141
	s_and_b64 exec, exec, vcc
	s_cbranch_execz .LBB77_108
; %bb.107:
	v_div_scale_f32 v142, s[4:5], v141, v141, 1.0
	v_rcp_f32_e32 v143, v142
	v_div_scale_f32 v144, vcc, 1.0, v141, 1.0
	v_fma_f32 v145, -v142, v143, 1.0
	v_fmac_f32_e32 v143, v145, v143
	v_mul_f32_e32 v145, v144, v143
	v_fma_f32 v146, -v142, v145, v144
	v_fmac_f32_e32 v145, v146, v143
	v_fma_f32 v142, -v142, v145, v144
	v_div_fmas_f32 v142, v142, v143, v145
	v_div_fixup_f32 v141, v142, v141, 1.0
	ds_write_b32 v120, v141
.LBB77_108:
	s_or_b64 exec, exec, s[2:3]
	s_waitcnt lgkmcnt(0)
	s_barrier
	ds_read_b32 v141, v120
	v_cmp_lt_u32_e32 vcc, 19, v25
	s_and_saveexec_b64 s[2:3], vcc
	s_cbranch_execz .LBB77_110
; %bb.109:
	ds_read_b32 v148, v121 offset:80
	ds_read2_b32 v[142:143], v121 offset0:21 offset1:22
	ds_read2_b32 v[144:145], v121 offset0:23 offset1:24
	s_waitcnt vmcnt(19) lgkmcnt(3)
	v_mul_f32_e32 v68, v141, v68
	ds_read2_b32 v[146:147], v121 offset0:25 offset1:26
	s_waitcnt vmcnt(18) lgkmcnt(3)
	v_fma_f32 v69, -v68, v148, v69
	s_waitcnt vmcnt(16) lgkmcnt(2)
	v_pk_fma_f32 v[70:71], v[68:69], v[142:143], v[70:71] op_sel_hi:[0,1,1] neg_lo:[1,0,0] neg_hi:[1,0,0]
	ds_read2_b32 v[142:143], v121 offset0:27 offset1:28
	s_waitcnt vmcnt(14) lgkmcnt(2)
	v_pk_fma_f32 v[72:73], v[68:69], v[144:145], v[72:73] op_sel_hi:[0,1,1] neg_lo:[1,0,0] neg_hi:[1,0,0]
	s_waitcnt vmcnt(12) lgkmcnt(1)
	v_pk_fma_f32 v[94:95], v[68:69], v[146:147], v[94:95] op_sel_hi:[0,1,1] neg_lo:[1,0,0] neg_hi:[1,0,0]
	ds_read2_b32 v[144:145], v121 offset0:29 offset1:30
	ds_read2_b32 v[146:147], v121 offset0:31 offset1:32
	;; [unrolled: 1-line block ×3, first 2 shown]
	s_waitcnt vmcnt(10) lgkmcnt(3)
	v_pk_fma_f32 v[96:97], v[68:69], v[142:143], v[96:97] op_sel_hi:[0,1,1] neg_lo:[1,0,0] neg_hi:[1,0,0]
	ds_read2_b32 v[142:143], v121 offset0:35 offset1:36
	ds_read2_b32 v[150:151], v121 offset0:37 offset1:38
	s_waitcnt vmcnt(8) lgkmcnt(4)
	v_pk_fma_f32 v[98:99], v[68:69], v[144:145], v[98:99] op_sel_hi:[0,1,1] neg_lo:[1,0,0] neg_hi:[1,0,0]
	s_waitcnt vmcnt(6) lgkmcnt(3)
	v_pk_fma_f32 v[92:93], v[68:69], v[146:147], v[92:93] op_sel_hi:[0,1,1] neg_lo:[1,0,0] neg_hi:[1,0,0]
	;; [unrolled: 2-line block ×5, first 2 shown]
.LBB77_110:
	s_or_b64 exec, exec, s[2:3]
	v_cmp_ne_u32_e32 vcc, 20, v25
	s_waitcnt lgkmcnt(0)
	s_barrier
	s_and_saveexec_b64 s[2:3], vcc
	s_xor_b64 s[2:3], exec, s[2:3]
	s_andn2_saveexec_b64 s[2:3], s[2:3]
	s_cbranch_execz .LBB77_114
; %bb.111:
	s_waitcnt vmcnt(18)
	ds_write_b32 v120, v69
	s_waitcnt vmcnt(16)
	ds_write2_b32 v121, v70, v71 offset0:21 offset1:22
	s_waitcnt vmcnt(14)
	ds_write2_b32 v121, v72, v73 offset0:23 offset1:24
	;; [unrolled: 2-line block ×9, first 2 shown]
	ds_read_b32 v142, v120
	s_waitcnt lgkmcnt(0)
	v_cmp_neq_f32_e32 vcc, 0, v142
	s_and_saveexec_b64 s[4:5], vcc
	s_cbranch_execz .LBB77_113
; %bb.112:
	v_div_scale_f32 v143, s[10:11], v142, v142, 1.0
	v_rcp_f32_e32 v144, v143
	v_div_scale_f32 v145, vcc, 1.0, v142, 1.0
	v_fma_f32 v146, -v143, v144, 1.0
	v_fmac_f32_e32 v144, v146, v144
	v_mul_f32_e32 v146, v145, v144
	v_fma_f32 v147, -v143, v146, v145
	v_fmac_f32_e32 v146, v147, v144
	v_fma_f32 v143, -v143, v146, v145
	v_div_fmas_f32 v143, v143, v144, v146
	v_div_fixup_f32 v142, v143, v142, 1.0
	ds_write_b32 v120, v142
.LBB77_113:
	s_or_b64 exec, exec, s[4:5]
.LBB77_114:
	s_or_b64 exec, exec, s[2:3]
	s_waitcnt lgkmcnt(0)
	s_barrier
	ds_read_b32 v142, v120
	v_cmp_lt_u32_e32 vcc, 20, v25
	s_and_saveexec_b64 s[2:3], vcc
	s_cbranch_execz .LBB77_116
; %bb.115:
	ds_read2_b32 v[144:145], v121 offset0:21 offset1:22
	ds_read2_b32 v[146:147], v121 offset0:23 offset1:24
	ds_read2_b32 v[148:149], v121 offset0:25 offset1:26
	ds_read2_b32 v[150:151], v121 offset0:27 offset1:28
	s_waitcnt vmcnt(18) lgkmcnt(4)
	v_mul_f32_e32 v152, v142, v69
	s_waitcnt vmcnt(16) lgkmcnt(3)
	v_pk_fma_f32 v[70:71], v[152:153], v[144:145], v[70:71] op_sel_hi:[0,1,1] neg_lo:[1,0,0] neg_hi:[1,0,0]
	s_waitcnt vmcnt(14) lgkmcnt(2)
	v_pk_fma_f32 v[72:73], v[152:153], v[146:147], v[72:73] op_sel_hi:[0,1,1] neg_lo:[1,0,0] neg_hi:[1,0,0]
	;; [unrolled: 2-line block ×4, first 2 shown]
	ds_read2_b32 v[144:145], v121 offset0:29 offset1:30
	ds_read2_b32 v[146:147], v121 offset0:31 offset1:32
	;; [unrolled: 1-line block ×5, first 2 shown]
	s_waitcnt vmcnt(8) lgkmcnt(4)
	v_pk_fma_f32 v[98:99], v[152:153], v[144:145], v[98:99] op_sel_hi:[0,1,1] neg_lo:[1,0,0] neg_hi:[1,0,0]
	s_waitcnt vmcnt(6) lgkmcnt(3)
	v_pk_fma_f32 v[92:93], v[152:153], v[146:147], v[92:93] op_sel_hi:[0,1,1] neg_lo:[1,0,0] neg_hi:[1,0,0]
	;; [unrolled: 2-line block ×5, first 2 shown]
	v_mov_b32_e32 v69, v152
.LBB77_116:
	s_or_b64 exec, exec, s[2:3]
	v_cmp_eq_u32_e32 vcc, 21, v25
	s_waitcnt lgkmcnt(0)
	s_barrier
	s_and_saveexec_b64 s[2:3], vcc
	s_cbranch_execz .LBB77_119
; %bb.117:
	s_waitcnt vmcnt(14)
	v_pk_mov_b32 v[144:145], v[70:71], v[72:73] op_sel:[1,0]
	ds_write_b32 v120, v70
	ds_write2_b32 v121, v144, v145 offset0:22 offset1:23
	s_waitcnt vmcnt(12)
	v_pk_mov_b32 v[144:145], v[72:73], v[94:95] op_sel:[1,0]
	ds_write2_b32 v121, v144, v145 offset0:24 offset1:25
	s_waitcnt vmcnt(10)
	v_pk_mov_b32 v[144:145], v[94:95], v[96:97] op_sel:[1,0]
	;; [unrolled: 3-line block ×7, first 2 shown]
	ds_write2_b32 v121, v144, v145 offset0:36 offset1:37
	ds_write_b32 v121, v119 offset:152
	ds_read_b32 v143, v120
	s_waitcnt lgkmcnt(0)
	v_cmp_neq_f32_e32 vcc, 0, v143
	s_and_b64 exec, exec, vcc
	s_cbranch_execz .LBB77_119
; %bb.118:
	v_div_scale_f32 v144, s[4:5], v143, v143, 1.0
	v_rcp_f32_e32 v145, v144
	v_div_scale_f32 v146, vcc, 1.0, v143, 1.0
	v_fma_f32 v147, -v144, v145, 1.0
	v_fmac_f32_e32 v145, v147, v145
	v_mul_f32_e32 v147, v146, v145
	v_fma_f32 v148, -v144, v147, v146
	v_fmac_f32_e32 v147, v148, v145
	v_fma_f32 v144, -v144, v147, v146
	v_div_fmas_f32 v144, v144, v145, v147
	v_div_fixup_f32 v143, v144, v143, 1.0
	ds_write_b32 v120, v143
.LBB77_119:
	s_or_b64 exec, exec, s[2:3]
	s_waitcnt lgkmcnt(0)
	s_barrier
	ds_read_b32 v143, v120
	v_cmp_lt_u32_e32 vcc, 21, v25
	s_and_saveexec_b64 s[2:3], vcc
	s_cbranch_execz .LBB77_121
; %bb.120:
	ds_read_b32 v150, v121 offset:88
	ds_read2_b32 v[144:145], v121 offset0:23 offset1:24
	ds_read2_b32 v[146:147], v121 offset0:25 offset1:26
	;; [unrolled: 1-line block ×3, first 2 shown]
	s_waitcnt vmcnt(17) lgkmcnt(4)
	v_mul_f32_e32 v70, v143, v70
	s_waitcnt vmcnt(16) lgkmcnt(3)
	v_fma_f32 v71, -v70, v150, v71
	s_waitcnt vmcnt(14) lgkmcnt(2)
	v_pk_fma_f32 v[72:73], v[70:71], v[144:145], v[72:73] op_sel_hi:[0,1,1] neg_lo:[1,0,0] neg_hi:[1,0,0]
	s_waitcnt vmcnt(12) lgkmcnt(1)
	v_pk_fma_f32 v[94:95], v[70:71], v[146:147], v[94:95] op_sel_hi:[0,1,1] neg_lo:[1,0,0] neg_hi:[1,0,0]
	;; [unrolled: 2-line block ×3, first 2 shown]
	ds_read2_b32 v[144:145], v121 offset0:29 offset1:30
	ds_read2_b32 v[146:147], v121 offset0:31 offset1:32
	;; [unrolled: 1-line block ×5, first 2 shown]
	s_waitcnt vmcnt(8) lgkmcnt(4)
	v_pk_fma_f32 v[98:99], v[70:71], v[144:145], v[98:99] op_sel_hi:[0,1,1] neg_lo:[1,0,0] neg_hi:[1,0,0]
	s_waitcnt vmcnt(6) lgkmcnt(3)
	v_pk_fma_f32 v[92:93], v[70:71], v[146:147], v[92:93] op_sel_hi:[0,1,1] neg_lo:[1,0,0] neg_hi:[1,0,0]
	;; [unrolled: 2-line block ×5, first 2 shown]
.LBB77_121:
	s_or_b64 exec, exec, s[2:3]
	v_cmp_ne_u32_e32 vcc, 22, v25
	s_waitcnt lgkmcnt(0)
	s_barrier
	s_and_saveexec_b64 s[2:3], vcc
	s_xor_b64 s[2:3], exec, s[2:3]
	s_andn2_saveexec_b64 s[2:3], s[2:3]
	s_cbranch_execz .LBB77_125
; %bb.122:
	s_waitcnt vmcnt(16)
	ds_write_b32 v120, v71
	s_waitcnt vmcnt(14)
	ds_write2_b32 v121, v72, v73 offset0:23 offset1:24
	s_waitcnt vmcnt(12)
	ds_write2_b32 v121, v94, v95 offset0:25 offset1:26
	;; [unrolled: 2-line block ×8, first 2 shown]
	ds_read_b32 v144, v120
	s_waitcnt lgkmcnt(0)
	v_cmp_neq_f32_e32 vcc, 0, v144
	s_and_saveexec_b64 s[4:5], vcc
	s_cbranch_execz .LBB77_124
; %bb.123:
	v_div_scale_f32 v145, s[10:11], v144, v144, 1.0
	v_rcp_f32_e32 v146, v145
	v_div_scale_f32 v147, vcc, 1.0, v144, 1.0
	v_fma_f32 v148, -v145, v146, 1.0
	v_fmac_f32_e32 v146, v148, v146
	v_mul_f32_e32 v148, v147, v146
	v_fma_f32 v149, -v145, v148, v147
	v_fmac_f32_e32 v148, v149, v146
	v_fma_f32 v145, -v145, v148, v147
	v_div_fmas_f32 v145, v145, v146, v148
	v_div_fixup_f32 v144, v145, v144, 1.0
	ds_write_b32 v120, v144
.LBB77_124:
	s_or_b64 exec, exec, s[4:5]
.LBB77_125:
	s_or_b64 exec, exec, s[2:3]
	s_waitcnt lgkmcnt(0)
	s_barrier
	ds_read_b32 v144, v120
	v_cmp_lt_u32_e32 vcc, 22, v25
	s_and_saveexec_b64 s[2:3], vcc
	s_cbranch_execz .LBB77_127
; %bb.126:
	ds_read2_b32 v[146:147], v121 offset0:23 offset1:24
	ds_read2_b32 v[148:149], v121 offset0:25 offset1:26
	;; [unrolled: 1-line block ×3, first 2 shown]
	s_waitcnt vmcnt(16) lgkmcnt(3)
	v_mul_f32_e32 v152, v144, v71
	ds_read2_b32 v[154:155], v121 offset0:29 offset1:30
	s_waitcnt vmcnt(14) lgkmcnt(3)
	v_pk_fma_f32 v[72:73], v[152:153], v[146:147], v[72:73] op_sel_hi:[0,1,1] neg_lo:[1,0,0] neg_hi:[1,0,0]
	s_waitcnt vmcnt(12) lgkmcnt(2)
	v_pk_fma_f32 v[94:95], v[152:153], v[148:149], v[94:95] op_sel_hi:[0,1,1] neg_lo:[1,0,0] neg_hi:[1,0,0]
	;; [unrolled: 2-line block ×3, first 2 shown]
	ds_read2_b32 v[146:147], v121 offset0:31 offset1:32
	ds_read2_b32 v[148:149], v121 offset0:33 offset1:34
	;; [unrolled: 1-line block ×4, first 2 shown]
	s_waitcnt vmcnt(8) lgkmcnt(4)
	v_pk_fma_f32 v[98:99], v[152:153], v[154:155], v[98:99] op_sel_hi:[0,1,1] neg_lo:[1,0,0] neg_hi:[1,0,0]
	s_waitcnt vmcnt(6) lgkmcnt(3)
	v_pk_fma_f32 v[92:93], v[152:153], v[146:147], v[92:93] op_sel_hi:[0,1,1] neg_lo:[1,0,0] neg_hi:[1,0,0]
	;; [unrolled: 2-line block ×5, first 2 shown]
	v_mov_b32_e32 v71, v152
.LBB77_127:
	s_or_b64 exec, exec, s[2:3]
	v_cmp_eq_u32_e32 vcc, 23, v25
	s_waitcnt lgkmcnt(0)
	s_barrier
	s_and_saveexec_b64 s[2:3], vcc
	s_cbranch_execz .LBB77_130
; %bb.128:
	s_waitcnt vmcnt(12)
	v_pk_mov_b32 v[146:147], v[72:73], v[94:95] op_sel:[1,0]
	ds_write_b32 v120, v72
	ds_write2_b32 v121, v146, v147 offset0:24 offset1:25
	s_waitcnt vmcnt(10)
	v_pk_mov_b32 v[146:147], v[94:95], v[96:97] op_sel:[1,0]
	ds_write2_b32 v121, v146, v147 offset0:26 offset1:27
	s_waitcnt vmcnt(8)
	v_pk_mov_b32 v[146:147], v[96:97], v[98:99] op_sel:[1,0]
	;; [unrolled: 3-line block ×6, first 2 shown]
	ds_write2_b32 v121, v146, v147 offset0:36 offset1:37
	ds_write_b32 v121, v119 offset:152
	ds_read_b32 v145, v120
	s_waitcnt lgkmcnt(0)
	v_cmp_neq_f32_e32 vcc, 0, v145
	s_and_b64 exec, exec, vcc
	s_cbranch_execz .LBB77_130
; %bb.129:
	v_div_scale_f32 v146, s[4:5], v145, v145, 1.0
	v_rcp_f32_e32 v147, v146
	v_div_scale_f32 v148, vcc, 1.0, v145, 1.0
	v_fma_f32 v149, -v146, v147, 1.0
	v_fmac_f32_e32 v147, v149, v147
	v_mul_f32_e32 v149, v148, v147
	v_fma_f32 v150, -v146, v149, v148
	v_fmac_f32_e32 v149, v150, v147
	v_fma_f32 v146, -v146, v149, v148
	v_div_fmas_f32 v146, v146, v147, v149
	v_div_fixup_f32 v145, v146, v145, 1.0
	ds_write_b32 v120, v145
.LBB77_130:
	s_or_b64 exec, exec, s[2:3]
	s_waitcnt lgkmcnt(0)
	s_barrier
	ds_read_b32 v145, v120
	v_cmp_lt_u32_e32 vcc, 23, v25
	s_and_saveexec_b64 s[2:3], vcc
	s_cbranch_execz .LBB77_132
; %bb.131:
	ds_read_b32 v152, v121 offset:96
	ds_read2_b32 v[146:147], v121 offset0:25 offset1:26
	ds_read2_b32 v[148:149], v121 offset0:27 offset1:28
	s_waitcnt vmcnt(15) lgkmcnt(3)
	v_mul_f32_e32 v72, v145, v72
	ds_read2_b32 v[150:151], v121 offset0:29 offset1:30
	s_waitcnt vmcnt(14) lgkmcnt(3)
	v_fma_f32 v73, -v72, v152, v73
	s_waitcnt vmcnt(12) lgkmcnt(2)
	v_pk_fma_f32 v[94:95], v[72:73], v[146:147], v[94:95] op_sel_hi:[0,1,1] neg_lo:[1,0,0] neg_hi:[1,0,0]
	s_waitcnt vmcnt(10) lgkmcnt(1)
	v_pk_fma_f32 v[96:97], v[72:73], v[148:149], v[96:97] op_sel_hi:[0,1,1] neg_lo:[1,0,0] neg_hi:[1,0,0]
	ds_read2_b32 v[146:147], v121 offset0:31 offset1:32
	ds_read2_b32 v[148:149], v121 offset0:33 offset1:34
	ds_read2_b32 v[152:153], v121 offset0:35 offset1:36
	ds_read2_b32 v[154:155], v121 offset0:37 offset1:38
	s_waitcnt vmcnt(8) lgkmcnt(4)
	v_pk_fma_f32 v[98:99], v[72:73], v[150:151], v[98:99] op_sel_hi:[0,1,1] neg_lo:[1,0,0] neg_hi:[1,0,0]
	s_waitcnt vmcnt(6) lgkmcnt(3)
	v_pk_fma_f32 v[92:93], v[72:73], v[146:147], v[92:93] op_sel_hi:[0,1,1] neg_lo:[1,0,0] neg_hi:[1,0,0]
	;; [unrolled: 2-line block ×5, first 2 shown]
.LBB77_132:
	s_or_b64 exec, exec, s[2:3]
	v_cmp_ne_u32_e32 vcc, 24, v25
	s_waitcnt lgkmcnt(0)
	s_barrier
	s_and_saveexec_b64 s[2:3], vcc
	s_xor_b64 s[2:3], exec, s[2:3]
	s_andn2_saveexec_b64 s[2:3], s[2:3]
	s_cbranch_execz .LBB77_136
; %bb.133:
	s_waitcnt vmcnt(14)
	ds_write_b32 v120, v73
	s_waitcnt vmcnt(12)
	ds_write2_b32 v121, v94, v95 offset0:25 offset1:26
	s_waitcnt vmcnt(10)
	ds_write2_b32 v121, v96, v97 offset0:27 offset1:28
	;; [unrolled: 2-line block ×7, first 2 shown]
	ds_read_b32 v146, v120
	s_waitcnt lgkmcnt(0)
	v_cmp_neq_f32_e32 vcc, 0, v146
	s_and_saveexec_b64 s[4:5], vcc
	s_cbranch_execz .LBB77_135
; %bb.134:
	v_div_scale_f32 v147, s[10:11], v146, v146, 1.0
	v_rcp_f32_e32 v148, v147
	v_div_scale_f32 v149, vcc, 1.0, v146, 1.0
	v_fma_f32 v150, -v147, v148, 1.0
	v_fmac_f32_e32 v148, v150, v148
	v_mul_f32_e32 v150, v149, v148
	v_fma_f32 v151, -v147, v150, v149
	v_fmac_f32_e32 v150, v151, v148
	v_fma_f32 v147, -v147, v150, v149
	v_div_fmas_f32 v147, v147, v148, v150
	v_div_fixup_f32 v146, v147, v146, 1.0
	ds_write_b32 v120, v146
.LBB77_135:
	s_or_b64 exec, exec, s[4:5]
.LBB77_136:
	s_or_b64 exec, exec, s[2:3]
	s_waitcnt lgkmcnt(0)
	s_barrier
	ds_read_b32 v146, v120
	v_cmp_lt_u32_e32 vcc, 24, v25
	s_and_saveexec_b64 s[2:3], vcc
	s_cbranch_execz .LBB77_138
; %bb.137:
	ds_read2_b32 v[148:149], v121 offset0:25 offset1:26
	ds_read2_b32 v[150:151], v121 offset0:27 offset1:28
	s_waitcnt vmcnt(14) lgkmcnt(2)
	v_mul_f32_e32 v152, v146, v73
	ds_read2_b32 v[154:155], v121 offset0:29 offset1:30
	ds_read2_b32 v[156:157], v121 offset0:31 offset1:32
	v_mov_b32_e32 v73, v152
	s_waitcnt vmcnt(12) lgkmcnt(3)
	v_pk_fma_f32 v[94:95], v[152:153], v[148:149], v[94:95] op_sel_hi:[0,1,1] neg_lo:[1,0,0] neg_hi:[1,0,0]
	s_waitcnt vmcnt(10) lgkmcnt(2)
	v_pk_fma_f32 v[96:97], v[152:153], v[150:151], v[96:97] op_sel_hi:[0,1,1] neg_lo:[1,0,0] neg_hi:[1,0,0]
	ds_read2_b32 v[148:149], v121 offset0:33 offset1:34
	ds_read2_b32 v[150:151], v121 offset0:35 offset1:36
	;; [unrolled: 1-line block ×3, first 2 shown]
	s_waitcnt vmcnt(8) lgkmcnt(4)
	v_pk_fma_f32 v[98:99], v[152:153], v[154:155], v[98:99] op_sel_hi:[0,1,1] neg_lo:[1,0,0] neg_hi:[1,0,0]
	s_waitcnt vmcnt(6) lgkmcnt(3)
	v_pk_fma_f32 v[92:93], v[152:153], v[156:157], v[92:93] op_sel_hi:[0,1,1] neg_lo:[1,0,0] neg_hi:[1,0,0]
	;; [unrolled: 2-line block ×5, first 2 shown]
.LBB77_138:
	s_or_b64 exec, exec, s[2:3]
	v_cmp_eq_u32_e32 vcc, 25, v25
	s_waitcnt lgkmcnt(0)
	s_barrier
	s_and_saveexec_b64 s[2:3], vcc
	s_cbranch_execz .LBB77_141
; %bb.139:
	s_waitcnt vmcnt(10)
	v_pk_mov_b32 v[148:149], v[94:95], v[96:97] op_sel:[1,0]
	ds_write_b32 v120, v94
	ds_write2_b32 v121, v148, v149 offset0:26 offset1:27
	s_waitcnt vmcnt(8)
	v_pk_mov_b32 v[148:149], v[96:97], v[98:99] op_sel:[1,0]
	ds_write2_b32 v121, v148, v149 offset0:28 offset1:29
	s_waitcnt vmcnt(6)
	v_pk_mov_b32 v[148:149], v[98:99], v[92:93] op_sel:[1,0]
	;; [unrolled: 3-line block ×5, first 2 shown]
	ds_write2_b32 v121, v148, v149 offset0:36 offset1:37
	ds_write_b32 v121, v119 offset:152
	ds_read_b32 v147, v120
	s_waitcnt lgkmcnt(0)
	v_cmp_neq_f32_e32 vcc, 0, v147
	s_and_b64 exec, exec, vcc
	s_cbranch_execz .LBB77_141
; %bb.140:
	v_div_scale_f32 v148, s[4:5], v147, v147, 1.0
	v_rcp_f32_e32 v149, v148
	v_div_scale_f32 v150, vcc, 1.0, v147, 1.0
	v_fma_f32 v151, -v148, v149, 1.0
	v_fmac_f32_e32 v149, v151, v149
	v_mul_f32_e32 v151, v150, v149
	v_fma_f32 v152, -v148, v151, v150
	v_fmac_f32_e32 v151, v152, v149
	v_fma_f32 v148, -v148, v151, v150
	v_div_fmas_f32 v148, v148, v149, v151
	v_div_fixup_f32 v147, v148, v147, 1.0
	ds_write_b32 v120, v147
.LBB77_141:
	s_or_b64 exec, exec, s[2:3]
	s_waitcnt lgkmcnt(0)
	s_barrier
	ds_read_b32 v147, v120
	v_cmp_lt_u32_e32 vcc, 25, v25
	s_and_saveexec_b64 s[2:3], vcc
	s_cbranch_execz .LBB77_143
; %bb.142:
	ds_read_b32 v154, v121 offset:104
	ds_read2_b32 v[148:149], v121 offset0:27 offset1:28
	s_waitcnt vmcnt(13) lgkmcnt(2)
	v_mul_f32_e32 v94, v147, v94
	ds_read2_b32 v[150:151], v121 offset0:29 offset1:30
	ds_read2_b32 v[152:153], v121 offset0:31 offset1:32
	s_waitcnt vmcnt(12) lgkmcnt(3)
	v_fma_f32 v95, -v94, v154, v95
	s_waitcnt vmcnt(10) lgkmcnt(2)
	v_pk_fma_f32 v[96:97], v[94:95], v[148:149], v[96:97] op_sel_hi:[0,1,1] neg_lo:[1,0,0] neg_hi:[1,0,0]
	ds_read2_b32 v[148:149], v121 offset0:33 offset1:34
	ds_read2_b32 v[154:155], v121 offset0:35 offset1:36
	;; [unrolled: 1-line block ×3, first 2 shown]
	s_waitcnt vmcnt(8) lgkmcnt(4)
	v_pk_fma_f32 v[98:99], v[94:95], v[150:151], v[98:99] op_sel_hi:[0,1,1] neg_lo:[1,0,0] neg_hi:[1,0,0]
	s_waitcnt vmcnt(6) lgkmcnt(3)
	v_pk_fma_f32 v[92:93], v[94:95], v[152:153], v[92:93] op_sel_hi:[0,1,1] neg_lo:[1,0,0] neg_hi:[1,0,0]
	;; [unrolled: 2-line block ×5, first 2 shown]
.LBB77_143:
	s_or_b64 exec, exec, s[2:3]
	v_cmp_ne_u32_e32 vcc, 26, v25
	s_waitcnt lgkmcnt(0)
	s_barrier
	s_and_saveexec_b64 s[2:3], vcc
	s_xor_b64 s[2:3], exec, s[2:3]
	s_andn2_saveexec_b64 s[2:3], s[2:3]
	s_cbranch_execz .LBB77_147
; %bb.144:
	s_waitcnt vmcnt(12)
	ds_write_b32 v120, v95
	s_waitcnt vmcnt(10)
	ds_write2_b32 v121, v96, v97 offset0:27 offset1:28
	s_waitcnt vmcnt(8)
	ds_write2_b32 v121, v98, v99 offset0:29 offset1:30
	;; [unrolled: 2-line block ×6, first 2 shown]
	ds_read_b32 v148, v120
	s_waitcnt lgkmcnt(0)
	v_cmp_neq_f32_e32 vcc, 0, v148
	s_and_saveexec_b64 s[4:5], vcc
	s_cbranch_execz .LBB77_146
; %bb.145:
	v_div_scale_f32 v149, s[10:11], v148, v148, 1.0
	v_rcp_f32_e32 v150, v149
	v_div_scale_f32 v151, vcc, 1.0, v148, 1.0
	v_fma_f32 v152, -v149, v150, 1.0
	v_fmac_f32_e32 v150, v152, v150
	v_mul_f32_e32 v152, v151, v150
	v_fma_f32 v153, -v149, v152, v151
	v_fmac_f32_e32 v152, v153, v150
	v_fma_f32 v149, -v149, v152, v151
	v_div_fmas_f32 v149, v149, v150, v152
	v_div_fixup_f32 v148, v149, v148, 1.0
	ds_write_b32 v120, v148
.LBB77_146:
	s_or_b64 exec, exec, s[4:5]
.LBB77_147:
	s_or_b64 exec, exec, s[2:3]
	s_waitcnt lgkmcnt(0)
	s_barrier
	ds_read_b32 v148, v120
	v_cmp_lt_u32_e32 vcc, 26, v25
	s_and_saveexec_b64 s[2:3], vcc
	s_cbranch_execz .LBB77_149
; %bb.148:
	ds_read2_b32 v[150:151], v121 offset0:27 offset1:28
	s_waitcnt vmcnt(12) lgkmcnt(1)
	v_mul_f32_e32 v152, v148, v95
	ds_read2_b32 v[154:155], v121 offset0:29 offset1:30
	ds_read2_b32 v[156:157], v121 offset0:31 offset1:32
	;; [unrolled: 1-line block ×3, first 2 shown]
	v_mov_b32_e32 v95, v152
	s_waitcnt vmcnt(8) lgkmcnt(2)
	v_pk_fma_f32 v[98:99], v[152:153], v[154:155], v[98:99] op_sel_hi:[0,1,1] neg_lo:[1,0,0] neg_hi:[1,0,0]
	v_pk_fma_f32 v[96:97], v[152:153], v[150:151], v[96:97] op_sel_hi:[0,1,1] neg_lo:[1,0,0] neg_hi:[1,0,0]
	ds_read2_b32 v[150:151], v121 offset0:35 offset1:36
	ds_read2_b32 v[160:161], v121 offset0:37 offset1:38
	s_waitcnt vmcnt(6) lgkmcnt(3)
	v_pk_fma_f32 v[92:93], v[152:153], v[156:157], v[92:93] op_sel_hi:[0,1,1] neg_lo:[1,0,0] neg_hi:[1,0,0]
	s_waitcnt vmcnt(4) lgkmcnt(2)
	v_pk_fma_f32 v[114:115], v[152:153], v[158:159], v[114:115] op_sel_hi:[0,1,1] neg_lo:[1,0,0] neg_hi:[1,0,0]
	;; [unrolled: 2-line block ×4, first 2 shown]
.LBB77_149:
	s_or_b64 exec, exec, s[2:3]
	v_cmp_eq_u32_e32 vcc, 27, v25
	s_waitcnt lgkmcnt(0)
	s_barrier
	s_and_saveexec_b64 s[2:3], vcc
	s_cbranch_execz .LBB77_152
; %bb.150:
	s_waitcnt vmcnt(8)
	v_pk_mov_b32 v[150:151], v[96:97], v[98:99] op_sel:[1,0]
	ds_write_b32 v120, v96
	ds_write2_b32 v121, v150, v151 offset0:28 offset1:29
	s_waitcnt vmcnt(6)
	v_pk_mov_b32 v[150:151], v[98:99], v[92:93] op_sel:[1,0]
	ds_write2_b32 v121, v150, v151 offset0:30 offset1:31
	s_waitcnt vmcnt(4)
	v_pk_mov_b32 v[150:151], v[92:93], v[114:115] op_sel:[1,0]
	;; [unrolled: 3-line block ×4, first 2 shown]
	ds_write2_b32 v121, v150, v151 offset0:36 offset1:37
	ds_write_b32 v121, v119 offset:152
	ds_read_b32 v149, v120
	s_waitcnt lgkmcnt(0)
	v_cmp_neq_f32_e32 vcc, 0, v149
	s_and_b64 exec, exec, vcc
	s_cbranch_execz .LBB77_152
; %bb.151:
	v_div_scale_f32 v150, s[4:5], v149, v149, 1.0
	v_rcp_f32_e32 v151, v150
	v_div_scale_f32 v152, vcc, 1.0, v149, 1.0
	v_fma_f32 v153, -v150, v151, 1.0
	v_fmac_f32_e32 v151, v153, v151
	v_mul_f32_e32 v153, v152, v151
	v_fma_f32 v154, -v150, v153, v152
	v_fmac_f32_e32 v153, v154, v151
	v_fma_f32 v150, -v150, v153, v152
	v_div_fmas_f32 v150, v150, v151, v153
	v_div_fixup_f32 v149, v150, v149, 1.0
	ds_write_b32 v120, v149
.LBB77_152:
	s_or_b64 exec, exec, s[2:3]
	s_waitcnt lgkmcnt(0)
	s_barrier
	ds_read_b32 v149, v120
	v_cmp_lt_u32_e32 vcc, 27, v25
	s_and_saveexec_b64 s[2:3], vcc
	s_cbranch_execz .LBB77_154
; %bb.153:
	ds_read_b32 v156, v121 offset:112
	s_waitcnt vmcnt(11) lgkmcnt(1)
	v_mul_f32_e32 v96, v149, v96
	ds_read2_b32 v[150:151], v121 offset0:29 offset1:30
	ds_read2_b32 v[152:153], v121 offset0:31 offset1:32
	;; [unrolled: 1-line block ×3, first 2 shown]
	s_waitcnt vmcnt(10) lgkmcnt(3)
	v_fma_f32 v97, -v96, v156, v97
	ds_read2_b32 v[156:157], v121 offset0:35 offset1:36
	ds_read2_b32 v[158:159], v121 offset0:37 offset1:38
	s_waitcnt vmcnt(8) lgkmcnt(4)
	v_pk_fma_f32 v[98:99], v[96:97], v[150:151], v[98:99] op_sel_hi:[0,1,1] neg_lo:[1,0,0] neg_hi:[1,0,0]
	s_waitcnt vmcnt(6) lgkmcnt(3)
	v_pk_fma_f32 v[92:93], v[96:97], v[152:153], v[92:93] op_sel_hi:[0,1,1] neg_lo:[1,0,0] neg_hi:[1,0,0]
	;; [unrolled: 2-line block ×5, first 2 shown]
.LBB77_154:
	s_or_b64 exec, exec, s[2:3]
	v_cmp_ne_u32_e32 vcc, 28, v25
	s_waitcnt lgkmcnt(0)
	s_barrier
	s_and_saveexec_b64 s[2:3], vcc
	s_xor_b64 s[2:3], exec, s[2:3]
	s_andn2_saveexec_b64 s[2:3], s[2:3]
	s_cbranch_execz .LBB77_158
; %bb.155:
	s_waitcnt vmcnt(10)
	ds_write_b32 v120, v97
	s_waitcnt vmcnt(8)
	ds_write2_b32 v121, v98, v99 offset0:29 offset1:30
	s_waitcnt vmcnt(6)
	ds_write2_b32 v121, v92, v93 offset0:31 offset1:32
	;; [unrolled: 2-line block ×5, first 2 shown]
	ds_read_b32 v150, v120
	s_waitcnt lgkmcnt(0)
	v_cmp_neq_f32_e32 vcc, 0, v150
	s_and_saveexec_b64 s[4:5], vcc
	s_cbranch_execz .LBB77_157
; %bb.156:
	v_div_scale_f32 v151, s[10:11], v150, v150, 1.0
	v_rcp_f32_e32 v152, v151
	v_div_scale_f32 v153, vcc, 1.0, v150, 1.0
	v_fma_f32 v154, -v151, v152, 1.0
	v_fmac_f32_e32 v152, v154, v152
	v_mul_f32_e32 v154, v153, v152
	v_fma_f32 v155, -v151, v154, v153
	v_fmac_f32_e32 v154, v155, v152
	v_fma_f32 v151, -v151, v154, v153
	v_div_fmas_f32 v151, v151, v152, v154
	v_div_fixup_f32 v150, v151, v150, 1.0
	ds_write_b32 v120, v150
.LBB77_157:
	s_or_b64 exec, exec, s[4:5]
.LBB77_158:
	s_or_b64 exec, exec, s[2:3]
	s_waitcnt lgkmcnt(0)
	s_barrier
	ds_read_b32 v150, v120
	v_cmp_lt_u32_e32 vcc, 28, v25
	s_and_saveexec_b64 s[2:3], vcc
	s_cbranch_execz .LBB77_160
; %bb.159:
	ds_read2_b32 v[154:155], v121 offset0:29 offset1:30
	ds_read2_b32 v[156:157], v121 offset0:31 offset1:32
	ds_read2_b32 v[158:159], v121 offset0:33 offset1:34
	ds_read2_b32 v[160:161], v121 offset0:35 offset1:36
	ds_read2_b32 v[162:163], v121 offset0:37 offset1:38
	s_waitcnt vmcnt(10) lgkmcnt(5)
	v_mul_f32_e32 v152, v150, v97
	s_waitcnt vmcnt(8) lgkmcnt(4)
	v_pk_fma_f32 v[98:99], v[152:153], v[154:155], v[98:99] op_sel_hi:[0,1,1] neg_lo:[1,0,0] neg_hi:[1,0,0]
	s_waitcnt vmcnt(6) lgkmcnt(3)
	v_pk_fma_f32 v[92:93], v[152:153], v[156:157], v[92:93] op_sel_hi:[0,1,1] neg_lo:[1,0,0] neg_hi:[1,0,0]
	;; [unrolled: 2-line block ×5, first 2 shown]
	v_mov_b32_e32 v97, v152
.LBB77_160:
	s_or_b64 exec, exec, s[2:3]
	v_cmp_eq_u32_e32 vcc, 29, v25
	s_waitcnt lgkmcnt(0)
	s_barrier
	s_and_saveexec_b64 s[2:3], vcc
	s_cbranch_execz .LBB77_163
; %bb.161:
	s_waitcnt vmcnt(6)
	v_pk_mov_b32 v[152:153], v[98:99], v[92:93] op_sel:[1,0]
	ds_write_b32 v120, v98
	ds_write2_b32 v121, v152, v153 offset0:30 offset1:31
	s_waitcnt vmcnt(4)
	v_pk_mov_b32 v[152:153], v[92:93], v[114:115] op_sel:[1,0]
	ds_write2_b32 v121, v152, v153 offset0:32 offset1:33
	s_waitcnt vmcnt(2)
	v_pk_mov_b32 v[152:153], v[114:115], v[116:117] op_sel:[1,0]
	;; [unrolled: 3-line block ×3, first 2 shown]
	ds_write2_b32 v121, v152, v153 offset0:36 offset1:37
	ds_write_b32 v121, v119 offset:152
	ds_read_b32 v151, v120
	s_waitcnt lgkmcnt(0)
	v_cmp_neq_f32_e32 vcc, 0, v151
	s_and_b64 exec, exec, vcc
	s_cbranch_execz .LBB77_163
; %bb.162:
	v_div_scale_f32 v152, s[4:5], v151, v151, 1.0
	v_rcp_f32_e32 v153, v152
	v_div_scale_f32 v154, vcc, 1.0, v151, 1.0
	v_fma_f32 v155, -v152, v153, 1.0
	v_fmac_f32_e32 v153, v155, v153
	v_mul_f32_e32 v155, v154, v153
	v_fma_f32 v156, -v152, v155, v154
	v_fmac_f32_e32 v155, v156, v153
	v_fma_f32 v152, -v152, v155, v154
	v_div_fmas_f32 v152, v152, v153, v155
	v_div_fixup_f32 v151, v152, v151, 1.0
	ds_write_b32 v120, v151
.LBB77_163:
	s_or_b64 exec, exec, s[2:3]
	s_waitcnt lgkmcnt(0)
	s_barrier
	ds_read_b32 v151, v120
	v_cmp_lt_u32_e32 vcc, 29, v25
	s_and_saveexec_b64 s[2:3], vcc
	s_cbranch_execz .LBB77_165
; %bb.164:
	ds_read_b32 v160, v121 offset:120
	ds_read2_b32 v[152:153], v121 offset0:31 offset1:32
	ds_read2_b32 v[154:155], v121 offset0:33 offset1:34
	;; [unrolled: 1-line block ×4, first 2 shown]
	s_waitcnt vmcnt(9) lgkmcnt(5)
	v_mul_f32_e32 v98, v151, v98
	s_waitcnt vmcnt(8) lgkmcnt(4)
	v_fma_f32 v99, -v98, v160, v99
	s_waitcnt vmcnt(6) lgkmcnt(3)
	v_pk_fma_f32 v[92:93], v[98:99], v[152:153], v[92:93] op_sel_hi:[0,1,1] neg_lo:[1,0,0] neg_hi:[1,0,0]
	s_waitcnt vmcnt(4) lgkmcnt(2)
	v_pk_fma_f32 v[114:115], v[98:99], v[154:155], v[114:115] op_sel_hi:[0,1,1] neg_lo:[1,0,0] neg_hi:[1,0,0]
	;; [unrolled: 2-line block ×4, first 2 shown]
.LBB77_165:
	s_or_b64 exec, exec, s[2:3]
	v_cmp_ne_u32_e32 vcc, 30, v25
	s_waitcnt lgkmcnt(0)
	s_barrier
	s_and_saveexec_b64 s[2:3], vcc
	s_xor_b64 s[2:3], exec, s[2:3]
	s_andn2_saveexec_b64 s[2:3], s[2:3]
	s_cbranch_execz .LBB77_169
; %bb.166:
	s_waitcnt vmcnt(8)
	ds_write_b32 v120, v99
	s_waitcnt vmcnt(6)
	ds_write2_b32 v121, v92, v93 offset0:31 offset1:32
	s_waitcnt vmcnt(4)
	ds_write2_b32 v121, v114, v115 offset0:33 offset1:34
	;; [unrolled: 2-line block ×4, first 2 shown]
	ds_read_b32 v152, v120
	s_waitcnt lgkmcnt(0)
	v_cmp_neq_f32_e32 vcc, 0, v152
	s_and_saveexec_b64 s[4:5], vcc
	s_cbranch_execz .LBB77_168
; %bb.167:
	v_div_scale_f32 v153, s[10:11], v152, v152, 1.0
	v_rcp_f32_e32 v154, v153
	v_div_scale_f32 v155, vcc, 1.0, v152, 1.0
	v_fma_f32 v156, -v153, v154, 1.0
	v_fmac_f32_e32 v154, v156, v154
	v_mul_f32_e32 v156, v155, v154
	v_fma_f32 v157, -v153, v156, v155
	v_fmac_f32_e32 v156, v157, v154
	v_fma_f32 v153, -v153, v156, v155
	v_div_fmas_f32 v153, v153, v154, v156
	v_div_fixup_f32 v152, v153, v152, 1.0
	ds_write_b32 v120, v152
.LBB77_168:
	s_or_b64 exec, exec, s[4:5]
.LBB77_169:
	s_or_b64 exec, exec, s[2:3]
	s_waitcnt lgkmcnt(0)
	s_barrier
	ds_read_b32 v152, v120
	v_cmp_lt_u32_e32 vcc, 30, v25
	s_and_saveexec_b64 s[2:3], vcc
	s_cbranch_execz .LBB77_171
; %bb.170:
	ds_read2_b32 v[154:155], v121 offset0:31 offset1:32
	ds_read2_b32 v[156:157], v121 offset0:33 offset1:34
	;; [unrolled: 1-line block ×4, first 2 shown]
	s_waitcnt vmcnt(8) lgkmcnt(4)
	v_mul_f32_e32 v162, v152, v99
	s_waitcnt vmcnt(6) lgkmcnt(3)
	v_pk_fma_f32 v[92:93], v[162:163], v[154:155], v[92:93] op_sel_hi:[0,1,1] neg_lo:[1,0,0] neg_hi:[1,0,0]
	s_waitcnt vmcnt(4) lgkmcnt(2)
	v_pk_fma_f32 v[114:115], v[162:163], v[156:157], v[114:115] op_sel_hi:[0,1,1] neg_lo:[1,0,0] neg_hi:[1,0,0]
	;; [unrolled: 2-line block ×4, first 2 shown]
	v_mov_b32_e32 v99, v162
.LBB77_171:
	s_or_b64 exec, exec, s[2:3]
	v_cmp_eq_u32_e32 vcc, 31, v25
	s_waitcnt lgkmcnt(0)
	s_barrier
	s_and_saveexec_b64 s[2:3], vcc
	s_cbranch_execz .LBB77_174
; %bb.172:
	s_waitcnt vmcnt(4)
	v_pk_mov_b32 v[154:155], v[92:93], v[114:115] op_sel:[1,0]
	ds_write_b32 v120, v92
	ds_write2_b32 v121, v154, v155 offset0:32 offset1:33
	s_waitcnt vmcnt(2)
	v_pk_mov_b32 v[154:155], v[114:115], v[116:117] op_sel:[1,0]
	ds_write2_b32 v121, v154, v155 offset0:34 offset1:35
	s_waitcnt vmcnt(0)
	v_pk_mov_b32 v[154:155], v[116:117], v[118:119] op_sel:[1,0]
	ds_write2_b32 v121, v154, v155 offset0:36 offset1:37
	ds_write_b32 v121, v119 offset:152
	ds_read_b32 v153, v120
	s_waitcnt lgkmcnt(0)
	v_cmp_neq_f32_e32 vcc, 0, v153
	s_and_b64 exec, exec, vcc
	s_cbranch_execz .LBB77_174
; %bb.173:
	v_div_scale_f32 v154, s[4:5], v153, v153, 1.0
	v_rcp_f32_e32 v155, v154
	v_div_scale_f32 v156, vcc, 1.0, v153, 1.0
	v_fma_f32 v157, -v154, v155, 1.0
	v_fmac_f32_e32 v155, v157, v155
	v_mul_f32_e32 v157, v156, v155
	v_fma_f32 v158, -v154, v157, v156
	v_fmac_f32_e32 v157, v158, v155
	v_fma_f32 v154, -v154, v157, v156
	v_div_fmas_f32 v154, v154, v155, v157
	v_div_fixup_f32 v153, v154, v153, 1.0
	ds_write_b32 v120, v153
.LBB77_174:
	s_or_b64 exec, exec, s[2:3]
	s_waitcnt lgkmcnt(0)
	s_barrier
	ds_read_b32 v153, v120
	v_cmp_lt_u32_e32 vcc, 31, v25
	s_and_saveexec_b64 s[2:3], vcc
	s_cbranch_execz .LBB77_176
; %bb.175:
	ds_read_b32 v160, v121 offset:128
	ds_read2_b32 v[154:155], v121 offset0:33 offset1:34
	ds_read2_b32 v[156:157], v121 offset0:35 offset1:36
	;; [unrolled: 1-line block ×3, first 2 shown]
	s_waitcnt vmcnt(7) lgkmcnt(4)
	v_mul_f32_e32 v92, v153, v92
	s_waitcnt vmcnt(6) lgkmcnt(3)
	v_fma_f32 v93, -v92, v160, v93
	s_waitcnt vmcnt(4) lgkmcnt(2)
	v_pk_fma_f32 v[114:115], v[92:93], v[154:155], v[114:115] op_sel_hi:[0,1,1] neg_lo:[1,0,0] neg_hi:[1,0,0]
	s_waitcnt vmcnt(2) lgkmcnt(1)
	v_pk_fma_f32 v[116:117], v[92:93], v[156:157], v[116:117] op_sel_hi:[0,1,1] neg_lo:[1,0,0] neg_hi:[1,0,0]
	;; [unrolled: 2-line block ×3, first 2 shown]
.LBB77_176:
	s_or_b64 exec, exec, s[2:3]
	v_cmp_ne_u32_e32 vcc, 32, v25
	s_waitcnt lgkmcnt(0)
	s_barrier
	s_and_saveexec_b64 s[2:3], vcc
	s_xor_b64 s[2:3], exec, s[2:3]
	s_andn2_saveexec_b64 s[2:3], s[2:3]
	s_cbranch_execz .LBB77_180
; %bb.177:
	s_waitcnt vmcnt(6)
	ds_write_b32 v120, v93
	s_waitcnt vmcnt(4)
	ds_write2_b32 v121, v114, v115 offset0:33 offset1:34
	s_waitcnt vmcnt(2)
	ds_write2_b32 v121, v116, v117 offset0:35 offset1:36
	;; [unrolled: 2-line block ×3, first 2 shown]
	ds_read_b32 v154, v120
	s_waitcnt lgkmcnt(0)
	v_cmp_neq_f32_e32 vcc, 0, v154
	s_and_saveexec_b64 s[4:5], vcc
	s_cbranch_execz .LBB77_179
; %bb.178:
	v_div_scale_f32 v155, s[10:11], v154, v154, 1.0
	v_rcp_f32_e32 v156, v155
	v_div_scale_f32 v157, vcc, 1.0, v154, 1.0
	v_fma_f32 v158, -v155, v156, 1.0
	v_fmac_f32_e32 v156, v158, v156
	v_mul_f32_e32 v158, v157, v156
	v_fma_f32 v159, -v155, v158, v157
	v_fmac_f32_e32 v158, v159, v156
	v_fma_f32 v155, -v155, v158, v157
	v_div_fmas_f32 v155, v155, v156, v158
	v_div_fixup_f32 v154, v155, v154, 1.0
	ds_write_b32 v120, v154
.LBB77_179:
	s_or_b64 exec, exec, s[4:5]
.LBB77_180:
	s_or_b64 exec, exec, s[2:3]
	s_waitcnt lgkmcnt(0)
	s_barrier
	ds_read_b32 v154, v120
	v_cmp_lt_u32_e32 vcc, 32, v25
	s_and_saveexec_b64 s[2:3], vcc
	s_cbranch_execz .LBB77_182
; %bb.181:
	ds_read2_b32 v[156:157], v121 offset0:33 offset1:34
	ds_read2_b32 v[158:159], v121 offset0:35 offset1:36
	;; [unrolled: 1-line block ×3, first 2 shown]
	s_waitcnt vmcnt(6) lgkmcnt(3)
	v_mul_f32_e32 v162, v154, v93
	v_mov_b32_e32 v93, v162
	s_waitcnt vmcnt(4) lgkmcnt(2)
	v_pk_fma_f32 v[114:115], v[162:163], v[156:157], v[114:115] op_sel_hi:[0,1,1] neg_lo:[1,0,0] neg_hi:[1,0,0]
	s_waitcnt vmcnt(2) lgkmcnt(1)
	v_pk_fma_f32 v[116:117], v[162:163], v[158:159], v[116:117] op_sel_hi:[0,1,1] neg_lo:[1,0,0] neg_hi:[1,0,0]
	;; [unrolled: 2-line block ×3, first 2 shown]
.LBB77_182:
	s_or_b64 exec, exec, s[2:3]
	v_cmp_eq_u32_e32 vcc, 33, v25
	s_waitcnt lgkmcnt(0)
	s_barrier
	s_and_saveexec_b64 s[2:3], vcc
	s_cbranch_execz .LBB77_185
; %bb.183:
	s_waitcnt vmcnt(2)
	v_pk_mov_b32 v[156:157], v[114:115], v[116:117] op_sel:[1,0]
	ds_write_b32 v120, v114
	ds_write2_b32 v121, v156, v157 offset0:34 offset1:35
	s_waitcnt vmcnt(0)
	v_pk_mov_b32 v[156:157], v[116:117], v[118:119] op_sel:[1,0]
	ds_write2_b32 v121, v156, v157 offset0:36 offset1:37
	ds_write_b32 v121, v119 offset:152
	ds_read_b32 v155, v120
	s_waitcnt lgkmcnt(0)
	v_cmp_neq_f32_e32 vcc, 0, v155
	s_and_b64 exec, exec, vcc
	s_cbranch_execz .LBB77_185
; %bb.184:
	v_div_scale_f32 v156, s[4:5], v155, v155, 1.0
	v_rcp_f32_e32 v157, v156
	v_div_scale_f32 v158, vcc, 1.0, v155, 1.0
	v_fma_f32 v159, -v156, v157, 1.0
	v_fmac_f32_e32 v157, v159, v157
	v_mul_f32_e32 v159, v158, v157
	v_fma_f32 v160, -v156, v159, v158
	v_fmac_f32_e32 v159, v160, v157
	v_fma_f32 v156, -v156, v159, v158
	v_div_fmas_f32 v156, v156, v157, v159
	v_div_fixup_f32 v155, v156, v155, 1.0
	ds_write_b32 v120, v155
.LBB77_185:
	s_or_b64 exec, exec, s[2:3]
	s_waitcnt lgkmcnt(0)
	s_barrier
	ds_read_b32 v155, v120
	v_cmp_lt_u32_e32 vcc, 33, v25
	s_and_saveexec_b64 s[2:3], vcc
	s_cbranch_execz .LBB77_187
; %bb.186:
	ds_read_b32 v160, v121 offset:136
	ds_read2_b32 v[156:157], v121 offset0:35 offset1:36
	ds_read2_b32 v[158:159], v121 offset0:37 offset1:38
	s_waitcnt vmcnt(5) lgkmcnt(3)
	v_mul_f32_e32 v114, v155, v114
	s_waitcnt vmcnt(4) lgkmcnt(2)
	v_fma_f32 v115, -v114, v160, v115
	s_waitcnt vmcnt(2) lgkmcnt(1)
	v_pk_fma_f32 v[116:117], v[114:115], v[156:157], v[116:117] op_sel_hi:[0,1,1] neg_lo:[1,0,0] neg_hi:[1,0,0]
	s_waitcnt vmcnt(0) lgkmcnt(0)
	v_pk_fma_f32 v[118:119], v[114:115], v[158:159], v[118:119] op_sel_hi:[0,1,1] neg_lo:[1,0,0] neg_hi:[1,0,0]
.LBB77_187:
	s_or_b64 exec, exec, s[2:3]
	v_cmp_ne_u32_e32 vcc, 34, v25
	s_waitcnt lgkmcnt(0)
	s_barrier
	s_and_saveexec_b64 s[2:3], vcc
	s_xor_b64 s[2:3], exec, s[2:3]
	s_andn2_saveexec_b64 s[2:3], s[2:3]
	s_cbranch_execz .LBB77_191
; %bb.188:
	s_waitcnt vmcnt(4)
	ds_write_b32 v120, v115
	s_waitcnt vmcnt(2)
	ds_write2_b32 v121, v116, v117 offset0:35 offset1:36
	s_waitcnt vmcnt(0)
	ds_write2_b32 v121, v118, v119 offset0:37 offset1:38
	ds_read_b32 v156, v120
	s_waitcnt lgkmcnt(0)
	v_cmp_neq_f32_e32 vcc, 0, v156
	s_and_saveexec_b64 s[4:5], vcc
	s_cbranch_execz .LBB77_190
; %bb.189:
	v_div_scale_f32 v157, s[10:11], v156, v156, 1.0
	v_rcp_f32_e32 v158, v157
	v_div_scale_f32 v159, vcc, 1.0, v156, 1.0
	v_fma_f32 v160, -v157, v158, 1.0
	v_fmac_f32_e32 v158, v160, v158
	v_mul_f32_e32 v160, v159, v158
	v_fma_f32 v161, -v157, v160, v159
	v_fmac_f32_e32 v160, v161, v158
	v_fma_f32 v157, -v157, v160, v159
	v_div_fmas_f32 v157, v157, v158, v160
	v_div_fixup_f32 v156, v157, v156, 1.0
	ds_write_b32 v120, v156
.LBB77_190:
	s_or_b64 exec, exec, s[4:5]
.LBB77_191:
	s_or_b64 exec, exec, s[2:3]
	s_waitcnt lgkmcnt(0)
	s_barrier
	ds_read_b32 v156, v120
	v_cmp_lt_u32_e32 vcc, 34, v25
	s_and_saveexec_b64 s[2:3], vcc
	s_cbranch_execz .LBB77_193
; %bb.192:
	ds_read2_b32 v[158:159], v121 offset0:35 offset1:36
	ds_read2_b32 v[160:161], v121 offset0:37 offset1:38
	s_waitcnt vmcnt(4) lgkmcnt(2)
	v_mul_f32_e32 v162, v156, v115
	v_mov_b32_e32 v115, v162
	s_waitcnt vmcnt(2) lgkmcnt(1)
	v_pk_fma_f32 v[116:117], v[162:163], v[158:159], v[116:117] op_sel_hi:[0,1,1] neg_lo:[1,0,0] neg_hi:[1,0,0]
	s_waitcnt vmcnt(0) lgkmcnt(0)
	v_pk_fma_f32 v[118:119], v[162:163], v[160:161], v[118:119] op_sel_hi:[0,1,1] neg_lo:[1,0,0] neg_hi:[1,0,0]
.LBB77_193:
	s_or_b64 exec, exec, s[2:3]
	v_cmp_eq_u32_e32 vcc, 35, v25
	s_waitcnt lgkmcnt(0)
	s_barrier
	s_and_saveexec_b64 s[2:3], vcc
	s_cbranch_execz .LBB77_196
; %bb.194:
	s_waitcnt vmcnt(0)
	v_pk_mov_b32 v[158:159], v[116:117], v[118:119] op_sel:[1,0]
	ds_write_b32 v120, v116
	ds_write2_b32 v121, v158, v159 offset0:36 offset1:37
	ds_write_b32 v121, v119 offset:152
	ds_read_b32 v157, v120
	s_waitcnt lgkmcnt(0)
	v_cmp_neq_f32_e32 vcc, 0, v157
	s_and_b64 exec, exec, vcc
	s_cbranch_execz .LBB77_196
; %bb.195:
	v_div_scale_f32 v158, s[4:5], v157, v157, 1.0
	v_rcp_f32_e32 v159, v158
	v_div_scale_f32 v160, vcc, 1.0, v157, 1.0
	v_fma_f32 v161, -v158, v159, 1.0
	v_fmac_f32_e32 v159, v161, v159
	v_mul_f32_e32 v161, v160, v159
	v_fma_f32 v162, -v158, v161, v160
	v_fmac_f32_e32 v161, v162, v159
	v_fma_f32 v158, -v158, v161, v160
	v_div_fmas_f32 v158, v158, v159, v161
	v_div_fixup_f32 v157, v158, v157, 1.0
	ds_write_b32 v120, v157
.LBB77_196:
	s_or_b64 exec, exec, s[2:3]
	s_waitcnt lgkmcnt(0)
	s_barrier
	ds_read_b32 v157, v120
	v_cmp_lt_u32_e32 vcc, 35, v25
	s_and_saveexec_b64 s[2:3], vcc
	s_cbranch_execz .LBB77_198
; %bb.197:
	ds_read_b32 v160, v121 offset:144
	ds_read2_b32 v[158:159], v121 offset0:37 offset1:38
	s_waitcnt vmcnt(3) lgkmcnt(2)
	v_mul_f32_e32 v116, v157, v116
	s_waitcnt vmcnt(2) lgkmcnt(1)
	v_fma_f32 v117, -v116, v160, v117
	s_waitcnt vmcnt(0) lgkmcnt(0)
	v_pk_fma_f32 v[118:119], v[116:117], v[158:159], v[118:119] op_sel_hi:[0,1,1] neg_lo:[1,0,0] neg_hi:[1,0,0]
.LBB77_198:
	s_or_b64 exec, exec, s[2:3]
	v_cmp_ne_u32_e32 vcc, 36, v25
	s_waitcnt lgkmcnt(0)
	s_barrier
	s_and_saveexec_b64 s[2:3], vcc
	s_xor_b64 s[2:3], exec, s[2:3]
	s_andn2_saveexec_b64 s[2:3], s[2:3]
	s_cbranch_execz .LBB77_202
; %bb.199:
	s_waitcnt vmcnt(2)
	ds_write_b32 v120, v117
	s_waitcnt vmcnt(0)
	ds_write2_b32 v121, v118, v119 offset0:37 offset1:38
	ds_read_b32 v158, v120
	s_waitcnt lgkmcnt(0)
	v_cmp_neq_f32_e32 vcc, 0, v158
	s_and_saveexec_b64 s[4:5], vcc
	s_cbranch_execz .LBB77_201
; %bb.200:
	v_div_scale_f32 v159, s[10:11], v158, v158, 1.0
	v_rcp_f32_e32 v160, v159
	v_div_scale_f32 v161, vcc, 1.0, v158, 1.0
	v_fma_f32 v162, -v159, v160, 1.0
	v_fmac_f32_e32 v160, v162, v160
	v_mul_f32_e32 v162, v161, v160
	v_fma_f32 v163, -v159, v162, v161
	v_fmac_f32_e32 v162, v163, v160
	v_fma_f32 v159, -v159, v162, v161
	v_div_fmas_f32 v159, v159, v160, v162
	v_div_fixup_f32 v158, v159, v158, 1.0
	ds_write_b32 v120, v158
.LBB77_201:
	s_or_b64 exec, exec, s[4:5]
.LBB77_202:
	s_or_b64 exec, exec, s[2:3]
	s_waitcnt lgkmcnt(0)
	s_barrier
	ds_read_b32 v158, v120
	v_cmp_lt_u32_e32 vcc, 36, v25
	s_and_saveexec_b64 s[2:3], vcc
	s_cbranch_execz .LBB77_204
; %bb.203:
	ds_read2_b32 v[160:161], v121 offset0:37 offset1:38
	s_waitcnt vmcnt(2) lgkmcnt(1)
	v_mul_f32_e32 v162, v158, v117
	v_mov_b32_e32 v117, v162
	s_waitcnt vmcnt(0) lgkmcnt(0)
	v_pk_fma_f32 v[118:119], v[162:163], v[160:161], v[118:119] op_sel_hi:[0,1,1] neg_lo:[1,0,0] neg_hi:[1,0,0]
.LBB77_204:
	s_or_b64 exec, exec, s[2:3]
	v_cmp_eq_u32_e32 vcc, 37, v25
	s_waitcnt lgkmcnt(0)
	s_barrier
	s_and_saveexec_b64 s[2:3], vcc
	s_cbranch_execz .LBB77_207
; %bb.205:
	s_waitcnt vmcnt(1)
	ds_write_b32 v120, v118
	s_waitcnt vmcnt(0)
	ds_write_b32 v121, v119 offset:152
	ds_read_b32 v159, v120
	s_waitcnt lgkmcnt(0)
	v_cmp_neq_f32_e32 vcc, 0, v159
	s_and_b64 exec, exec, vcc
	s_cbranch_execz .LBB77_207
; %bb.206:
	v_div_scale_f32 v160, s[4:5], v159, v159, 1.0
	v_rcp_f32_e32 v161, v160
	v_div_scale_f32 v162, vcc, 1.0, v159, 1.0
	v_fma_f32 v163, -v160, v161, 1.0
	v_fmac_f32_e32 v161, v163, v161
	v_mul_f32_e32 v163, v162, v161
	v_fma_f32 v164, -v160, v163, v162
	v_fmac_f32_e32 v163, v164, v161
	v_fma_f32 v160, -v160, v163, v162
	v_div_fmas_f32 v160, v160, v161, v163
	v_div_fixup_f32 v159, v160, v159, 1.0
	ds_write_b32 v120, v159
.LBB77_207:
	s_or_b64 exec, exec, s[2:3]
	s_waitcnt lgkmcnt(0)
	s_barrier
	ds_read_b32 v159, v120
	v_cmp_lt_u32_e32 vcc, 37, v25
	s_and_saveexec_b64 s[2:3], vcc
	s_cbranch_execz .LBB77_209
; %bb.208:
	ds_read_b32 v121, v121 offset:152
	s_waitcnt vmcnt(1) lgkmcnt(1)
	v_mul_f32_e32 v118, v159, v118
	s_waitcnt vmcnt(0) lgkmcnt(0)
	v_fma_f32 v119, -v118, v121, v119
.LBB77_209:
	s_or_b64 exec, exec, s[2:3]
	v_cmp_ne_u32_e32 vcc, 38, v25
	s_waitcnt lgkmcnt(0)
	s_barrier
	s_and_saveexec_b64 s[2:3], vcc
	s_xor_b64 s[2:3], exec, s[2:3]
	s_andn2_saveexec_b64 s[2:3], s[2:3]
	s_cbranch_execz .LBB77_213
; %bb.210:
	s_waitcnt vmcnt(0)
	v_cmp_neq_f32_e32 vcc, 0, v119
	ds_write_b32 v120, v119
	s_and_saveexec_b64 s[4:5], vcc
	s_cbranch_execz .LBB77_212
; %bb.211:
	v_div_scale_f32 v121, s[10:11], v119, v119, 1.0
	v_rcp_f32_e32 v160, v121
	v_div_scale_f32 v161, vcc, 1.0, v119, 1.0
	v_fma_f32 v162, -v121, v160, 1.0
	v_fmac_f32_e32 v160, v162, v160
	v_mul_f32_e32 v162, v161, v160
	v_fma_f32 v163, -v121, v162, v161
	v_fmac_f32_e32 v162, v163, v160
	v_fma_f32 v121, -v121, v162, v161
	v_div_fmas_f32 v121, v121, v160, v162
	v_div_fixup_f32 v121, v121, v119, 1.0
	ds_write_b32 v120, v121
.LBB77_212:
	s_or_b64 exec, exec, s[4:5]
.LBB77_213:
	s_or_b64 exec, exec, s[2:3]
	s_waitcnt lgkmcnt(0)
	s_barrier
	ds_read_b32 v120, v120
	s_waitcnt lgkmcnt(0)
	s_barrier
	s_and_saveexec_b64 s[2:3], s[0:1]
	s_cbranch_execz .LBB77_216
; %bb.214:
	v_cmp_eq_f32_e32 vcc, 0, v122
	v_cmp_neq_f32_e64 s[0:1], 0, v123
	v_mov_b32_e32 v122, s6
	v_cndmask_b32_e64 v121, 0, 1, vcc
	s_or_b64 vcc, s[0:1], vcc
	v_cndmask_b32_e32 v121, 2, v121, vcc
	v_cmp_eq_f32_e32 vcc, 0, v124
	v_cmp_eq_u32_e64 s[0:1], 0, v121
	s_and_b64 s[0:1], vcc, s[0:1]
	v_cmp_eq_f32_e32 vcc, 0, v125
	v_cndmask_b32_e64 v121, v121, 3, s[0:1]
	v_cmp_eq_u32_e64 s[0:1], 0, v121
	s_and_b64 s[0:1], vcc, s[0:1]
	v_cmp_eq_f32_e32 vcc, 0, v126
	v_cndmask_b32_e64 v121, v121, 4, s[0:1]
	;; [unrolled: 4-line block ×9, first 2 shown]
	v_cmp_eq_u32_e64 s[0:1], 0, v121
	s_and_b64 s[0:1], vcc, s[0:1]
	v_mov_b32_e32 v123, s7
	v_cndmask_b32_e64 v121, v121, 12, s[0:1]
	v_cmp_eq_f32_e32 vcc, 0, v134
	v_cmp_eq_u32_e64 s[0:1], 0, v121
	v_lshl_add_u64 v[34:35], v[34:35], 2, v[122:123]
	s_and_b64 s[0:1], vcc, s[0:1]
	global_load_dword v122, v[34:35], off
	v_cndmask_b32_e64 v121, v121, 13, s[0:1]
	v_cmp_eq_f32_e32 vcc, 0, v135
	v_cmp_eq_u32_e64 s[0:1], 0, v121
	s_and_b64 s[0:1], vcc, s[0:1]
	v_cmp_eq_f32_e32 vcc, 0, v136
	v_cndmask_b32_e64 v121, v121, 14, s[0:1]
	v_cmp_eq_u32_e64 s[0:1], 0, v121
	s_and_b64 s[0:1], vcc, s[0:1]
	v_cmp_eq_f32_e32 vcc, 0, v137
	v_cndmask_b32_e64 v121, v121, 15, s[0:1]
	;; [unrolled: 4-line block ×25, first 2 shown]
	v_cmp_eq_u32_e64 s[0:1], 0, v121
	s_and_b64 s[0:1], vcc, s[0:1]
	s_waitcnt vmcnt(0)
	v_cmp_eq_u32_e32 vcc, 0, v122
	v_cndmask_b32_e64 v121, v121, 39, s[0:1]
	v_cmp_ne_u32_e64 s[0:1], 0, v121
	s_and_b64 s[0:1], vcc, s[0:1]
	s_and_b64 exec, exec, s[0:1]
	s_cbranch_execz .LBB77_216
; %bb.215:
	v_add_u32_e32 v121, s9, v121
	global_store_dword v[34:35], v121, off
.LBB77_216:
	s_or_b64 exec, exec, s[2:3]
	s_waitcnt vmcnt(0)
	v_mul_f32_e32 v34, v120, v119
	v_cmp_lt_u32_e32 vcc, 38, v25
	s_nop 1
	v_cndmask_b32_e32 v25, v119, v34, vcc
	global_store_dword v[0:1], v24, off
	global_store_dword v[2:3], v18, off
	global_store_dword v[4:5], v19, off
	global_store_dword v[6:7], v20, off
	global_store_dword v[8:9], v21, off
	global_store_dword v[10:11], v22, off
	global_store_dword v[12:13], v23, off
	global_store_dword v[14:15], v16, off
	global_store_dword v[26:27], v17, off
	global_store_dword v[28:29], v46, off
	global_store_dword v[30:31], v47, off
	global_store_dword v[32:33], v50, off
	global_store_dword v[36:37], v51, off
	global_store_dword v[38:39], v44, off
	global_store_dword v[40:41], v45, off
	global_store_dword v[42:43], v48, off
	global_store_dword v[52:53], v49, off
	global_store_dword v[54:55], v74, off
	global_store_dword v[56:57], v75, off
	global_store_dword v[58:59], v68, off
	global_store_dword v[60:61], v69, off
	global_store_dword v[62:63], v70, off
	global_store_dword v[64:65], v71, off
	global_store_dword v[66:67], v72, off
	global_store_dword v[76:77], v73, off
	global_store_dword v[78:79], v94, off
	global_store_dword v[80:81], v95, off
	global_store_dword v[82:83], v96, off
	global_store_dword v[84:85], v97, off
	global_store_dword v[86:87], v98, off
	global_store_dword v[88:89], v99, off
	global_store_dword v[90:91], v92, off
	global_store_dword v[100:101], v93, off
	global_store_dword v[102:103], v114, off
	global_store_dword v[104:105], v115, off
	global_store_dword v[106:107], v116, off
	global_store_dword v[108:109], v117, off
	global_store_dword v[110:111], v118, off
	global_store_dword v[112:113], v25, off
.LBB77_217:
	s_endpgm
	.section	.rodata,"a",@progbits
	.p2align	6, 0x0
	.amdhsa_kernel _ZN9rocsolver6v33100L23getf2_npvt_small_kernelILi39EfiiPfEEvT1_T3_lS3_lPT2_S3_S3_
		.amdhsa_group_segment_fixed_size 0
		.amdhsa_private_segment_fixed_size 0
		.amdhsa_kernarg_size 312
		.amdhsa_user_sgpr_count 2
		.amdhsa_user_sgpr_dispatch_ptr 0
		.amdhsa_user_sgpr_queue_ptr 0
		.amdhsa_user_sgpr_kernarg_segment_ptr 1
		.amdhsa_user_sgpr_dispatch_id 0
		.amdhsa_user_sgpr_kernarg_preload_length 0
		.amdhsa_user_sgpr_kernarg_preload_offset 0
		.amdhsa_user_sgpr_private_segment_size 0
		.amdhsa_uses_dynamic_stack 0
		.amdhsa_enable_private_segment 0
		.amdhsa_system_sgpr_workgroup_id_x 1
		.amdhsa_system_sgpr_workgroup_id_y 1
		.amdhsa_system_sgpr_workgroup_id_z 0
		.amdhsa_system_sgpr_workgroup_info 0
		.amdhsa_system_vgpr_workitem_id 1
		.amdhsa_next_free_vgpr 165
		.amdhsa_next_free_sgpr 16
		.amdhsa_accum_offset 168
		.amdhsa_reserve_vcc 1
		.amdhsa_float_round_mode_32 0
		.amdhsa_float_round_mode_16_64 0
		.amdhsa_float_denorm_mode_32 3
		.amdhsa_float_denorm_mode_16_64 3
		.amdhsa_dx10_clamp 1
		.amdhsa_ieee_mode 1
		.amdhsa_fp16_overflow 0
		.amdhsa_tg_split 0
		.amdhsa_exception_fp_ieee_invalid_op 0
		.amdhsa_exception_fp_denorm_src 0
		.amdhsa_exception_fp_ieee_div_zero 0
		.amdhsa_exception_fp_ieee_overflow 0
		.amdhsa_exception_fp_ieee_underflow 0
		.amdhsa_exception_fp_ieee_inexact 0
		.amdhsa_exception_int_div_zero 0
	.end_amdhsa_kernel
	.section	.text._ZN9rocsolver6v33100L23getf2_npvt_small_kernelILi39EfiiPfEEvT1_T3_lS3_lPT2_S3_S3_,"axG",@progbits,_ZN9rocsolver6v33100L23getf2_npvt_small_kernelILi39EfiiPfEEvT1_T3_lS3_lPT2_S3_S3_,comdat
.Lfunc_end77:
	.size	_ZN9rocsolver6v33100L23getf2_npvt_small_kernelILi39EfiiPfEEvT1_T3_lS3_lPT2_S3_S3_, .Lfunc_end77-_ZN9rocsolver6v33100L23getf2_npvt_small_kernelILi39EfiiPfEEvT1_T3_lS3_lPT2_S3_S3_
                                        ; -- End function
	.set _ZN9rocsolver6v33100L23getf2_npvt_small_kernelILi39EfiiPfEEvT1_T3_lS3_lPT2_S3_S3_.num_vgpr, 165
	.set _ZN9rocsolver6v33100L23getf2_npvt_small_kernelILi39EfiiPfEEvT1_T3_lS3_lPT2_S3_S3_.num_agpr, 0
	.set _ZN9rocsolver6v33100L23getf2_npvt_small_kernelILi39EfiiPfEEvT1_T3_lS3_lPT2_S3_S3_.numbered_sgpr, 16
	.set _ZN9rocsolver6v33100L23getf2_npvt_small_kernelILi39EfiiPfEEvT1_T3_lS3_lPT2_S3_S3_.num_named_barrier, 0
	.set _ZN9rocsolver6v33100L23getf2_npvt_small_kernelILi39EfiiPfEEvT1_T3_lS3_lPT2_S3_S3_.private_seg_size, 0
	.set _ZN9rocsolver6v33100L23getf2_npvt_small_kernelILi39EfiiPfEEvT1_T3_lS3_lPT2_S3_S3_.uses_vcc, 1
	.set _ZN9rocsolver6v33100L23getf2_npvt_small_kernelILi39EfiiPfEEvT1_T3_lS3_lPT2_S3_S3_.uses_flat_scratch, 0
	.set _ZN9rocsolver6v33100L23getf2_npvt_small_kernelILi39EfiiPfEEvT1_T3_lS3_lPT2_S3_S3_.has_dyn_sized_stack, 0
	.set _ZN9rocsolver6v33100L23getf2_npvt_small_kernelILi39EfiiPfEEvT1_T3_lS3_lPT2_S3_S3_.has_recursion, 0
	.set _ZN9rocsolver6v33100L23getf2_npvt_small_kernelILi39EfiiPfEEvT1_T3_lS3_lPT2_S3_S3_.has_indirect_call, 0
	.section	.AMDGPU.csdata,"",@progbits
; Kernel info:
; codeLenInByte = 23120
; TotalNumSgprs: 22
; NumVgprs: 165
; NumAgprs: 0
; TotalNumVgprs: 165
; ScratchSize: 0
; MemoryBound: 0
; FloatMode: 240
; IeeeMode: 1
; LDSByteSize: 0 bytes/workgroup (compile time only)
; SGPRBlocks: 2
; VGPRBlocks: 20
; NumSGPRsForWavesPerEU: 22
; NumVGPRsForWavesPerEU: 165
; AccumOffset: 168
; Occupancy: 3
; WaveLimiterHint : 0
; COMPUTE_PGM_RSRC2:SCRATCH_EN: 0
; COMPUTE_PGM_RSRC2:USER_SGPR: 2
; COMPUTE_PGM_RSRC2:TRAP_HANDLER: 0
; COMPUTE_PGM_RSRC2:TGID_X_EN: 1
; COMPUTE_PGM_RSRC2:TGID_Y_EN: 1
; COMPUTE_PGM_RSRC2:TGID_Z_EN: 0
; COMPUTE_PGM_RSRC2:TIDIG_COMP_CNT: 1
; COMPUTE_PGM_RSRC3_GFX90A:ACCUM_OFFSET: 41
; COMPUTE_PGM_RSRC3_GFX90A:TG_SPLIT: 0
	.section	.text._ZN9rocsolver6v33100L18getf2_small_kernelILi40EfiiPfEEvT1_T3_lS3_lPS3_llPT2_S3_S3_S5_l,"axG",@progbits,_ZN9rocsolver6v33100L18getf2_small_kernelILi40EfiiPfEEvT1_T3_lS3_lPS3_llPT2_S3_S3_S5_l,comdat
	.globl	_ZN9rocsolver6v33100L18getf2_small_kernelILi40EfiiPfEEvT1_T3_lS3_lPS3_llPT2_S3_S3_S5_l ; -- Begin function _ZN9rocsolver6v33100L18getf2_small_kernelILi40EfiiPfEEvT1_T3_lS3_lPS3_llPT2_S3_S3_S5_l
	.p2align	8
	.type	_ZN9rocsolver6v33100L18getf2_small_kernelILi40EfiiPfEEvT1_T3_lS3_lPS3_llPT2_S3_S3_S5_l,@function
_ZN9rocsolver6v33100L18getf2_small_kernelILi40EfiiPfEEvT1_T3_lS3_lPS3_llPT2_S3_S3_S5_l: ; @_ZN9rocsolver6v33100L18getf2_small_kernelILi40EfiiPfEEvT1_T3_lS3_lPS3_llPT2_S3_S3_S5_l
; %bb.0:
	s_load_dword s2, s[0:1], 0x6c
	s_load_dwordx2 s[14:15], s[0:1], 0x48
	v_bfe_u32 v17, v0, 10, 10
	s_waitcnt lgkmcnt(0)
	s_lshr_b32 s2, s2, 16
	s_mul_i32 s3, s3, s2
	v_add_u32_e32 v4, s3, v17
	v_cmp_gt_i32_e32 vcc, s14, v4
	s_and_saveexec_b64 s[2:3], vcc
	s_cbranch_execz .LBB78_677
; %bb.1:
	s_load_dwordx4 s[4:7], s[0:1], 0x50
	v_ashrrev_i32_e32 v5, 31, v4
	v_mov_b64_e32 v[20:21], 0
	s_waitcnt lgkmcnt(0)
	s_cmp_eq_u64 s[4:5], 0
	s_cselect_b64 s[16:17], -1, 0
	s_and_b64 vcc, exec, s[16:17]
	s_cbranch_vccnz .LBB78_3
; %bb.2:
	v_mul_lo_u32 v1, s7, v4
	v_mul_lo_u32 v6, s6, v5
	v_mad_u64_u32 v[2:3], s[2:3], s6, v4, 0
	v_add3_u32 v3, v3, v6, v1
	v_lshl_add_u64 v[20:21], v[2:3], 2, s[4:5]
.LBB78_3:
	s_load_dwordx4 s[20:23], s[0:1], 0x8
	s_load_dwordx8 s[4:11], s[0:1], 0x20
	s_load_dword s12, s[0:1], 0x18
	v_and_b32_e32 v19, 0x3ff, v0
	v_lshlrev_b32_e32 v48, 2, v19
	s_waitcnt lgkmcnt(0)
	v_mov_b32_e32 v2, s20
	v_mul_lo_u32 v1, s5, v4
	v_mul_lo_u32 v8, s4, v5
	v_mad_u64_u32 v[6:7], s[2:3], s4, v4, 0
	v_mov_b32_e32 v3, s21
	v_add3_u32 v7, v7, v8, v1
	s_add_i32 s14, s12, s12
	v_lshl_add_u64 v[2:3], v[6:7], 2, v[2:3]
	v_add_u32_e32 v0, s14, v19
	v_lshl_add_u64 v[2:3], s[22:23], 2, v[2:3]
	v_ashrrev_i32_e32 v1, 31, v0
	v_lshl_add_u64 v[14:15], v[0:1], 2, v[2:3]
	v_add_u32_e32 v0, s12, v0
	v_ashrrev_i32_e32 v1, 31, v0
	v_lshl_add_u64 v[22:23], v[0:1], 2, v[2:3]
	v_add_u32_e32 v0, s12, v0
	v_ashrrev_i32_e32 v1, 31, v0
	v_lshl_add_u64 v[24:25], v[0:1], 2, v[2:3]
	v_add_u32_e32 v0, s12, v0
	v_ashrrev_i32_e32 v1, 31, v0
	v_lshl_add_u64 v[26:27], v[0:1], 2, v[2:3]
	v_add_u32_e32 v0, s12, v0
	v_mov_b32_e32 v49, 0
	v_add_u32_e32 v30, s12, v0
	v_lshl_add_u64 v[8:9], v[2:3], 0, v[48:49]
	s_ashr_i32 s13, s12, 31
	v_ashrrev_i32_e32 v1, 31, v0
	v_ashrrev_i32_e32 v31, 31, v30
	v_lshl_add_u64 v[12:13], s[12:13], 2, v[8:9]
	v_lshl_add_u64 v[28:29], v[0:1], 2, v[2:3]
	;; [unrolled: 1-line block ×3, first 2 shown]
	global_load_dword v18, v[8:9], off
	global_load_dword v16, v[12:13], off
	global_load_dword v10, v[14:15], off
	global_load_dword v11, v[22:23], off
	global_load_dword v6, v[24:25], off
	global_load_dword v7, v[26:27], off
	global_load_dword v0, v[28:29], off
	global_load_dword v1, v[32:33], off
	v_add_u32_e32 v8, s12, v30
	v_ashrrev_i32_e32 v9, 31, v8
	v_lshl_add_u64 v[14:15], v[8:9], 2, v[2:3]
	v_add_u32_e32 v8, s12, v8
	v_ashrrev_i32_e32 v9, 31, v8
	v_lshl_add_u64 v[24:25], v[8:9], 2, v[2:3]
	v_add_u32_e32 v8, s12, v8
	v_ashrrev_i32_e32 v9, 31, v8
	v_lshl_add_u64 v[26:27], v[8:9], 2, v[2:3]
	v_add_u32_e32 v8, s12, v8
	v_ashrrev_i32_e32 v9, 31, v8
	v_lshl_add_u64 v[30:31], v[8:9], 2, v[2:3]
	v_add_u32_e32 v8, s12, v8
	v_ashrrev_i32_e32 v9, 31, v8
	v_lshl_add_u64 v[32:33], v[8:9], 2, v[2:3]
	v_add_u32_e32 v8, s12, v8
	v_ashrrev_i32_e32 v9, 31, v8
	v_lshl_add_u64 v[34:35], v[8:9], 2, v[2:3]
	v_add_u32_e32 v8, s12, v8
	v_add_u32_e32 v38, s12, v8
	v_ashrrev_i32_e32 v9, 31, v8
	v_ashrrev_i32_e32 v39, 31, v38
	v_lshl_add_u64 v[36:37], v[8:9], 2, v[2:3]
	v_lshl_add_u64 v[40:41], v[38:39], 2, v[2:3]
	global_load_dword v28, v[14:15], off
	global_load_dword v29, v[24:25], off
	global_load_dword v22, v[26:27], off
	global_load_dword v23, v[30:31], off
	global_load_dword v12, v[32:33], off
	global_load_dword v13, v[34:35], off
	global_load_dword v8, v[36:37], off
	global_load_dword v9, v[40:41], off
	v_add_u32_e32 v14, s12, v38
	v_ashrrev_i32_e32 v15, 31, v14
	v_lshl_add_u64 v[26:27], v[14:15], 2, v[2:3]
	v_add_u32_e32 v14, s12, v14
	v_ashrrev_i32_e32 v15, 31, v14
	v_lshl_add_u64 v[32:33], v[14:15], 2, v[2:3]
	v_add_u32_e32 v14, s12, v14
	v_ashrrev_i32_e32 v15, 31, v14
	v_lshl_add_u64 v[36:37], v[14:15], 2, v[2:3]
	v_add_u32_e32 v14, s12, v14
	v_ashrrev_i32_e32 v15, 31, v14
	v_lshl_add_u64 v[38:39], v[14:15], 2, v[2:3]
	v_add_u32_e32 v14, s12, v14
	v_ashrrev_i32_e32 v15, 31, v14
	v_lshl_add_u64 v[40:41], v[14:15], 2, v[2:3]
	v_add_u32_e32 v14, s12, v14
	v_ashrrev_i32_e32 v15, 31, v14
	v_lshl_add_u64 v[42:43], v[14:15], 2, v[2:3]
	v_add_u32_e32 v14, s12, v14
	v_add_u32_e32 v46, s12, v14
	v_ashrrev_i32_e32 v15, 31, v14
	v_ashrrev_i32_e32 v47, 31, v46
	v_lshl_add_u64 v[44:45], v[14:15], 2, v[2:3]
	v_lshl_add_u64 v[50:51], v[46:47], 2, v[2:3]
	;; [unrolled: 32-line block ×3, first 2 shown]
	global_load_dword v42, v[38:39], off
	global_load_dword v43, v[40:41], off
	;; [unrolled: 1-line block ×8, first 2 shown]
	v_add_u32_e32 v38, s12, v56
	v_ashrrev_i32_e32 v39, 31, v38
	v_lshl_add_u64 v[40:41], v[38:39], 2, v[2:3]
	v_add_u32_e32 v38, s12, v38
	v_ashrrev_i32_e32 v39, 31, v38
	v_lshl_add_u64 v[50:51], v[38:39], 2, v[2:3]
	;; [unrolled: 3-line block ×8, first 2 shown]
	global_load_dword v46, v[40:41], off
	global_load_dword v47, v[50:51], off
	;; [unrolled: 1-line block ×6, first 2 shown]
                                        ; kill: killed $vgpr40_vgpr41
                                        ; kill: killed $vgpr50_vgpr51
                                        ; kill: killed $vgpr52_vgpr53
                                        ; kill: killed $vgpr54_vgpr55
                                        ; kill: killed $vgpr56_vgpr57
                                        ; kill: killed $vgpr58_vgpr59
	global_load_dword v40, v[60:61], off
	global_load_dword v41, v[62:63], off
	s_load_dword s22, s[0:1], 0x0
	s_load_dwordx2 s[4:5], s[0:1], 0x40
	s_waitcnt lgkmcnt(0)
	s_max_i32 s0, s22, 40
	v_mul_lo_u32 v50, s0, v17
	v_lshl_add_u32 v17, v50, 2, 0
	v_add_u32_e32 v48, v17, v48
	s_waitcnt vmcnt(39)
	ds_write_b32 v48, v18
	s_waitcnt lgkmcnt(0)
	s_barrier
	ds_read_b32 v48, v17
	s_cmp_lt_i32 s22, 2
	v_lshlrev_b32_e32 v50, 2, v50
	s_cbranch_scc1 .LBB78_6
; %bb.4:
	v_add3_u32 v51, v50, 0, 4
	v_mov_b32_e32 v49, 0
	s_mov_b32 s0, 1
.LBB78_5:                               ; =>This Inner Loop Header: Depth=1
	ds_read_b32 v52, v51
	v_mov_b32_e32 v53, s0
	s_add_i32 s0, s0, 1
	v_add_u32_e32 v51, 4, v51
	s_cmp_eq_u32 s22, s0
	s_waitcnt lgkmcnt(0)
	v_cmp_lt_f32_e64 vcc, |v48|, |v52|
	s_nop 1
	v_cndmask_b32_e32 v48, v48, v52, vcc
	v_cndmask_b32_e32 v49, v49, v53, vcc
	s_cbranch_scc0 .LBB78_5
.LBB78_6:
	v_cmp_ne_u32_e32 vcc, v19, v49
                                        ; implicit-def: $vgpr51
	s_and_saveexec_b64 s[0:1], vcc
	s_xor_b64 s[0:1], exec, s[0:1]
	s_cbranch_execz .LBB78_12
; %bb.7:
	v_cmp_eq_u32_e32 vcc, 0, v19
	s_and_saveexec_b64 s[2:3], vcc
	s_cbranch_execz .LBB78_11
; %bb.8:
	v_cmp_ne_u32_e32 vcc, 0, v49
	s_xor_b64 s[18:19], s[16:17], -1
	s_and_b64 s[20:21], s[18:19], vcc
	s_and_saveexec_b64 s[18:19], s[20:21]
	s_cbranch_execz .LBB78_10
; %bb.9:
	v_ashrrev_i32_e32 v53, 31, v49
	v_mov_b32_e32 v52, v49
	v_lshl_add_u64 v[52:53], v[52:53], 2, v[20:21]
	global_load_dword v19, v[52:53], off
	global_load_dword v51, v[20:21], off
	s_waitcnt vmcnt(1)
	global_store_dword v[20:21], v19, off
	s_waitcnt vmcnt(1)
	global_store_dword v[52:53], v51, off
.LBB78_10:
	s_or_b64 exec, exec, s[18:19]
	v_mov_b32_e32 v19, v49
.LBB78_11:
	s_or_b64 exec, exec, s[2:3]
	v_mov_b32_e32 v51, v19
                                        ; implicit-def: $vgpr19
.LBB78_12:
	s_or_saveexec_b64 s[0:1], s[0:1]
	v_mov_b32_e32 v49, v51
	s_xor_b64 exec, exec, s[0:1]
	s_cbranch_execz .LBB78_14
; %bb.13:
	v_mov_b32_e32 v51, 0
	v_mov_b32_e32 v49, v19
	s_waitcnt vmcnt(37)
	ds_write2_b32 v17, v16, v10 offset0:1 offset1:2
	s_waitcnt vmcnt(35)
	ds_write2_b32 v17, v11, v6 offset0:3 offset1:4
	;; [unrolled: 2-line block ×19, first 2 shown]
	s_waitcnt vmcnt(0)
	ds_write_b32 v17, v41 offset:156
.LBB78_14:
	s_or_b64 exec, exec, s[0:1]
	s_waitcnt lgkmcnt(0)
	v_cmp_eq_f32_e64 s[0:1], 0, v48
	v_cmp_lt_i32_e32 vcc, 0, v51
	s_barrier
	s_and_saveexec_b64 s[2:3], vcc
	s_cbranch_execz .LBB78_16
; %bb.15:
	v_div_scale_f32 v19, s[18:19], v48, v48, 1.0
	v_rcp_f32_e32 v52, v19
	v_div_scale_f32 v53, vcc, 1.0, v48, 1.0
	v_fma_f32 v54, -v19, v52, 1.0
	v_fmac_f32_e32 v52, v54, v52
	v_mul_f32_e32 v54, v53, v52
	v_fma_f32 v55, -v19, v54, v53
	v_fmac_f32_e32 v54, v55, v52
	v_fma_f32 v19, -v19, v54, v53
	v_div_fmas_f32 v19, v19, v52, v54
	v_div_fixup_f32 v19, v19, v48, 1.0
	v_cndmask_b32_e64 v19, v19, v48, s[0:1]
	ds_read_b32 v48, v17 offset:4
	ds_read2_b32 v[52:53], v17 offset0:2 offset1:3
	ds_read2_b32 v[54:55], v17 offset0:4 offset1:5
	v_mul_f32_e32 v18, v19, v18
	ds_read2_b32 v[56:57], v17 offset0:6 offset1:7
	s_waitcnt vmcnt(38) lgkmcnt(3)
	v_fma_f32 v16, -v18, v48, v16
	s_waitcnt vmcnt(36) lgkmcnt(2)
	v_pk_fma_f32 v[10:11], v[18:19], v[52:53], v[10:11] op_sel_hi:[0,1,1] neg_lo:[1,0,0] neg_hi:[1,0,0]
	s_waitcnt vmcnt(34) lgkmcnt(1)
	v_pk_fma_f32 v[6:7], v[18:19], v[54:55], v[6:7] op_sel_hi:[0,1,1] neg_lo:[1,0,0] neg_hi:[1,0,0]
	ds_read2_b32 v[52:53], v17 offset0:8 offset1:9
	ds_read2_b32 v[54:55], v17 offset0:10 offset1:11
	ds_read2_b32 v[58:59], v17 offset0:12 offset1:13
	s_waitcnt vmcnt(32) lgkmcnt(3)
	v_pk_fma_f32 v[0:1], v[18:19], v[56:57], v[0:1] op_sel_hi:[0,1,1] neg_lo:[1,0,0] neg_hi:[1,0,0]
	ds_read2_b32 v[56:57], v17 offset0:14 offset1:15
	s_waitcnt vmcnt(30) lgkmcnt(3)
	v_pk_fma_f32 v[28:29], v[18:19], v[52:53], v[28:29] op_sel_hi:[0,1,1] neg_lo:[1,0,0] neg_hi:[1,0,0]
	s_waitcnt vmcnt(28) lgkmcnt(2)
	v_pk_fma_f32 v[22:23], v[18:19], v[54:55], v[22:23] op_sel_hi:[0,1,1] neg_lo:[1,0,0] neg_hi:[1,0,0]
	s_waitcnt vmcnt(26) lgkmcnt(1)
	v_pk_fma_f32 v[12:13], v[18:19], v[58:59], v[12:13] op_sel_hi:[0,1,1] neg_lo:[1,0,0] neg_hi:[1,0,0]
	ds_read2_b32 v[52:53], v17 offset0:16 offset1:17
	ds_read2_b32 v[54:55], v17 offset0:18 offset1:19
	ds_read2_b32 v[58:59], v17 offset0:20 offset1:21
	s_waitcnt vmcnt(24) lgkmcnt(3)
	v_pk_fma_f32 v[8:9], v[18:19], v[56:57], v[8:9] op_sel_hi:[0,1,1] neg_lo:[1,0,0] neg_hi:[1,0,0]
	ds_read2_b32 v[56:57], v17 offset0:22 offset1:23
	s_waitcnt vmcnt(22) lgkmcnt(3)
	v_pk_fma_f32 v[34:35], v[18:19], v[52:53], v[34:35] op_sel_hi:[0,1,1] neg_lo:[1,0,0] neg_hi:[1,0,0]
	;; [unrolled: 12-line block ×3, first 2 shown]
	s_waitcnt vmcnt(12) lgkmcnt(2)
	v_pk_fma_f32 v[36:37], v[18:19], v[54:55], v[36:37] op_sel_hi:[0,1,1] neg_lo:[1,0,0] neg_hi:[1,0,0]
	s_waitcnt vmcnt(10) lgkmcnt(1)
	v_pk_fma_f32 v[32:33], v[18:19], v[58:59], v[32:33] op_sel_hi:[0,1,1] neg_lo:[1,0,0] neg_hi:[1,0,0]
	ds_read2_b32 v[52:53], v17 offset0:32 offset1:33
	ds_read2_b32 v[54:55], v17 offset0:34 offset1:35
	ds_read2_b32 v[58:59], v17 offset0:36 offset1:37
	ds_read2_b32 v[60:61], v17 offset0:38 offset1:39
	s_waitcnt vmcnt(8) lgkmcnt(4)
	v_pk_fma_f32 v[26:27], v[18:19], v[56:57], v[26:27] op_sel_hi:[0,1,1] neg_lo:[1,0,0] neg_hi:[1,0,0]
	s_waitcnt vmcnt(6) lgkmcnt(3)
	v_pk_fma_f32 v[46:47], v[18:19], v[52:53], v[46:47] op_sel_hi:[0,1,1] neg_lo:[1,0,0] neg_hi:[1,0,0]
	;; [unrolled: 2-line block ×5, first 2 shown]
.LBB78_16:
	s_or_b64 exec, exec, s[2:3]
	v_lshl_add_u32 v19, v51, 2, v17
	s_barrier
	s_waitcnt vmcnt(38)
	ds_write_b32 v19, v16
	s_waitcnt lgkmcnt(0)
	s_barrier
	ds_read_b32 v19, v17 offset:4
	s_mov_b32 s2, 2
	s_cmp_lt_i32 s22, 3
	v_mov_b32_e32 v48, 1
	s_cbranch_scc1 .LBB78_19
; %bb.17:
	v_add3_u32 v52, v50, 0, 8
	v_mov_b32_e32 v48, 1
.LBB78_18:                              ; =>This Inner Loop Header: Depth=1
	ds_read_b32 v53, v52
	v_mov_b32_e32 v54, s2
	s_add_i32 s2, s2, 1
	v_add_u32_e32 v52, 4, v52
	s_cmp_lg_u32 s22, s2
	s_waitcnt lgkmcnt(0)
	v_cmp_lt_f32_e64 vcc, |v19|, |v53|
	s_nop 1
	v_cndmask_b32_e32 v19, v19, v53, vcc
	v_cndmask_b32_e32 v48, v48, v54, vcc
	s_cbranch_scc1 .LBB78_18
.LBB78_19:
	v_cmp_ne_u32_e32 vcc, v51, v48
	s_and_saveexec_b64 s[2:3], vcc
	s_xor_b64 s[2:3], exec, s[2:3]
	s_cbranch_execz .LBB78_25
; %bb.20:
	v_cmp_eq_u32_e32 vcc, 1, v51
	s_and_saveexec_b64 s[18:19], vcc
	s_cbranch_execz .LBB78_24
; %bb.21:
	v_cmp_ne_u32_e32 vcc, 1, v48
	s_xor_b64 s[20:21], s[16:17], -1
	s_and_b64 s[24:25], s[20:21], vcc
	s_and_saveexec_b64 s[20:21], s[24:25]
	s_cbranch_execz .LBB78_23
; %bb.22:
	v_ashrrev_i32_e32 v49, 31, v48
	v_lshl_add_u64 v[52:53], v[48:49], 2, v[20:21]
	global_load_dword v49, v[52:53], off
	global_load_dword v51, v[20:21], off offset:4
	s_waitcnt vmcnt(1)
	global_store_dword v[20:21], v49, off offset:4
	s_waitcnt vmcnt(1)
	global_store_dword v[52:53], v51, off
.LBB78_23:
	s_or_b64 exec, exec, s[20:21]
	v_mov_b32_e32 v49, v48
	v_mov_b32_e32 v51, v48
.LBB78_24:
	s_or_b64 exec, exec, s[18:19]
.LBB78_25:
	s_andn2_saveexec_b64 s[2:3], s[2:3]
	s_cbranch_execz .LBB78_27
; %bb.26:
	v_mov_b32_e32 v51, 1
	s_waitcnt vmcnt(36)
	ds_write2_b32 v17, v10, v11 offset0:2 offset1:3
	s_waitcnt vmcnt(34)
	ds_write2_b32 v17, v6, v7 offset0:4 offset1:5
	;; [unrolled: 2-line block ×19, first 2 shown]
.LBB78_27:
	s_or_b64 exec, exec, s[2:3]
	s_waitcnt lgkmcnt(0)
	v_cmp_neq_f32_e64 s[2:3], 0, v19
	v_cmp_lt_i32_e32 vcc, 1, v51
	s_barrier
	s_and_saveexec_b64 s[18:19], vcc
	s_cbranch_execz .LBB78_29
; %bb.28:
	v_div_scale_f32 v48, s[20:21], v19, v19, 1.0
	v_rcp_f32_e32 v52, v48
	v_div_scale_f32 v53, vcc, 1.0, v19, 1.0
	v_fma_f32 v54, -v48, v52, 1.0
	v_fmac_f32_e32 v52, v54, v52
	v_mul_f32_e32 v54, v53, v52
	v_fma_f32 v55, -v48, v54, v53
	v_fmac_f32_e32 v54, v55, v52
	v_fma_f32 v48, -v48, v54, v53
	v_div_fmas_f32 v48, v48, v52, v54
	ds_read2_b32 v[52:53], v17 offset0:2 offset1:3
	ds_read2_b32 v[54:55], v17 offset0:4 offset1:5
	;; [unrolled: 1-line block ×3, first 2 shown]
	v_div_fixup_f32 v48, v48, v19, 1.0
	v_cndmask_b32_e64 v19, v19, v48, s[2:3]
	v_mul_f32_e32 v16, v19, v16
	ds_read2_b32 v[58:59], v17 offset0:8 offset1:9
	s_waitcnt vmcnt(36) lgkmcnt(3)
	v_pk_fma_f32 v[10:11], v[16:17], v[52:53], v[10:11] op_sel_hi:[0,1,1] neg_lo:[1,0,0] neg_hi:[1,0,0]
	s_waitcnt vmcnt(34) lgkmcnt(2)
	v_pk_fma_f32 v[6:7], v[16:17], v[54:55], v[6:7] op_sel_hi:[0,1,1] neg_lo:[1,0,0] neg_hi:[1,0,0]
	;; [unrolled: 2-line block ×3, first 2 shown]
	ds_read2_b32 v[52:53], v17 offset0:10 offset1:11
	ds_read2_b32 v[54:55], v17 offset0:12 offset1:13
	;; [unrolled: 1-line block ×3, first 2 shown]
	s_waitcnt vmcnt(30) lgkmcnt(3)
	v_pk_fma_f32 v[28:29], v[16:17], v[58:59], v[28:29] op_sel_hi:[0,1,1] neg_lo:[1,0,0] neg_hi:[1,0,0]
	ds_read2_b32 v[58:59], v17 offset0:16 offset1:17
	s_waitcnt vmcnt(28) lgkmcnt(3)
	v_pk_fma_f32 v[22:23], v[16:17], v[52:53], v[22:23] op_sel_hi:[0,1,1] neg_lo:[1,0,0] neg_hi:[1,0,0]
	s_waitcnt vmcnt(26) lgkmcnt(2)
	v_pk_fma_f32 v[12:13], v[16:17], v[54:55], v[12:13] op_sel_hi:[0,1,1] neg_lo:[1,0,0] neg_hi:[1,0,0]
	;; [unrolled: 2-line block ×3, first 2 shown]
	ds_read2_b32 v[52:53], v17 offset0:18 offset1:19
	ds_read2_b32 v[54:55], v17 offset0:20 offset1:21
	;; [unrolled: 1-line block ×3, first 2 shown]
	s_waitcnt vmcnt(22) lgkmcnt(3)
	v_pk_fma_f32 v[34:35], v[16:17], v[58:59], v[34:35] op_sel_hi:[0,1,1] neg_lo:[1,0,0] neg_hi:[1,0,0]
	ds_read2_b32 v[58:59], v17 offset0:24 offset1:25
	s_waitcnt vmcnt(20) lgkmcnt(3)
	v_pk_fma_f32 v[30:31], v[16:17], v[52:53], v[30:31] op_sel_hi:[0,1,1] neg_lo:[1,0,0] neg_hi:[1,0,0]
	s_waitcnt vmcnt(18) lgkmcnt(2)
	v_pk_fma_f32 v[24:25], v[16:17], v[54:55], v[24:25] op_sel_hi:[0,1,1] neg_lo:[1,0,0] neg_hi:[1,0,0]
	ds_read2_b32 v[52:53], v17 offset0:26 offset1:27
	ds_read2_b32 v[54:55], v17 offset0:28 offset1:29
	s_waitcnt vmcnt(16) lgkmcnt(3)
	v_pk_fma_f32 v[14:15], v[16:17], v[56:57], v[14:15] op_sel_hi:[0,1,1] neg_lo:[1,0,0] neg_hi:[1,0,0]
	s_waitcnt vmcnt(14) lgkmcnt(2)
	v_pk_fma_f32 v[42:43], v[16:17], v[58:59], v[42:43] op_sel_hi:[0,1,1] neg_lo:[1,0,0] neg_hi:[1,0,0]
	ds_read2_b32 v[56:57], v17 offset0:30 offset1:31
	;; [unrolled: 6-line block ×3, first 2 shown]
	ds_read2_b32 v[54:55], v17 offset0:36 offset1:37
	ds_read2_b32 v[60:61], v17 offset0:38 offset1:39
	s_waitcnt vmcnt(8) lgkmcnt(4)
	v_pk_fma_f32 v[26:27], v[16:17], v[56:57], v[26:27] op_sel_hi:[0,1,1] neg_lo:[1,0,0] neg_hi:[1,0,0]
	s_waitcnt vmcnt(6) lgkmcnt(3)
	v_pk_fma_f32 v[46:47], v[16:17], v[58:59], v[46:47] op_sel_hi:[0,1,1] neg_lo:[1,0,0] neg_hi:[1,0,0]
	;; [unrolled: 2-line block ×5, first 2 shown]
.LBB78_29:
	s_or_b64 exec, exec, s[18:19]
	v_lshl_add_u32 v19, v51, 2, v17
	s_barrier
	s_waitcnt vmcnt(37)
	ds_write_b32 v19, v10
	s_waitcnt lgkmcnt(0)
	s_barrier
	ds_read_b32 v52, v17 offset:8
	s_cmp_lt_i32 s22, 4
	v_mov_b32_e32 v48, 2
	s_cbranch_scc1 .LBB78_32
; %bb.30:
	v_mov_b32_e32 v48, 2
	v_add3_u32 v19, v50, 0, 12
	s_mov_b32 s18, 3
.LBB78_31:                              ; =>This Inner Loop Header: Depth=1
	ds_read_b32 v53, v19
	v_mov_b32_e32 v54, s18
	s_add_i32 s18, s18, 1
	v_add_u32_e32 v19, 4, v19
	s_cmp_lg_u32 s22, s18
	s_waitcnt lgkmcnt(0)
	v_cmp_lt_f32_e64 vcc, |v52|, |v53|
	s_nop 1
	v_cndmask_b32_e32 v52, v52, v53, vcc
	v_cndmask_b32_e32 v48, v48, v54, vcc
	s_cbranch_scc1 .LBB78_31
.LBB78_32:
	v_cndmask_b32_e64 v19, 2, 1, s[0:1]
	v_cndmask_b32_e64 v53, 0, 1, s[0:1]
	;; [unrolled: 1-line block ×3, first 2 shown]
	s_waitcnt lgkmcnt(0)
	v_cmp_eq_f32_e32 vcc, 0, v52
	s_and_saveexec_b64 s[0:1], vcc
	s_xor_b64 s[0:1], exec, s[0:1]
; %bb.33:
	v_cmp_ne_u32_e32 vcc, 0, v19
	s_nop 1
	v_cndmask_b32_e32 v19, 3, v19, vcc
; %bb.34:
	s_andn2_saveexec_b64 s[0:1], s[0:1]
	s_cbranch_execz .LBB78_36
; %bb.35:
	v_div_scale_f32 v53, s[2:3], v52, v52, 1.0
	v_rcp_f32_e32 v54, v53
	v_div_scale_f32 v55, vcc, 1.0, v52, 1.0
	v_fma_f32 v56, -v53, v54, 1.0
	v_fmac_f32_e32 v54, v56, v54
	v_mul_f32_e32 v56, v55, v54
	v_fma_f32 v57, -v53, v56, v55
	v_fmac_f32_e32 v56, v57, v54
	v_fma_f32 v53, -v53, v56, v55
	v_div_fmas_f32 v53, v53, v54, v56
	v_div_fixup_f32 v52, v53, v52, 1.0
.LBB78_36:
	s_or_b64 exec, exec, s[0:1]
	v_cmp_ne_u32_e32 vcc, v51, v48
	s_and_saveexec_b64 s[0:1], vcc
	s_xor_b64 s[0:1], exec, s[0:1]
	s_cbranch_execz .LBB78_42
; %bb.37:
	v_cmp_eq_u32_e32 vcc, 2, v51
	s_and_saveexec_b64 s[2:3], vcc
	s_cbranch_execz .LBB78_41
; %bb.38:
	v_cmp_ne_u32_e32 vcc, 2, v48
	s_xor_b64 s[18:19], s[16:17], -1
	s_and_b64 s[20:21], s[18:19], vcc
	s_and_saveexec_b64 s[18:19], s[20:21]
	s_cbranch_execz .LBB78_40
; %bb.39:
	v_ashrrev_i32_e32 v49, 31, v48
	v_lshl_add_u64 v[54:55], v[48:49], 2, v[20:21]
	global_load_dword v49, v[54:55], off
	global_load_dword v51, v[20:21], off offset:8
	s_waitcnt vmcnt(1)
	global_store_dword v[20:21], v49, off offset:8
	s_waitcnt vmcnt(1)
	global_store_dword v[54:55], v51, off
.LBB78_40:
	s_or_b64 exec, exec, s[18:19]
	v_mov_b32_e32 v49, v48
	v_mov_b32_e32 v51, v48
.LBB78_41:
	s_or_b64 exec, exec, s[2:3]
.LBB78_42:
	s_andn2_saveexec_b64 s[0:1], s[0:1]
	s_cbranch_execz .LBB78_44
; %bb.43:
	s_waitcnt vmcnt(34)
	v_pk_mov_b32 v[54:55], v[10:11], v[6:7] op_sel:[1,0]
	ds_write2_b32 v17, v54, v55 offset0:3 offset1:4
	s_waitcnt vmcnt(32)
	v_pk_mov_b32 v[54:55], v[6:7], v[0:1] op_sel:[1,0]
	ds_write2_b32 v17, v54, v55 offset0:5 offset1:6
	;; [unrolled: 3-line block ×17, first 2 shown]
	s_waitcnt vmcnt(0)
	v_pk_mov_b32 v[54:55], v[38:39], v[40:41] op_sel:[1,0]
	v_mov_b32_e32 v51, 2
	ds_write2_b32 v17, v54, v55 offset0:37 offset1:38
	ds_write_b32 v17, v41 offset:156
.LBB78_44:
	s_or_b64 exec, exec, s[0:1]
	v_cmp_lt_i32_e32 vcc, 2, v51
	s_waitcnt lgkmcnt(0)
	s_barrier
	s_and_saveexec_b64 s[0:1], vcc
	s_cbranch_execz .LBB78_46
; %bb.45:
	ds_read_b32 v48, v17 offset:12
	ds_read2_b32 v[54:55], v17 offset0:4 offset1:5
	ds_read2_b32 v[56:57], v17 offset0:6 offset1:7
	v_mul_f32_e32 v10, v52, v10
	ds_read2_b32 v[52:53], v17 offset0:8 offset1:9
	s_waitcnt vmcnt(36) lgkmcnt(3)
	v_fma_f32 v11, -v10, v48, v11
	s_waitcnt vmcnt(34) lgkmcnt(2)
	v_pk_fma_f32 v[6:7], v[10:11], v[54:55], v[6:7] op_sel_hi:[0,1,1] neg_lo:[1,0,0] neg_hi:[1,0,0]
	s_waitcnt vmcnt(32) lgkmcnt(1)
	v_pk_fma_f32 v[0:1], v[10:11], v[56:57], v[0:1] op_sel_hi:[0,1,1] neg_lo:[1,0,0] neg_hi:[1,0,0]
	ds_read2_b32 v[54:55], v17 offset0:10 offset1:11
	ds_read2_b32 v[56:57], v17 offset0:12 offset1:13
	;; [unrolled: 1-line block ×3, first 2 shown]
	s_waitcnt vmcnt(30) lgkmcnt(3)
	v_pk_fma_f32 v[28:29], v[10:11], v[52:53], v[28:29] op_sel_hi:[0,1,1] neg_lo:[1,0,0] neg_hi:[1,0,0]
	ds_read2_b32 v[52:53], v17 offset0:16 offset1:17
	s_waitcnt vmcnt(28) lgkmcnt(3)
	v_pk_fma_f32 v[22:23], v[10:11], v[54:55], v[22:23] op_sel_hi:[0,1,1] neg_lo:[1,0,0] neg_hi:[1,0,0]
	s_waitcnt vmcnt(26) lgkmcnt(2)
	v_pk_fma_f32 v[12:13], v[10:11], v[56:57], v[12:13] op_sel_hi:[0,1,1] neg_lo:[1,0,0] neg_hi:[1,0,0]
	s_waitcnt vmcnt(24) lgkmcnt(1)
	v_pk_fma_f32 v[8:9], v[10:11], v[58:59], v[8:9] op_sel_hi:[0,1,1] neg_lo:[1,0,0] neg_hi:[1,0,0]
	ds_read2_b32 v[54:55], v17 offset0:18 offset1:19
	ds_read2_b32 v[56:57], v17 offset0:20 offset1:21
	;; [unrolled: 1-line block ×3, first 2 shown]
	s_waitcnt vmcnt(22) lgkmcnt(3)
	v_pk_fma_f32 v[34:35], v[10:11], v[52:53], v[34:35] op_sel_hi:[0,1,1] neg_lo:[1,0,0] neg_hi:[1,0,0]
	ds_read2_b32 v[52:53], v17 offset0:24 offset1:25
	s_waitcnt vmcnt(20) lgkmcnt(3)
	v_pk_fma_f32 v[30:31], v[10:11], v[54:55], v[30:31] op_sel_hi:[0,1,1] neg_lo:[1,0,0] neg_hi:[1,0,0]
	s_waitcnt vmcnt(18) lgkmcnt(2)
	v_pk_fma_f32 v[24:25], v[10:11], v[56:57], v[24:25] op_sel_hi:[0,1,1] neg_lo:[1,0,0] neg_hi:[1,0,0]
	ds_read2_b32 v[54:55], v17 offset0:26 offset1:27
	ds_read2_b32 v[56:57], v17 offset0:28 offset1:29
	s_waitcnt vmcnt(16) lgkmcnt(3)
	v_pk_fma_f32 v[14:15], v[10:11], v[58:59], v[14:15] op_sel_hi:[0,1,1] neg_lo:[1,0,0] neg_hi:[1,0,0]
	s_waitcnt vmcnt(14) lgkmcnt(2)
	v_pk_fma_f32 v[42:43], v[10:11], v[52:53], v[42:43] op_sel_hi:[0,1,1] neg_lo:[1,0,0] neg_hi:[1,0,0]
	ds_read2_b32 v[52:53], v17 offset0:30 offset1:31
	;; [unrolled: 6-line block ×3, first 2 shown]
	ds_read2_b32 v[56:57], v17 offset0:36 offset1:37
	ds_read2_b32 v[60:61], v17 offset0:38 offset1:39
	s_waitcnt vmcnt(8) lgkmcnt(4)
	v_pk_fma_f32 v[26:27], v[10:11], v[52:53], v[26:27] op_sel_hi:[0,1,1] neg_lo:[1,0,0] neg_hi:[1,0,0]
	s_waitcnt vmcnt(6) lgkmcnt(3)
	v_pk_fma_f32 v[46:47], v[10:11], v[58:59], v[46:47] op_sel_hi:[0,1,1] neg_lo:[1,0,0] neg_hi:[1,0,0]
	;; [unrolled: 2-line block ×5, first 2 shown]
.LBB78_46:
	s_or_b64 exec, exec, s[0:1]
	v_lshl_add_u32 v48, v51, 2, v17
	s_barrier
	s_waitcnt vmcnt(36)
	ds_write_b32 v48, v11
	s_waitcnt lgkmcnt(0)
	s_barrier
	ds_read_b32 v52, v17 offset:12
	s_cmp_lt_i32 s22, 5
	v_mov_b32_e32 v48, 3
	s_cbranch_scc1 .LBB78_49
; %bb.47:
	v_add3_u32 v53, v50, 0, 16
	v_mov_b32_e32 v48, 3
	s_mov_b32 s0, 4
.LBB78_48:                              ; =>This Inner Loop Header: Depth=1
	ds_read_b32 v54, v53
	v_mov_b32_e32 v55, s0
	s_add_i32 s0, s0, 1
	v_add_u32_e32 v53, 4, v53
	s_cmp_lg_u32 s22, s0
	s_waitcnt lgkmcnt(0)
	v_cmp_lt_f32_e64 vcc, |v52|, |v54|
	s_nop 1
	v_cndmask_b32_e32 v52, v52, v54, vcc
	v_cndmask_b32_e32 v48, v48, v55, vcc
	s_cbranch_scc1 .LBB78_48
.LBB78_49:
	s_waitcnt lgkmcnt(0)
	v_cmp_eq_f32_e32 vcc, 0, v52
	s_and_saveexec_b64 s[0:1], vcc
	s_xor_b64 s[0:1], exec, s[0:1]
; %bb.50:
	v_cmp_ne_u32_e32 vcc, 0, v19
	s_nop 1
	v_cndmask_b32_e32 v19, 4, v19, vcc
; %bb.51:
	s_andn2_saveexec_b64 s[0:1], s[0:1]
	s_cbranch_execz .LBB78_53
; %bb.52:
	v_div_scale_f32 v53, s[2:3], v52, v52, 1.0
	v_rcp_f32_e32 v54, v53
	v_div_scale_f32 v55, vcc, 1.0, v52, 1.0
	v_fma_f32 v56, -v53, v54, 1.0
	v_fmac_f32_e32 v54, v56, v54
	v_mul_f32_e32 v56, v55, v54
	v_fma_f32 v57, -v53, v56, v55
	v_fmac_f32_e32 v56, v57, v54
	v_fma_f32 v53, -v53, v56, v55
	v_div_fmas_f32 v53, v53, v54, v56
	v_div_fixup_f32 v52, v53, v52, 1.0
.LBB78_53:
	s_or_b64 exec, exec, s[0:1]
	v_cmp_ne_u32_e32 vcc, v51, v48
	s_and_saveexec_b64 s[0:1], vcc
	s_xor_b64 s[0:1], exec, s[0:1]
	s_cbranch_execz .LBB78_59
; %bb.54:
	v_cmp_eq_u32_e32 vcc, 3, v51
	s_and_saveexec_b64 s[2:3], vcc
	s_cbranch_execz .LBB78_58
; %bb.55:
	v_cmp_ne_u32_e32 vcc, 3, v48
	s_xor_b64 s[18:19], s[16:17], -1
	s_and_b64 s[20:21], s[18:19], vcc
	s_and_saveexec_b64 s[18:19], s[20:21]
	s_cbranch_execz .LBB78_57
; %bb.56:
	v_ashrrev_i32_e32 v49, 31, v48
	v_lshl_add_u64 v[54:55], v[48:49], 2, v[20:21]
	global_load_dword v49, v[54:55], off
	global_load_dword v51, v[20:21], off offset:12
	s_waitcnt vmcnt(1)
	global_store_dword v[20:21], v49, off offset:12
	s_waitcnt vmcnt(1)
	global_store_dword v[54:55], v51, off
.LBB78_57:
	s_or_b64 exec, exec, s[18:19]
	v_mov_b32_e32 v49, v48
	v_mov_b32_e32 v51, v48
.LBB78_58:
	s_or_b64 exec, exec, s[2:3]
.LBB78_59:
	s_andn2_saveexec_b64 s[0:1], s[0:1]
	s_cbranch_execz .LBB78_61
; %bb.60:
	v_mov_b32_e32 v51, 3
	s_waitcnt vmcnt(34)
	ds_write2_b32 v17, v6, v7 offset0:4 offset1:5
	s_waitcnt vmcnt(32)
	ds_write2_b32 v17, v0, v1 offset0:6 offset1:7
	;; [unrolled: 2-line block ×18, first 2 shown]
.LBB78_61:
	s_or_b64 exec, exec, s[0:1]
	v_cmp_lt_i32_e32 vcc, 3, v51
	s_waitcnt lgkmcnt(0)
	s_barrier
	s_and_saveexec_b64 s[0:1], vcc
	s_cbranch_execz .LBB78_63
; %bb.62:
	ds_read2_b32 v[54:55], v17 offset0:4 offset1:5
	ds_read2_b32 v[56:57], v17 offset0:6 offset1:7
	;; [unrolled: 1-line block ×3, first 2 shown]
	v_mul_f32_e32 v48, v52, v11
	ds_read2_b32 v[52:53], v17 offset0:10 offset1:11
	s_waitcnt vmcnt(34) lgkmcnt(3)
	v_pk_fma_f32 v[6:7], v[48:49], v[54:55], v[6:7] op_sel_hi:[0,1,1] neg_lo:[1,0,0] neg_hi:[1,0,0]
	s_waitcnt vmcnt(32) lgkmcnt(2)
	v_pk_fma_f32 v[0:1], v[48:49], v[56:57], v[0:1] op_sel_hi:[0,1,1] neg_lo:[1,0,0] neg_hi:[1,0,0]
	;; [unrolled: 2-line block ×3, first 2 shown]
	ds_read2_b32 v[54:55], v17 offset0:12 offset1:13
	ds_read2_b32 v[56:57], v17 offset0:14 offset1:15
	;; [unrolled: 1-line block ×3, first 2 shown]
	s_waitcnt vmcnt(28) lgkmcnt(3)
	v_pk_fma_f32 v[22:23], v[48:49], v[52:53], v[22:23] op_sel_hi:[0,1,1] neg_lo:[1,0,0] neg_hi:[1,0,0]
	ds_read2_b32 v[52:53], v17 offset0:18 offset1:19
	s_waitcnt vmcnt(26) lgkmcnt(3)
	v_pk_fma_f32 v[12:13], v[48:49], v[54:55], v[12:13] op_sel_hi:[0,1,1] neg_lo:[1,0,0] neg_hi:[1,0,0]
	s_waitcnt vmcnt(24) lgkmcnt(2)
	v_pk_fma_f32 v[8:9], v[48:49], v[56:57], v[8:9] op_sel_hi:[0,1,1] neg_lo:[1,0,0] neg_hi:[1,0,0]
	;; [unrolled: 2-line block ×3, first 2 shown]
	ds_read2_b32 v[54:55], v17 offset0:20 offset1:21
	ds_read2_b32 v[56:57], v17 offset0:22 offset1:23
	;; [unrolled: 1-line block ×3, first 2 shown]
	s_waitcnt vmcnt(20) lgkmcnt(3)
	v_pk_fma_f32 v[30:31], v[48:49], v[52:53], v[30:31] op_sel_hi:[0,1,1] neg_lo:[1,0,0] neg_hi:[1,0,0]
	ds_read2_b32 v[52:53], v17 offset0:26 offset1:27
	s_waitcnt vmcnt(18) lgkmcnt(3)
	v_pk_fma_f32 v[24:25], v[48:49], v[54:55], v[24:25] op_sel_hi:[0,1,1] neg_lo:[1,0,0] neg_hi:[1,0,0]
	ds_read2_b32 v[54:55], v17 offset0:28 offset1:29
	s_waitcnt vmcnt(16) lgkmcnt(3)
	v_pk_fma_f32 v[14:15], v[48:49], v[56:57], v[14:15] op_sel_hi:[0,1,1] neg_lo:[1,0,0] neg_hi:[1,0,0]
	s_waitcnt vmcnt(14) lgkmcnt(2)
	v_pk_fma_f32 v[42:43], v[48:49], v[58:59], v[42:43] op_sel_hi:[0,1,1] neg_lo:[1,0,0] neg_hi:[1,0,0]
	;; [unrolled: 2-line block ×3, first 2 shown]
	ds_read2_b32 v[52:53], v17 offset0:30 offset1:31
	ds_read2_b32 v[56:57], v17 offset0:32 offset1:33
	;; [unrolled: 1-line block ×3, first 2 shown]
	s_waitcnt vmcnt(10) lgkmcnt(3)
	v_pk_fma_f32 v[32:33], v[48:49], v[54:55], v[32:33] op_sel_hi:[0,1,1] neg_lo:[1,0,0] neg_hi:[1,0,0]
	ds_read2_b32 v[54:55], v17 offset0:36 offset1:37
	ds_read2_b32 v[60:61], v17 offset0:38 offset1:39
	s_waitcnt vmcnt(8) lgkmcnt(4)
	v_pk_fma_f32 v[26:27], v[48:49], v[52:53], v[26:27] op_sel_hi:[0,1,1] neg_lo:[1,0,0] neg_hi:[1,0,0]
	s_waitcnt vmcnt(6) lgkmcnt(3)
	v_pk_fma_f32 v[46:47], v[48:49], v[56:57], v[46:47] op_sel_hi:[0,1,1] neg_lo:[1,0,0] neg_hi:[1,0,0]
	;; [unrolled: 2-line block ×5, first 2 shown]
	v_mov_b32_e32 v11, v48
.LBB78_63:
	s_or_b64 exec, exec, s[0:1]
	v_lshl_add_u32 v48, v51, 2, v17
	s_barrier
	s_waitcnt vmcnt(35)
	ds_write_b32 v48, v6
	s_waitcnt lgkmcnt(0)
	s_barrier
	ds_read_b32 v52, v17 offset:16
	s_cmp_lt_i32 s22, 6
	v_mov_b32_e32 v48, 4
	s_cbranch_scc1 .LBB78_66
; %bb.64:
	v_add3_u32 v53, v50, 0, 20
	v_mov_b32_e32 v48, 4
	s_mov_b32 s0, 5
.LBB78_65:                              ; =>This Inner Loop Header: Depth=1
	ds_read_b32 v54, v53
	v_mov_b32_e32 v55, s0
	s_add_i32 s0, s0, 1
	v_add_u32_e32 v53, 4, v53
	s_cmp_lg_u32 s22, s0
	s_waitcnt lgkmcnt(0)
	v_cmp_lt_f32_e64 vcc, |v52|, |v54|
	s_nop 1
	v_cndmask_b32_e32 v52, v52, v54, vcc
	v_cndmask_b32_e32 v48, v48, v55, vcc
	s_cbranch_scc1 .LBB78_65
.LBB78_66:
	s_waitcnt lgkmcnt(0)
	v_cmp_eq_f32_e32 vcc, 0, v52
	s_and_saveexec_b64 s[0:1], vcc
	s_xor_b64 s[0:1], exec, s[0:1]
; %bb.67:
	v_cmp_ne_u32_e32 vcc, 0, v19
	s_nop 1
	v_cndmask_b32_e32 v19, 5, v19, vcc
; %bb.68:
	s_andn2_saveexec_b64 s[0:1], s[0:1]
	s_cbranch_execz .LBB78_70
; %bb.69:
	v_div_scale_f32 v53, s[2:3], v52, v52, 1.0
	v_rcp_f32_e32 v54, v53
	v_div_scale_f32 v55, vcc, 1.0, v52, 1.0
	v_fma_f32 v56, -v53, v54, 1.0
	v_fmac_f32_e32 v54, v56, v54
	v_mul_f32_e32 v56, v55, v54
	v_fma_f32 v57, -v53, v56, v55
	v_fmac_f32_e32 v56, v57, v54
	v_fma_f32 v53, -v53, v56, v55
	v_div_fmas_f32 v53, v53, v54, v56
	v_div_fixup_f32 v52, v53, v52, 1.0
.LBB78_70:
	s_or_b64 exec, exec, s[0:1]
	v_cmp_ne_u32_e32 vcc, v51, v48
	s_and_saveexec_b64 s[0:1], vcc
	s_xor_b64 s[0:1], exec, s[0:1]
	s_cbranch_execz .LBB78_76
; %bb.71:
	v_cmp_eq_u32_e32 vcc, 4, v51
	s_and_saveexec_b64 s[2:3], vcc
	s_cbranch_execz .LBB78_75
; %bb.72:
	v_cmp_ne_u32_e32 vcc, 4, v48
	s_xor_b64 s[18:19], s[16:17], -1
	s_and_b64 s[20:21], s[18:19], vcc
	s_and_saveexec_b64 s[18:19], s[20:21]
	s_cbranch_execz .LBB78_74
; %bb.73:
	v_ashrrev_i32_e32 v49, 31, v48
	v_lshl_add_u64 v[54:55], v[48:49], 2, v[20:21]
	global_load_dword v49, v[54:55], off
	global_load_dword v51, v[20:21], off offset:16
	s_waitcnt vmcnt(1)
	global_store_dword v[20:21], v49, off offset:16
	s_waitcnt vmcnt(1)
	global_store_dword v[54:55], v51, off
.LBB78_74:
	s_or_b64 exec, exec, s[18:19]
	v_mov_b32_e32 v49, v48
	v_mov_b32_e32 v51, v48
.LBB78_75:
	s_or_b64 exec, exec, s[2:3]
.LBB78_76:
	s_andn2_saveexec_b64 s[0:1], s[0:1]
	s_cbranch_execz .LBB78_78
; %bb.77:
	s_waitcnt vmcnt(32)
	v_pk_mov_b32 v[54:55], v[6:7], v[0:1] op_sel:[1,0]
	ds_write2_b32 v17, v54, v55 offset0:5 offset1:6
	s_waitcnt vmcnt(30)
	v_pk_mov_b32 v[54:55], v[0:1], v[28:29] op_sel:[1,0]
	ds_write2_b32 v17, v54, v55 offset0:7 offset1:8
	;; [unrolled: 3-line block ×16, first 2 shown]
	s_waitcnt vmcnt(0)
	v_pk_mov_b32 v[54:55], v[38:39], v[40:41] op_sel:[1,0]
	v_mov_b32_e32 v51, 4
	ds_write2_b32 v17, v54, v55 offset0:37 offset1:38
	ds_write_b32 v17, v41 offset:156
.LBB78_78:
	s_or_b64 exec, exec, s[0:1]
	v_cmp_lt_i32_e32 vcc, 4, v51
	s_waitcnt lgkmcnt(0)
	s_barrier
	s_and_saveexec_b64 s[0:1], vcc
	s_cbranch_execz .LBB78_80
; %bb.79:
	ds_read_b32 v48, v17 offset:20
	ds_read2_b32 v[54:55], v17 offset0:6 offset1:7
	ds_read2_b32 v[56:57], v17 offset0:8 offset1:9
	v_mul_f32_e32 v6, v52, v6
	ds_read2_b32 v[52:53], v17 offset0:10 offset1:11
	s_waitcnt vmcnt(34) lgkmcnt(3)
	v_fma_f32 v7, -v6, v48, v7
	s_waitcnt vmcnt(32) lgkmcnt(2)
	v_pk_fma_f32 v[0:1], v[6:7], v[54:55], v[0:1] op_sel_hi:[0,1,1] neg_lo:[1,0,0] neg_hi:[1,0,0]
	s_waitcnt vmcnt(30) lgkmcnt(1)
	v_pk_fma_f32 v[28:29], v[6:7], v[56:57], v[28:29] op_sel_hi:[0,1,1] neg_lo:[1,0,0] neg_hi:[1,0,0]
	ds_read2_b32 v[54:55], v17 offset0:12 offset1:13
	ds_read2_b32 v[56:57], v17 offset0:14 offset1:15
	;; [unrolled: 1-line block ×3, first 2 shown]
	s_waitcnt vmcnt(28) lgkmcnt(3)
	v_pk_fma_f32 v[22:23], v[6:7], v[52:53], v[22:23] op_sel_hi:[0,1,1] neg_lo:[1,0,0] neg_hi:[1,0,0]
	ds_read2_b32 v[52:53], v17 offset0:18 offset1:19
	s_waitcnt vmcnt(26) lgkmcnt(3)
	v_pk_fma_f32 v[12:13], v[6:7], v[54:55], v[12:13] op_sel_hi:[0,1,1] neg_lo:[1,0,0] neg_hi:[1,0,0]
	s_waitcnt vmcnt(24) lgkmcnt(2)
	v_pk_fma_f32 v[8:9], v[6:7], v[56:57], v[8:9] op_sel_hi:[0,1,1] neg_lo:[1,0,0] neg_hi:[1,0,0]
	;; [unrolled: 2-line block ×3, first 2 shown]
	ds_read2_b32 v[54:55], v17 offset0:20 offset1:21
	ds_read2_b32 v[56:57], v17 offset0:22 offset1:23
	;; [unrolled: 1-line block ×3, first 2 shown]
	s_waitcnt vmcnt(20) lgkmcnt(3)
	v_pk_fma_f32 v[30:31], v[6:7], v[52:53], v[30:31] op_sel_hi:[0,1,1] neg_lo:[1,0,0] neg_hi:[1,0,0]
	ds_read2_b32 v[52:53], v17 offset0:26 offset1:27
	s_waitcnt vmcnt(18) lgkmcnt(3)
	v_pk_fma_f32 v[24:25], v[6:7], v[54:55], v[24:25] op_sel_hi:[0,1,1] neg_lo:[1,0,0] neg_hi:[1,0,0]
	ds_read2_b32 v[54:55], v17 offset0:28 offset1:29
	s_waitcnt vmcnt(16) lgkmcnt(3)
	v_pk_fma_f32 v[14:15], v[6:7], v[56:57], v[14:15] op_sel_hi:[0,1,1] neg_lo:[1,0,0] neg_hi:[1,0,0]
	s_waitcnt vmcnt(14) lgkmcnt(2)
	v_pk_fma_f32 v[42:43], v[6:7], v[58:59], v[42:43] op_sel_hi:[0,1,1] neg_lo:[1,0,0] neg_hi:[1,0,0]
	;; [unrolled: 2-line block ×3, first 2 shown]
	ds_read2_b32 v[52:53], v17 offset0:30 offset1:31
	ds_read2_b32 v[56:57], v17 offset0:32 offset1:33
	;; [unrolled: 1-line block ×3, first 2 shown]
	s_waitcnt vmcnt(10) lgkmcnt(3)
	v_pk_fma_f32 v[32:33], v[6:7], v[54:55], v[32:33] op_sel_hi:[0,1,1] neg_lo:[1,0,0] neg_hi:[1,0,0]
	ds_read2_b32 v[54:55], v17 offset0:36 offset1:37
	ds_read2_b32 v[60:61], v17 offset0:38 offset1:39
	s_waitcnt vmcnt(8) lgkmcnt(4)
	v_pk_fma_f32 v[26:27], v[6:7], v[52:53], v[26:27] op_sel_hi:[0,1,1] neg_lo:[1,0,0] neg_hi:[1,0,0]
	s_waitcnt vmcnt(6) lgkmcnt(3)
	v_pk_fma_f32 v[46:47], v[6:7], v[56:57], v[46:47] op_sel_hi:[0,1,1] neg_lo:[1,0,0] neg_hi:[1,0,0]
	;; [unrolled: 2-line block ×5, first 2 shown]
.LBB78_80:
	s_or_b64 exec, exec, s[0:1]
	v_lshl_add_u32 v48, v51, 2, v17
	s_barrier
	s_waitcnt vmcnt(34)
	ds_write_b32 v48, v7
	s_waitcnt lgkmcnt(0)
	s_barrier
	ds_read_b32 v52, v17 offset:20
	s_cmp_lt_i32 s22, 7
	v_mov_b32_e32 v48, 5
	s_cbranch_scc1 .LBB78_83
; %bb.81:
	v_add3_u32 v53, v50, 0, 24
	v_mov_b32_e32 v48, 5
	s_mov_b32 s0, 6
.LBB78_82:                              ; =>This Inner Loop Header: Depth=1
	ds_read_b32 v54, v53
	v_mov_b32_e32 v55, s0
	s_add_i32 s0, s0, 1
	v_add_u32_e32 v53, 4, v53
	s_cmp_lg_u32 s22, s0
	s_waitcnt lgkmcnt(0)
	v_cmp_lt_f32_e64 vcc, |v52|, |v54|
	s_nop 1
	v_cndmask_b32_e32 v52, v52, v54, vcc
	v_cndmask_b32_e32 v48, v48, v55, vcc
	s_cbranch_scc1 .LBB78_82
.LBB78_83:
	s_waitcnt lgkmcnt(0)
	v_cmp_eq_f32_e32 vcc, 0, v52
	s_and_saveexec_b64 s[0:1], vcc
	s_xor_b64 s[0:1], exec, s[0:1]
; %bb.84:
	v_cmp_ne_u32_e32 vcc, 0, v19
	s_nop 1
	v_cndmask_b32_e32 v19, 6, v19, vcc
; %bb.85:
	s_andn2_saveexec_b64 s[0:1], s[0:1]
	s_cbranch_execz .LBB78_87
; %bb.86:
	v_div_scale_f32 v53, s[2:3], v52, v52, 1.0
	v_rcp_f32_e32 v54, v53
	v_div_scale_f32 v55, vcc, 1.0, v52, 1.0
	v_fma_f32 v56, -v53, v54, 1.0
	v_fmac_f32_e32 v54, v56, v54
	v_mul_f32_e32 v56, v55, v54
	v_fma_f32 v57, -v53, v56, v55
	v_fmac_f32_e32 v56, v57, v54
	v_fma_f32 v53, -v53, v56, v55
	v_div_fmas_f32 v53, v53, v54, v56
	v_div_fixup_f32 v52, v53, v52, 1.0
.LBB78_87:
	s_or_b64 exec, exec, s[0:1]
	v_cmp_ne_u32_e32 vcc, v51, v48
	s_and_saveexec_b64 s[0:1], vcc
	s_xor_b64 s[0:1], exec, s[0:1]
	s_cbranch_execz .LBB78_93
; %bb.88:
	v_cmp_eq_u32_e32 vcc, 5, v51
	s_and_saveexec_b64 s[2:3], vcc
	s_cbranch_execz .LBB78_92
; %bb.89:
	v_cmp_ne_u32_e32 vcc, 5, v48
	s_xor_b64 s[18:19], s[16:17], -1
	s_and_b64 s[20:21], s[18:19], vcc
	s_and_saveexec_b64 s[18:19], s[20:21]
	s_cbranch_execz .LBB78_91
; %bb.90:
	v_ashrrev_i32_e32 v49, 31, v48
	v_lshl_add_u64 v[54:55], v[48:49], 2, v[20:21]
	global_load_dword v49, v[54:55], off
	global_load_dword v51, v[20:21], off offset:20
	s_waitcnt vmcnt(1)
	global_store_dword v[20:21], v49, off offset:20
	s_waitcnt vmcnt(1)
	global_store_dword v[54:55], v51, off
.LBB78_91:
	s_or_b64 exec, exec, s[18:19]
	v_mov_b32_e32 v49, v48
	v_mov_b32_e32 v51, v48
.LBB78_92:
	s_or_b64 exec, exec, s[2:3]
.LBB78_93:
	s_andn2_saveexec_b64 s[0:1], s[0:1]
	s_cbranch_execz .LBB78_95
; %bb.94:
	v_mov_b32_e32 v51, 5
	s_waitcnt vmcnt(32)
	ds_write2_b32 v17, v0, v1 offset0:6 offset1:7
	s_waitcnt vmcnt(30)
	ds_write2_b32 v17, v28, v29 offset0:8 offset1:9
	;; [unrolled: 2-line block ×17, first 2 shown]
.LBB78_95:
	s_or_b64 exec, exec, s[0:1]
	v_cmp_lt_i32_e32 vcc, 5, v51
	s_waitcnt lgkmcnt(0)
	s_barrier
	s_and_saveexec_b64 s[0:1], vcc
	s_cbranch_execz .LBB78_97
; %bb.96:
	ds_read2_b32 v[54:55], v17 offset0:6 offset1:7
	ds_read2_b32 v[56:57], v17 offset0:8 offset1:9
	;; [unrolled: 1-line block ×3, first 2 shown]
	v_mul_f32_e32 v48, v52, v7
	ds_read2_b32 v[52:53], v17 offset0:12 offset1:13
	s_waitcnt vmcnt(32) lgkmcnt(3)
	v_pk_fma_f32 v[0:1], v[48:49], v[54:55], v[0:1] op_sel_hi:[0,1,1] neg_lo:[1,0,0] neg_hi:[1,0,0]
	s_waitcnt vmcnt(30) lgkmcnt(2)
	v_pk_fma_f32 v[28:29], v[48:49], v[56:57], v[28:29] op_sel_hi:[0,1,1] neg_lo:[1,0,0] neg_hi:[1,0,0]
	;; [unrolled: 2-line block ×3, first 2 shown]
	ds_read2_b32 v[54:55], v17 offset0:14 offset1:15
	ds_read2_b32 v[56:57], v17 offset0:16 offset1:17
	;; [unrolled: 1-line block ×3, first 2 shown]
	s_waitcnt vmcnt(26) lgkmcnt(3)
	v_pk_fma_f32 v[12:13], v[48:49], v[52:53], v[12:13] op_sel_hi:[0,1,1] neg_lo:[1,0,0] neg_hi:[1,0,0]
	ds_read2_b32 v[52:53], v17 offset0:20 offset1:21
	s_waitcnt vmcnt(24) lgkmcnt(3)
	v_pk_fma_f32 v[8:9], v[48:49], v[54:55], v[8:9] op_sel_hi:[0,1,1] neg_lo:[1,0,0] neg_hi:[1,0,0]
	s_waitcnt vmcnt(22) lgkmcnt(2)
	v_pk_fma_f32 v[34:35], v[48:49], v[56:57], v[34:35] op_sel_hi:[0,1,1] neg_lo:[1,0,0] neg_hi:[1,0,0]
	;; [unrolled: 2-line block ×3, first 2 shown]
	ds_read2_b32 v[54:55], v17 offset0:22 offset1:23
	ds_read2_b32 v[56:57], v17 offset0:24 offset1:25
	;; [unrolled: 1-line block ×4, first 2 shown]
	s_waitcnt vmcnt(18) lgkmcnt(4)
	v_pk_fma_f32 v[24:25], v[48:49], v[52:53], v[24:25] op_sel_hi:[0,1,1] neg_lo:[1,0,0] neg_hi:[1,0,0]
	s_waitcnt vmcnt(16) lgkmcnt(3)
	v_pk_fma_f32 v[14:15], v[48:49], v[54:55], v[14:15] op_sel_hi:[0,1,1] neg_lo:[1,0,0] neg_hi:[1,0,0]
	;; [unrolled: 2-line block ×5, first 2 shown]
	ds_read2_b32 v[52:53], v17 offset0:30 offset1:31
	ds_read2_b32 v[54:55], v17 offset0:32 offset1:33
	;; [unrolled: 1-line block ×5, first 2 shown]
	s_waitcnt vmcnt(8) lgkmcnt(4)
	v_pk_fma_f32 v[26:27], v[48:49], v[52:53], v[26:27] op_sel_hi:[0,1,1] neg_lo:[1,0,0] neg_hi:[1,0,0]
	s_waitcnt vmcnt(6) lgkmcnt(3)
	v_pk_fma_f32 v[46:47], v[48:49], v[54:55], v[46:47] op_sel_hi:[0,1,1] neg_lo:[1,0,0] neg_hi:[1,0,0]
	;; [unrolled: 2-line block ×5, first 2 shown]
	v_mov_b32_e32 v7, v48
.LBB78_97:
	s_or_b64 exec, exec, s[0:1]
	v_lshl_add_u32 v48, v51, 2, v17
	s_barrier
	s_waitcnt vmcnt(33)
	ds_write_b32 v48, v0
	s_waitcnt lgkmcnt(0)
	s_barrier
	ds_read_b32 v52, v17 offset:24
	s_cmp_lt_i32 s22, 8
	v_mov_b32_e32 v48, 6
	s_cbranch_scc1 .LBB78_100
; %bb.98:
	v_add3_u32 v53, v50, 0, 28
	v_mov_b32_e32 v48, 6
	s_mov_b32 s0, 7
.LBB78_99:                              ; =>This Inner Loop Header: Depth=1
	ds_read_b32 v54, v53
	v_mov_b32_e32 v55, s0
	s_add_i32 s0, s0, 1
	v_add_u32_e32 v53, 4, v53
	s_cmp_lg_u32 s22, s0
	s_waitcnt lgkmcnt(0)
	v_cmp_lt_f32_e64 vcc, |v52|, |v54|
	s_nop 1
	v_cndmask_b32_e32 v52, v52, v54, vcc
	v_cndmask_b32_e32 v48, v48, v55, vcc
	s_cbranch_scc1 .LBB78_99
.LBB78_100:
	s_waitcnt lgkmcnt(0)
	v_cmp_eq_f32_e32 vcc, 0, v52
	s_and_saveexec_b64 s[0:1], vcc
	s_xor_b64 s[0:1], exec, s[0:1]
; %bb.101:
	v_cmp_ne_u32_e32 vcc, 0, v19
	s_nop 1
	v_cndmask_b32_e32 v19, 7, v19, vcc
; %bb.102:
	s_andn2_saveexec_b64 s[0:1], s[0:1]
	s_cbranch_execz .LBB78_104
; %bb.103:
	v_div_scale_f32 v53, s[2:3], v52, v52, 1.0
	v_rcp_f32_e32 v54, v53
	v_div_scale_f32 v55, vcc, 1.0, v52, 1.0
	v_fma_f32 v56, -v53, v54, 1.0
	v_fmac_f32_e32 v54, v56, v54
	v_mul_f32_e32 v56, v55, v54
	v_fma_f32 v57, -v53, v56, v55
	v_fmac_f32_e32 v56, v57, v54
	v_fma_f32 v53, -v53, v56, v55
	v_div_fmas_f32 v53, v53, v54, v56
	v_div_fixup_f32 v52, v53, v52, 1.0
.LBB78_104:
	s_or_b64 exec, exec, s[0:1]
	v_cmp_ne_u32_e32 vcc, v51, v48
	s_and_saveexec_b64 s[0:1], vcc
	s_xor_b64 s[0:1], exec, s[0:1]
	s_cbranch_execz .LBB78_110
; %bb.105:
	v_cmp_eq_u32_e32 vcc, 6, v51
	s_and_saveexec_b64 s[2:3], vcc
	s_cbranch_execz .LBB78_109
; %bb.106:
	v_cmp_ne_u32_e32 vcc, 6, v48
	s_xor_b64 s[18:19], s[16:17], -1
	s_and_b64 s[20:21], s[18:19], vcc
	s_and_saveexec_b64 s[18:19], s[20:21]
	s_cbranch_execz .LBB78_108
; %bb.107:
	v_ashrrev_i32_e32 v49, 31, v48
	v_lshl_add_u64 v[54:55], v[48:49], 2, v[20:21]
	global_load_dword v49, v[54:55], off
	global_load_dword v51, v[20:21], off offset:24
	s_waitcnt vmcnt(1)
	global_store_dword v[20:21], v49, off offset:24
	s_waitcnt vmcnt(1)
	global_store_dword v[54:55], v51, off
.LBB78_108:
	s_or_b64 exec, exec, s[18:19]
	v_mov_b32_e32 v49, v48
	v_mov_b32_e32 v51, v48
.LBB78_109:
	s_or_b64 exec, exec, s[2:3]
.LBB78_110:
	s_andn2_saveexec_b64 s[0:1], s[0:1]
	s_cbranch_execz .LBB78_112
; %bb.111:
	s_waitcnt vmcnt(30)
	v_pk_mov_b32 v[54:55], v[0:1], v[28:29] op_sel:[1,0]
	ds_write2_b32 v17, v54, v55 offset0:7 offset1:8
	s_waitcnt vmcnt(28)
	v_pk_mov_b32 v[54:55], v[28:29], v[22:23] op_sel:[1,0]
	ds_write2_b32 v17, v54, v55 offset0:9 offset1:10
	;; [unrolled: 3-line block ×15, first 2 shown]
	s_waitcnt vmcnt(0)
	v_pk_mov_b32 v[54:55], v[38:39], v[40:41] op_sel:[1,0]
	v_mov_b32_e32 v51, 6
	ds_write2_b32 v17, v54, v55 offset0:37 offset1:38
	ds_write_b32 v17, v41 offset:156
.LBB78_112:
	s_or_b64 exec, exec, s[0:1]
	v_cmp_lt_i32_e32 vcc, 6, v51
	s_waitcnt lgkmcnt(0)
	s_barrier
	s_and_saveexec_b64 s[0:1], vcc
	s_cbranch_execz .LBB78_114
; %bb.113:
	ds_read_b32 v48, v17 offset:28
	ds_read2_b32 v[54:55], v17 offset0:8 offset1:9
	ds_read2_b32 v[56:57], v17 offset0:10 offset1:11
	v_mul_f32_e32 v0, v52, v0
	ds_read2_b32 v[52:53], v17 offset0:12 offset1:13
	s_waitcnt vmcnt(32) lgkmcnt(3)
	v_fma_f32 v1, -v0, v48, v1
	s_waitcnt vmcnt(30) lgkmcnt(2)
	v_pk_fma_f32 v[28:29], v[0:1], v[54:55], v[28:29] op_sel_hi:[0,1,1] neg_lo:[1,0,0] neg_hi:[1,0,0]
	s_waitcnt vmcnt(28) lgkmcnt(1)
	v_pk_fma_f32 v[22:23], v[0:1], v[56:57], v[22:23] op_sel_hi:[0,1,1] neg_lo:[1,0,0] neg_hi:[1,0,0]
	ds_read2_b32 v[54:55], v17 offset0:14 offset1:15
	ds_read2_b32 v[56:57], v17 offset0:16 offset1:17
	;; [unrolled: 1-line block ×3, first 2 shown]
	s_waitcnt vmcnt(26) lgkmcnt(3)
	v_pk_fma_f32 v[12:13], v[0:1], v[52:53], v[12:13] op_sel_hi:[0,1,1] neg_lo:[1,0,0] neg_hi:[1,0,0]
	ds_read2_b32 v[52:53], v17 offset0:20 offset1:21
	s_waitcnt vmcnt(24) lgkmcnt(3)
	v_pk_fma_f32 v[8:9], v[0:1], v[54:55], v[8:9] op_sel_hi:[0,1,1] neg_lo:[1,0,0] neg_hi:[1,0,0]
	s_waitcnt vmcnt(22) lgkmcnt(2)
	v_pk_fma_f32 v[34:35], v[0:1], v[56:57], v[34:35] op_sel_hi:[0,1,1] neg_lo:[1,0,0] neg_hi:[1,0,0]
	;; [unrolled: 2-line block ×3, first 2 shown]
	ds_read2_b32 v[54:55], v17 offset0:22 offset1:23
	ds_read2_b32 v[56:57], v17 offset0:24 offset1:25
	;; [unrolled: 1-line block ×4, first 2 shown]
	s_waitcnt vmcnt(18) lgkmcnt(4)
	v_pk_fma_f32 v[24:25], v[0:1], v[52:53], v[24:25] op_sel_hi:[0,1,1] neg_lo:[1,0,0] neg_hi:[1,0,0]
	s_waitcnt vmcnt(16) lgkmcnt(3)
	v_pk_fma_f32 v[14:15], v[0:1], v[54:55], v[14:15] op_sel_hi:[0,1,1] neg_lo:[1,0,0] neg_hi:[1,0,0]
	;; [unrolled: 2-line block ×5, first 2 shown]
	ds_read2_b32 v[52:53], v17 offset0:30 offset1:31
	ds_read2_b32 v[54:55], v17 offset0:32 offset1:33
	;; [unrolled: 1-line block ×5, first 2 shown]
	s_waitcnt vmcnt(8) lgkmcnt(4)
	v_pk_fma_f32 v[26:27], v[0:1], v[52:53], v[26:27] op_sel_hi:[0,1,1] neg_lo:[1,0,0] neg_hi:[1,0,0]
	s_waitcnt vmcnt(6) lgkmcnt(3)
	v_pk_fma_f32 v[46:47], v[0:1], v[54:55], v[46:47] op_sel_hi:[0,1,1] neg_lo:[1,0,0] neg_hi:[1,0,0]
	;; [unrolled: 2-line block ×5, first 2 shown]
.LBB78_114:
	s_or_b64 exec, exec, s[0:1]
	v_lshl_add_u32 v48, v51, 2, v17
	s_barrier
	s_waitcnt vmcnt(32)
	ds_write_b32 v48, v1
	s_waitcnt lgkmcnt(0)
	s_barrier
	ds_read_b32 v52, v17 offset:28
	s_cmp_lt_i32 s22, 9
	v_mov_b32_e32 v48, 7
	s_cbranch_scc1 .LBB78_117
; %bb.115:
	v_add3_u32 v53, v50, 0, 32
	v_mov_b32_e32 v48, 7
	s_mov_b32 s0, 8
.LBB78_116:                             ; =>This Inner Loop Header: Depth=1
	ds_read_b32 v54, v53
	v_mov_b32_e32 v55, s0
	s_add_i32 s0, s0, 1
	v_add_u32_e32 v53, 4, v53
	s_cmp_lg_u32 s22, s0
	s_waitcnt lgkmcnt(0)
	v_cmp_lt_f32_e64 vcc, |v52|, |v54|
	s_nop 1
	v_cndmask_b32_e32 v52, v52, v54, vcc
	v_cndmask_b32_e32 v48, v48, v55, vcc
	s_cbranch_scc1 .LBB78_116
.LBB78_117:
	s_waitcnt lgkmcnt(0)
	v_cmp_eq_f32_e32 vcc, 0, v52
	s_and_saveexec_b64 s[0:1], vcc
	s_xor_b64 s[0:1], exec, s[0:1]
; %bb.118:
	v_cmp_ne_u32_e32 vcc, 0, v19
	s_nop 1
	v_cndmask_b32_e32 v19, 8, v19, vcc
; %bb.119:
	s_andn2_saveexec_b64 s[0:1], s[0:1]
	s_cbranch_execz .LBB78_121
; %bb.120:
	v_div_scale_f32 v53, s[2:3], v52, v52, 1.0
	v_rcp_f32_e32 v54, v53
	v_div_scale_f32 v55, vcc, 1.0, v52, 1.0
	v_fma_f32 v56, -v53, v54, 1.0
	v_fmac_f32_e32 v54, v56, v54
	v_mul_f32_e32 v56, v55, v54
	v_fma_f32 v57, -v53, v56, v55
	v_fmac_f32_e32 v56, v57, v54
	v_fma_f32 v53, -v53, v56, v55
	v_div_fmas_f32 v53, v53, v54, v56
	v_div_fixup_f32 v52, v53, v52, 1.0
.LBB78_121:
	s_or_b64 exec, exec, s[0:1]
	v_cmp_ne_u32_e32 vcc, v51, v48
	s_and_saveexec_b64 s[0:1], vcc
	s_xor_b64 s[0:1], exec, s[0:1]
	s_cbranch_execz .LBB78_127
; %bb.122:
	v_cmp_eq_u32_e32 vcc, 7, v51
	s_and_saveexec_b64 s[2:3], vcc
	s_cbranch_execz .LBB78_126
; %bb.123:
	v_cmp_ne_u32_e32 vcc, 7, v48
	s_xor_b64 s[18:19], s[16:17], -1
	s_and_b64 s[20:21], s[18:19], vcc
	s_and_saveexec_b64 s[18:19], s[20:21]
	s_cbranch_execz .LBB78_125
; %bb.124:
	v_ashrrev_i32_e32 v49, 31, v48
	v_lshl_add_u64 v[54:55], v[48:49], 2, v[20:21]
	global_load_dword v49, v[54:55], off
	global_load_dword v51, v[20:21], off offset:28
	s_waitcnt vmcnt(1)
	global_store_dword v[20:21], v49, off offset:28
	s_waitcnt vmcnt(1)
	global_store_dword v[54:55], v51, off
.LBB78_125:
	s_or_b64 exec, exec, s[18:19]
	v_mov_b32_e32 v49, v48
	v_mov_b32_e32 v51, v48
.LBB78_126:
	s_or_b64 exec, exec, s[2:3]
.LBB78_127:
	s_andn2_saveexec_b64 s[0:1], s[0:1]
	s_cbranch_execz .LBB78_129
; %bb.128:
	v_mov_b32_e32 v51, 7
	s_waitcnt vmcnt(30)
	ds_write2_b32 v17, v28, v29 offset0:8 offset1:9
	s_waitcnt vmcnt(28)
	ds_write2_b32 v17, v22, v23 offset0:10 offset1:11
	;; [unrolled: 2-line block ×16, first 2 shown]
.LBB78_129:
	s_or_b64 exec, exec, s[0:1]
	v_cmp_lt_i32_e32 vcc, 7, v51
	s_waitcnt lgkmcnt(0)
	s_barrier
	s_and_saveexec_b64 s[0:1], vcc
	s_cbranch_execz .LBB78_131
; %bb.130:
	ds_read2_b32 v[54:55], v17 offset0:8 offset1:9
	ds_read2_b32 v[56:57], v17 offset0:10 offset1:11
	;; [unrolled: 1-line block ×3, first 2 shown]
	v_mul_f32_e32 v48, v52, v1
	ds_read2_b32 v[52:53], v17 offset0:14 offset1:15
	s_waitcnt vmcnt(30) lgkmcnt(3)
	v_pk_fma_f32 v[28:29], v[48:49], v[54:55], v[28:29] op_sel_hi:[0,1,1] neg_lo:[1,0,0] neg_hi:[1,0,0]
	s_waitcnt vmcnt(28) lgkmcnt(2)
	v_pk_fma_f32 v[22:23], v[48:49], v[56:57], v[22:23] op_sel_hi:[0,1,1] neg_lo:[1,0,0] neg_hi:[1,0,0]
	;; [unrolled: 2-line block ×3, first 2 shown]
	ds_read2_b32 v[54:55], v17 offset0:16 offset1:17
	ds_read2_b32 v[56:57], v17 offset0:18 offset1:19
	;; [unrolled: 1-line block ×3, first 2 shown]
	s_waitcnt vmcnt(24) lgkmcnt(3)
	v_pk_fma_f32 v[8:9], v[48:49], v[52:53], v[8:9] op_sel_hi:[0,1,1] neg_lo:[1,0,0] neg_hi:[1,0,0]
	ds_read2_b32 v[52:53], v17 offset0:22 offset1:23
	s_waitcnt vmcnt(22) lgkmcnt(3)
	v_pk_fma_f32 v[34:35], v[48:49], v[54:55], v[34:35] op_sel_hi:[0,1,1] neg_lo:[1,0,0] neg_hi:[1,0,0]
	s_waitcnt vmcnt(20) lgkmcnt(2)
	v_pk_fma_f32 v[30:31], v[48:49], v[56:57], v[30:31] op_sel_hi:[0,1,1] neg_lo:[1,0,0] neg_hi:[1,0,0]
	;; [unrolled: 2-line block ×3, first 2 shown]
	ds_read2_b32 v[54:55], v17 offset0:24 offset1:25
	ds_read2_b32 v[56:57], v17 offset0:26 offset1:27
	;; [unrolled: 1-line block ×3, first 2 shown]
	s_waitcnt vmcnt(16) lgkmcnt(3)
	v_pk_fma_f32 v[14:15], v[48:49], v[52:53], v[14:15] op_sel_hi:[0,1,1] neg_lo:[1,0,0] neg_hi:[1,0,0]
	ds_read2_b32 v[52:53], v17 offset0:30 offset1:31
	s_waitcnt vmcnt(14) lgkmcnt(3)
	v_pk_fma_f32 v[42:43], v[48:49], v[54:55], v[42:43] op_sel_hi:[0,1,1] neg_lo:[1,0,0] neg_hi:[1,0,0]
	s_waitcnt vmcnt(12) lgkmcnt(2)
	v_pk_fma_f32 v[36:37], v[48:49], v[56:57], v[36:37] op_sel_hi:[0,1,1] neg_lo:[1,0,0] neg_hi:[1,0,0]
	;; [unrolled: 2-line block ×3, first 2 shown]
	ds_read2_b32 v[54:55], v17 offset0:32 offset1:33
	ds_read2_b32 v[56:57], v17 offset0:34 offset1:35
	;; [unrolled: 1-line block ×4, first 2 shown]
	s_waitcnt vmcnt(8) lgkmcnt(4)
	v_pk_fma_f32 v[26:27], v[48:49], v[52:53], v[26:27] op_sel_hi:[0,1,1] neg_lo:[1,0,0] neg_hi:[1,0,0]
	s_waitcnt vmcnt(6) lgkmcnt(3)
	v_pk_fma_f32 v[46:47], v[48:49], v[54:55], v[46:47] op_sel_hi:[0,1,1] neg_lo:[1,0,0] neg_hi:[1,0,0]
	;; [unrolled: 2-line block ×5, first 2 shown]
	v_mov_b32_e32 v1, v48
.LBB78_131:
	s_or_b64 exec, exec, s[0:1]
	v_lshl_add_u32 v48, v51, 2, v17
	s_barrier
	s_waitcnt vmcnt(31)
	ds_write_b32 v48, v28
	s_waitcnt lgkmcnt(0)
	s_barrier
	ds_read_b32 v52, v17 offset:32
	s_cmp_lt_i32 s22, 10
	v_mov_b32_e32 v48, 8
	s_cbranch_scc1 .LBB78_134
; %bb.132:
	v_add3_u32 v53, v50, 0, 36
	v_mov_b32_e32 v48, 8
	s_mov_b32 s0, 9
.LBB78_133:                             ; =>This Inner Loop Header: Depth=1
	ds_read_b32 v54, v53
	v_mov_b32_e32 v55, s0
	s_add_i32 s0, s0, 1
	v_add_u32_e32 v53, 4, v53
	s_cmp_lg_u32 s22, s0
	s_waitcnt lgkmcnt(0)
	v_cmp_lt_f32_e64 vcc, |v52|, |v54|
	s_nop 1
	v_cndmask_b32_e32 v52, v52, v54, vcc
	v_cndmask_b32_e32 v48, v48, v55, vcc
	s_cbranch_scc1 .LBB78_133
.LBB78_134:
	s_waitcnt lgkmcnt(0)
	v_cmp_eq_f32_e32 vcc, 0, v52
	s_and_saveexec_b64 s[0:1], vcc
	s_xor_b64 s[0:1], exec, s[0:1]
; %bb.135:
	v_cmp_ne_u32_e32 vcc, 0, v19
	s_nop 1
	v_cndmask_b32_e32 v19, 9, v19, vcc
; %bb.136:
	s_andn2_saveexec_b64 s[0:1], s[0:1]
	s_cbranch_execz .LBB78_138
; %bb.137:
	v_div_scale_f32 v53, s[2:3], v52, v52, 1.0
	v_rcp_f32_e32 v54, v53
	v_div_scale_f32 v55, vcc, 1.0, v52, 1.0
	v_fma_f32 v56, -v53, v54, 1.0
	v_fmac_f32_e32 v54, v56, v54
	v_mul_f32_e32 v56, v55, v54
	v_fma_f32 v57, -v53, v56, v55
	v_fmac_f32_e32 v56, v57, v54
	v_fma_f32 v53, -v53, v56, v55
	v_div_fmas_f32 v53, v53, v54, v56
	v_div_fixup_f32 v52, v53, v52, 1.0
.LBB78_138:
	s_or_b64 exec, exec, s[0:1]
	v_cmp_ne_u32_e32 vcc, v51, v48
	s_and_saveexec_b64 s[0:1], vcc
	s_xor_b64 s[0:1], exec, s[0:1]
	s_cbranch_execz .LBB78_144
; %bb.139:
	v_cmp_eq_u32_e32 vcc, 8, v51
	s_and_saveexec_b64 s[2:3], vcc
	s_cbranch_execz .LBB78_143
; %bb.140:
	v_cmp_ne_u32_e32 vcc, 8, v48
	s_xor_b64 s[18:19], s[16:17], -1
	s_and_b64 s[20:21], s[18:19], vcc
	s_and_saveexec_b64 s[18:19], s[20:21]
	s_cbranch_execz .LBB78_142
; %bb.141:
	v_ashrrev_i32_e32 v49, 31, v48
	v_lshl_add_u64 v[54:55], v[48:49], 2, v[20:21]
	global_load_dword v49, v[54:55], off
	global_load_dword v51, v[20:21], off offset:32
	s_waitcnt vmcnt(1)
	global_store_dword v[20:21], v49, off offset:32
	s_waitcnt vmcnt(1)
	global_store_dword v[54:55], v51, off
.LBB78_142:
	s_or_b64 exec, exec, s[18:19]
	v_mov_b32_e32 v49, v48
	v_mov_b32_e32 v51, v48
.LBB78_143:
	s_or_b64 exec, exec, s[2:3]
.LBB78_144:
	s_andn2_saveexec_b64 s[0:1], s[0:1]
	s_cbranch_execz .LBB78_146
; %bb.145:
	s_waitcnt vmcnt(28)
	v_pk_mov_b32 v[54:55], v[28:29], v[22:23] op_sel:[1,0]
	ds_write2_b32 v17, v54, v55 offset0:9 offset1:10
	s_waitcnt vmcnt(26)
	v_pk_mov_b32 v[54:55], v[22:23], v[12:13] op_sel:[1,0]
	ds_write2_b32 v17, v54, v55 offset0:11 offset1:12
	;; [unrolled: 3-line block ×14, first 2 shown]
	s_waitcnt vmcnt(0)
	v_pk_mov_b32 v[54:55], v[38:39], v[40:41] op_sel:[1,0]
	v_mov_b32_e32 v51, 8
	ds_write2_b32 v17, v54, v55 offset0:37 offset1:38
	ds_write_b32 v17, v41 offset:156
.LBB78_146:
	s_or_b64 exec, exec, s[0:1]
	v_cmp_lt_i32_e32 vcc, 8, v51
	s_waitcnt lgkmcnt(0)
	s_barrier
	s_and_saveexec_b64 s[0:1], vcc
	s_cbranch_execz .LBB78_148
; %bb.147:
	ds_read_b32 v48, v17 offset:36
	ds_read2_b32 v[54:55], v17 offset0:10 offset1:11
	ds_read2_b32 v[56:57], v17 offset0:12 offset1:13
	v_mul_f32_e32 v28, v52, v28
	ds_read2_b32 v[52:53], v17 offset0:14 offset1:15
	s_waitcnt vmcnt(30) lgkmcnt(3)
	v_fma_f32 v29, -v28, v48, v29
	s_waitcnt vmcnt(28) lgkmcnt(2)
	v_pk_fma_f32 v[22:23], v[28:29], v[54:55], v[22:23] op_sel_hi:[0,1,1] neg_lo:[1,0,0] neg_hi:[1,0,0]
	s_waitcnt vmcnt(26) lgkmcnt(1)
	v_pk_fma_f32 v[12:13], v[28:29], v[56:57], v[12:13] op_sel_hi:[0,1,1] neg_lo:[1,0,0] neg_hi:[1,0,0]
	ds_read2_b32 v[54:55], v17 offset0:16 offset1:17
	ds_read2_b32 v[56:57], v17 offset0:18 offset1:19
	;; [unrolled: 1-line block ×3, first 2 shown]
	s_waitcnt vmcnt(24) lgkmcnt(3)
	v_pk_fma_f32 v[8:9], v[28:29], v[52:53], v[8:9] op_sel_hi:[0,1,1] neg_lo:[1,0,0] neg_hi:[1,0,0]
	ds_read2_b32 v[52:53], v17 offset0:22 offset1:23
	s_waitcnt vmcnt(22) lgkmcnt(3)
	v_pk_fma_f32 v[34:35], v[28:29], v[54:55], v[34:35] op_sel_hi:[0,1,1] neg_lo:[1,0,0] neg_hi:[1,0,0]
	s_waitcnt vmcnt(20) lgkmcnt(2)
	v_pk_fma_f32 v[30:31], v[28:29], v[56:57], v[30:31] op_sel_hi:[0,1,1] neg_lo:[1,0,0] neg_hi:[1,0,0]
	;; [unrolled: 2-line block ×3, first 2 shown]
	ds_read2_b32 v[54:55], v17 offset0:24 offset1:25
	ds_read2_b32 v[56:57], v17 offset0:26 offset1:27
	;; [unrolled: 1-line block ×3, first 2 shown]
	s_waitcnt vmcnt(16) lgkmcnt(3)
	v_pk_fma_f32 v[14:15], v[28:29], v[52:53], v[14:15] op_sel_hi:[0,1,1] neg_lo:[1,0,0] neg_hi:[1,0,0]
	ds_read2_b32 v[52:53], v17 offset0:30 offset1:31
	s_waitcnt vmcnt(14) lgkmcnt(3)
	v_pk_fma_f32 v[42:43], v[28:29], v[54:55], v[42:43] op_sel_hi:[0,1,1] neg_lo:[1,0,0] neg_hi:[1,0,0]
	s_waitcnt vmcnt(12) lgkmcnt(2)
	v_pk_fma_f32 v[36:37], v[28:29], v[56:57], v[36:37] op_sel_hi:[0,1,1] neg_lo:[1,0,0] neg_hi:[1,0,0]
	;; [unrolled: 2-line block ×3, first 2 shown]
	ds_read2_b32 v[54:55], v17 offset0:32 offset1:33
	ds_read2_b32 v[56:57], v17 offset0:34 offset1:35
	ds_read2_b32 v[58:59], v17 offset0:36 offset1:37
	ds_read2_b32 v[60:61], v17 offset0:38 offset1:39
	s_waitcnt vmcnt(8) lgkmcnt(4)
	v_pk_fma_f32 v[26:27], v[28:29], v[52:53], v[26:27] op_sel_hi:[0,1,1] neg_lo:[1,0,0] neg_hi:[1,0,0]
	s_waitcnt vmcnt(6) lgkmcnt(3)
	v_pk_fma_f32 v[46:47], v[28:29], v[54:55], v[46:47] op_sel_hi:[0,1,1] neg_lo:[1,0,0] neg_hi:[1,0,0]
	s_waitcnt vmcnt(4) lgkmcnt(2)
	v_pk_fma_f32 v[44:45], v[28:29], v[56:57], v[44:45] op_sel_hi:[0,1,1] neg_lo:[1,0,0] neg_hi:[1,0,0]
	s_waitcnt vmcnt(2) lgkmcnt(1)
	v_pk_fma_f32 v[38:39], v[28:29], v[58:59], v[38:39] op_sel_hi:[0,1,1] neg_lo:[1,0,0] neg_hi:[1,0,0]
	s_waitcnt vmcnt(0) lgkmcnt(0)
	v_pk_fma_f32 v[40:41], v[28:29], v[60:61], v[40:41] op_sel_hi:[0,1,1] neg_lo:[1,0,0] neg_hi:[1,0,0]
.LBB78_148:
	s_or_b64 exec, exec, s[0:1]
	v_lshl_add_u32 v48, v51, 2, v17
	s_barrier
	s_waitcnt vmcnt(30)
	ds_write_b32 v48, v29
	s_waitcnt lgkmcnt(0)
	s_barrier
	ds_read_b32 v52, v17 offset:36
	s_cmp_lt_i32 s22, 11
	v_mov_b32_e32 v48, 9
	s_cbranch_scc1 .LBB78_151
; %bb.149:
	v_add3_u32 v53, v50, 0, 40
	v_mov_b32_e32 v48, 9
	s_mov_b32 s0, 10
.LBB78_150:                             ; =>This Inner Loop Header: Depth=1
	ds_read_b32 v54, v53
	v_mov_b32_e32 v55, s0
	s_add_i32 s0, s0, 1
	v_add_u32_e32 v53, 4, v53
	s_cmp_lg_u32 s22, s0
	s_waitcnt lgkmcnt(0)
	v_cmp_lt_f32_e64 vcc, |v52|, |v54|
	s_nop 1
	v_cndmask_b32_e32 v52, v52, v54, vcc
	v_cndmask_b32_e32 v48, v48, v55, vcc
	s_cbranch_scc1 .LBB78_150
.LBB78_151:
	s_waitcnt lgkmcnt(0)
	v_cmp_eq_f32_e32 vcc, 0, v52
	s_and_saveexec_b64 s[0:1], vcc
	s_xor_b64 s[0:1], exec, s[0:1]
; %bb.152:
	v_cmp_ne_u32_e32 vcc, 0, v19
	s_nop 1
	v_cndmask_b32_e32 v19, 10, v19, vcc
; %bb.153:
	s_andn2_saveexec_b64 s[0:1], s[0:1]
	s_cbranch_execz .LBB78_155
; %bb.154:
	v_div_scale_f32 v53, s[2:3], v52, v52, 1.0
	v_rcp_f32_e32 v54, v53
	v_div_scale_f32 v55, vcc, 1.0, v52, 1.0
	v_fma_f32 v56, -v53, v54, 1.0
	v_fmac_f32_e32 v54, v56, v54
	v_mul_f32_e32 v56, v55, v54
	v_fma_f32 v57, -v53, v56, v55
	v_fmac_f32_e32 v56, v57, v54
	v_fma_f32 v53, -v53, v56, v55
	v_div_fmas_f32 v53, v53, v54, v56
	v_div_fixup_f32 v52, v53, v52, 1.0
.LBB78_155:
	s_or_b64 exec, exec, s[0:1]
	v_cmp_ne_u32_e32 vcc, v51, v48
	s_and_saveexec_b64 s[0:1], vcc
	s_xor_b64 s[0:1], exec, s[0:1]
	s_cbranch_execz .LBB78_161
; %bb.156:
	v_cmp_eq_u32_e32 vcc, 9, v51
	s_and_saveexec_b64 s[2:3], vcc
	s_cbranch_execz .LBB78_160
; %bb.157:
	v_cmp_ne_u32_e32 vcc, 9, v48
	s_xor_b64 s[18:19], s[16:17], -1
	s_and_b64 s[20:21], s[18:19], vcc
	s_and_saveexec_b64 s[18:19], s[20:21]
	s_cbranch_execz .LBB78_159
; %bb.158:
	v_ashrrev_i32_e32 v49, 31, v48
	v_lshl_add_u64 v[54:55], v[48:49], 2, v[20:21]
	global_load_dword v49, v[54:55], off
	global_load_dword v51, v[20:21], off offset:36
	s_waitcnt vmcnt(1)
	global_store_dword v[20:21], v49, off offset:36
	s_waitcnt vmcnt(1)
	global_store_dword v[54:55], v51, off
.LBB78_159:
	s_or_b64 exec, exec, s[18:19]
	v_mov_b32_e32 v49, v48
	v_mov_b32_e32 v51, v48
.LBB78_160:
	s_or_b64 exec, exec, s[2:3]
.LBB78_161:
	s_andn2_saveexec_b64 s[0:1], s[0:1]
	s_cbranch_execz .LBB78_163
; %bb.162:
	v_mov_b32_e32 v51, 9
	s_waitcnt vmcnt(28)
	ds_write2_b32 v17, v22, v23 offset0:10 offset1:11
	s_waitcnt vmcnt(26)
	ds_write2_b32 v17, v12, v13 offset0:12 offset1:13
	s_waitcnt vmcnt(24)
	ds_write2_b32 v17, v8, v9 offset0:14 offset1:15
	s_waitcnt vmcnt(22)
	ds_write2_b32 v17, v34, v35 offset0:16 offset1:17
	s_waitcnt vmcnt(20)
	ds_write2_b32 v17, v30, v31 offset0:18 offset1:19
	s_waitcnt vmcnt(18)
	ds_write2_b32 v17, v24, v25 offset0:20 offset1:21
	s_waitcnt vmcnt(16)
	ds_write2_b32 v17, v14, v15 offset0:22 offset1:23
	s_waitcnt vmcnt(14)
	ds_write2_b32 v17, v42, v43 offset0:24 offset1:25
	s_waitcnt vmcnt(12)
	ds_write2_b32 v17, v36, v37 offset0:26 offset1:27
	s_waitcnt vmcnt(10)
	ds_write2_b32 v17, v32, v33 offset0:28 offset1:29
	s_waitcnt vmcnt(8)
	ds_write2_b32 v17, v26, v27 offset0:30 offset1:31
	s_waitcnt vmcnt(6)
	ds_write2_b32 v17, v46, v47 offset0:32 offset1:33
	s_waitcnt vmcnt(4)
	ds_write2_b32 v17, v44, v45 offset0:34 offset1:35
	s_waitcnt vmcnt(2)
	ds_write2_b32 v17, v38, v39 offset0:36 offset1:37
	s_waitcnt vmcnt(0)
	ds_write2_b32 v17, v40, v41 offset0:38 offset1:39
.LBB78_163:
	s_or_b64 exec, exec, s[0:1]
	v_cmp_lt_i32_e32 vcc, 9, v51
	s_waitcnt lgkmcnt(0)
	s_barrier
	s_and_saveexec_b64 s[0:1], vcc
	s_cbranch_execz .LBB78_165
; %bb.164:
	ds_read2_b32 v[54:55], v17 offset0:10 offset1:11
	ds_read2_b32 v[56:57], v17 offset0:12 offset1:13
	;; [unrolled: 1-line block ×3, first 2 shown]
	v_mul_f32_e32 v48, v52, v29
	ds_read2_b32 v[52:53], v17 offset0:16 offset1:17
	s_waitcnt vmcnt(28) lgkmcnt(3)
	v_pk_fma_f32 v[22:23], v[48:49], v[54:55], v[22:23] op_sel_hi:[0,1,1] neg_lo:[1,0,0] neg_hi:[1,0,0]
	s_waitcnt vmcnt(26) lgkmcnt(2)
	v_pk_fma_f32 v[12:13], v[48:49], v[56:57], v[12:13] op_sel_hi:[0,1,1] neg_lo:[1,0,0] neg_hi:[1,0,0]
	;; [unrolled: 2-line block ×3, first 2 shown]
	ds_read2_b32 v[54:55], v17 offset0:18 offset1:19
	ds_read2_b32 v[56:57], v17 offset0:20 offset1:21
	;; [unrolled: 1-line block ×3, first 2 shown]
	s_waitcnt vmcnt(22) lgkmcnt(3)
	v_pk_fma_f32 v[34:35], v[48:49], v[52:53], v[34:35] op_sel_hi:[0,1,1] neg_lo:[1,0,0] neg_hi:[1,0,0]
	ds_read2_b32 v[52:53], v17 offset0:24 offset1:25
	s_waitcnt vmcnt(20) lgkmcnt(3)
	v_pk_fma_f32 v[30:31], v[48:49], v[54:55], v[30:31] op_sel_hi:[0,1,1] neg_lo:[1,0,0] neg_hi:[1,0,0]
	s_waitcnt vmcnt(18) lgkmcnt(2)
	v_pk_fma_f32 v[24:25], v[48:49], v[56:57], v[24:25] op_sel_hi:[0,1,1] neg_lo:[1,0,0] neg_hi:[1,0,0]
	ds_read2_b32 v[54:55], v17 offset0:26 offset1:27
	ds_read2_b32 v[56:57], v17 offset0:28 offset1:29
	s_waitcnt vmcnt(16) lgkmcnt(3)
	v_pk_fma_f32 v[14:15], v[48:49], v[58:59], v[14:15] op_sel_hi:[0,1,1] neg_lo:[1,0,0] neg_hi:[1,0,0]
	s_waitcnt vmcnt(14) lgkmcnt(2)
	v_pk_fma_f32 v[42:43], v[48:49], v[52:53], v[42:43] op_sel_hi:[0,1,1] neg_lo:[1,0,0] neg_hi:[1,0,0]
	ds_read2_b32 v[52:53], v17 offset0:30 offset1:31
	;; [unrolled: 6-line block ×3, first 2 shown]
	ds_read2_b32 v[56:57], v17 offset0:36 offset1:37
	ds_read2_b32 v[60:61], v17 offset0:38 offset1:39
	s_waitcnt vmcnt(8) lgkmcnt(4)
	v_pk_fma_f32 v[26:27], v[48:49], v[52:53], v[26:27] op_sel_hi:[0,1,1] neg_lo:[1,0,0] neg_hi:[1,0,0]
	s_waitcnt vmcnt(6) lgkmcnt(3)
	v_pk_fma_f32 v[46:47], v[48:49], v[58:59], v[46:47] op_sel_hi:[0,1,1] neg_lo:[1,0,0] neg_hi:[1,0,0]
	;; [unrolled: 2-line block ×5, first 2 shown]
	v_mov_b32_e32 v29, v48
.LBB78_165:
	s_or_b64 exec, exec, s[0:1]
	v_lshl_add_u32 v48, v51, 2, v17
	s_barrier
	s_waitcnt vmcnt(29)
	ds_write_b32 v48, v22
	s_waitcnt lgkmcnt(0)
	s_barrier
	ds_read_b32 v52, v17 offset:40
	s_cmp_lt_i32 s22, 12
	v_mov_b32_e32 v48, 10
	s_cbranch_scc1 .LBB78_168
; %bb.166:
	v_add3_u32 v53, v50, 0, 44
	v_mov_b32_e32 v48, 10
	s_mov_b32 s0, 11
.LBB78_167:                             ; =>This Inner Loop Header: Depth=1
	ds_read_b32 v54, v53
	v_mov_b32_e32 v55, s0
	s_add_i32 s0, s0, 1
	v_add_u32_e32 v53, 4, v53
	s_cmp_lg_u32 s22, s0
	s_waitcnt lgkmcnt(0)
	v_cmp_lt_f32_e64 vcc, |v52|, |v54|
	s_nop 1
	v_cndmask_b32_e32 v52, v52, v54, vcc
	v_cndmask_b32_e32 v48, v48, v55, vcc
	s_cbranch_scc1 .LBB78_167
.LBB78_168:
	s_waitcnt lgkmcnt(0)
	v_cmp_eq_f32_e32 vcc, 0, v52
	s_and_saveexec_b64 s[0:1], vcc
	s_xor_b64 s[0:1], exec, s[0:1]
; %bb.169:
	v_cmp_ne_u32_e32 vcc, 0, v19
	s_nop 1
	v_cndmask_b32_e32 v19, 11, v19, vcc
; %bb.170:
	s_andn2_saveexec_b64 s[0:1], s[0:1]
	s_cbranch_execz .LBB78_172
; %bb.171:
	v_div_scale_f32 v53, s[2:3], v52, v52, 1.0
	v_rcp_f32_e32 v54, v53
	v_div_scale_f32 v55, vcc, 1.0, v52, 1.0
	v_fma_f32 v56, -v53, v54, 1.0
	v_fmac_f32_e32 v54, v56, v54
	v_mul_f32_e32 v56, v55, v54
	v_fma_f32 v57, -v53, v56, v55
	v_fmac_f32_e32 v56, v57, v54
	v_fma_f32 v53, -v53, v56, v55
	v_div_fmas_f32 v53, v53, v54, v56
	v_div_fixup_f32 v52, v53, v52, 1.0
.LBB78_172:
	s_or_b64 exec, exec, s[0:1]
	v_cmp_ne_u32_e32 vcc, v51, v48
	s_and_saveexec_b64 s[0:1], vcc
	s_xor_b64 s[0:1], exec, s[0:1]
	s_cbranch_execz .LBB78_178
; %bb.173:
	v_cmp_eq_u32_e32 vcc, 10, v51
	s_and_saveexec_b64 s[2:3], vcc
	s_cbranch_execz .LBB78_177
; %bb.174:
	v_cmp_ne_u32_e32 vcc, 10, v48
	s_xor_b64 s[18:19], s[16:17], -1
	s_and_b64 s[20:21], s[18:19], vcc
	s_and_saveexec_b64 s[18:19], s[20:21]
	s_cbranch_execz .LBB78_176
; %bb.175:
	v_ashrrev_i32_e32 v49, 31, v48
	v_lshl_add_u64 v[54:55], v[48:49], 2, v[20:21]
	global_load_dword v49, v[54:55], off
	global_load_dword v51, v[20:21], off offset:40
	s_waitcnt vmcnt(1)
	global_store_dword v[20:21], v49, off offset:40
	s_waitcnt vmcnt(1)
	global_store_dword v[54:55], v51, off
.LBB78_176:
	s_or_b64 exec, exec, s[18:19]
	v_mov_b32_e32 v49, v48
	v_mov_b32_e32 v51, v48
.LBB78_177:
	s_or_b64 exec, exec, s[2:3]
.LBB78_178:
	s_andn2_saveexec_b64 s[0:1], s[0:1]
	s_cbranch_execz .LBB78_180
; %bb.179:
	s_waitcnt vmcnt(26)
	v_pk_mov_b32 v[54:55], v[22:23], v[12:13] op_sel:[1,0]
	ds_write2_b32 v17, v54, v55 offset0:11 offset1:12
	s_waitcnt vmcnt(24)
	v_pk_mov_b32 v[54:55], v[12:13], v[8:9] op_sel:[1,0]
	ds_write2_b32 v17, v54, v55 offset0:13 offset1:14
	;; [unrolled: 3-line block ×13, first 2 shown]
	s_waitcnt vmcnt(0)
	v_pk_mov_b32 v[54:55], v[38:39], v[40:41] op_sel:[1,0]
	v_mov_b32_e32 v51, 10
	ds_write2_b32 v17, v54, v55 offset0:37 offset1:38
	ds_write_b32 v17, v41 offset:156
.LBB78_180:
	s_or_b64 exec, exec, s[0:1]
	v_cmp_lt_i32_e32 vcc, 10, v51
	s_waitcnt lgkmcnt(0)
	s_barrier
	s_and_saveexec_b64 s[0:1], vcc
	s_cbranch_execz .LBB78_182
; %bb.181:
	ds_read_b32 v48, v17 offset:44
	ds_read2_b32 v[54:55], v17 offset0:12 offset1:13
	ds_read2_b32 v[56:57], v17 offset0:14 offset1:15
	v_mul_f32_e32 v22, v52, v22
	ds_read2_b32 v[52:53], v17 offset0:16 offset1:17
	s_waitcnt vmcnt(28) lgkmcnt(3)
	v_fma_f32 v23, -v22, v48, v23
	s_waitcnt vmcnt(26) lgkmcnt(2)
	v_pk_fma_f32 v[12:13], v[22:23], v[54:55], v[12:13] op_sel_hi:[0,1,1] neg_lo:[1,0,0] neg_hi:[1,0,0]
	s_waitcnt vmcnt(24) lgkmcnt(1)
	v_pk_fma_f32 v[8:9], v[22:23], v[56:57], v[8:9] op_sel_hi:[0,1,1] neg_lo:[1,0,0] neg_hi:[1,0,0]
	ds_read2_b32 v[54:55], v17 offset0:18 offset1:19
	ds_read2_b32 v[56:57], v17 offset0:20 offset1:21
	;; [unrolled: 1-line block ×3, first 2 shown]
	s_waitcnt vmcnt(22) lgkmcnt(3)
	v_pk_fma_f32 v[34:35], v[22:23], v[52:53], v[34:35] op_sel_hi:[0,1,1] neg_lo:[1,0,0] neg_hi:[1,0,0]
	ds_read2_b32 v[52:53], v17 offset0:24 offset1:25
	s_waitcnt vmcnt(20) lgkmcnt(3)
	v_pk_fma_f32 v[30:31], v[22:23], v[54:55], v[30:31] op_sel_hi:[0,1,1] neg_lo:[1,0,0] neg_hi:[1,0,0]
	s_waitcnt vmcnt(18) lgkmcnt(2)
	v_pk_fma_f32 v[24:25], v[22:23], v[56:57], v[24:25] op_sel_hi:[0,1,1] neg_lo:[1,0,0] neg_hi:[1,0,0]
	ds_read2_b32 v[54:55], v17 offset0:26 offset1:27
	ds_read2_b32 v[56:57], v17 offset0:28 offset1:29
	s_waitcnt vmcnt(16) lgkmcnt(3)
	v_pk_fma_f32 v[14:15], v[22:23], v[58:59], v[14:15] op_sel_hi:[0,1,1] neg_lo:[1,0,0] neg_hi:[1,0,0]
	s_waitcnt vmcnt(14) lgkmcnt(2)
	v_pk_fma_f32 v[42:43], v[22:23], v[52:53], v[42:43] op_sel_hi:[0,1,1] neg_lo:[1,0,0] neg_hi:[1,0,0]
	ds_read2_b32 v[52:53], v17 offset0:30 offset1:31
	ds_read2_b32 v[58:59], v17 offset0:32 offset1:33
	s_waitcnt vmcnt(12) lgkmcnt(3)
	v_pk_fma_f32 v[36:37], v[22:23], v[54:55], v[36:37] op_sel_hi:[0,1,1] neg_lo:[1,0,0] neg_hi:[1,0,0]
	s_waitcnt vmcnt(10) lgkmcnt(2)
	v_pk_fma_f32 v[32:33], v[22:23], v[56:57], v[32:33] op_sel_hi:[0,1,1] neg_lo:[1,0,0] neg_hi:[1,0,0]
	ds_read2_b32 v[54:55], v17 offset0:34 offset1:35
	ds_read2_b32 v[56:57], v17 offset0:36 offset1:37
	ds_read2_b32 v[60:61], v17 offset0:38 offset1:39
	s_waitcnt vmcnt(8) lgkmcnt(4)
	v_pk_fma_f32 v[26:27], v[22:23], v[52:53], v[26:27] op_sel_hi:[0,1,1] neg_lo:[1,0,0] neg_hi:[1,0,0]
	s_waitcnt vmcnt(6) lgkmcnt(3)
	v_pk_fma_f32 v[46:47], v[22:23], v[58:59], v[46:47] op_sel_hi:[0,1,1] neg_lo:[1,0,0] neg_hi:[1,0,0]
	;; [unrolled: 2-line block ×5, first 2 shown]
.LBB78_182:
	s_or_b64 exec, exec, s[0:1]
	v_lshl_add_u32 v48, v51, 2, v17
	s_barrier
	s_waitcnt vmcnt(28)
	ds_write_b32 v48, v23
	s_waitcnt lgkmcnt(0)
	s_barrier
	ds_read_b32 v52, v17 offset:44
	s_cmp_lt_i32 s22, 13
	v_mov_b32_e32 v48, 11
	s_cbranch_scc1 .LBB78_185
; %bb.183:
	v_add3_u32 v53, v50, 0, 48
	v_mov_b32_e32 v48, 11
	s_mov_b32 s0, 12
.LBB78_184:                             ; =>This Inner Loop Header: Depth=1
	ds_read_b32 v54, v53
	v_mov_b32_e32 v55, s0
	s_add_i32 s0, s0, 1
	v_add_u32_e32 v53, 4, v53
	s_cmp_lg_u32 s22, s0
	s_waitcnt lgkmcnt(0)
	v_cmp_lt_f32_e64 vcc, |v52|, |v54|
	s_nop 1
	v_cndmask_b32_e32 v52, v52, v54, vcc
	v_cndmask_b32_e32 v48, v48, v55, vcc
	s_cbranch_scc1 .LBB78_184
.LBB78_185:
	s_waitcnt lgkmcnt(0)
	v_cmp_eq_f32_e32 vcc, 0, v52
	s_and_saveexec_b64 s[0:1], vcc
	s_xor_b64 s[0:1], exec, s[0:1]
; %bb.186:
	v_cmp_ne_u32_e32 vcc, 0, v19
	s_nop 1
	v_cndmask_b32_e32 v19, 12, v19, vcc
; %bb.187:
	s_andn2_saveexec_b64 s[0:1], s[0:1]
	s_cbranch_execz .LBB78_189
; %bb.188:
	v_div_scale_f32 v53, s[2:3], v52, v52, 1.0
	v_rcp_f32_e32 v54, v53
	v_div_scale_f32 v55, vcc, 1.0, v52, 1.0
	v_fma_f32 v56, -v53, v54, 1.0
	v_fmac_f32_e32 v54, v56, v54
	v_mul_f32_e32 v56, v55, v54
	v_fma_f32 v57, -v53, v56, v55
	v_fmac_f32_e32 v56, v57, v54
	v_fma_f32 v53, -v53, v56, v55
	v_div_fmas_f32 v53, v53, v54, v56
	v_div_fixup_f32 v52, v53, v52, 1.0
.LBB78_189:
	s_or_b64 exec, exec, s[0:1]
	v_cmp_ne_u32_e32 vcc, v51, v48
	s_and_saveexec_b64 s[0:1], vcc
	s_xor_b64 s[0:1], exec, s[0:1]
	s_cbranch_execz .LBB78_195
; %bb.190:
	v_cmp_eq_u32_e32 vcc, 11, v51
	s_and_saveexec_b64 s[2:3], vcc
	s_cbranch_execz .LBB78_194
; %bb.191:
	v_cmp_ne_u32_e32 vcc, 11, v48
	s_xor_b64 s[18:19], s[16:17], -1
	s_and_b64 s[20:21], s[18:19], vcc
	s_and_saveexec_b64 s[18:19], s[20:21]
	s_cbranch_execz .LBB78_193
; %bb.192:
	v_ashrrev_i32_e32 v49, 31, v48
	v_lshl_add_u64 v[54:55], v[48:49], 2, v[20:21]
	global_load_dword v49, v[54:55], off
	global_load_dword v51, v[20:21], off offset:44
	s_waitcnt vmcnt(1)
	global_store_dword v[20:21], v49, off offset:44
	s_waitcnt vmcnt(1)
	global_store_dword v[54:55], v51, off
.LBB78_193:
	s_or_b64 exec, exec, s[18:19]
	v_mov_b32_e32 v49, v48
	v_mov_b32_e32 v51, v48
.LBB78_194:
	s_or_b64 exec, exec, s[2:3]
.LBB78_195:
	s_andn2_saveexec_b64 s[0:1], s[0:1]
	s_cbranch_execz .LBB78_197
; %bb.196:
	v_mov_b32_e32 v51, 11
	s_waitcnt vmcnt(26)
	ds_write2_b32 v17, v12, v13 offset0:12 offset1:13
	s_waitcnt vmcnt(24)
	ds_write2_b32 v17, v8, v9 offset0:14 offset1:15
	;; [unrolled: 2-line block ×14, first 2 shown]
.LBB78_197:
	s_or_b64 exec, exec, s[0:1]
	v_cmp_lt_i32_e32 vcc, 11, v51
	s_waitcnt lgkmcnt(0)
	s_barrier
	s_and_saveexec_b64 s[0:1], vcc
	s_cbranch_execz .LBB78_199
; %bb.198:
	ds_read2_b32 v[54:55], v17 offset0:12 offset1:13
	ds_read2_b32 v[56:57], v17 offset0:14 offset1:15
	;; [unrolled: 1-line block ×3, first 2 shown]
	v_mul_f32_e32 v48, v52, v23
	ds_read2_b32 v[52:53], v17 offset0:18 offset1:19
	s_waitcnt vmcnt(26) lgkmcnt(3)
	v_pk_fma_f32 v[12:13], v[48:49], v[54:55], v[12:13] op_sel_hi:[0,1,1] neg_lo:[1,0,0] neg_hi:[1,0,0]
	s_waitcnt vmcnt(24) lgkmcnt(2)
	v_pk_fma_f32 v[8:9], v[48:49], v[56:57], v[8:9] op_sel_hi:[0,1,1] neg_lo:[1,0,0] neg_hi:[1,0,0]
	;; [unrolled: 2-line block ×3, first 2 shown]
	ds_read2_b32 v[54:55], v17 offset0:20 offset1:21
	ds_read2_b32 v[56:57], v17 offset0:22 offset1:23
	;; [unrolled: 1-line block ×3, first 2 shown]
	s_waitcnt vmcnt(20) lgkmcnt(3)
	v_pk_fma_f32 v[30:31], v[48:49], v[52:53], v[30:31] op_sel_hi:[0,1,1] neg_lo:[1,0,0] neg_hi:[1,0,0]
	ds_read2_b32 v[52:53], v17 offset0:26 offset1:27
	s_waitcnt vmcnt(18) lgkmcnt(3)
	v_pk_fma_f32 v[24:25], v[48:49], v[54:55], v[24:25] op_sel_hi:[0,1,1] neg_lo:[1,0,0] neg_hi:[1,0,0]
	ds_read2_b32 v[54:55], v17 offset0:28 offset1:29
	s_waitcnt vmcnt(16) lgkmcnt(3)
	v_pk_fma_f32 v[14:15], v[48:49], v[56:57], v[14:15] op_sel_hi:[0,1,1] neg_lo:[1,0,0] neg_hi:[1,0,0]
	s_waitcnt vmcnt(14) lgkmcnt(2)
	v_pk_fma_f32 v[42:43], v[48:49], v[58:59], v[42:43] op_sel_hi:[0,1,1] neg_lo:[1,0,0] neg_hi:[1,0,0]
	;; [unrolled: 2-line block ×3, first 2 shown]
	ds_read2_b32 v[52:53], v17 offset0:30 offset1:31
	ds_read2_b32 v[56:57], v17 offset0:32 offset1:33
	;; [unrolled: 1-line block ×3, first 2 shown]
	s_waitcnt vmcnt(10) lgkmcnt(3)
	v_pk_fma_f32 v[32:33], v[48:49], v[54:55], v[32:33] op_sel_hi:[0,1,1] neg_lo:[1,0,0] neg_hi:[1,0,0]
	ds_read2_b32 v[54:55], v17 offset0:36 offset1:37
	ds_read2_b32 v[60:61], v17 offset0:38 offset1:39
	s_waitcnt vmcnt(8) lgkmcnt(4)
	v_pk_fma_f32 v[26:27], v[48:49], v[52:53], v[26:27] op_sel_hi:[0,1,1] neg_lo:[1,0,0] neg_hi:[1,0,0]
	s_waitcnt vmcnt(6) lgkmcnt(3)
	v_pk_fma_f32 v[46:47], v[48:49], v[56:57], v[46:47] op_sel_hi:[0,1,1] neg_lo:[1,0,0] neg_hi:[1,0,0]
	;; [unrolled: 2-line block ×5, first 2 shown]
	v_mov_b32_e32 v23, v48
.LBB78_199:
	s_or_b64 exec, exec, s[0:1]
	v_lshl_add_u32 v48, v51, 2, v17
	s_barrier
	s_waitcnt vmcnt(27)
	ds_write_b32 v48, v12
	s_waitcnt lgkmcnt(0)
	s_barrier
	ds_read_b32 v52, v17 offset:48
	s_cmp_lt_i32 s22, 14
	v_mov_b32_e32 v48, 12
	s_cbranch_scc1 .LBB78_202
; %bb.200:
	v_add3_u32 v53, v50, 0, 52
	v_mov_b32_e32 v48, 12
	s_mov_b32 s0, 13
.LBB78_201:                             ; =>This Inner Loop Header: Depth=1
	ds_read_b32 v54, v53
	v_mov_b32_e32 v55, s0
	s_add_i32 s0, s0, 1
	v_add_u32_e32 v53, 4, v53
	s_cmp_lg_u32 s22, s0
	s_waitcnt lgkmcnt(0)
	v_cmp_lt_f32_e64 vcc, |v52|, |v54|
	s_nop 1
	v_cndmask_b32_e32 v52, v52, v54, vcc
	v_cndmask_b32_e32 v48, v48, v55, vcc
	s_cbranch_scc1 .LBB78_201
.LBB78_202:
	s_waitcnt lgkmcnt(0)
	v_cmp_eq_f32_e32 vcc, 0, v52
	s_and_saveexec_b64 s[0:1], vcc
	s_xor_b64 s[0:1], exec, s[0:1]
; %bb.203:
	v_cmp_ne_u32_e32 vcc, 0, v19
	s_nop 1
	v_cndmask_b32_e32 v19, 13, v19, vcc
; %bb.204:
	s_andn2_saveexec_b64 s[0:1], s[0:1]
	s_cbranch_execz .LBB78_206
; %bb.205:
	v_div_scale_f32 v53, s[2:3], v52, v52, 1.0
	v_rcp_f32_e32 v54, v53
	v_div_scale_f32 v55, vcc, 1.0, v52, 1.0
	v_fma_f32 v56, -v53, v54, 1.0
	v_fmac_f32_e32 v54, v56, v54
	v_mul_f32_e32 v56, v55, v54
	v_fma_f32 v57, -v53, v56, v55
	v_fmac_f32_e32 v56, v57, v54
	v_fma_f32 v53, -v53, v56, v55
	v_div_fmas_f32 v53, v53, v54, v56
	v_div_fixup_f32 v52, v53, v52, 1.0
.LBB78_206:
	s_or_b64 exec, exec, s[0:1]
	v_cmp_ne_u32_e32 vcc, v51, v48
	s_and_saveexec_b64 s[0:1], vcc
	s_xor_b64 s[0:1], exec, s[0:1]
	s_cbranch_execz .LBB78_212
; %bb.207:
	v_cmp_eq_u32_e32 vcc, 12, v51
	s_and_saveexec_b64 s[2:3], vcc
	s_cbranch_execz .LBB78_211
; %bb.208:
	v_cmp_ne_u32_e32 vcc, 12, v48
	s_xor_b64 s[18:19], s[16:17], -1
	s_and_b64 s[20:21], s[18:19], vcc
	s_and_saveexec_b64 s[18:19], s[20:21]
	s_cbranch_execz .LBB78_210
; %bb.209:
	v_ashrrev_i32_e32 v49, 31, v48
	v_lshl_add_u64 v[54:55], v[48:49], 2, v[20:21]
	global_load_dword v49, v[54:55], off
	global_load_dword v51, v[20:21], off offset:48
	s_waitcnt vmcnt(1)
	global_store_dword v[20:21], v49, off offset:48
	s_waitcnt vmcnt(1)
	global_store_dword v[54:55], v51, off
.LBB78_210:
	s_or_b64 exec, exec, s[18:19]
	v_mov_b32_e32 v49, v48
	v_mov_b32_e32 v51, v48
.LBB78_211:
	s_or_b64 exec, exec, s[2:3]
.LBB78_212:
	s_andn2_saveexec_b64 s[0:1], s[0:1]
	s_cbranch_execz .LBB78_214
; %bb.213:
	s_waitcnt vmcnt(24)
	v_pk_mov_b32 v[54:55], v[12:13], v[8:9] op_sel:[1,0]
	ds_write2_b32 v17, v54, v55 offset0:13 offset1:14
	s_waitcnt vmcnt(22)
	v_pk_mov_b32 v[54:55], v[8:9], v[34:35] op_sel:[1,0]
	ds_write2_b32 v17, v54, v55 offset0:15 offset1:16
	;; [unrolled: 3-line block ×12, first 2 shown]
	s_waitcnt vmcnt(0)
	v_pk_mov_b32 v[54:55], v[38:39], v[40:41] op_sel:[1,0]
	v_mov_b32_e32 v51, 12
	ds_write2_b32 v17, v54, v55 offset0:37 offset1:38
	ds_write_b32 v17, v41 offset:156
.LBB78_214:
	s_or_b64 exec, exec, s[0:1]
	v_cmp_lt_i32_e32 vcc, 12, v51
	s_waitcnt lgkmcnt(0)
	s_barrier
	s_and_saveexec_b64 s[0:1], vcc
	s_cbranch_execz .LBB78_216
; %bb.215:
	ds_read_b32 v48, v17 offset:52
	ds_read2_b32 v[54:55], v17 offset0:14 offset1:15
	ds_read2_b32 v[56:57], v17 offset0:16 offset1:17
	v_mul_f32_e32 v12, v52, v12
	ds_read2_b32 v[52:53], v17 offset0:18 offset1:19
	s_waitcnt vmcnt(26) lgkmcnt(3)
	v_fma_f32 v13, -v12, v48, v13
	s_waitcnt vmcnt(24) lgkmcnt(2)
	v_pk_fma_f32 v[8:9], v[12:13], v[54:55], v[8:9] op_sel_hi:[0,1,1] neg_lo:[1,0,0] neg_hi:[1,0,0]
	s_waitcnt vmcnt(22) lgkmcnt(1)
	v_pk_fma_f32 v[34:35], v[12:13], v[56:57], v[34:35] op_sel_hi:[0,1,1] neg_lo:[1,0,0] neg_hi:[1,0,0]
	ds_read2_b32 v[54:55], v17 offset0:20 offset1:21
	ds_read2_b32 v[56:57], v17 offset0:22 offset1:23
	;; [unrolled: 1-line block ×3, first 2 shown]
	s_waitcnt vmcnt(20) lgkmcnt(3)
	v_pk_fma_f32 v[30:31], v[12:13], v[52:53], v[30:31] op_sel_hi:[0,1,1] neg_lo:[1,0,0] neg_hi:[1,0,0]
	ds_read2_b32 v[52:53], v17 offset0:26 offset1:27
	s_waitcnt vmcnt(18) lgkmcnt(3)
	v_pk_fma_f32 v[24:25], v[12:13], v[54:55], v[24:25] op_sel_hi:[0,1,1] neg_lo:[1,0,0] neg_hi:[1,0,0]
	ds_read2_b32 v[54:55], v17 offset0:28 offset1:29
	s_waitcnt vmcnt(16) lgkmcnt(3)
	v_pk_fma_f32 v[14:15], v[12:13], v[56:57], v[14:15] op_sel_hi:[0,1,1] neg_lo:[1,0,0] neg_hi:[1,0,0]
	s_waitcnt vmcnt(14) lgkmcnt(2)
	v_pk_fma_f32 v[42:43], v[12:13], v[58:59], v[42:43] op_sel_hi:[0,1,1] neg_lo:[1,0,0] neg_hi:[1,0,0]
	;; [unrolled: 2-line block ×3, first 2 shown]
	ds_read2_b32 v[52:53], v17 offset0:30 offset1:31
	ds_read2_b32 v[56:57], v17 offset0:32 offset1:33
	;; [unrolled: 1-line block ×3, first 2 shown]
	s_waitcnt vmcnt(10) lgkmcnt(3)
	v_pk_fma_f32 v[32:33], v[12:13], v[54:55], v[32:33] op_sel_hi:[0,1,1] neg_lo:[1,0,0] neg_hi:[1,0,0]
	ds_read2_b32 v[54:55], v17 offset0:36 offset1:37
	ds_read2_b32 v[60:61], v17 offset0:38 offset1:39
	s_waitcnt vmcnt(8) lgkmcnt(4)
	v_pk_fma_f32 v[26:27], v[12:13], v[52:53], v[26:27] op_sel_hi:[0,1,1] neg_lo:[1,0,0] neg_hi:[1,0,0]
	s_waitcnt vmcnt(6) lgkmcnt(3)
	v_pk_fma_f32 v[46:47], v[12:13], v[56:57], v[46:47] op_sel_hi:[0,1,1] neg_lo:[1,0,0] neg_hi:[1,0,0]
	;; [unrolled: 2-line block ×5, first 2 shown]
.LBB78_216:
	s_or_b64 exec, exec, s[0:1]
	v_lshl_add_u32 v48, v51, 2, v17
	s_barrier
	s_waitcnt vmcnt(26)
	ds_write_b32 v48, v13
	s_waitcnt lgkmcnt(0)
	s_barrier
	ds_read_b32 v52, v17 offset:52
	s_cmp_lt_i32 s22, 15
	v_mov_b32_e32 v48, 13
	s_cbranch_scc1 .LBB78_219
; %bb.217:
	v_add3_u32 v53, v50, 0, 56
	v_mov_b32_e32 v48, 13
	s_mov_b32 s0, 14
.LBB78_218:                             ; =>This Inner Loop Header: Depth=1
	ds_read_b32 v54, v53
	v_mov_b32_e32 v55, s0
	s_add_i32 s0, s0, 1
	v_add_u32_e32 v53, 4, v53
	s_cmp_lg_u32 s22, s0
	s_waitcnt lgkmcnt(0)
	v_cmp_lt_f32_e64 vcc, |v52|, |v54|
	s_nop 1
	v_cndmask_b32_e32 v52, v52, v54, vcc
	v_cndmask_b32_e32 v48, v48, v55, vcc
	s_cbranch_scc1 .LBB78_218
.LBB78_219:
	s_waitcnt lgkmcnt(0)
	v_cmp_eq_f32_e32 vcc, 0, v52
	s_and_saveexec_b64 s[0:1], vcc
	s_xor_b64 s[0:1], exec, s[0:1]
; %bb.220:
	v_cmp_ne_u32_e32 vcc, 0, v19
	s_nop 1
	v_cndmask_b32_e32 v19, 14, v19, vcc
; %bb.221:
	s_andn2_saveexec_b64 s[0:1], s[0:1]
	s_cbranch_execz .LBB78_223
; %bb.222:
	v_div_scale_f32 v53, s[2:3], v52, v52, 1.0
	v_rcp_f32_e32 v54, v53
	v_div_scale_f32 v55, vcc, 1.0, v52, 1.0
	v_fma_f32 v56, -v53, v54, 1.0
	v_fmac_f32_e32 v54, v56, v54
	v_mul_f32_e32 v56, v55, v54
	v_fma_f32 v57, -v53, v56, v55
	v_fmac_f32_e32 v56, v57, v54
	v_fma_f32 v53, -v53, v56, v55
	v_div_fmas_f32 v53, v53, v54, v56
	v_div_fixup_f32 v52, v53, v52, 1.0
.LBB78_223:
	s_or_b64 exec, exec, s[0:1]
	v_cmp_ne_u32_e32 vcc, v51, v48
	s_and_saveexec_b64 s[0:1], vcc
	s_xor_b64 s[0:1], exec, s[0:1]
	s_cbranch_execz .LBB78_229
; %bb.224:
	v_cmp_eq_u32_e32 vcc, 13, v51
	s_and_saveexec_b64 s[2:3], vcc
	s_cbranch_execz .LBB78_228
; %bb.225:
	v_cmp_ne_u32_e32 vcc, 13, v48
	s_xor_b64 s[18:19], s[16:17], -1
	s_and_b64 s[20:21], s[18:19], vcc
	s_and_saveexec_b64 s[18:19], s[20:21]
	s_cbranch_execz .LBB78_227
; %bb.226:
	v_ashrrev_i32_e32 v49, 31, v48
	v_lshl_add_u64 v[54:55], v[48:49], 2, v[20:21]
	global_load_dword v49, v[54:55], off
	global_load_dword v51, v[20:21], off offset:52
	s_waitcnt vmcnt(1)
	global_store_dword v[20:21], v49, off offset:52
	s_waitcnt vmcnt(1)
	global_store_dword v[54:55], v51, off
.LBB78_227:
	s_or_b64 exec, exec, s[18:19]
	v_mov_b32_e32 v49, v48
	v_mov_b32_e32 v51, v48
.LBB78_228:
	s_or_b64 exec, exec, s[2:3]
.LBB78_229:
	s_andn2_saveexec_b64 s[0:1], s[0:1]
	s_cbranch_execz .LBB78_231
; %bb.230:
	v_mov_b32_e32 v51, 13
	s_waitcnt vmcnt(24)
	ds_write2_b32 v17, v8, v9 offset0:14 offset1:15
	s_waitcnt vmcnt(22)
	ds_write2_b32 v17, v34, v35 offset0:16 offset1:17
	;; [unrolled: 2-line block ×13, first 2 shown]
.LBB78_231:
	s_or_b64 exec, exec, s[0:1]
	v_cmp_lt_i32_e32 vcc, 13, v51
	s_waitcnt lgkmcnt(0)
	s_barrier
	s_and_saveexec_b64 s[0:1], vcc
	s_cbranch_execz .LBB78_233
; %bb.232:
	ds_read2_b32 v[54:55], v17 offset0:14 offset1:15
	ds_read2_b32 v[56:57], v17 offset0:16 offset1:17
	;; [unrolled: 1-line block ×3, first 2 shown]
	v_mul_f32_e32 v48, v52, v13
	ds_read2_b32 v[52:53], v17 offset0:20 offset1:21
	s_waitcnt vmcnt(24) lgkmcnt(3)
	v_pk_fma_f32 v[8:9], v[48:49], v[54:55], v[8:9] op_sel_hi:[0,1,1] neg_lo:[1,0,0] neg_hi:[1,0,0]
	s_waitcnt vmcnt(22) lgkmcnt(2)
	v_pk_fma_f32 v[34:35], v[48:49], v[56:57], v[34:35] op_sel_hi:[0,1,1] neg_lo:[1,0,0] neg_hi:[1,0,0]
	;; [unrolled: 2-line block ×3, first 2 shown]
	ds_read2_b32 v[54:55], v17 offset0:22 offset1:23
	ds_read2_b32 v[56:57], v17 offset0:24 offset1:25
	;; [unrolled: 1-line block ×4, first 2 shown]
	s_waitcnt vmcnt(18) lgkmcnt(4)
	v_pk_fma_f32 v[24:25], v[48:49], v[52:53], v[24:25] op_sel_hi:[0,1,1] neg_lo:[1,0,0] neg_hi:[1,0,0]
	s_waitcnt vmcnt(16) lgkmcnt(3)
	v_pk_fma_f32 v[14:15], v[48:49], v[54:55], v[14:15] op_sel_hi:[0,1,1] neg_lo:[1,0,0] neg_hi:[1,0,0]
	;; [unrolled: 2-line block ×5, first 2 shown]
	ds_read2_b32 v[52:53], v17 offset0:30 offset1:31
	ds_read2_b32 v[54:55], v17 offset0:32 offset1:33
	;; [unrolled: 1-line block ×5, first 2 shown]
	s_waitcnt vmcnt(8) lgkmcnt(4)
	v_pk_fma_f32 v[26:27], v[48:49], v[52:53], v[26:27] op_sel_hi:[0,1,1] neg_lo:[1,0,0] neg_hi:[1,0,0]
	s_waitcnt vmcnt(6) lgkmcnt(3)
	v_pk_fma_f32 v[46:47], v[48:49], v[54:55], v[46:47] op_sel_hi:[0,1,1] neg_lo:[1,0,0] neg_hi:[1,0,0]
	;; [unrolled: 2-line block ×5, first 2 shown]
	v_mov_b32_e32 v13, v48
.LBB78_233:
	s_or_b64 exec, exec, s[0:1]
	v_lshl_add_u32 v48, v51, 2, v17
	s_barrier
	s_waitcnt vmcnt(25)
	ds_write_b32 v48, v8
	s_waitcnt lgkmcnt(0)
	s_barrier
	ds_read_b32 v52, v17 offset:56
	s_cmp_lt_i32 s22, 16
	v_mov_b32_e32 v48, 14
	s_cbranch_scc1 .LBB78_236
; %bb.234:
	v_add3_u32 v53, v50, 0, 60
	v_mov_b32_e32 v48, 14
	s_mov_b32 s0, 15
.LBB78_235:                             ; =>This Inner Loop Header: Depth=1
	ds_read_b32 v54, v53
	v_mov_b32_e32 v55, s0
	s_add_i32 s0, s0, 1
	v_add_u32_e32 v53, 4, v53
	s_cmp_lg_u32 s22, s0
	s_waitcnt lgkmcnt(0)
	v_cmp_lt_f32_e64 vcc, |v52|, |v54|
	s_nop 1
	v_cndmask_b32_e32 v52, v52, v54, vcc
	v_cndmask_b32_e32 v48, v48, v55, vcc
	s_cbranch_scc1 .LBB78_235
.LBB78_236:
	s_waitcnt lgkmcnt(0)
	v_cmp_eq_f32_e32 vcc, 0, v52
	s_and_saveexec_b64 s[0:1], vcc
	s_xor_b64 s[0:1], exec, s[0:1]
; %bb.237:
	v_cmp_ne_u32_e32 vcc, 0, v19
	s_nop 1
	v_cndmask_b32_e32 v19, 15, v19, vcc
; %bb.238:
	s_andn2_saveexec_b64 s[0:1], s[0:1]
	s_cbranch_execz .LBB78_240
; %bb.239:
	v_div_scale_f32 v53, s[2:3], v52, v52, 1.0
	v_rcp_f32_e32 v54, v53
	v_div_scale_f32 v55, vcc, 1.0, v52, 1.0
	v_fma_f32 v56, -v53, v54, 1.0
	v_fmac_f32_e32 v54, v56, v54
	v_mul_f32_e32 v56, v55, v54
	v_fma_f32 v57, -v53, v56, v55
	v_fmac_f32_e32 v56, v57, v54
	v_fma_f32 v53, -v53, v56, v55
	v_div_fmas_f32 v53, v53, v54, v56
	v_div_fixup_f32 v52, v53, v52, 1.0
.LBB78_240:
	s_or_b64 exec, exec, s[0:1]
	v_cmp_ne_u32_e32 vcc, v51, v48
	s_and_saveexec_b64 s[0:1], vcc
	s_xor_b64 s[0:1], exec, s[0:1]
	s_cbranch_execz .LBB78_246
; %bb.241:
	v_cmp_eq_u32_e32 vcc, 14, v51
	s_and_saveexec_b64 s[2:3], vcc
	s_cbranch_execz .LBB78_245
; %bb.242:
	v_cmp_ne_u32_e32 vcc, 14, v48
	s_xor_b64 s[18:19], s[16:17], -1
	s_and_b64 s[20:21], s[18:19], vcc
	s_and_saveexec_b64 s[18:19], s[20:21]
	s_cbranch_execz .LBB78_244
; %bb.243:
	v_ashrrev_i32_e32 v49, 31, v48
	v_lshl_add_u64 v[54:55], v[48:49], 2, v[20:21]
	global_load_dword v49, v[54:55], off
	global_load_dword v51, v[20:21], off offset:56
	s_waitcnt vmcnt(1)
	global_store_dword v[20:21], v49, off offset:56
	s_waitcnt vmcnt(1)
	global_store_dword v[54:55], v51, off
.LBB78_244:
	s_or_b64 exec, exec, s[18:19]
	v_mov_b32_e32 v49, v48
	v_mov_b32_e32 v51, v48
.LBB78_245:
	s_or_b64 exec, exec, s[2:3]
.LBB78_246:
	s_andn2_saveexec_b64 s[0:1], s[0:1]
	s_cbranch_execz .LBB78_248
; %bb.247:
	s_waitcnt vmcnt(22)
	v_pk_mov_b32 v[54:55], v[8:9], v[34:35] op_sel:[1,0]
	ds_write2_b32 v17, v54, v55 offset0:15 offset1:16
	s_waitcnt vmcnt(20)
	v_pk_mov_b32 v[54:55], v[34:35], v[30:31] op_sel:[1,0]
	ds_write2_b32 v17, v54, v55 offset0:17 offset1:18
	;; [unrolled: 3-line block ×11, first 2 shown]
	s_waitcnt vmcnt(0)
	v_pk_mov_b32 v[54:55], v[38:39], v[40:41] op_sel:[1,0]
	v_mov_b32_e32 v51, 14
	ds_write2_b32 v17, v54, v55 offset0:37 offset1:38
	ds_write_b32 v17, v41 offset:156
.LBB78_248:
	s_or_b64 exec, exec, s[0:1]
	v_cmp_lt_i32_e32 vcc, 14, v51
	s_waitcnt lgkmcnt(0)
	s_barrier
	s_and_saveexec_b64 s[0:1], vcc
	s_cbranch_execz .LBB78_250
; %bb.249:
	ds_read_b32 v48, v17 offset:60
	ds_read2_b32 v[54:55], v17 offset0:16 offset1:17
	ds_read2_b32 v[56:57], v17 offset0:18 offset1:19
	v_mul_f32_e32 v8, v52, v8
	ds_read2_b32 v[52:53], v17 offset0:20 offset1:21
	s_waitcnt vmcnt(24) lgkmcnt(3)
	v_fma_f32 v9, -v8, v48, v9
	s_waitcnt vmcnt(22) lgkmcnt(2)
	v_pk_fma_f32 v[34:35], v[8:9], v[54:55], v[34:35] op_sel_hi:[0,1,1] neg_lo:[1,0,0] neg_hi:[1,0,0]
	s_waitcnt vmcnt(20) lgkmcnt(1)
	v_pk_fma_f32 v[30:31], v[8:9], v[56:57], v[30:31] op_sel_hi:[0,1,1] neg_lo:[1,0,0] neg_hi:[1,0,0]
	ds_read2_b32 v[54:55], v17 offset0:22 offset1:23
	ds_read2_b32 v[56:57], v17 offset0:24 offset1:25
	;; [unrolled: 1-line block ×4, first 2 shown]
	s_waitcnt vmcnt(18) lgkmcnt(4)
	v_pk_fma_f32 v[24:25], v[8:9], v[52:53], v[24:25] op_sel_hi:[0,1,1] neg_lo:[1,0,0] neg_hi:[1,0,0]
	s_waitcnt vmcnt(16) lgkmcnt(3)
	v_pk_fma_f32 v[14:15], v[8:9], v[54:55], v[14:15] op_sel_hi:[0,1,1] neg_lo:[1,0,0] neg_hi:[1,0,0]
	;; [unrolled: 2-line block ×5, first 2 shown]
	ds_read2_b32 v[52:53], v17 offset0:30 offset1:31
	ds_read2_b32 v[54:55], v17 offset0:32 offset1:33
	;; [unrolled: 1-line block ×5, first 2 shown]
	s_waitcnt vmcnt(8) lgkmcnt(4)
	v_pk_fma_f32 v[26:27], v[8:9], v[52:53], v[26:27] op_sel_hi:[0,1,1] neg_lo:[1,0,0] neg_hi:[1,0,0]
	s_waitcnt vmcnt(6) lgkmcnt(3)
	v_pk_fma_f32 v[46:47], v[8:9], v[54:55], v[46:47] op_sel_hi:[0,1,1] neg_lo:[1,0,0] neg_hi:[1,0,0]
	;; [unrolled: 2-line block ×5, first 2 shown]
.LBB78_250:
	s_or_b64 exec, exec, s[0:1]
	v_lshl_add_u32 v48, v51, 2, v17
	s_barrier
	s_waitcnt vmcnt(24)
	ds_write_b32 v48, v9
	s_waitcnt lgkmcnt(0)
	s_barrier
	ds_read_b32 v52, v17 offset:60
	s_cmp_lt_i32 s22, 17
	v_mov_b32_e32 v48, 15
	s_cbranch_scc1 .LBB78_253
; %bb.251:
	v_add3_u32 v50, v50, 0, 64
	v_mov_b32_e32 v48, 15
	s_mov_b32 s0, 16
.LBB78_252:                             ; =>This Inner Loop Header: Depth=1
	ds_read_b32 v53, v50
	v_mov_b32_e32 v54, s0
	s_add_i32 s0, s0, 1
	v_add_u32_e32 v50, 4, v50
	s_cmp_lg_u32 s22, s0
	s_waitcnt lgkmcnt(0)
	v_cmp_lt_f32_e64 vcc, |v52|, |v53|
	s_nop 1
	v_cndmask_b32_e32 v52, v52, v53, vcc
	v_cndmask_b32_e32 v48, v48, v54, vcc
	s_cbranch_scc1 .LBB78_252
.LBB78_253:
	s_waitcnt lgkmcnt(0)
	v_cmp_eq_f32_e32 vcc, 0, v52
	s_and_saveexec_b64 s[0:1], vcc
	s_xor_b64 s[0:1], exec, s[0:1]
; %bb.254:
	v_cmp_ne_u32_e32 vcc, 0, v19
	s_nop 1
	v_cndmask_b32_e32 v19, 16, v19, vcc
; %bb.255:
	s_andn2_saveexec_b64 s[0:1], s[0:1]
	s_cbranch_execz .LBB78_257
; %bb.256:
	v_div_scale_f32 v50, s[2:3], v52, v52, 1.0
	v_rcp_f32_e32 v53, v50
	v_div_scale_f32 v54, vcc, 1.0, v52, 1.0
	v_fma_f32 v55, -v50, v53, 1.0
	v_fmac_f32_e32 v53, v55, v53
	v_mul_f32_e32 v55, v54, v53
	v_fma_f32 v56, -v50, v55, v54
	v_fmac_f32_e32 v55, v56, v53
	v_fma_f32 v50, -v50, v55, v54
	v_div_fmas_f32 v50, v50, v53, v55
	v_div_fixup_f32 v52, v50, v52, 1.0
.LBB78_257:
	s_or_b64 exec, exec, s[0:1]
	v_cmp_ne_u32_e32 vcc, v51, v48
	s_and_saveexec_b64 s[0:1], vcc
	s_xor_b64 s[0:1], exec, s[0:1]
	s_cbranch_execz .LBB78_263
; %bb.258:
	v_cmp_eq_u32_e32 vcc, 15, v51
	s_and_saveexec_b64 s[2:3], vcc
	s_cbranch_execz .LBB78_262
; %bb.259:
	v_cmp_ne_u32_e32 vcc, 15, v48
	s_xor_b64 s[18:19], s[16:17], -1
	s_and_b64 s[20:21], s[18:19], vcc
	s_and_saveexec_b64 s[18:19], s[20:21]
	s_cbranch_execz .LBB78_261
; %bb.260:
	v_ashrrev_i32_e32 v49, 31, v48
	v_lshl_add_u64 v[50:51], v[48:49], 2, v[20:21]
	global_load_dword v49, v[50:51], off
	global_load_dword v53, v[20:21], off offset:60
	s_waitcnt vmcnt(1)
	global_store_dword v[20:21], v49, off offset:60
	s_waitcnt vmcnt(1)
	global_store_dword v[50:51], v53, off
.LBB78_261:
	s_or_b64 exec, exec, s[18:19]
	v_mov_b32_e32 v49, v48
	v_mov_b32_e32 v51, v48
.LBB78_262:
	s_or_b64 exec, exec, s[2:3]
.LBB78_263:
	s_andn2_saveexec_b64 s[0:1], s[0:1]
	s_cbranch_execz .LBB78_265
; %bb.264:
	v_mov_b32_e32 v51, 15
	s_waitcnt vmcnt(22)
	ds_write2_b32 v17, v34, v35 offset0:16 offset1:17
	s_waitcnt vmcnt(20)
	ds_write2_b32 v17, v30, v31 offset0:18 offset1:19
	;; [unrolled: 2-line block ×12, first 2 shown]
.LBB78_265:
	s_or_b64 exec, exec, s[0:1]
	v_cmp_lt_i32_e32 vcc, 15, v51
	s_waitcnt lgkmcnt(0)
	s_barrier
	s_and_saveexec_b64 s[0:1], vcc
	s_cbranch_execz .LBB78_267
; %bb.266:
	ds_read2_b32 v[54:55], v17 offset0:16 offset1:17
	ds_read2_b32 v[56:57], v17 offset0:18 offset1:19
	;; [unrolled: 1-line block ×3, first 2 shown]
	v_mul_f32_e32 v48, v52, v9
	ds_read2_b32 v[52:53], v17 offset0:22 offset1:23
	s_waitcnt vmcnt(22) lgkmcnt(3)
	v_pk_fma_f32 v[34:35], v[48:49], v[54:55], v[34:35] op_sel_hi:[0,1,1] neg_lo:[1,0,0] neg_hi:[1,0,0]
	s_waitcnt vmcnt(20) lgkmcnt(2)
	v_pk_fma_f32 v[30:31], v[48:49], v[56:57], v[30:31] op_sel_hi:[0,1,1] neg_lo:[1,0,0] neg_hi:[1,0,0]
	;; [unrolled: 2-line block ×3, first 2 shown]
	ds_read2_b32 v[54:55], v17 offset0:24 offset1:25
	ds_read2_b32 v[56:57], v17 offset0:26 offset1:27
	ds_read2_b32 v[58:59], v17 offset0:28 offset1:29
	s_waitcnt vmcnt(16) lgkmcnt(3)
	v_pk_fma_f32 v[14:15], v[48:49], v[52:53], v[14:15] op_sel_hi:[0,1,1] neg_lo:[1,0,0] neg_hi:[1,0,0]
	ds_read2_b32 v[52:53], v17 offset0:30 offset1:31
	s_waitcnt vmcnt(14) lgkmcnt(3)
	v_pk_fma_f32 v[42:43], v[48:49], v[54:55], v[42:43] op_sel_hi:[0,1,1] neg_lo:[1,0,0] neg_hi:[1,0,0]
	s_waitcnt vmcnt(12) lgkmcnt(2)
	v_pk_fma_f32 v[36:37], v[48:49], v[56:57], v[36:37] op_sel_hi:[0,1,1] neg_lo:[1,0,0] neg_hi:[1,0,0]
	;; [unrolled: 2-line block ×3, first 2 shown]
	ds_read2_b32 v[54:55], v17 offset0:32 offset1:33
	ds_read2_b32 v[56:57], v17 offset0:34 offset1:35
	;; [unrolled: 1-line block ×4, first 2 shown]
	s_waitcnt vmcnt(8) lgkmcnt(4)
	v_pk_fma_f32 v[26:27], v[48:49], v[52:53], v[26:27] op_sel_hi:[0,1,1] neg_lo:[1,0,0] neg_hi:[1,0,0]
	s_waitcnt vmcnt(6) lgkmcnt(3)
	v_pk_fma_f32 v[46:47], v[48:49], v[54:55], v[46:47] op_sel_hi:[0,1,1] neg_lo:[1,0,0] neg_hi:[1,0,0]
	;; [unrolled: 2-line block ×5, first 2 shown]
	v_mov_b32_e32 v9, v48
.LBB78_267:
	s_or_b64 exec, exec, s[0:1]
	v_lshl_add_u32 v48, v51, 2, v17
	s_barrier
	s_waitcnt vmcnt(23)
	ds_write_b32 v48, v34
	s_waitcnt lgkmcnt(0)
	s_barrier
	ds_read_b32 v50, v17 offset:64
	s_cmp_lt_i32 s22, 18
	v_mov_b32_e32 v48, 16
	s_cbranch_scc1 .LBB78_270
; %bb.268:
	v_add_u32_e32 v52, 0x44, v17
	v_mov_b32_e32 v48, 16
	s_mov_b32 s0, 17
.LBB78_269:                             ; =>This Inner Loop Header: Depth=1
	ds_read_b32 v53, v52
	v_mov_b32_e32 v54, s0
	s_add_i32 s0, s0, 1
	v_add_u32_e32 v52, 4, v52
	s_cmp_lg_u32 s22, s0
	s_waitcnt lgkmcnt(0)
	v_cmp_lt_f32_e64 vcc, |v50|, |v53|
	s_nop 1
	v_cndmask_b32_e32 v50, v50, v53, vcc
	v_cndmask_b32_e32 v48, v48, v54, vcc
	s_cbranch_scc1 .LBB78_269
.LBB78_270:
	s_waitcnt lgkmcnt(0)
	v_cmp_eq_f32_e32 vcc, 0, v50
	s_and_saveexec_b64 s[0:1], vcc
	s_xor_b64 s[0:1], exec, s[0:1]
; %bb.271:
	v_cmp_ne_u32_e32 vcc, 0, v19
	s_nop 1
	v_cndmask_b32_e32 v19, 17, v19, vcc
; %bb.272:
	s_andn2_saveexec_b64 s[0:1], s[0:1]
	s_cbranch_execz .LBB78_274
; %bb.273:
	v_div_scale_f32 v52, s[2:3], v50, v50, 1.0
	v_rcp_f32_e32 v53, v52
	v_div_scale_f32 v54, vcc, 1.0, v50, 1.0
	v_fma_f32 v55, -v52, v53, 1.0
	v_fmac_f32_e32 v53, v55, v53
	v_mul_f32_e32 v55, v54, v53
	v_fma_f32 v56, -v52, v55, v54
	v_fmac_f32_e32 v55, v56, v53
	v_fma_f32 v52, -v52, v55, v54
	v_div_fmas_f32 v52, v52, v53, v55
	v_div_fixup_f32 v50, v52, v50, 1.0
.LBB78_274:
	s_or_b64 exec, exec, s[0:1]
	v_cmp_ne_u32_e32 vcc, v51, v48
	s_and_saveexec_b64 s[0:1], vcc
	s_xor_b64 s[0:1], exec, s[0:1]
	s_cbranch_execz .LBB78_280
; %bb.275:
	v_cmp_eq_u32_e32 vcc, 16, v51
	s_and_saveexec_b64 s[2:3], vcc
	s_cbranch_execz .LBB78_279
; %bb.276:
	v_cmp_ne_u32_e32 vcc, 16, v48
	s_xor_b64 s[18:19], s[16:17], -1
	s_and_b64 s[20:21], s[18:19], vcc
	s_and_saveexec_b64 s[18:19], s[20:21]
	s_cbranch_execz .LBB78_278
; %bb.277:
	v_ashrrev_i32_e32 v49, 31, v48
	v_lshl_add_u64 v[52:53], v[48:49], 2, v[20:21]
	global_load_dword v49, v[52:53], off
	global_load_dword v51, v[20:21], off offset:64
	s_waitcnt vmcnt(1)
	global_store_dword v[20:21], v49, off offset:64
	s_waitcnt vmcnt(1)
	global_store_dword v[52:53], v51, off
.LBB78_278:
	s_or_b64 exec, exec, s[18:19]
	v_mov_b32_e32 v49, v48
	v_mov_b32_e32 v51, v48
.LBB78_279:
	s_or_b64 exec, exec, s[2:3]
.LBB78_280:
	s_andn2_saveexec_b64 s[0:1], s[0:1]
	s_cbranch_execz .LBB78_282
; %bb.281:
	s_waitcnt vmcnt(20)
	v_pk_mov_b32 v[52:53], v[34:35], v[30:31] op_sel:[1,0]
	ds_write2_b32 v17, v52, v53 offset0:17 offset1:18
	s_waitcnt vmcnt(18)
	v_pk_mov_b32 v[52:53], v[30:31], v[24:25] op_sel:[1,0]
	ds_write2_b32 v17, v52, v53 offset0:19 offset1:20
	;; [unrolled: 3-line block ×10, first 2 shown]
	s_waitcnt vmcnt(0)
	v_pk_mov_b32 v[52:53], v[38:39], v[40:41] op_sel:[1,0]
	v_mov_b32_e32 v51, 16
	ds_write2_b32 v17, v52, v53 offset0:37 offset1:38
	ds_write_b32 v17, v41 offset:156
.LBB78_282:
	s_or_b64 exec, exec, s[0:1]
	v_cmp_lt_i32_e32 vcc, 16, v51
	s_waitcnt lgkmcnt(0)
	s_barrier
	s_and_saveexec_b64 s[0:1], vcc
	s_cbranch_execz .LBB78_284
; %bb.283:
	ds_read_b32 v48, v17 offset:68
	ds_read2_b32 v[52:53], v17 offset0:18 offset1:19
	ds_read2_b32 v[54:55], v17 offset0:20 offset1:21
	v_mul_f32_e32 v34, v50, v34
	ds_read2_b32 v[56:57], v17 offset0:22 offset1:23
	s_waitcnt vmcnt(22) lgkmcnt(3)
	v_fma_f32 v35, -v34, v48, v35
	s_waitcnt vmcnt(20) lgkmcnt(2)
	v_pk_fma_f32 v[30:31], v[34:35], v[52:53], v[30:31] op_sel_hi:[0,1,1] neg_lo:[1,0,0] neg_hi:[1,0,0]
	s_waitcnt vmcnt(18) lgkmcnt(1)
	v_pk_fma_f32 v[24:25], v[34:35], v[54:55], v[24:25] op_sel_hi:[0,1,1] neg_lo:[1,0,0] neg_hi:[1,0,0]
	ds_read2_b32 v[52:53], v17 offset0:24 offset1:25
	ds_read2_b32 v[54:55], v17 offset0:26 offset1:27
	;; [unrolled: 1-line block ×3, first 2 shown]
	s_waitcnt vmcnt(16) lgkmcnt(3)
	v_pk_fma_f32 v[14:15], v[34:35], v[56:57], v[14:15] op_sel_hi:[0,1,1] neg_lo:[1,0,0] neg_hi:[1,0,0]
	ds_read2_b32 v[56:57], v17 offset0:30 offset1:31
	s_waitcnt vmcnt(14) lgkmcnt(3)
	v_pk_fma_f32 v[42:43], v[34:35], v[52:53], v[42:43] op_sel_hi:[0,1,1] neg_lo:[1,0,0] neg_hi:[1,0,0]
	s_waitcnt vmcnt(12) lgkmcnt(2)
	v_pk_fma_f32 v[36:37], v[34:35], v[54:55], v[36:37] op_sel_hi:[0,1,1] neg_lo:[1,0,0] neg_hi:[1,0,0]
	;; [unrolled: 2-line block ×3, first 2 shown]
	ds_read2_b32 v[52:53], v17 offset0:32 offset1:33
	ds_read2_b32 v[54:55], v17 offset0:34 offset1:35
	;; [unrolled: 1-line block ×4, first 2 shown]
	s_waitcnt vmcnt(8) lgkmcnt(4)
	v_pk_fma_f32 v[26:27], v[34:35], v[56:57], v[26:27] op_sel_hi:[0,1,1] neg_lo:[1,0,0] neg_hi:[1,0,0]
	s_waitcnt vmcnt(6) lgkmcnt(3)
	v_pk_fma_f32 v[46:47], v[34:35], v[52:53], v[46:47] op_sel_hi:[0,1,1] neg_lo:[1,0,0] neg_hi:[1,0,0]
	;; [unrolled: 2-line block ×5, first 2 shown]
.LBB78_284:
	s_or_b64 exec, exec, s[0:1]
	v_lshl_add_u32 v48, v51, 2, v17
	s_barrier
	s_waitcnt vmcnt(22)
	ds_write_b32 v48, v35
	s_waitcnt lgkmcnt(0)
	s_barrier
	ds_read_b32 v50, v17 offset:68
	s_cmp_lt_i32 s22, 19
	v_mov_b32_e32 v48, 17
	s_cbranch_scc1 .LBB78_287
; %bb.285:
	v_add_u32_e32 v52, 0x48, v17
	v_mov_b32_e32 v48, 17
	s_mov_b32 s0, 18
.LBB78_286:                             ; =>This Inner Loop Header: Depth=1
	ds_read_b32 v53, v52
	v_mov_b32_e32 v54, s0
	s_add_i32 s0, s0, 1
	v_add_u32_e32 v52, 4, v52
	s_cmp_lg_u32 s22, s0
	s_waitcnt lgkmcnt(0)
	v_cmp_lt_f32_e64 vcc, |v50|, |v53|
	s_nop 1
	v_cndmask_b32_e32 v50, v50, v53, vcc
	v_cndmask_b32_e32 v48, v48, v54, vcc
	s_cbranch_scc1 .LBB78_286
.LBB78_287:
	s_waitcnt lgkmcnt(0)
	v_cmp_eq_f32_e32 vcc, 0, v50
	s_and_saveexec_b64 s[0:1], vcc
	s_xor_b64 s[0:1], exec, s[0:1]
; %bb.288:
	v_cmp_ne_u32_e32 vcc, 0, v19
	s_nop 1
	v_cndmask_b32_e32 v19, 18, v19, vcc
; %bb.289:
	s_andn2_saveexec_b64 s[0:1], s[0:1]
	s_cbranch_execz .LBB78_291
; %bb.290:
	v_div_scale_f32 v52, s[2:3], v50, v50, 1.0
	v_rcp_f32_e32 v53, v52
	v_div_scale_f32 v54, vcc, 1.0, v50, 1.0
	v_fma_f32 v55, -v52, v53, 1.0
	v_fmac_f32_e32 v53, v55, v53
	v_mul_f32_e32 v55, v54, v53
	v_fma_f32 v56, -v52, v55, v54
	v_fmac_f32_e32 v55, v56, v53
	v_fma_f32 v52, -v52, v55, v54
	v_div_fmas_f32 v52, v52, v53, v55
	v_div_fixup_f32 v50, v52, v50, 1.0
.LBB78_291:
	s_or_b64 exec, exec, s[0:1]
	v_cmp_ne_u32_e32 vcc, v51, v48
	s_and_saveexec_b64 s[0:1], vcc
	s_xor_b64 s[0:1], exec, s[0:1]
	s_cbranch_execz .LBB78_297
; %bb.292:
	v_cmp_eq_u32_e32 vcc, 17, v51
	s_and_saveexec_b64 s[2:3], vcc
	s_cbranch_execz .LBB78_296
; %bb.293:
	v_cmp_ne_u32_e32 vcc, 17, v48
	s_xor_b64 s[18:19], s[16:17], -1
	s_and_b64 s[20:21], s[18:19], vcc
	s_and_saveexec_b64 s[18:19], s[20:21]
	s_cbranch_execz .LBB78_295
; %bb.294:
	v_ashrrev_i32_e32 v49, 31, v48
	v_lshl_add_u64 v[52:53], v[48:49], 2, v[20:21]
	global_load_dword v49, v[52:53], off
	global_load_dword v51, v[20:21], off offset:68
	s_waitcnt vmcnt(1)
	global_store_dword v[20:21], v49, off offset:68
	s_waitcnt vmcnt(1)
	global_store_dword v[52:53], v51, off
.LBB78_295:
	s_or_b64 exec, exec, s[18:19]
	v_mov_b32_e32 v49, v48
	v_mov_b32_e32 v51, v48
.LBB78_296:
	s_or_b64 exec, exec, s[2:3]
.LBB78_297:
	s_andn2_saveexec_b64 s[0:1], s[0:1]
	s_cbranch_execz .LBB78_299
; %bb.298:
	v_mov_b32_e32 v51, 17
	s_waitcnt vmcnt(20)
	ds_write2_b32 v17, v30, v31 offset0:18 offset1:19
	s_waitcnt vmcnt(18)
	ds_write2_b32 v17, v24, v25 offset0:20 offset1:21
	;; [unrolled: 2-line block ×11, first 2 shown]
.LBB78_299:
	s_or_b64 exec, exec, s[0:1]
	v_cmp_lt_i32_e32 vcc, 17, v51
	s_waitcnt lgkmcnt(0)
	s_barrier
	s_and_saveexec_b64 s[0:1], vcc
	s_cbranch_execz .LBB78_301
; %bb.300:
	ds_read2_b32 v[52:53], v17 offset0:18 offset1:19
	ds_read2_b32 v[54:55], v17 offset0:20 offset1:21
	;; [unrolled: 1-line block ×3, first 2 shown]
	v_mul_f32_e32 v48, v50, v35
	ds_read2_b32 v[58:59], v17 offset0:24 offset1:25
	s_waitcnt vmcnt(20) lgkmcnt(3)
	v_pk_fma_f32 v[30:31], v[48:49], v[52:53], v[30:31] op_sel_hi:[0,1,1] neg_lo:[1,0,0] neg_hi:[1,0,0]
	s_waitcnt vmcnt(18) lgkmcnt(2)
	v_pk_fma_f32 v[24:25], v[48:49], v[54:55], v[24:25] op_sel_hi:[0,1,1] neg_lo:[1,0,0] neg_hi:[1,0,0]
	ds_read2_b32 v[52:53], v17 offset0:26 offset1:27
	ds_read2_b32 v[54:55], v17 offset0:28 offset1:29
	s_waitcnt vmcnt(16) lgkmcnt(3)
	v_pk_fma_f32 v[14:15], v[48:49], v[56:57], v[14:15] op_sel_hi:[0,1,1] neg_lo:[1,0,0] neg_hi:[1,0,0]
	s_waitcnt vmcnt(14) lgkmcnt(2)
	v_pk_fma_f32 v[42:43], v[48:49], v[58:59], v[42:43] op_sel_hi:[0,1,1] neg_lo:[1,0,0] neg_hi:[1,0,0]
	ds_read2_b32 v[56:57], v17 offset0:30 offset1:31
	;; [unrolled: 6-line block ×3, first 2 shown]
	ds_read2_b32 v[54:55], v17 offset0:36 offset1:37
	ds_read2_b32 v[60:61], v17 offset0:38 offset1:39
	s_waitcnt vmcnt(8) lgkmcnt(4)
	v_pk_fma_f32 v[26:27], v[48:49], v[56:57], v[26:27] op_sel_hi:[0,1,1] neg_lo:[1,0,0] neg_hi:[1,0,0]
	s_waitcnt vmcnt(6) lgkmcnt(3)
	v_pk_fma_f32 v[46:47], v[48:49], v[58:59], v[46:47] op_sel_hi:[0,1,1] neg_lo:[1,0,0] neg_hi:[1,0,0]
	;; [unrolled: 2-line block ×5, first 2 shown]
	v_mov_b32_e32 v35, v48
.LBB78_301:
	s_or_b64 exec, exec, s[0:1]
	v_lshl_add_u32 v48, v51, 2, v17
	s_barrier
	s_waitcnt vmcnt(21)
	ds_write_b32 v48, v30
	s_waitcnt lgkmcnt(0)
	s_barrier
	ds_read_b32 v50, v17 offset:72
	s_cmp_lt_i32 s22, 20
	v_mov_b32_e32 v48, 18
	s_cbranch_scc1 .LBB78_304
; %bb.302:
	v_add_u32_e32 v52, 0x4c, v17
	v_mov_b32_e32 v48, 18
	s_mov_b32 s0, 19
.LBB78_303:                             ; =>This Inner Loop Header: Depth=1
	ds_read_b32 v53, v52
	v_mov_b32_e32 v54, s0
	s_add_i32 s0, s0, 1
	v_add_u32_e32 v52, 4, v52
	s_cmp_lg_u32 s22, s0
	s_waitcnt lgkmcnt(0)
	v_cmp_lt_f32_e64 vcc, |v50|, |v53|
	s_nop 1
	v_cndmask_b32_e32 v50, v50, v53, vcc
	v_cndmask_b32_e32 v48, v48, v54, vcc
	s_cbranch_scc1 .LBB78_303
.LBB78_304:
	s_waitcnt lgkmcnt(0)
	v_cmp_eq_f32_e32 vcc, 0, v50
	s_and_saveexec_b64 s[0:1], vcc
	s_xor_b64 s[0:1], exec, s[0:1]
; %bb.305:
	v_cmp_ne_u32_e32 vcc, 0, v19
	s_nop 1
	v_cndmask_b32_e32 v19, 19, v19, vcc
; %bb.306:
	s_andn2_saveexec_b64 s[0:1], s[0:1]
	s_cbranch_execz .LBB78_308
; %bb.307:
	v_div_scale_f32 v52, s[2:3], v50, v50, 1.0
	v_rcp_f32_e32 v53, v52
	v_div_scale_f32 v54, vcc, 1.0, v50, 1.0
	v_fma_f32 v55, -v52, v53, 1.0
	v_fmac_f32_e32 v53, v55, v53
	v_mul_f32_e32 v55, v54, v53
	v_fma_f32 v56, -v52, v55, v54
	v_fmac_f32_e32 v55, v56, v53
	v_fma_f32 v52, -v52, v55, v54
	v_div_fmas_f32 v52, v52, v53, v55
	v_div_fixup_f32 v50, v52, v50, 1.0
.LBB78_308:
	s_or_b64 exec, exec, s[0:1]
	v_cmp_ne_u32_e32 vcc, v51, v48
	s_and_saveexec_b64 s[0:1], vcc
	s_xor_b64 s[0:1], exec, s[0:1]
	s_cbranch_execz .LBB78_314
; %bb.309:
	v_cmp_eq_u32_e32 vcc, 18, v51
	s_and_saveexec_b64 s[2:3], vcc
	s_cbranch_execz .LBB78_313
; %bb.310:
	v_cmp_ne_u32_e32 vcc, 18, v48
	s_xor_b64 s[18:19], s[16:17], -1
	s_and_b64 s[20:21], s[18:19], vcc
	s_and_saveexec_b64 s[18:19], s[20:21]
	s_cbranch_execz .LBB78_312
; %bb.311:
	v_ashrrev_i32_e32 v49, 31, v48
	v_lshl_add_u64 v[52:53], v[48:49], 2, v[20:21]
	global_load_dword v49, v[52:53], off
	global_load_dword v51, v[20:21], off offset:72
	s_waitcnt vmcnt(1)
	global_store_dword v[20:21], v49, off offset:72
	s_waitcnt vmcnt(1)
	global_store_dword v[52:53], v51, off
.LBB78_312:
	s_or_b64 exec, exec, s[18:19]
	v_mov_b32_e32 v49, v48
	v_mov_b32_e32 v51, v48
.LBB78_313:
	s_or_b64 exec, exec, s[2:3]
.LBB78_314:
	s_andn2_saveexec_b64 s[0:1], s[0:1]
	s_cbranch_execz .LBB78_316
; %bb.315:
	s_waitcnt vmcnt(18)
	v_pk_mov_b32 v[52:53], v[30:31], v[24:25] op_sel:[1,0]
	ds_write2_b32 v17, v52, v53 offset0:19 offset1:20
	s_waitcnt vmcnt(16)
	v_pk_mov_b32 v[52:53], v[24:25], v[14:15] op_sel:[1,0]
	ds_write2_b32 v17, v52, v53 offset0:21 offset1:22
	;; [unrolled: 3-line block ×9, first 2 shown]
	s_waitcnt vmcnt(0)
	v_pk_mov_b32 v[52:53], v[38:39], v[40:41] op_sel:[1,0]
	v_mov_b32_e32 v51, 18
	ds_write2_b32 v17, v52, v53 offset0:37 offset1:38
	ds_write_b32 v17, v41 offset:156
.LBB78_316:
	s_or_b64 exec, exec, s[0:1]
	v_cmp_lt_i32_e32 vcc, 18, v51
	s_waitcnt lgkmcnt(0)
	s_barrier
	s_and_saveexec_b64 s[0:1], vcc
	s_cbranch_execz .LBB78_318
; %bb.317:
	ds_read_b32 v48, v17 offset:76
	ds_read2_b32 v[52:53], v17 offset0:20 offset1:21
	ds_read2_b32 v[54:55], v17 offset0:22 offset1:23
	v_mul_f32_e32 v30, v50, v30
	ds_read2_b32 v[56:57], v17 offset0:24 offset1:25
	s_waitcnt vmcnt(20) lgkmcnt(3)
	v_fma_f32 v31, -v30, v48, v31
	s_waitcnt vmcnt(18) lgkmcnt(2)
	v_pk_fma_f32 v[24:25], v[30:31], v[52:53], v[24:25] op_sel_hi:[0,1,1] neg_lo:[1,0,0] neg_hi:[1,0,0]
	s_waitcnt vmcnt(16) lgkmcnt(1)
	v_pk_fma_f32 v[14:15], v[30:31], v[54:55], v[14:15] op_sel_hi:[0,1,1] neg_lo:[1,0,0] neg_hi:[1,0,0]
	ds_read2_b32 v[52:53], v17 offset0:26 offset1:27
	ds_read2_b32 v[54:55], v17 offset0:28 offset1:29
	s_waitcnt vmcnt(14) lgkmcnt(2)
	v_pk_fma_f32 v[42:43], v[30:31], v[56:57], v[42:43] op_sel_hi:[0,1,1] neg_lo:[1,0,0] neg_hi:[1,0,0]
	ds_read2_b32 v[56:57], v17 offset0:30 offset1:31
	ds_read2_b32 v[58:59], v17 offset0:32 offset1:33
	s_waitcnt vmcnt(12) lgkmcnt(3)
	v_pk_fma_f32 v[36:37], v[30:31], v[52:53], v[36:37] op_sel_hi:[0,1,1] neg_lo:[1,0,0] neg_hi:[1,0,0]
	s_waitcnt vmcnt(10) lgkmcnt(2)
	v_pk_fma_f32 v[32:33], v[30:31], v[54:55], v[32:33] op_sel_hi:[0,1,1] neg_lo:[1,0,0] neg_hi:[1,0,0]
	ds_read2_b32 v[52:53], v17 offset0:34 offset1:35
	ds_read2_b32 v[54:55], v17 offset0:36 offset1:37
	;; [unrolled: 1-line block ×3, first 2 shown]
	s_waitcnt vmcnt(8) lgkmcnt(4)
	v_pk_fma_f32 v[26:27], v[30:31], v[56:57], v[26:27] op_sel_hi:[0,1,1] neg_lo:[1,0,0] neg_hi:[1,0,0]
	s_waitcnt vmcnt(6) lgkmcnt(3)
	v_pk_fma_f32 v[46:47], v[30:31], v[58:59], v[46:47] op_sel_hi:[0,1,1] neg_lo:[1,0,0] neg_hi:[1,0,0]
	;; [unrolled: 2-line block ×5, first 2 shown]
.LBB78_318:
	s_or_b64 exec, exec, s[0:1]
	v_lshl_add_u32 v48, v51, 2, v17
	s_barrier
	s_waitcnt vmcnt(20)
	ds_write_b32 v48, v31
	s_waitcnt lgkmcnt(0)
	s_barrier
	ds_read_b32 v50, v17 offset:76
	s_cmp_lt_i32 s22, 21
	v_mov_b32_e32 v48, 19
	s_cbranch_scc1 .LBB78_321
; %bb.319:
	v_add_u32_e32 v52, 0x50, v17
	v_mov_b32_e32 v48, 19
	s_mov_b32 s0, 20
.LBB78_320:                             ; =>This Inner Loop Header: Depth=1
	ds_read_b32 v53, v52
	v_mov_b32_e32 v54, s0
	s_add_i32 s0, s0, 1
	v_add_u32_e32 v52, 4, v52
	s_cmp_lg_u32 s22, s0
	s_waitcnt lgkmcnt(0)
	v_cmp_lt_f32_e64 vcc, |v50|, |v53|
	s_nop 1
	v_cndmask_b32_e32 v50, v50, v53, vcc
	v_cndmask_b32_e32 v48, v48, v54, vcc
	s_cbranch_scc1 .LBB78_320
.LBB78_321:
	s_waitcnt lgkmcnt(0)
	v_cmp_eq_f32_e32 vcc, 0, v50
	s_and_saveexec_b64 s[0:1], vcc
	s_xor_b64 s[0:1], exec, s[0:1]
; %bb.322:
	v_cmp_ne_u32_e32 vcc, 0, v19
	s_nop 1
	v_cndmask_b32_e32 v19, 20, v19, vcc
; %bb.323:
	s_andn2_saveexec_b64 s[0:1], s[0:1]
	s_cbranch_execz .LBB78_325
; %bb.324:
	v_div_scale_f32 v52, s[2:3], v50, v50, 1.0
	v_rcp_f32_e32 v53, v52
	v_div_scale_f32 v54, vcc, 1.0, v50, 1.0
	v_fma_f32 v55, -v52, v53, 1.0
	v_fmac_f32_e32 v53, v55, v53
	v_mul_f32_e32 v55, v54, v53
	v_fma_f32 v56, -v52, v55, v54
	v_fmac_f32_e32 v55, v56, v53
	v_fma_f32 v52, -v52, v55, v54
	v_div_fmas_f32 v52, v52, v53, v55
	v_div_fixup_f32 v50, v52, v50, 1.0
.LBB78_325:
	s_or_b64 exec, exec, s[0:1]
	v_cmp_ne_u32_e32 vcc, v51, v48
	s_and_saveexec_b64 s[0:1], vcc
	s_xor_b64 s[0:1], exec, s[0:1]
	s_cbranch_execz .LBB78_331
; %bb.326:
	v_cmp_eq_u32_e32 vcc, 19, v51
	s_and_saveexec_b64 s[2:3], vcc
	s_cbranch_execz .LBB78_330
; %bb.327:
	v_cmp_ne_u32_e32 vcc, 19, v48
	s_xor_b64 s[18:19], s[16:17], -1
	s_and_b64 s[20:21], s[18:19], vcc
	s_and_saveexec_b64 s[18:19], s[20:21]
	s_cbranch_execz .LBB78_329
; %bb.328:
	v_ashrrev_i32_e32 v49, 31, v48
	v_lshl_add_u64 v[52:53], v[48:49], 2, v[20:21]
	global_load_dword v49, v[52:53], off
	global_load_dword v51, v[20:21], off offset:76
	s_waitcnt vmcnt(1)
	global_store_dword v[20:21], v49, off offset:76
	s_waitcnt vmcnt(1)
	global_store_dword v[52:53], v51, off
.LBB78_329:
	s_or_b64 exec, exec, s[18:19]
	v_mov_b32_e32 v49, v48
	v_mov_b32_e32 v51, v48
.LBB78_330:
	s_or_b64 exec, exec, s[2:3]
.LBB78_331:
	s_andn2_saveexec_b64 s[0:1], s[0:1]
	s_cbranch_execz .LBB78_333
; %bb.332:
	v_mov_b32_e32 v51, 19
	s_waitcnt vmcnt(18)
	ds_write2_b32 v17, v24, v25 offset0:20 offset1:21
	s_waitcnt vmcnt(16)
	ds_write2_b32 v17, v14, v15 offset0:22 offset1:23
	;; [unrolled: 2-line block ×10, first 2 shown]
.LBB78_333:
	s_or_b64 exec, exec, s[0:1]
	v_cmp_lt_i32_e32 vcc, 19, v51
	s_waitcnt lgkmcnt(0)
	s_barrier
	s_and_saveexec_b64 s[0:1], vcc
	s_cbranch_execz .LBB78_335
; %bb.334:
	ds_read2_b32 v[52:53], v17 offset0:20 offset1:21
	ds_read2_b32 v[54:55], v17 offset0:22 offset1:23
	;; [unrolled: 1-line block ×3, first 2 shown]
	v_mul_f32_e32 v48, v50, v31
	ds_read2_b32 v[58:59], v17 offset0:26 offset1:27
	s_waitcnt vmcnt(18) lgkmcnt(3)
	v_pk_fma_f32 v[24:25], v[48:49], v[52:53], v[24:25] op_sel_hi:[0,1,1] neg_lo:[1,0,0] neg_hi:[1,0,0]
	ds_read2_b32 v[52:53], v17 offset0:28 offset1:29
	s_waitcnt vmcnt(16) lgkmcnt(3)
	v_pk_fma_f32 v[14:15], v[48:49], v[54:55], v[14:15] op_sel_hi:[0,1,1] neg_lo:[1,0,0] neg_hi:[1,0,0]
	s_waitcnt vmcnt(14) lgkmcnt(2)
	v_pk_fma_f32 v[42:43], v[48:49], v[56:57], v[42:43] op_sel_hi:[0,1,1] neg_lo:[1,0,0] neg_hi:[1,0,0]
	;; [unrolled: 2-line block ×3, first 2 shown]
	ds_read2_b32 v[54:55], v17 offset0:30 offset1:31
	ds_read2_b32 v[56:57], v17 offset0:32 offset1:33
	;; [unrolled: 1-line block ×3, first 2 shown]
	s_waitcnt vmcnt(10) lgkmcnt(3)
	v_pk_fma_f32 v[32:33], v[48:49], v[52:53], v[32:33] op_sel_hi:[0,1,1] neg_lo:[1,0,0] neg_hi:[1,0,0]
	ds_read2_b32 v[52:53], v17 offset0:36 offset1:37
	ds_read2_b32 v[60:61], v17 offset0:38 offset1:39
	s_waitcnt vmcnt(8) lgkmcnt(4)
	v_pk_fma_f32 v[26:27], v[48:49], v[54:55], v[26:27] op_sel_hi:[0,1,1] neg_lo:[1,0,0] neg_hi:[1,0,0]
	s_waitcnt vmcnt(6) lgkmcnt(3)
	v_pk_fma_f32 v[46:47], v[48:49], v[56:57], v[46:47] op_sel_hi:[0,1,1] neg_lo:[1,0,0] neg_hi:[1,0,0]
	;; [unrolled: 2-line block ×5, first 2 shown]
	v_mov_b32_e32 v31, v48
.LBB78_335:
	s_or_b64 exec, exec, s[0:1]
	v_lshl_add_u32 v48, v51, 2, v17
	s_barrier
	s_waitcnt vmcnt(19)
	ds_write_b32 v48, v24
	s_waitcnt lgkmcnt(0)
	s_barrier
	ds_read_b32 v50, v17 offset:80
	s_cmp_lt_i32 s22, 22
	v_mov_b32_e32 v48, 20
	s_cbranch_scc1 .LBB78_338
; %bb.336:
	v_add_u32_e32 v52, 0x54, v17
	v_mov_b32_e32 v48, 20
	s_mov_b32 s0, 21
.LBB78_337:                             ; =>This Inner Loop Header: Depth=1
	ds_read_b32 v53, v52
	v_mov_b32_e32 v54, s0
	s_add_i32 s0, s0, 1
	v_add_u32_e32 v52, 4, v52
	s_cmp_lg_u32 s22, s0
	s_waitcnt lgkmcnt(0)
	v_cmp_lt_f32_e64 vcc, |v50|, |v53|
	s_nop 1
	v_cndmask_b32_e32 v50, v50, v53, vcc
	v_cndmask_b32_e32 v48, v48, v54, vcc
	s_cbranch_scc1 .LBB78_337
.LBB78_338:
	s_waitcnt lgkmcnt(0)
	v_cmp_eq_f32_e32 vcc, 0, v50
	s_and_saveexec_b64 s[0:1], vcc
	s_xor_b64 s[0:1], exec, s[0:1]
; %bb.339:
	v_cmp_ne_u32_e32 vcc, 0, v19
	s_nop 1
	v_cndmask_b32_e32 v19, 21, v19, vcc
; %bb.340:
	s_andn2_saveexec_b64 s[0:1], s[0:1]
	s_cbranch_execz .LBB78_342
; %bb.341:
	v_div_scale_f32 v52, s[2:3], v50, v50, 1.0
	v_rcp_f32_e32 v53, v52
	v_div_scale_f32 v54, vcc, 1.0, v50, 1.0
	v_fma_f32 v55, -v52, v53, 1.0
	v_fmac_f32_e32 v53, v55, v53
	v_mul_f32_e32 v55, v54, v53
	v_fma_f32 v56, -v52, v55, v54
	v_fmac_f32_e32 v55, v56, v53
	v_fma_f32 v52, -v52, v55, v54
	v_div_fmas_f32 v52, v52, v53, v55
	v_div_fixup_f32 v50, v52, v50, 1.0
.LBB78_342:
	s_or_b64 exec, exec, s[0:1]
	v_cmp_ne_u32_e32 vcc, v51, v48
	s_and_saveexec_b64 s[0:1], vcc
	s_xor_b64 s[0:1], exec, s[0:1]
	s_cbranch_execz .LBB78_348
; %bb.343:
	v_cmp_eq_u32_e32 vcc, 20, v51
	s_and_saveexec_b64 s[2:3], vcc
	s_cbranch_execz .LBB78_347
; %bb.344:
	v_cmp_ne_u32_e32 vcc, 20, v48
	s_xor_b64 s[18:19], s[16:17], -1
	s_and_b64 s[20:21], s[18:19], vcc
	s_and_saveexec_b64 s[18:19], s[20:21]
	s_cbranch_execz .LBB78_346
; %bb.345:
	v_ashrrev_i32_e32 v49, 31, v48
	v_lshl_add_u64 v[52:53], v[48:49], 2, v[20:21]
	global_load_dword v49, v[52:53], off
	global_load_dword v51, v[20:21], off offset:80
	s_waitcnt vmcnt(1)
	global_store_dword v[20:21], v49, off offset:80
	s_waitcnt vmcnt(1)
	global_store_dword v[52:53], v51, off
.LBB78_346:
	s_or_b64 exec, exec, s[18:19]
	v_mov_b32_e32 v49, v48
	v_mov_b32_e32 v51, v48
.LBB78_347:
	s_or_b64 exec, exec, s[2:3]
.LBB78_348:
	s_andn2_saveexec_b64 s[0:1], s[0:1]
	s_cbranch_execz .LBB78_350
; %bb.349:
	s_waitcnt vmcnt(16)
	v_pk_mov_b32 v[52:53], v[24:25], v[14:15] op_sel:[1,0]
	ds_write2_b32 v17, v52, v53 offset0:21 offset1:22
	s_waitcnt vmcnt(14)
	v_pk_mov_b32 v[52:53], v[14:15], v[42:43] op_sel:[1,0]
	ds_write2_b32 v17, v52, v53 offset0:23 offset1:24
	s_waitcnt vmcnt(12)
	v_pk_mov_b32 v[52:53], v[42:43], v[36:37] op_sel:[1,0]
	ds_write2_b32 v17, v52, v53 offset0:25 offset1:26
	s_waitcnt vmcnt(10)
	v_pk_mov_b32 v[52:53], v[36:37], v[32:33] op_sel:[1,0]
	ds_write2_b32 v17, v52, v53 offset0:27 offset1:28
	s_waitcnt vmcnt(8)
	v_pk_mov_b32 v[52:53], v[32:33], v[26:27] op_sel:[1,0]
	ds_write2_b32 v17, v52, v53 offset0:29 offset1:30
	s_waitcnt vmcnt(6)
	v_pk_mov_b32 v[52:53], v[26:27], v[46:47] op_sel:[1,0]
	ds_write2_b32 v17, v52, v53 offset0:31 offset1:32
	s_waitcnt vmcnt(4)
	v_pk_mov_b32 v[52:53], v[46:47], v[44:45] op_sel:[1,0]
	ds_write2_b32 v17, v52, v53 offset0:33 offset1:34
	s_waitcnt vmcnt(2)
	v_pk_mov_b32 v[52:53], v[44:45], v[38:39] op_sel:[1,0]
	ds_write2_b32 v17, v52, v53 offset0:35 offset1:36
	s_waitcnt vmcnt(0)
	v_pk_mov_b32 v[52:53], v[38:39], v[40:41] op_sel:[1,0]
	v_mov_b32_e32 v51, 20
	ds_write2_b32 v17, v52, v53 offset0:37 offset1:38
	ds_write_b32 v17, v41 offset:156
.LBB78_350:
	s_or_b64 exec, exec, s[0:1]
	v_cmp_lt_i32_e32 vcc, 20, v51
	s_waitcnt lgkmcnt(0)
	s_barrier
	s_and_saveexec_b64 s[0:1], vcc
	s_cbranch_execz .LBB78_352
; %bb.351:
	ds_read_b32 v48, v17 offset:84
	ds_read2_b32 v[52:53], v17 offset0:22 offset1:23
	ds_read2_b32 v[54:55], v17 offset0:24 offset1:25
	v_mul_f32_e32 v24, v50, v24
	ds_read2_b32 v[56:57], v17 offset0:26 offset1:27
	s_waitcnt vmcnt(18) lgkmcnt(3)
	v_fma_f32 v25, -v24, v48, v25
	s_waitcnt vmcnt(16) lgkmcnt(2)
	v_pk_fma_f32 v[14:15], v[24:25], v[52:53], v[14:15] op_sel_hi:[0,1,1] neg_lo:[1,0,0] neg_hi:[1,0,0]
	ds_read2_b32 v[52:53], v17 offset0:28 offset1:29
	s_waitcnt vmcnt(14) lgkmcnt(2)
	v_pk_fma_f32 v[42:43], v[24:25], v[54:55], v[42:43] op_sel_hi:[0,1,1] neg_lo:[1,0,0] neg_hi:[1,0,0]
	s_waitcnt vmcnt(12) lgkmcnt(1)
	v_pk_fma_f32 v[36:37], v[24:25], v[56:57], v[36:37] op_sel_hi:[0,1,1] neg_lo:[1,0,0] neg_hi:[1,0,0]
	ds_read2_b32 v[54:55], v17 offset0:30 offset1:31
	ds_read2_b32 v[56:57], v17 offset0:32 offset1:33
	ds_read2_b32 v[58:59], v17 offset0:34 offset1:35
	s_waitcnt vmcnt(10) lgkmcnt(3)
	v_pk_fma_f32 v[32:33], v[24:25], v[52:53], v[32:33] op_sel_hi:[0,1,1] neg_lo:[1,0,0] neg_hi:[1,0,0]
	ds_read2_b32 v[52:53], v17 offset0:36 offset1:37
	ds_read2_b32 v[60:61], v17 offset0:38 offset1:39
	s_waitcnt vmcnt(8) lgkmcnt(4)
	v_pk_fma_f32 v[26:27], v[24:25], v[54:55], v[26:27] op_sel_hi:[0,1,1] neg_lo:[1,0,0] neg_hi:[1,0,0]
	s_waitcnt vmcnt(6) lgkmcnt(3)
	v_pk_fma_f32 v[46:47], v[24:25], v[56:57], v[46:47] op_sel_hi:[0,1,1] neg_lo:[1,0,0] neg_hi:[1,0,0]
	;; [unrolled: 2-line block ×5, first 2 shown]
.LBB78_352:
	s_or_b64 exec, exec, s[0:1]
	v_lshl_add_u32 v48, v51, 2, v17
	s_barrier
	s_waitcnt vmcnt(18)
	ds_write_b32 v48, v25
	s_waitcnt lgkmcnt(0)
	s_barrier
	ds_read_b32 v50, v17 offset:84
	s_cmp_lt_i32 s22, 23
	v_mov_b32_e32 v48, 21
	s_cbranch_scc1 .LBB78_355
; %bb.353:
	v_add_u32_e32 v52, 0x58, v17
	v_mov_b32_e32 v48, 21
	s_mov_b32 s0, 22
.LBB78_354:                             ; =>This Inner Loop Header: Depth=1
	ds_read_b32 v53, v52
	v_mov_b32_e32 v54, s0
	s_add_i32 s0, s0, 1
	v_add_u32_e32 v52, 4, v52
	s_cmp_lg_u32 s22, s0
	s_waitcnt lgkmcnt(0)
	v_cmp_lt_f32_e64 vcc, |v50|, |v53|
	s_nop 1
	v_cndmask_b32_e32 v50, v50, v53, vcc
	v_cndmask_b32_e32 v48, v48, v54, vcc
	s_cbranch_scc1 .LBB78_354
.LBB78_355:
	s_waitcnt lgkmcnt(0)
	v_cmp_eq_f32_e32 vcc, 0, v50
	s_and_saveexec_b64 s[0:1], vcc
	s_xor_b64 s[0:1], exec, s[0:1]
; %bb.356:
	v_cmp_ne_u32_e32 vcc, 0, v19
	s_nop 1
	v_cndmask_b32_e32 v19, 22, v19, vcc
; %bb.357:
	s_andn2_saveexec_b64 s[0:1], s[0:1]
	s_cbranch_execz .LBB78_359
; %bb.358:
	v_div_scale_f32 v52, s[2:3], v50, v50, 1.0
	v_rcp_f32_e32 v53, v52
	v_div_scale_f32 v54, vcc, 1.0, v50, 1.0
	v_fma_f32 v55, -v52, v53, 1.0
	v_fmac_f32_e32 v53, v55, v53
	v_mul_f32_e32 v55, v54, v53
	v_fma_f32 v56, -v52, v55, v54
	v_fmac_f32_e32 v55, v56, v53
	v_fma_f32 v52, -v52, v55, v54
	v_div_fmas_f32 v52, v52, v53, v55
	v_div_fixup_f32 v50, v52, v50, 1.0
.LBB78_359:
	s_or_b64 exec, exec, s[0:1]
	v_cmp_ne_u32_e32 vcc, v51, v48
	s_and_saveexec_b64 s[0:1], vcc
	s_xor_b64 s[0:1], exec, s[0:1]
	s_cbranch_execz .LBB78_365
; %bb.360:
	v_cmp_eq_u32_e32 vcc, 21, v51
	s_and_saveexec_b64 s[2:3], vcc
	s_cbranch_execz .LBB78_364
; %bb.361:
	v_cmp_ne_u32_e32 vcc, 21, v48
	s_xor_b64 s[18:19], s[16:17], -1
	s_and_b64 s[20:21], s[18:19], vcc
	s_and_saveexec_b64 s[18:19], s[20:21]
	s_cbranch_execz .LBB78_363
; %bb.362:
	v_ashrrev_i32_e32 v49, 31, v48
	v_lshl_add_u64 v[52:53], v[48:49], 2, v[20:21]
	global_load_dword v49, v[52:53], off
	global_load_dword v51, v[20:21], off offset:84
	s_waitcnt vmcnt(1)
	global_store_dword v[20:21], v49, off offset:84
	s_waitcnt vmcnt(1)
	global_store_dword v[52:53], v51, off
.LBB78_363:
	s_or_b64 exec, exec, s[18:19]
	v_mov_b32_e32 v49, v48
	v_mov_b32_e32 v51, v48
.LBB78_364:
	s_or_b64 exec, exec, s[2:3]
.LBB78_365:
	s_andn2_saveexec_b64 s[0:1], s[0:1]
	s_cbranch_execz .LBB78_367
; %bb.366:
	v_mov_b32_e32 v51, 21
	s_waitcnt vmcnt(16)
	ds_write2_b32 v17, v14, v15 offset0:22 offset1:23
	s_waitcnt vmcnt(14)
	ds_write2_b32 v17, v42, v43 offset0:24 offset1:25
	s_waitcnt vmcnt(12)
	ds_write2_b32 v17, v36, v37 offset0:26 offset1:27
	s_waitcnt vmcnt(10)
	ds_write2_b32 v17, v32, v33 offset0:28 offset1:29
	s_waitcnt vmcnt(8)
	ds_write2_b32 v17, v26, v27 offset0:30 offset1:31
	s_waitcnt vmcnt(6)
	ds_write2_b32 v17, v46, v47 offset0:32 offset1:33
	s_waitcnt vmcnt(4)
	ds_write2_b32 v17, v44, v45 offset0:34 offset1:35
	s_waitcnt vmcnt(2)
	ds_write2_b32 v17, v38, v39 offset0:36 offset1:37
	s_waitcnt vmcnt(0)
	ds_write2_b32 v17, v40, v41 offset0:38 offset1:39
.LBB78_367:
	s_or_b64 exec, exec, s[0:1]
	v_cmp_lt_i32_e32 vcc, 21, v51
	s_waitcnt lgkmcnt(0)
	s_barrier
	s_and_saveexec_b64 s[0:1], vcc
	s_cbranch_execz .LBB78_369
; %bb.368:
	ds_read2_b32 v[52:53], v17 offset0:22 offset1:23
	ds_read2_b32 v[54:55], v17 offset0:24 offset1:25
	;; [unrolled: 1-line block ×4, first 2 shown]
	v_mul_f32_e32 v48, v50, v25
	s_waitcnt vmcnt(16) lgkmcnt(3)
	v_pk_fma_f32 v[14:15], v[48:49], v[52:53], v[14:15] op_sel_hi:[0,1,1] neg_lo:[1,0,0] neg_hi:[1,0,0]
	s_waitcnt vmcnt(14) lgkmcnt(2)
	v_pk_fma_f32 v[42:43], v[48:49], v[54:55], v[42:43] op_sel_hi:[0,1,1] neg_lo:[1,0,0] neg_hi:[1,0,0]
	;; [unrolled: 2-line block ×4, first 2 shown]
	ds_read2_b32 v[52:53], v17 offset0:30 offset1:31
	ds_read2_b32 v[54:55], v17 offset0:32 offset1:33
	;; [unrolled: 1-line block ×5, first 2 shown]
	s_waitcnt vmcnt(8) lgkmcnt(4)
	v_pk_fma_f32 v[26:27], v[48:49], v[52:53], v[26:27] op_sel_hi:[0,1,1] neg_lo:[1,0,0] neg_hi:[1,0,0]
	s_waitcnt vmcnt(6) lgkmcnt(3)
	v_pk_fma_f32 v[46:47], v[48:49], v[54:55], v[46:47] op_sel_hi:[0,1,1] neg_lo:[1,0,0] neg_hi:[1,0,0]
	;; [unrolled: 2-line block ×5, first 2 shown]
	v_mov_b32_e32 v25, v48
.LBB78_369:
	s_or_b64 exec, exec, s[0:1]
	v_lshl_add_u32 v48, v51, 2, v17
	s_barrier
	s_waitcnt vmcnt(17)
	ds_write_b32 v48, v14
	s_waitcnt lgkmcnt(0)
	s_barrier
	ds_read_b32 v50, v17 offset:88
	s_cmp_lt_i32 s22, 24
	v_mov_b32_e32 v48, 22
	s_cbranch_scc1 .LBB78_372
; %bb.370:
	v_add_u32_e32 v52, 0x5c, v17
	v_mov_b32_e32 v48, 22
	s_mov_b32 s0, 23
.LBB78_371:                             ; =>This Inner Loop Header: Depth=1
	ds_read_b32 v53, v52
	v_mov_b32_e32 v54, s0
	s_add_i32 s0, s0, 1
	v_add_u32_e32 v52, 4, v52
	s_cmp_lg_u32 s22, s0
	s_waitcnt lgkmcnt(0)
	v_cmp_lt_f32_e64 vcc, |v50|, |v53|
	s_nop 1
	v_cndmask_b32_e32 v50, v50, v53, vcc
	v_cndmask_b32_e32 v48, v48, v54, vcc
	s_cbranch_scc1 .LBB78_371
.LBB78_372:
	s_waitcnt lgkmcnt(0)
	v_cmp_eq_f32_e32 vcc, 0, v50
	s_and_saveexec_b64 s[0:1], vcc
	s_xor_b64 s[0:1], exec, s[0:1]
; %bb.373:
	v_cmp_ne_u32_e32 vcc, 0, v19
	s_nop 1
	v_cndmask_b32_e32 v19, 23, v19, vcc
; %bb.374:
	s_andn2_saveexec_b64 s[0:1], s[0:1]
	s_cbranch_execz .LBB78_376
; %bb.375:
	v_div_scale_f32 v52, s[2:3], v50, v50, 1.0
	v_rcp_f32_e32 v53, v52
	v_div_scale_f32 v54, vcc, 1.0, v50, 1.0
	v_fma_f32 v55, -v52, v53, 1.0
	v_fmac_f32_e32 v53, v55, v53
	v_mul_f32_e32 v55, v54, v53
	v_fma_f32 v56, -v52, v55, v54
	v_fmac_f32_e32 v55, v56, v53
	v_fma_f32 v52, -v52, v55, v54
	v_div_fmas_f32 v52, v52, v53, v55
	v_div_fixup_f32 v50, v52, v50, 1.0
.LBB78_376:
	s_or_b64 exec, exec, s[0:1]
	v_cmp_ne_u32_e32 vcc, v51, v48
	s_and_saveexec_b64 s[0:1], vcc
	s_xor_b64 s[0:1], exec, s[0:1]
	s_cbranch_execz .LBB78_382
; %bb.377:
	v_cmp_eq_u32_e32 vcc, 22, v51
	s_and_saveexec_b64 s[2:3], vcc
	s_cbranch_execz .LBB78_381
; %bb.378:
	v_cmp_ne_u32_e32 vcc, 22, v48
	s_xor_b64 s[18:19], s[16:17], -1
	s_and_b64 s[20:21], s[18:19], vcc
	s_and_saveexec_b64 s[18:19], s[20:21]
	s_cbranch_execz .LBB78_380
; %bb.379:
	v_ashrrev_i32_e32 v49, 31, v48
	v_lshl_add_u64 v[52:53], v[48:49], 2, v[20:21]
	global_load_dword v49, v[52:53], off
	global_load_dword v51, v[20:21], off offset:88
	s_waitcnt vmcnt(1)
	global_store_dword v[20:21], v49, off offset:88
	s_waitcnt vmcnt(1)
	global_store_dword v[52:53], v51, off
.LBB78_380:
	s_or_b64 exec, exec, s[18:19]
	v_mov_b32_e32 v49, v48
	v_mov_b32_e32 v51, v48
.LBB78_381:
	s_or_b64 exec, exec, s[2:3]
.LBB78_382:
	s_andn2_saveexec_b64 s[0:1], s[0:1]
	s_cbranch_execz .LBB78_384
; %bb.383:
	s_waitcnt vmcnt(14)
	v_pk_mov_b32 v[52:53], v[14:15], v[42:43] op_sel:[1,0]
	ds_write2_b32 v17, v52, v53 offset0:23 offset1:24
	s_waitcnt vmcnt(12)
	v_pk_mov_b32 v[52:53], v[42:43], v[36:37] op_sel:[1,0]
	ds_write2_b32 v17, v52, v53 offset0:25 offset1:26
	;; [unrolled: 3-line block ×7, first 2 shown]
	s_waitcnt vmcnt(0)
	v_pk_mov_b32 v[52:53], v[38:39], v[40:41] op_sel:[1,0]
	v_mov_b32_e32 v51, 22
	ds_write2_b32 v17, v52, v53 offset0:37 offset1:38
	ds_write_b32 v17, v41 offset:156
.LBB78_384:
	s_or_b64 exec, exec, s[0:1]
	v_cmp_lt_i32_e32 vcc, 22, v51
	s_waitcnt lgkmcnt(0)
	s_barrier
	s_and_saveexec_b64 s[0:1], vcc
	s_cbranch_execz .LBB78_386
; %bb.385:
	ds_read_b32 v48, v17 offset:92
	ds_read2_b32 v[52:53], v17 offset0:24 offset1:25
	ds_read2_b32 v[54:55], v17 offset0:26 offset1:27
	;; [unrolled: 1-line block ×3, first 2 shown]
	v_mul_f32_e32 v14, v50, v14
	s_waitcnt vmcnt(16) lgkmcnt(3)
	v_fma_f32 v15, -v14, v48, v15
	s_waitcnt vmcnt(14) lgkmcnt(2)
	v_pk_fma_f32 v[42:43], v[14:15], v[52:53], v[42:43] op_sel_hi:[0,1,1] neg_lo:[1,0,0] neg_hi:[1,0,0]
	s_waitcnt vmcnt(12) lgkmcnt(1)
	v_pk_fma_f32 v[36:37], v[14:15], v[54:55], v[36:37] op_sel_hi:[0,1,1] neg_lo:[1,0,0] neg_hi:[1,0,0]
	;; [unrolled: 2-line block ×3, first 2 shown]
	ds_read2_b32 v[52:53], v17 offset0:30 offset1:31
	ds_read2_b32 v[54:55], v17 offset0:32 offset1:33
	;; [unrolled: 1-line block ×5, first 2 shown]
	s_waitcnt vmcnt(8) lgkmcnt(4)
	v_pk_fma_f32 v[26:27], v[14:15], v[52:53], v[26:27] op_sel_hi:[0,1,1] neg_lo:[1,0,0] neg_hi:[1,0,0]
	s_waitcnt vmcnt(6) lgkmcnt(3)
	v_pk_fma_f32 v[46:47], v[14:15], v[54:55], v[46:47] op_sel_hi:[0,1,1] neg_lo:[1,0,0] neg_hi:[1,0,0]
	;; [unrolled: 2-line block ×5, first 2 shown]
.LBB78_386:
	s_or_b64 exec, exec, s[0:1]
	v_lshl_add_u32 v48, v51, 2, v17
	s_barrier
	s_waitcnt vmcnt(16)
	ds_write_b32 v48, v15
	s_waitcnt lgkmcnt(0)
	s_barrier
	ds_read_b32 v50, v17 offset:92
	s_cmp_lt_i32 s22, 25
	v_mov_b32_e32 v48, 23
	s_cbranch_scc1 .LBB78_389
; %bb.387:
	v_add_u32_e32 v52, 0x60, v17
	v_mov_b32_e32 v48, 23
	s_mov_b32 s0, 24
.LBB78_388:                             ; =>This Inner Loop Header: Depth=1
	ds_read_b32 v53, v52
	v_mov_b32_e32 v54, s0
	s_add_i32 s0, s0, 1
	v_add_u32_e32 v52, 4, v52
	s_cmp_lg_u32 s22, s0
	s_waitcnt lgkmcnt(0)
	v_cmp_lt_f32_e64 vcc, |v50|, |v53|
	s_nop 1
	v_cndmask_b32_e32 v50, v50, v53, vcc
	v_cndmask_b32_e32 v48, v48, v54, vcc
	s_cbranch_scc1 .LBB78_388
.LBB78_389:
	s_waitcnt lgkmcnt(0)
	v_cmp_eq_f32_e32 vcc, 0, v50
	s_and_saveexec_b64 s[0:1], vcc
	s_xor_b64 s[0:1], exec, s[0:1]
; %bb.390:
	v_cmp_ne_u32_e32 vcc, 0, v19
	s_nop 1
	v_cndmask_b32_e32 v19, 24, v19, vcc
; %bb.391:
	s_andn2_saveexec_b64 s[0:1], s[0:1]
	s_cbranch_execz .LBB78_393
; %bb.392:
	v_div_scale_f32 v52, s[2:3], v50, v50, 1.0
	v_rcp_f32_e32 v53, v52
	v_div_scale_f32 v54, vcc, 1.0, v50, 1.0
	v_fma_f32 v55, -v52, v53, 1.0
	v_fmac_f32_e32 v53, v55, v53
	v_mul_f32_e32 v55, v54, v53
	v_fma_f32 v56, -v52, v55, v54
	v_fmac_f32_e32 v55, v56, v53
	v_fma_f32 v52, -v52, v55, v54
	v_div_fmas_f32 v52, v52, v53, v55
	v_div_fixup_f32 v50, v52, v50, 1.0
.LBB78_393:
	s_or_b64 exec, exec, s[0:1]
	v_cmp_ne_u32_e32 vcc, v51, v48
	s_and_saveexec_b64 s[0:1], vcc
	s_xor_b64 s[0:1], exec, s[0:1]
	s_cbranch_execz .LBB78_399
; %bb.394:
	v_cmp_eq_u32_e32 vcc, 23, v51
	s_and_saveexec_b64 s[2:3], vcc
	s_cbranch_execz .LBB78_398
; %bb.395:
	v_cmp_ne_u32_e32 vcc, 23, v48
	s_xor_b64 s[18:19], s[16:17], -1
	s_and_b64 s[20:21], s[18:19], vcc
	s_and_saveexec_b64 s[18:19], s[20:21]
	s_cbranch_execz .LBB78_397
; %bb.396:
	v_ashrrev_i32_e32 v49, 31, v48
	v_lshl_add_u64 v[52:53], v[48:49], 2, v[20:21]
	global_load_dword v49, v[52:53], off
	global_load_dword v51, v[20:21], off offset:92
	s_waitcnt vmcnt(1)
	global_store_dword v[20:21], v49, off offset:92
	s_waitcnt vmcnt(1)
	global_store_dword v[52:53], v51, off
.LBB78_397:
	s_or_b64 exec, exec, s[18:19]
	v_mov_b32_e32 v49, v48
	v_mov_b32_e32 v51, v48
.LBB78_398:
	s_or_b64 exec, exec, s[2:3]
.LBB78_399:
	s_andn2_saveexec_b64 s[0:1], s[0:1]
	s_cbranch_execz .LBB78_401
; %bb.400:
	v_mov_b32_e32 v51, 23
	s_waitcnt vmcnt(14)
	ds_write2_b32 v17, v42, v43 offset0:24 offset1:25
	s_waitcnt vmcnt(12)
	ds_write2_b32 v17, v36, v37 offset0:26 offset1:27
	s_waitcnt vmcnt(10)
	ds_write2_b32 v17, v32, v33 offset0:28 offset1:29
	s_waitcnt vmcnt(8)
	ds_write2_b32 v17, v26, v27 offset0:30 offset1:31
	s_waitcnt vmcnt(6)
	ds_write2_b32 v17, v46, v47 offset0:32 offset1:33
	s_waitcnt vmcnt(4)
	ds_write2_b32 v17, v44, v45 offset0:34 offset1:35
	s_waitcnt vmcnt(2)
	ds_write2_b32 v17, v38, v39 offset0:36 offset1:37
	s_waitcnt vmcnt(0)
	ds_write2_b32 v17, v40, v41 offset0:38 offset1:39
.LBB78_401:
	s_or_b64 exec, exec, s[0:1]
	v_cmp_lt_i32_e32 vcc, 23, v51
	s_waitcnt lgkmcnt(0)
	s_barrier
	s_and_saveexec_b64 s[0:1], vcc
	s_cbranch_execz .LBB78_403
; %bb.402:
	ds_read2_b32 v[52:53], v17 offset0:24 offset1:25
	ds_read2_b32 v[54:55], v17 offset0:26 offset1:27
	;; [unrolled: 1-line block ×3, first 2 shown]
	v_mul_f32_e32 v48, v50, v15
	ds_read2_b32 v[58:59], v17 offset0:30 offset1:31
	s_waitcnt vmcnt(14) lgkmcnt(3)
	v_pk_fma_f32 v[42:43], v[48:49], v[52:53], v[42:43] op_sel_hi:[0,1,1] neg_lo:[1,0,0] neg_hi:[1,0,0]
	s_waitcnt vmcnt(12) lgkmcnt(2)
	v_pk_fma_f32 v[36:37], v[48:49], v[54:55], v[36:37] op_sel_hi:[0,1,1] neg_lo:[1,0,0] neg_hi:[1,0,0]
	;; [unrolled: 2-line block ×3, first 2 shown]
	ds_read2_b32 v[52:53], v17 offset0:32 offset1:33
	ds_read2_b32 v[54:55], v17 offset0:34 offset1:35
	ds_read2_b32 v[56:57], v17 offset0:36 offset1:37
	ds_read2_b32 v[60:61], v17 offset0:38 offset1:39
	s_waitcnt vmcnt(8) lgkmcnt(4)
	v_pk_fma_f32 v[26:27], v[48:49], v[58:59], v[26:27] op_sel_hi:[0,1,1] neg_lo:[1,0,0] neg_hi:[1,0,0]
	s_waitcnt vmcnt(6) lgkmcnt(3)
	v_pk_fma_f32 v[46:47], v[48:49], v[52:53], v[46:47] op_sel_hi:[0,1,1] neg_lo:[1,0,0] neg_hi:[1,0,0]
	;; [unrolled: 2-line block ×5, first 2 shown]
	v_mov_b32_e32 v15, v48
.LBB78_403:
	s_or_b64 exec, exec, s[0:1]
	v_lshl_add_u32 v48, v51, 2, v17
	s_barrier
	s_waitcnt vmcnt(15)
	ds_write_b32 v48, v42
	s_waitcnt lgkmcnt(0)
	s_barrier
	ds_read_b32 v50, v17 offset:96
	s_cmp_lt_i32 s22, 26
	v_mov_b32_e32 v48, 24
	s_cbranch_scc1 .LBB78_406
; %bb.404:
	v_add_u32_e32 v52, 0x64, v17
	v_mov_b32_e32 v48, 24
	s_mov_b32 s0, 25
.LBB78_405:                             ; =>This Inner Loop Header: Depth=1
	ds_read_b32 v53, v52
	v_mov_b32_e32 v54, s0
	s_add_i32 s0, s0, 1
	v_add_u32_e32 v52, 4, v52
	s_cmp_lg_u32 s22, s0
	s_waitcnt lgkmcnt(0)
	v_cmp_lt_f32_e64 vcc, |v50|, |v53|
	s_nop 1
	v_cndmask_b32_e32 v50, v50, v53, vcc
	v_cndmask_b32_e32 v48, v48, v54, vcc
	s_cbranch_scc1 .LBB78_405
.LBB78_406:
	s_waitcnt lgkmcnt(0)
	v_cmp_eq_f32_e32 vcc, 0, v50
	s_and_saveexec_b64 s[0:1], vcc
	s_xor_b64 s[0:1], exec, s[0:1]
; %bb.407:
	v_cmp_ne_u32_e32 vcc, 0, v19
	s_nop 1
	v_cndmask_b32_e32 v19, 25, v19, vcc
; %bb.408:
	s_andn2_saveexec_b64 s[0:1], s[0:1]
	s_cbranch_execz .LBB78_410
; %bb.409:
	v_div_scale_f32 v52, s[2:3], v50, v50, 1.0
	v_rcp_f32_e32 v53, v52
	v_div_scale_f32 v54, vcc, 1.0, v50, 1.0
	v_fma_f32 v55, -v52, v53, 1.0
	v_fmac_f32_e32 v53, v55, v53
	v_mul_f32_e32 v55, v54, v53
	v_fma_f32 v56, -v52, v55, v54
	v_fmac_f32_e32 v55, v56, v53
	v_fma_f32 v52, -v52, v55, v54
	v_div_fmas_f32 v52, v52, v53, v55
	v_div_fixup_f32 v50, v52, v50, 1.0
.LBB78_410:
	s_or_b64 exec, exec, s[0:1]
	v_cmp_ne_u32_e32 vcc, v51, v48
	s_and_saveexec_b64 s[0:1], vcc
	s_xor_b64 s[0:1], exec, s[0:1]
	s_cbranch_execz .LBB78_416
; %bb.411:
	v_cmp_eq_u32_e32 vcc, 24, v51
	s_and_saveexec_b64 s[2:3], vcc
	s_cbranch_execz .LBB78_415
; %bb.412:
	v_cmp_ne_u32_e32 vcc, 24, v48
	s_xor_b64 s[18:19], s[16:17], -1
	s_and_b64 s[20:21], s[18:19], vcc
	s_and_saveexec_b64 s[18:19], s[20:21]
	s_cbranch_execz .LBB78_414
; %bb.413:
	v_ashrrev_i32_e32 v49, 31, v48
	v_lshl_add_u64 v[52:53], v[48:49], 2, v[20:21]
	global_load_dword v49, v[52:53], off
	global_load_dword v51, v[20:21], off offset:96
	s_waitcnt vmcnt(1)
	global_store_dword v[20:21], v49, off offset:96
	s_waitcnt vmcnt(1)
	global_store_dword v[52:53], v51, off
.LBB78_414:
	s_or_b64 exec, exec, s[18:19]
	v_mov_b32_e32 v49, v48
	v_mov_b32_e32 v51, v48
.LBB78_415:
	s_or_b64 exec, exec, s[2:3]
.LBB78_416:
	s_andn2_saveexec_b64 s[0:1], s[0:1]
	s_cbranch_execz .LBB78_418
; %bb.417:
	s_waitcnt vmcnt(12)
	v_pk_mov_b32 v[52:53], v[42:43], v[36:37] op_sel:[1,0]
	ds_write2_b32 v17, v52, v53 offset0:25 offset1:26
	s_waitcnt vmcnt(10)
	v_pk_mov_b32 v[52:53], v[36:37], v[32:33] op_sel:[1,0]
	ds_write2_b32 v17, v52, v53 offset0:27 offset1:28
	;; [unrolled: 3-line block ×6, first 2 shown]
	s_waitcnt vmcnt(0)
	v_pk_mov_b32 v[52:53], v[38:39], v[40:41] op_sel:[1,0]
	v_mov_b32_e32 v51, 24
	ds_write2_b32 v17, v52, v53 offset0:37 offset1:38
	ds_write_b32 v17, v41 offset:156
.LBB78_418:
	s_or_b64 exec, exec, s[0:1]
	v_cmp_lt_i32_e32 vcc, 24, v51
	s_waitcnt lgkmcnt(0)
	s_barrier
	s_and_saveexec_b64 s[0:1], vcc
	s_cbranch_execz .LBB78_420
; %bb.419:
	ds_read_b32 v48, v17 offset:100
	ds_read2_b32 v[52:53], v17 offset0:26 offset1:27
	ds_read2_b32 v[54:55], v17 offset0:28 offset1:29
	v_mul_f32_e32 v42, v50, v42
	ds_read2_b32 v[56:57], v17 offset0:30 offset1:31
	s_waitcnt vmcnt(14) lgkmcnt(3)
	v_fma_f32 v43, -v42, v48, v43
	s_waitcnt vmcnt(12) lgkmcnt(2)
	v_pk_fma_f32 v[36:37], v[42:43], v[52:53], v[36:37] op_sel_hi:[0,1,1] neg_lo:[1,0,0] neg_hi:[1,0,0]
	s_waitcnt vmcnt(10) lgkmcnt(1)
	v_pk_fma_f32 v[32:33], v[42:43], v[54:55], v[32:33] op_sel_hi:[0,1,1] neg_lo:[1,0,0] neg_hi:[1,0,0]
	ds_read2_b32 v[52:53], v17 offset0:32 offset1:33
	ds_read2_b32 v[54:55], v17 offset0:34 offset1:35
	;; [unrolled: 1-line block ×4, first 2 shown]
	s_waitcnt vmcnt(8) lgkmcnt(4)
	v_pk_fma_f32 v[26:27], v[42:43], v[56:57], v[26:27] op_sel_hi:[0,1,1] neg_lo:[1,0,0] neg_hi:[1,0,0]
	s_waitcnt vmcnt(6) lgkmcnt(3)
	v_pk_fma_f32 v[46:47], v[42:43], v[52:53], v[46:47] op_sel_hi:[0,1,1] neg_lo:[1,0,0] neg_hi:[1,0,0]
	;; [unrolled: 2-line block ×5, first 2 shown]
.LBB78_420:
	s_or_b64 exec, exec, s[0:1]
	v_lshl_add_u32 v48, v51, 2, v17
	s_barrier
	s_waitcnt vmcnt(14)
	ds_write_b32 v48, v43
	s_waitcnt lgkmcnt(0)
	s_barrier
	ds_read_b32 v50, v17 offset:100
	s_cmp_lt_i32 s22, 27
	v_mov_b32_e32 v48, 25
	s_cbranch_scc1 .LBB78_423
; %bb.421:
	v_add_u32_e32 v52, 0x68, v17
	v_mov_b32_e32 v48, 25
	s_mov_b32 s0, 26
.LBB78_422:                             ; =>This Inner Loop Header: Depth=1
	ds_read_b32 v53, v52
	v_mov_b32_e32 v54, s0
	s_add_i32 s0, s0, 1
	v_add_u32_e32 v52, 4, v52
	s_cmp_lg_u32 s22, s0
	s_waitcnt lgkmcnt(0)
	v_cmp_lt_f32_e64 vcc, |v50|, |v53|
	s_nop 1
	v_cndmask_b32_e32 v50, v50, v53, vcc
	v_cndmask_b32_e32 v48, v48, v54, vcc
	s_cbranch_scc1 .LBB78_422
.LBB78_423:
	s_waitcnt lgkmcnt(0)
	v_cmp_eq_f32_e32 vcc, 0, v50
	s_and_saveexec_b64 s[0:1], vcc
	s_xor_b64 s[0:1], exec, s[0:1]
; %bb.424:
	v_cmp_ne_u32_e32 vcc, 0, v19
	s_nop 1
	v_cndmask_b32_e32 v19, 26, v19, vcc
; %bb.425:
	s_andn2_saveexec_b64 s[0:1], s[0:1]
	s_cbranch_execz .LBB78_427
; %bb.426:
	v_div_scale_f32 v52, s[2:3], v50, v50, 1.0
	v_rcp_f32_e32 v53, v52
	v_div_scale_f32 v54, vcc, 1.0, v50, 1.0
	v_fma_f32 v55, -v52, v53, 1.0
	v_fmac_f32_e32 v53, v55, v53
	v_mul_f32_e32 v55, v54, v53
	v_fma_f32 v56, -v52, v55, v54
	v_fmac_f32_e32 v55, v56, v53
	v_fma_f32 v52, -v52, v55, v54
	v_div_fmas_f32 v52, v52, v53, v55
	v_div_fixup_f32 v50, v52, v50, 1.0
.LBB78_427:
	s_or_b64 exec, exec, s[0:1]
	v_cmp_ne_u32_e32 vcc, v51, v48
	s_and_saveexec_b64 s[0:1], vcc
	s_xor_b64 s[0:1], exec, s[0:1]
	s_cbranch_execz .LBB78_433
; %bb.428:
	v_cmp_eq_u32_e32 vcc, 25, v51
	s_and_saveexec_b64 s[2:3], vcc
	s_cbranch_execz .LBB78_432
; %bb.429:
	v_cmp_ne_u32_e32 vcc, 25, v48
	s_xor_b64 s[18:19], s[16:17], -1
	s_and_b64 s[20:21], s[18:19], vcc
	s_and_saveexec_b64 s[18:19], s[20:21]
	s_cbranch_execz .LBB78_431
; %bb.430:
	v_ashrrev_i32_e32 v49, 31, v48
	v_lshl_add_u64 v[52:53], v[48:49], 2, v[20:21]
	global_load_dword v49, v[52:53], off
	global_load_dword v51, v[20:21], off offset:100
	s_waitcnt vmcnt(1)
	global_store_dword v[20:21], v49, off offset:100
	s_waitcnt vmcnt(1)
	global_store_dword v[52:53], v51, off
.LBB78_431:
	s_or_b64 exec, exec, s[18:19]
	v_mov_b32_e32 v49, v48
	v_mov_b32_e32 v51, v48
.LBB78_432:
	s_or_b64 exec, exec, s[2:3]
.LBB78_433:
	s_andn2_saveexec_b64 s[0:1], s[0:1]
	s_cbranch_execz .LBB78_435
; %bb.434:
	v_mov_b32_e32 v51, 25
	s_waitcnt vmcnt(12)
	ds_write2_b32 v17, v36, v37 offset0:26 offset1:27
	s_waitcnt vmcnt(10)
	ds_write2_b32 v17, v32, v33 offset0:28 offset1:29
	;; [unrolled: 2-line block ×7, first 2 shown]
.LBB78_435:
	s_or_b64 exec, exec, s[0:1]
	v_cmp_lt_i32_e32 vcc, 25, v51
	s_waitcnt lgkmcnt(0)
	s_barrier
	s_and_saveexec_b64 s[0:1], vcc
	s_cbranch_execz .LBB78_437
; %bb.436:
	ds_read2_b32 v[52:53], v17 offset0:26 offset1:27
	ds_read2_b32 v[54:55], v17 offset0:28 offset1:29
	v_mul_f32_e32 v48, v50, v43
	ds_read2_b32 v[56:57], v17 offset0:30 offset1:31
	ds_read2_b32 v[58:59], v17 offset0:32 offset1:33
	v_mov_b32_e32 v43, v48
	s_waitcnt vmcnt(12) lgkmcnt(3)
	v_pk_fma_f32 v[36:37], v[48:49], v[52:53], v[36:37] op_sel_hi:[0,1,1] neg_lo:[1,0,0] neg_hi:[1,0,0]
	s_waitcnt vmcnt(10) lgkmcnt(2)
	v_pk_fma_f32 v[32:33], v[48:49], v[54:55], v[32:33] op_sel_hi:[0,1,1] neg_lo:[1,0,0] neg_hi:[1,0,0]
	ds_read2_b32 v[52:53], v17 offset0:34 offset1:35
	ds_read2_b32 v[54:55], v17 offset0:36 offset1:37
	;; [unrolled: 1-line block ×3, first 2 shown]
	s_waitcnt vmcnt(8) lgkmcnt(4)
	v_pk_fma_f32 v[26:27], v[48:49], v[56:57], v[26:27] op_sel_hi:[0,1,1] neg_lo:[1,0,0] neg_hi:[1,0,0]
	s_waitcnt vmcnt(6) lgkmcnt(3)
	v_pk_fma_f32 v[46:47], v[48:49], v[58:59], v[46:47] op_sel_hi:[0,1,1] neg_lo:[1,0,0] neg_hi:[1,0,0]
	;; [unrolled: 2-line block ×5, first 2 shown]
.LBB78_437:
	s_or_b64 exec, exec, s[0:1]
	v_lshl_add_u32 v48, v51, 2, v17
	s_barrier
	s_waitcnt vmcnt(13)
	ds_write_b32 v48, v36
	s_waitcnt lgkmcnt(0)
	s_barrier
	ds_read_b32 v50, v17 offset:104
	s_cmp_lt_i32 s22, 28
	v_mov_b32_e32 v48, 26
	s_cbranch_scc1 .LBB78_440
; %bb.438:
	v_add_u32_e32 v52, 0x6c, v17
	v_mov_b32_e32 v48, 26
	s_mov_b32 s0, 27
.LBB78_439:                             ; =>This Inner Loop Header: Depth=1
	ds_read_b32 v53, v52
	v_mov_b32_e32 v54, s0
	s_add_i32 s0, s0, 1
	v_add_u32_e32 v52, 4, v52
	s_cmp_lg_u32 s22, s0
	s_waitcnt lgkmcnt(0)
	v_cmp_lt_f32_e64 vcc, |v50|, |v53|
	s_nop 1
	v_cndmask_b32_e32 v50, v50, v53, vcc
	v_cndmask_b32_e32 v48, v48, v54, vcc
	s_cbranch_scc1 .LBB78_439
.LBB78_440:
	s_waitcnt lgkmcnt(0)
	v_cmp_eq_f32_e32 vcc, 0, v50
	s_and_saveexec_b64 s[0:1], vcc
	s_xor_b64 s[0:1], exec, s[0:1]
; %bb.441:
	v_cmp_ne_u32_e32 vcc, 0, v19
	s_nop 1
	v_cndmask_b32_e32 v19, 27, v19, vcc
; %bb.442:
	s_andn2_saveexec_b64 s[0:1], s[0:1]
	s_cbranch_execz .LBB78_444
; %bb.443:
	v_div_scale_f32 v52, s[2:3], v50, v50, 1.0
	v_rcp_f32_e32 v53, v52
	v_div_scale_f32 v54, vcc, 1.0, v50, 1.0
	v_fma_f32 v55, -v52, v53, 1.0
	v_fmac_f32_e32 v53, v55, v53
	v_mul_f32_e32 v55, v54, v53
	v_fma_f32 v56, -v52, v55, v54
	v_fmac_f32_e32 v55, v56, v53
	v_fma_f32 v52, -v52, v55, v54
	v_div_fmas_f32 v52, v52, v53, v55
	v_div_fixup_f32 v50, v52, v50, 1.0
.LBB78_444:
	s_or_b64 exec, exec, s[0:1]
	v_cmp_ne_u32_e32 vcc, v51, v48
	s_and_saveexec_b64 s[0:1], vcc
	s_xor_b64 s[0:1], exec, s[0:1]
	s_cbranch_execz .LBB78_450
; %bb.445:
	v_cmp_eq_u32_e32 vcc, 26, v51
	s_and_saveexec_b64 s[2:3], vcc
	s_cbranch_execz .LBB78_449
; %bb.446:
	v_cmp_ne_u32_e32 vcc, 26, v48
	s_xor_b64 s[18:19], s[16:17], -1
	s_and_b64 s[20:21], s[18:19], vcc
	s_and_saveexec_b64 s[18:19], s[20:21]
	s_cbranch_execz .LBB78_448
; %bb.447:
	v_ashrrev_i32_e32 v49, 31, v48
	v_lshl_add_u64 v[52:53], v[48:49], 2, v[20:21]
	global_load_dword v49, v[52:53], off
	global_load_dword v51, v[20:21], off offset:104
	s_waitcnt vmcnt(1)
	global_store_dword v[20:21], v49, off offset:104
	s_waitcnt vmcnt(1)
	global_store_dword v[52:53], v51, off
.LBB78_448:
	s_or_b64 exec, exec, s[18:19]
	v_mov_b32_e32 v49, v48
	v_mov_b32_e32 v51, v48
.LBB78_449:
	s_or_b64 exec, exec, s[2:3]
.LBB78_450:
	s_andn2_saveexec_b64 s[0:1], s[0:1]
	s_cbranch_execz .LBB78_452
; %bb.451:
	s_waitcnt vmcnt(10)
	v_pk_mov_b32 v[52:53], v[36:37], v[32:33] op_sel:[1,0]
	ds_write2_b32 v17, v52, v53 offset0:27 offset1:28
	s_waitcnt vmcnt(8)
	v_pk_mov_b32 v[52:53], v[32:33], v[26:27] op_sel:[1,0]
	ds_write2_b32 v17, v52, v53 offset0:29 offset1:30
	;; [unrolled: 3-line block ×5, first 2 shown]
	s_waitcnt vmcnt(0)
	v_pk_mov_b32 v[52:53], v[38:39], v[40:41] op_sel:[1,0]
	v_mov_b32_e32 v51, 26
	ds_write2_b32 v17, v52, v53 offset0:37 offset1:38
	ds_write_b32 v17, v41 offset:156
.LBB78_452:
	s_or_b64 exec, exec, s[0:1]
	v_cmp_lt_i32_e32 vcc, 26, v51
	s_waitcnt lgkmcnt(0)
	s_barrier
	s_and_saveexec_b64 s[0:1], vcc
	s_cbranch_execz .LBB78_454
; %bb.453:
	ds_read_b32 v48, v17 offset:108
	ds_read2_b32 v[52:53], v17 offset0:28 offset1:29
	v_mul_f32_e32 v36, v50, v36
	ds_read2_b32 v[54:55], v17 offset0:30 offset1:31
	ds_read2_b32 v[56:57], v17 offset0:32 offset1:33
	s_waitcnt vmcnt(12) lgkmcnt(3)
	v_fma_f32 v37, -v36, v48, v37
	s_waitcnt vmcnt(10) lgkmcnt(2)
	v_pk_fma_f32 v[32:33], v[36:37], v[52:53], v[32:33] op_sel_hi:[0,1,1] neg_lo:[1,0,0] neg_hi:[1,0,0]
	ds_read2_b32 v[52:53], v17 offset0:34 offset1:35
	ds_read2_b32 v[58:59], v17 offset0:36 offset1:37
	ds_read2_b32 v[60:61], v17 offset0:38 offset1:39
	s_waitcnt vmcnt(8) lgkmcnt(4)
	v_pk_fma_f32 v[26:27], v[36:37], v[54:55], v[26:27] op_sel_hi:[0,1,1] neg_lo:[1,0,0] neg_hi:[1,0,0]
	s_waitcnt vmcnt(6) lgkmcnt(3)
	v_pk_fma_f32 v[46:47], v[36:37], v[56:57], v[46:47] op_sel_hi:[0,1,1] neg_lo:[1,0,0] neg_hi:[1,0,0]
	;; [unrolled: 2-line block ×5, first 2 shown]
.LBB78_454:
	s_or_b64 exec, exec, s[0:1]
	v_lshl_add_u32 v48, v51, 2, v17
	s_barrier
	s_waitcnt vmcnt(12)
	ds_write_b32 v48, v37
	s_waitcnt lgkmcnt(0)
	s_barrier
	ds_read_b32 v50, v17 offset:108
	s_cmp_lt_i32 s22, 29
	v_mov_b32_e32 v48, 27
	s_cbranch_scc1 .LBB78_457
; %bb.455:
	v_add_u32_e32 v52, 0x70, v17
	v_mov_b32_e32 v48, 27
	s_mov_b32 s0, 28
.LBB78_456:                             ; =>This Inner Loop Header: Depth=1
	ds_read_b32 v53, v52
	v_mov_b32_e32 v54, s0
	s_add_i32 s0, s0, 1
	v_add_u32_e32 v52, 4, v52
	s_cmp_lg_u32 s22, s0
	s_waitcnt lgkmcnt(0)
	v_cmp_lt_f32_e64 vcc, |v50|, |v53|
	s_nop 1
	v_cndmask_b32_e32 v50, v50, v53, vcc
	v_cndmask_b32_e32 v48, v48, v54, vcc
	s_cbranch_scc1 .LBB78_456
.LBB78_457:
	s_waitcnt lgkmcnt(0)
	v_cmp_eq_f32_e32 vcc, 0, v50
	s_and_saveexec_b64 s[0:1], vcc
	s_xor_b64 s[0:1], exec, s[0:1]
; %bb.458:
	v_cmp_ne_u32_e32 vcc, 0, v19
	s_nop 1
	v_cndmask_b32_e32 v19, 28, v19, vcc
; %bb.459:
	s_andn2_saveexec_b64 s[0:1], s[0:1]
	s_cbranch_execz .LBB78_461
; %bb.460:
	v_div_scale_f32 v52, s[2:3], v50, v50, 1.0
	v_rcp_f32_e32 v53, v52
	v_div_scale_f32 v54, vcc, 1.0, v50, 1.0
	v_fma_f32 v55, -v52, v53, 1.0
	v_fmac_f32_e32 v53, v55, v53
	v_mul_f32_e32 v55, v54, v53
	v_fma_f32 v56, -v52, v55, v54
	v_fmac_f32_e32 v55, v56, v53
	v_fma_f32 v52, -v52, v55, v54
	v_div_fmas_f32 v52, v52, v53, v55
	v_div_fixup_f32 v50, v52, v50, 1.0
.LBB78_461:
	s_or_b64 exec, exec, s[0:1]
	v_cmp_ne_u32_e32 vcc, v51, v48
	s_and_saveexec_b64 s[0:1], vcc
	s_xor_b64 s[0:1], exec, s[0:1]
	s_cbranch_execz .LBB78_467
; %bb.462:
	v_cmp_eq_u32_e32 vcc, 27, v51
	s_and_saveexec_b64 s[2:3], vcc
	s_cbranch_execz .LBB78_466
; %bb.463:
	v_cmp_ne_u32_e32 vcc, 27, v48
	s_xor_b64 s[18:19], s[16:17], -1
	s_and_b64 s[20:21], s[18:19], vcc
	s_and_saveexec_b64 s[18:19], s[20:21]
	s_cbranch_execz .LBB78_465
; %bb.464:
	v_ashrrev_i32_e32 v49, 31, v48
	v_lshl_add_u64 v[52:53], v[48:49], 2, v[20:21]
	global_load_dword v49, v[52:53], off
	global_load_dword v51, v[20:21], off offset:108
	s_waitcnt vmcnt(1)
	global_store_dword v[20:21], v49, off offset:108
	s_waitcnt vmcnt(1)
	global_store_dword v[52:53], v51, off
.LBB78_465:
	s_or_b64 exec, exec, s[18:19]
	v_mov_b32_e32 v49, v48
	v_mov_b32_e32 v51, v48
.LBB78_466:
	s_or_b64 exec, exec, s[2:3]
.LBB78_467:
	s_andn2_saveexec_b64 s[0:1], s[0:1]
	s_cbranch_execz .LBB78_469
; %bb.468:
	v_mov_b32_e32 v51, 27
	s_waitcnt vmcnt(10)
	ds_write2_b32 v17, v32, v33 offset0:28 offset1:29
	s_waitcnt vmcnt(8)
	ds_write2_b32 v17, v26, v27 offset0:30 offset1:31
	;; [unrolled: 2-line block ×6, first 2 shown]
.LBB78_469:
	s_or_b64 exec, exec, s[0:1]
	v_cmp_lt_i32_e32 vcc, 27, v51
	s_waitcnt lgkmcnt(0)
	s_barrier
	s_and_saveexec_b64 s[0:1], vcc
	s_cbranch_execz .LBB78_471
; %bb.470:
	ds_read2_b32 v[52:53], v17 offset0:28 offset1:29
	v_mul_f32_e32 v48, v50, v37
	ds_read2_b32 v[54:55], v17 offset0:30 offset1:31
	ds_read2_b32 v[56:57], v17 offset0:32 offset1:33
	;; [unrolled: 1-line block ×3, first 2 shown]
	v_mov_b32_e32 v37, v48
	s_waitcnt vmcnt(8) lgkmcnt(2)
	v_pk_fma_f32 v[26:27], v[48:49], v[54:55], v[26:27] op_sel_hi:[0,1,1] neg_lo:[1,0,0] neg_hi:[1,0,0]
	v_pk_fma_f32 v[32:33], v[48:49], v[52:53], v[32:33] op_sel_hi:[0,1,1] neg_lo:[1,0,0] neg_hi:[1,0,0]
	ds_read2_b32 v[52:53], v17 offset0:36 offset1:37
	ds_read2_b32 v[60:61], v17 offset0:38 offset1:39
	s_waitcnt vmcnt(6) lgkmcnt(3)
	v_pk_fma_f32 v[46:47], v[48:49], v[56:57], v[46:47] op_sel_hi:[0,1,1] neg_lo:[1,0,0] neg_hi:[1,0,0]
	s_waitcnt vmcnt(4) lgkmcnt(2)
	v_pk_fma_f32 v[44:45], v[48:49], v[58:59], v[44:45] op_sel_hi:[0,1,1] neg_lo:[1,0,0] neg_hi:[1,0,0]
	;; [unrolled: 2-line block ×4, first 2 shown]
.LBB78_471:
	s_or_b64 exec, exec, s[0:1]
	v_lshl_add_u32 v48, v51, 2, v17
	s_barrier
	s_waitcnt vmcnt(11)
	ds_write_b32 v48, v32
	s_waitcnt lgkmcnt(0)
	s_barrier
	ds_read_b32 v50, v17 offset:112
	s_cmp_lt_i32 s22, 30
	v_mov_b32_e32 v48, 28
	s_cbranch_scc1 .LBB78_474
; %bb.472:
	v_add_u32_e32 v52, 0x74, v17
	v_mov_b32_e32 v48, 28
	s_mov_b32 s0, 29
.LBB78_473:                             ; =>This Inner Loop Header: Depth=1
	ds_read_b32 v53, v52
	v_mov_b32_e32 v54, s0
	s_add_i32 s0, s0, 1
	v_add_u32_e32 v52, 4, v52
	s_cmp_lg_u32 s22, s0
	s_waitcnt lgkmcnt(0)
	v_cmp_lt_f32_e64 vcc, |v50|, |v53|
	s_nop 1
	v_cndmask_b32_e32 v50, v50, v53, vcc
	v_cndmask_b32_e32 v48, v48, v54, vcc
	s_cbranch_scc1 .LBB78_473
.LBB78_474:
	s_waitcnt lgkmcnt(0)
	v_cmp_eq_f32_e32 vcc, 0, v50
	s_and_saveexec_b64 s[0:1], vcc
	s_xor_b64 s[0:1], exec, s[0:1]
; %bb.475:
	v_cmp_ne_u32_e32 vcc, 0, v19
	s_nop 1
	v_cndmask_b32_e32 v19, 29, v19, vcc
; %bb.476:
	s_andn2_saveexec_b64 s[0:1], s[0:1]
	s_cbranch_execz .LBB78_478
; %bb.477:
	v_div_scale_f32 v52, s[2:3], v50, v50, 1.0
	v_rcp_f32_e32 v53, v52
	v_div_scale_f32 v54, vcc, 1.0, v50, 1.0
	v_fma_f32 v55, -v52, v53, 1.0
	v_fmac_f32_e32 v53, v55, v53
	v_mul_f32_e32 v55, v54, v53
	v_fma_f32 v56, -v52, v55, v54
	v_fmac_f32_e32 v55, v56, v53
	v_fma_f32 v52, -v52, v55, v54
	v_div_fmas_f32 v52, v52, v53, v55
	v_div_fixup_f32 v50, v52, v50, 1.0
.LBB78_478:
	s_or_b64 exec, exec, s[0:1]
	v_cmp_ne_u32_e32 vcc, v51, v48
	s_and_saveexec_b64 s[0:1], vcc
	s_xor_b64 s[0:1], exec, s[0:1]
	s_cbranch_execz .LBB78_484
; %bb.479:
	v_cmp_eq_u32_e32 vcc, 28, v51
	s_and_saveexec_b64 s[2:3], vcc
	s_cbranch_execz .LBB78_483
; %bb.480:
	v_cmp_ne_u32_e32 vcc, 28, v48
	s_xor_b64 s[18:19], s[16:17], -1
	s_and_b64 s[20:21], s[18:19], vcc
	s_and_saveexec_b64 s[18:19], s[20:21]
	s_cbranch_execz .LBB78_482
; %bb.481:
	v_ashrrev_i32_e32 v49, 31, v48
	v_lshl_add_u64 v[52:53], v[48:49], 2, v[20:21]
	global_load_dword v49, v[52:53], off
	global_load_dword v51, v[20:21], off offset:112
	s_waitcnt vmcnt(1)
	global_store_dword v[20:21], v49, off offset:112
	s_waitcnt vmcnt(1)
	global_store_dword v[52:53], v51, off
.LBB78_482:
	s_or_b64 exec, exec, s[18:19]
	v_mov_b32_e32 v49, v48
	v_mov_b32_e32 v51, v48
.LBB78_483:
	s_or_b64 exec, exec, s[2:3]
.LBB78_484:
	s_andn2_saveexec_b64 s[0:1], s[0:1]
	s_cbranch_execz .LBB78_486
; %bb.485:
	s_waitcnt vmcnt(8)
	v_pk_mov_b32 v[52:53], v[32:33], v[26:27] op_sel:[1,0]
	ds_write2_b32 v17, v52, v53 offset0:29 offset1:30
	s_waitcnt vmcnt(6)
	v_pk_mov_b32 v[52:53], v[26:27], v[46:47] op_sel:[1,0]
	ds_write2_b32 v17, v52, v53 offset0:31 offset1:32
	;; [unrolled: 3-line block ×4, first 2 shown]
	s_waitcnt vmcnt(0)
	v_pk_mov_b32 v[52:53], v[38:39], v[40:41] op_sel:[1,0]
	v_mov_b32_e32 v51, 28
	ds_write2_b32 v17, v52, v53 offset0:37 offset1:38
	ds_write_b32 v17, v41 offset:156
.LBB78_486:
	s_or_b64 exec, exec, s[0:1]
	v_cmp_lt_i32_e32 vcc, 28, v51
	s_waitcnt lgkmcnt(0)
	s_barrier
	s_and_saveexec_b64 s[0:1], vcc
	s_cbranch_execz .LBB78_488
; %bb.487:
	ds_read_b32 v48, v17 offset:116
	ds_read2_b32 v[52:53], v17 offset0:30 offset1:31
	ds_read2_b32 v[54:55], v17 offset0:32 offset1:33
	;; [unrolled: 1-line block ×5, first 2 shown]
	v_mul_f32_e32 v32, v50, v32
	s_waitcnt vmcnt(10) lgkmcnt(5)
	v_fma_f32 v33, -v32, v48, v33
	s_waitcnt vmcnt(8) lgkmcnt(4)
	v_pk_fma_f32 v[26:27], v[32:33], v[52:53], v[26:27] op_sel_hi:[0,1,1] neg_lo:[1,0,0] neg_hi:[1,0,0]
	s_waitcnt vmcnt(6) lgkmcnt(3)
	v_pk_fma_f32 v[46:47], v[32:33], v[54:55], v[46:47] op_sel_hi:[0,1,1] neg_lo:[1,0,0] neg_hi:[1,0,0]
	;; [unrolled: 2-line block ×5, first 2 shown]
.LBB78_488:
	s_or_b64 exec, exec, s[0:1]
	v_lshl_add_u32 v48, v51, 2, v17
	s_barrier
	s_waitcnt vmcnt(10)
	ds_write_b32 v48, v33
	s_waitcnt lgkmcnt(0)
	s_barrier
	ds_read_b32 v50, v17 offset:116
	s_cmp_lt_i32 s22, 31
	v_mov_b32_e32 v48, 29
	s_cbranch_scc1 .LBB78_491
; %bb.489:
	v_add_u32_e32 v52, 0x78, v17
	v_mov_b32_e32 v48, 29
	s_mov_b32 s0, 30
.LBB78_490:                             ; =>This Inner Loop Header: Depth=1
	ds_read_b32 v53, v52
	v_mov_b32_e32 v54, s0
	s_add_i32 s0, s0, 1
	v_add_u32_e32 v52, 4, v52
	s_cmp_lg_u32 s22, s0
	s_waitcnt lgkmcnt(0)
	v_cmp_lt_f32_e64 vcc, |v50|, |v53|
	s_nop 1
	v_cndmask_b32_e32 v50, v50, v53, vcc
	v_cndmask_b32_e32 v48, v48, v54, vcc
	s_cbranch_scc1 .LBB78_490
.LBB78_491:
	s_waitcnt lgkmcnt(0)
	v_cmp_eq_f32_e32 vcc, 0, v50
	s_and_saveexec_b64 s[0:1], vcc
	s_xor_b64 s[0:1], exec, s[0:1]
; %bb.492:
	v_cmp_ne_u32_e32 vcc, 0, v19
	s_nop 1
	v_cndmask_b32_e32 v19, 30, v19, vcc
; %bb.493:
	s_andn2_saveexec_b64 s[0:1], s[0:1]
	s_cbranch_execz .LBB78_495
; %bb.494:
	v_div_scale_f32 v52, s[2:3], v50, v50, 1.0
	v_rcp_f32_e32 v53, v52
	v_div_scale_f32 v54, vcc, 1.0, v50, 1.0
	v_fma_f32 v55, -v52, v53, 1.0
	v_fmac_f32_e32 v53, v55, v53
	v_mul_f32_e32 v55, v54, v53
	v_fma_f32 v56, -v52, v55, v54
	v_fmac_f32_e32 v55, v56, v53
	v_fma_f32 v52, -v52, v55, v54
	v_div_fmas_f32 v52, v52, v53, v55
	v_div_fixup_f32 v50, v52, v50, 1.0
.LBB78_495:
	s_or_b64 exec, exec, s[0:1]
	v_cmp_ne_u32_e32 vcc, v51, v48
	s_and_saveexec_b64 s[0:1], vcc
	s_xor_b64 s[0:1], exec, s[0:1]
	s_cbranch_execz .LBB78_501
; %bb.496:
	v_cmp_eq_u32_e32 vcc, 29, v51
	s_and_saveexec_b64 s[2:3], vcc
	s_cbranch_execz .LBB78_500
; %bb.497:
	v_cmp_ne_u32_e32 vcc, 29, v48
	s_xor_b64 s[18:19], s[16:17], -1
	s_and_b64 s[20:21], s[18:19], vcc
	s_and_saveexec_b64 s[18:19], s[20:21]
	s_cbranch_execz .LBB78_499
; %bb.498:
	v_ashrrev_i32_e32 v49, 31, v48
	v_lshl_add_u64 v[52:53], v[48:49], 2, v[20:21]
	global_load_dword v49, v[52:53], off
	global_load_dword v51, v[20:21], off offset:116
	s_waitcnt vmcnt(1)
	global_store_dword v[20:21], v49, off offset:116
	s_waitcnt vmcnt(1)
	global_store_dword v[52:53], v51, off
.LBB78_499:
	s_or_b64 exec, exec, s[18:19]
	v_mov_b32_e32 v49, v48
	v_mov_b32_e32 v51, v48
.LBB78_500:
	s_or_b64 exec, exec, s[2:3]
.LBB78_501:
	s_andn2_saveexec_b64 s[0:1], s[0:1]
	s_cbranch_execz .LBB78_503
; %bb.502:
	v_mov_b32_e32 v51, 29
	s_waitcnt vmcnt(8)
	ds_write2_b32 v17, v26, v27 offset0:30 offset1:31
	s_waitcnt vmcnt(6)
	ds_write2_b32 v17, v46, v47 offset0:32 offset1:33
	;; [unrolled: 2-line block ×5, first 2 shown]
.LBB78_503:
	s_or_b64 exec, exec, s[0:1]
	v_cmp_lt_i32_e32 vcc, 29, v51
	s_waitcnt lgkmcnt(0)
	s_barrier
	s_and_saveexec_b64 s[0:1], vcc
	s_cbranch_execz .LBB78_505
; %bb.504:
	ds_read2_b32 v[52:53], v17 offset0:30 offset1:31
	ds_read2_b32 v[54:55], v17 offset0:32 offset1:33
	;; [unrolled: 1-line block ×5, first 2 shown]
	v_mul_f32_e32 v48, v50, v33
	s_waitcnt vmcnt(8) lgkmcnt(4)
	v_pk_fma_f32 v[26:27], v[48:49], v[52:53], v[26:27] op_sel_hi:[0,1,1] neg_lo:[1,0,0] neg_hi:[1,0,0]
	s_waitcnt vmcnt(6) lgkmcnt(3)
	v_pk_fma_f32 v[46:47], v[48:49], v[54:55], v[46:47] op_sel_hi:[0,1,1] neg_lo:[1,0,0] neg_hi:[1,0,0]
	;; [unrolled: 2-line block ×5, first 2 shown]
	v_mov_b32_e32 v33, v48
.LBB78_505:
	s_or_b64 exec, exec, s[0:1]
	v_lshl_add_u32 v48, v51, 2, v17
	s_barrier
	s_waitcnt vmcnt(9)
	ds_write_b32 v48, v26
	s_waitcnt lgkmcnt(0)
	s_barrier
	ds_read_b32 v50, v17 offset:120
	s_cmp_lt_i32 s22, 32
	v_mov_b32_e32 v48, 30
	s_cbranch_scc1 .LBB78_508
; %bb.506:
	v_add_u32_e32 v52, 0x7c, v17
	v_mov_b32_e32 v48, 30
	s_mov_b32 s0, 31
.LBB78_507:                             ; =>This Inner Loop Header: Depth=1
	ds_read_b32 v53, v52
	v_mov_b32_e32 v54, s0
	s_add_i32 s0, s0, 1
	v_add_u32_e32 v52, 4, v52
	s_cmp_lg_u32 s22, s0
	s_waitcnt lgkmcnt(0)
	v_cmp_lt_f32_e64 vcc, |v50|, |v53|
	s_nop 1
	v_cndmask_b32_e32 v50, v50, v53, vcc
	v_cndmask_b32_e32 v48, v48, v54, vcc
	s_cbranch_scc1 .LBB78_507
.LBB78_508:
	s_waitcnt lgkmcnt(0)
	v_cmp_eq_f32_e32 vcc, 0, v50
	s_and_saveexec_b64 s[0:1], vcc
	s_xor_b64 s[0:1], exec, s[0:1]
; %bb.509:
	v_cmp_ne_u32_e32 vcc, 0, v19
	s_nop 1
	v_cndmask_b32_e32 v19, 31, v19, vcc
; %bb.510:
	s_andn2_saveexec_b64 s[0:1], s[0:1]
	s_cbranch_execz .LBB78_512
; %bb.511:
	v_div_scale_f32 v52, s[2:3], v50, v50, 1.0
	v_rcp_f32_e32 v53, v52
	v_div_scale_f32 v54, vcc, 1.0, v50, 1.0
	v_fma_f32 v55, -v52, v53, 1.0
	v_fmac_f32_e32 v53, v55, v53
	v_mul_f32_e32 v55, v54, v53
	v_fma_f32 v56, -v52, v55, v54
	v_fmac_f32_e32 v55, v56, v53
	v_fma_f32 v52, -v52, v55, v54
	v_div_fmas_f32 v52, v52, v53, v55
	v_div_fixup_f32 v50, v52, v50, 1.0
.LBB78_512:
	s_or_b64 exec, exec, s[0:1]
	v_cmp_ne_u32_e32 vcc, v51, v48
	s_and_saveexec_b64 s[0:1], vcc
	s_xor_b64 s[0:1], exec, s[0:1]
	s_cbranch_execz .LBB78_518
; %bb.513:
	v_cmp_eq_u32_e32 vcc, 30, v51
	s_and_saveexec_b64 s[2:3], vcc
	s_cbranch_execz .LBB78_517
; %bb.514:
	v_cmp_ne_u32_e32 vcc, 30, v48
	s_xor_b64 s[18:19], s[16:17], -1
	s_and_b64 s[20:21], s[18:19], vcc
	s_and_saveexec_b64 s[18:19], s[20:21]
	s_cbranch_execz .LBB78_516
; %bb.515:
	v_ashrrev_i32_e32 v49, 31, v48
	v_lshl_add_u64 v[52:53], v[48:49], 2, v[20:21]
	global_load_dword v49, v[52:53], off
	global_load_dword v51, v[20:21], off offset:120
	s_waitcnt vmcnt(1)
	global_store_dword v[20:21], v49, off offset:120
	s_waitcnt vmcnt(1)
	global_store_dword v[52:53], v51, off
.LBB78_516:
	s_or_b64 exec, exec, s[18:19]
	v_mov_b32_e32 v49, v48
	v_mov_b32_e32 v51, v48
.LBB78_517:
	s_or_b64 exec, exec, s[2:3]
.LBB78_518:
	s_andn2_saveexec_b64 s[0:1], s[0:1]
	s_cbranch_execz .LBB78_520
; %bb.519:
	s_waitcnt vmcnt(6)
	v_pk_mov_b32 v[52:53], v[26:27], v[46:47] op_sel:[1,0]
	ds_write2_b32 v17, v52, v53 offset0:31 offset1:32
	s_waitcnt vmcnt(4)
	v_pk_mov_b32 v[52:53], v[46:47], v[44:45] op_sel:[1,0]
	ds_write2_b32 v17, v52, v53 offset0:33 offset1:34
	;; [unrolled: 3-line block ×3, first 2 shown]
	s_waitcnt vmcnt(0)
	v_pk_mov_b32 v[52:53], v[38:39], v[40:41] op_sel:[1,0]
	v_mov_b32_e32 v51, 30
	ds_write2_b32 v17, v52, v53 offset0:37 offset1:38
	ds_write_b32 v17, v41 offset:156
.LBB78_520:
	s_or_b64 exec, exec, s[0:1]
	v_cmp_lt_i32_e32 vcc, 30, v51
	s_waitcnt lgkmcnt(0)
	s_barrier
	s_and_saveexec_b64 s[0:1], vcc
	s_cbranch_execz .LBB78_522
; %bb.521:
	ds_read_b32 v48, v17 offset:124
	ds_read2_b32 v[52:53], v17 offset0:32 offset1:33
	ds_read2_b32 v[54:55], v17 offset0:34 offset1:35
	;; [unrolled: 1-line block ×4, first 2 shown]
	v_mul_f32_e32 v26, v50, v26
	s_waitcnt vmcnt(8) lgkmcnt(4)
	v_fma_f32 v27, -v26, v48, v27
	s_waitcnt vmcnt(6) lgkmcnt(3)
	v_pk_fma_f32 v[46:47], v[26:27], v[52:53], v[46:47] op_sel_hi:[0,1,1] neg_lo:[1,0,0] neg_hi:[1,0,0]
	s_waitcnt vmcnt(4) lgkmcnt(2)
	v_pk_fma_f32 v[44:45], v[26:27], v[54:55], v[44:45] op_sel_hi:[0,1,1] neg_lo:[1,0,0] neg_hi:[1,0,0]
	;; [unrolled: 2-line block ×4, first 2 shown]
.LBB78_522:
	s_or_b64 exec, exec, s[0:1]
	v_lshl_add_u32 v48, v51, 2, v17
	s_barrier
	s_waitcnt vmcnt(8)
	ds_write_b32 v48, v27
	s_waitcnt lgkmcnt(0)
	s_barrier
	ds_read_b32 v50, v17 offset:124
	s_cmp_lt_i32 s22, 33
	v_mov_b32_e32 v48, 31
	s_cbranch_scc1 .LBB78_525
; %bb.523:
	v_add_u32_e32 v52, 0x80, v17
	v_mov_b32_e32 v48, 31
	s_mov_b32 s0, 32
.LBB78_524:                             ; =>This Inner Loop Header: Depth=1
	ds_read_b32 v53, v52
	v_mov_b32_e32 v54, s0
	s_add_i32 s0, s0, 1
	v_add_u32_e32 v52, 4, v52
	s_cmp_lg_u32 s22, s0
	s_waitcnt lgkmcnt(0)
	v_cmp_lt_f32_e64 vcc, |v50|, |v53|
	s_nop 1
	v_cndmask_b32_e32 v50, v50, v53, vcc
	v_cndmask_b32_e32 v48, v48, v54, vcc
	s_cbranch_scc1 .LBB78_524
.LBB78_525:
	s_waitcnt lgkmcnt(0)
	v_cmp_eq_f32_e32 vcc, 0, v50
	s_and_saveexec_b64 s[0:1], vcc
	s_xor_b64 s[0:1], exec, s[0:1]
; %bb.526:
	v_cmp_ne_u32_e32 vcc, 0, v19
	s_nop 1
	v_cndmask_b32_e32 v19, 32, v19, vcc
; %bb.527:
	s_andn2_saveexec_b64 s[0:1], s[0:1]
	s_cbranch_execz .LBB78_529
; %bb.528:
	v_div_scale_f32 v52, s[2:3], v50, v50, 1.0
	v_rcp_f32_e32 v53, v52
	v_div_scale_f32 v54, vcc, 1.0, v50, 1.0
	v_fma_f32 v55, -v52, v53, 1.0
	v_fmac_f32_e32 v53, v55, v53
	v_mul_f32_e32 v55, v54, v53
	v_fma_f32 v56, -v52, v55, v54
	v_fmac_f32_e32 v55, v56, v53
	v_fma_f32 v52, -v52, v55, v54
	v_div_fmas_f32 v52, v52, v53, v55
	v_div_fixup_f32 v50, v52, v50, 1.0
.LBB78_529:
	s_or_b64 exec, exec, s[0:1]
	v_cmp_ne_u32_e32 vcc, v51, v48
	s_and_saveexec_b64 s[0:1], vcc
	s_xor_b64 s[0:1], exec, s[0:1]
	s_cbranch_execz .LBB78_535
; %bb.530:
	v_cmp_eq_u32_e32 vcc, 31, v51
	s_and_saveexec_b64 s[2:3], vcc
	s_cbranch_execz .LBB78_534
; %bb.531:
	v_cmp_ne_u32_e32 vcc, 31, v48
	s_xor_b64 s[18:19], s[16:17], -1
	s_and_b64 s[20:21], s[18:19], vcc
	s_and_saveexec_b64 s[18:19], s[20:21]
	s_cbranch_execz .LBB78_533
; %bb.532:
	v_ashrrev_i32_e32 v49, 31, v48
	v_lshl_add_u64 v[52:53], v[48:49], 2, v[20:21]
	global_load_dword v49, v[52:53], off
	global_load_dword v51, v[20:21], off offset:124
	s_waitcnt vmcnt(1)
	global_store_dword v[20:21], v49, off offset:124
	s_waitcnt vmcnt(1)
	global_store_dword v[52:53], v51, off
.LBB78_533:
	s_or_b64 exec, exec, s[18:19]
	v_mov_b32_e32 v49, v48
	v_mov_b32_e32 v51, v48
.LBB78_534:
	s_or_b64 exec, exec, s[2:3]
.LBB78_535:
	s_andn2_saveexec_b64 s[0:1], s[0:1]
	s_cbranch_execz .LBB78_537
; %bb.536:
	v_mov_b32_e32 v51, 31
	s_waitcnt vmcnt(6)
	ds_write2_b32 v17, v46, v47 offset0:32 offset1:33
	s_waitcnt vmcnt(4)
	ds_write2_b32 v17, v44, v45 offset0:34 offset1:35
	s_waitcnt vmcnt(2)
	ds_write2_b32 v17, v38, v39 offset0:36 offset1:37
	s_waitcnt vmcnt(0)
	ds_write2_b32 v17, v40, v41 offset0:38 offset1:39
.LBB78_537:
	s_or_b64 exec, exec, s[0:1]
	v_cmp_lt_i32_e32 vcc, 31, v51
	s_waitcnt lgkmcnt(0)
	s_barrier
	s_and_saveexec_b64 s[0:1], vcc
	s_cbranch_execz .LBB78_539
; %bb.538:
	ds_read2_b32 v[52:53], v17 offset0:32 offset1:33
	ds_read2_b32 v[54:55], v17 offset0:34 offset1:35
	;; [unrolled: 1-line block ×4, first 2 shown]
	v_mul_f32_e32 v48, v50, v27
	s_waitcnt vmcnt(6) lgkmcnt(3)
	v_pk_fma_f32 v[46:47], v[48:49], v[52:53], v[46:47] op_sel_hi:[0,1,1] neg_lo:[1,0,0] neg_hi:[1,0,0]
	s_waitcnt vmcnt(4) lgkmcnt(2)
	v_pk_fma_f32 v[44:45], v[48:49], v[54:55], v[44:45] op_sel_hi:[0,1,1] neg_lo:[1,0,0] neg_hi:[1,0,0]
	s_waitcnt vmcnt(2) lgkmcnt(1)
	v_pk_fma_f32 v[38:39], v[48:49], v[56:57], v[38:39] op_sel_hi:[0,1,1] neg_lo:[1,0,0] neg_hi:[1,0,0]
	s_waitcnt vmcnt(0) lgkmcnt(0)
	v_pk_fma_f32 v[40:41], v[48:49], v[58:59], v[40:41] op_sel_hi:[0,1,1] neg_lo:[1,0,0] neg_hi:[1,0,0]
	v_mov_b32_e32 v27, v48
.LBB78_539:
	s_or_b64 exec, exec, s[0:1]
	v_lshl_add_u32 v48, v51, 2, v17
	s_barrier
	s_waitcnt vmcnt(7)
	ds_write_b32 v48, v46
	s_waitcnt lgkmcnt(0)
	s_barrier
	ds_read_b32 v50, v17 offset:128
	s_cmp_lt_i32 s22, 34
	v_mov_b32_e32 v48, 32
	s_cbranch_scc1 .LBB78_542
; %bb.540:
	v_add_u32_e32 v52, 0x84, v17
	v_mov_b32_e32 v48, 32
	s_mov_b32 s0, 33
.LBB78_541:                             ; =>This Inner Loop Header: Depth=1
	ds_read_b32 v53, v52
	v_mov_b32_e32 v54, s0
	s_add_i32 s0, s0, 1
	v_add_u32_e32 v52, 4, v52
	s_cmp_lg_u32 s22, s0
	s_waitcnt lgkmcnt(0)
	v_cmp_lt_f32_e64 vcc, |v50|, |v53|
	s_nop 1
	v_cndmask_b32_e32 v50, v50, v53, vcc
	v_cndmask_b32_e32 v48, v48, v54, vcc
	s_cbranch_scc1 .LBB78_541
.LBB78_542:
	s_waitcnt lgkmcnt(0)
	v_cmp_eq_f32_e32 vcc, 0, v50
	s_and_saveexec_b64 s[0:1], vcc
	s_xor_b64 s[0:1], exec, s[0:1]
; %bb.543:
	v_cmp_ne_u32_e32 vcc, 0, v19
	s_nop 1
	v_cndmask_b32_e32 v19, 33, v19, vcc
; %bb.544:
	s_andn2_saveexec_b64 s[0:1], s[0:1]
	s_cbranch_execz .LBB78_546
; %bb.545:
	v_div_scale_f32 v52, s[2:3], v50, v50, 1.0
	v_rcp_f32_e32 v53, v52
	v_div_scale_f32 v54, vcc, 1.0, v50, 1.0
	v_fma_f32 v55, -v52, v53, 1.0
	v_fmac_f32_e32 v53, v55, v53
	v_mul_f32_e32 v55, v54, v53
	v_fma_f32 v56, -v52, v55, v54
	v_fmac_f32_e32 v55, v56, v53
	v_fma_f32 v52, -v52, v55, v54
	v_div_fmas_f32 v52, v52, v53, v55
	v_div_fixup_f32 v50, v52, v50, 1.0
.LBB78_546:
	s_or_b64 exec, exec, s[0:1]
	v_cmp_ne_u32_e32 vcc, v51, v48
	s_and_saveexec_b64 s[0:1], vcc
	s_xor_b64 s[0:1], exec, s[0:1]
	s_cbranch_execz .LBB78_552
; %bb.547:
	v_cmp_eq_u32_e32 vcc, 32, v51
	s_and_saveexec_b64 s[2:3], vcc
	s_cbranch_execz .LBB78_551
; %bb.548:
	v_cmp_ne_u32_e32 vcc, 32, v48
	s_xor_b64 s[18:19], s[16:17], -1
	s_and_b64 s[20:21], s[18:19], vcc
	s_and_saveexec_b64 s[18:19], s[20:21]
	s_cbranch_execz .LBB78_550
; %bb.549:
	v_ashrrev_i32_e32 v49, 31, v48
	v_lshl_add_u64 v[52:53], v[48:49], 2, v[20:21]
	global_load_dword v49, v[52:53], off
	global_load_dword v51, v[20:21], off offset:128
	s_waitcnt vmcnt(1)
	global_store_dword v[20:21], v49, off offset:128
	s_waitcnt vmcnt(1)
	global_store_dword v[52:53], v51, off
.LBB78_550:
	s_or_b64 exec, exec, s[18:19]
	v_mov_b32_e32 v49, v48
	v_mov_b32_e32 v51, v48
.LBB78_551:
	s_or_b64 exec, exec, s[2:3]
.LBB78_552:
	s_andn2_saveexec_b64 s[0:1], s[0:1]
	s_cbranch_execz .LBB78_554
; %bb.553:
	s_waitcnt vmcnt(4)
	v_pk_mov_b32 v[52:53], v[46:47], v[44:45] op_sel:[1,0]
	ds_write2_b32 v17, v52, v53 offset0:33 offset1:34
	s_waitcnt vmcnt(2)
	v_pk_mov_b32 v[52:53], v[44:45], v[38:39] op_sel:[1,0]
	ds_write2_b32 v17, v52, v53 offset0:35 offset1:36
	s_waitcnt vmcnt(0)
	v_pk_mov_b32 v[52:53], v[38:39], v[40:41] op_sel:[1,0]
	v_mov_b32_e32 v51, 32
	ds_write2_b32 v17, v52, v53 offset0:37 offset1:38
	ds_write_b32 v17, v41 offset:156
.LBB78_554:
	s_or_b64 exec, exec, s[0:1]
	v_cmp_lt_i32_e32 vcc, 32, v51
	s_waitcnt lgkmcnt(0)
	s_barrier
	s_and_saveexec_b64 s[0:1], vcc
	s_cbranch_execz .LBB78_556
; %bb.555:
	ds_read_b32 v48, v17 offset:132
	ds_read2_b32 v[52:53], v17 offset0:34 offset1:35
	ds_read2_b32 v[54:55], v17 offset0:36 offset1:37
	;; [unrolled: 1-line block ×3, first 2 shown]
	v_mul_f32_e32 v46, v50, v46
	s_waitcnt vmcnt(6) lgkmcnt(3)
	v_fma_f32 v47, -v46, v48, v47
	s_waitcnt vmcnt(4) lgkmcnt(2)
	v_pk_fma_f32 v[44:45], v[46:47], v[52:53], v[44:45] op_sel_hi:[0,1,1] neg_lo:[1,0,0] neg_hi:[1,0,0]
	s_waitcnt vmcnt(2) lgkmcnt(1)
	v_pk_fma_f32 v[38:39], v[46:47], v[54:55], v[38:39] op_sel_hi:[0,1,1] neg_lo:[1,0,0] neg_hi:[1,0,0]
	;; [unrolled: 2-line block ×3, first 2 shown]
.LBB78_556:
	s_or_b64 exec, exec, s[0:1]
	v_lshl_add_u32 v48, v51, 2, v17
	s_barrier
	s_waitcnt vmcnt(6)
	ds_write_b32 v48, v47
	s_waitcnt lgkmcnt(0)
	s_barrier
	ds_read_b32 v50, v17 offset:132
	s_cmp_lt_i32 s22, 35
	v_mov_b32_e32 v48, 33
	s_cbranch_scc1 .LBB78_559
; %bb.557:
	v_add_u32_e32 v52, 0x88, v17
	v_mov_b32_e32 v48, 33
	s_mov_b32 s0, 34
.LBB78_558:                             ; =>This Inner Loop Header: Depth=1
	ds_read_b32 v53, v52
	v_mov_b32_e32 v54, s0
	s_add_i32 s0, s0, 1
	v_add_u32_e32 v52, 4, v52
	s_cmp_lg_u32 s22, s0
	s_waitcnt lgkmcnt(0)
	v_cmp_lt_f32_e64 vcc, |v50|, |v53|
	s_nop 1
	v_cndmask_b32_e32 v50, v50, v53, vcc
	v_cndmask_b32_e32 v48, v48, v54, vcc
	s_cbranch_scc1 .LBB78_558
.LBB78_559:
	s_waitcnt lgkmcnt(0)
	v_cmp_eq_f32_e32 vcc, 0, v50
	s_and_saveexec_b64 s[0:1], vcc
	s_xor_b64 s[0:1], exec, s[0:1]
; %bb.560:
	v_cmp_ne_u32_e32 vcc, 0, v19
	s_nop 1
	v_cndmask_b32_e32 v19, 34, v19, vcc
; %bb.561:
	s_andn2_saveexec_b64 s[0:1], s[0:1]
	s_cbranch_execz .LBB78_563
; %bb.562:
	v_div_scale_f32 v52, s[2:3], v50, v50, 1.0
	v_rcp_f32_e32 v53, v52
	v_div_scale_f32 v54, vcc, 1.0, v50, 1.0
	v_fma_f32 v55, -v52, v53, 1.0
	v_fmac_f32_e32 v53, v55, v53
	v_mul_f32_e32 v55, v54, v53
	v_fma_f32 v56, -v52, v55, v54
	v_fmac_f32_e32 v55, v56, v53
	v_fma_f32 v52, -v52, v55, v54
	v_div_fmas_f32 v52, v52, v53, v55
	v_div_fixup_f32 v50, v52, v50, 1.0
.LBB78_563:
	s_or_b64 exec, exec, s[0:1]
	v_cmp_ne_u32_e32 vcc, v51, v48
	s_and_saveexec_b64 s[0:1], vcc
	s_xor_b64 s[0:1], exec, s[0:1]
	s_cbranch_execz .LBB78_569
; %bb.564:
	v_cmp_eq_u32_e32 vcc, 33, v51
	s_and_saveexec_b64 s[2:3], vcc
	s_cbranch_execz .LBB78_568
; %bb.565:
	v_cmp_ne_u32_e32 vcc, 33, v48
	s_xor_b64 s[18:19], s[16:17], -1
	s_and_b64 s[20:21], s[18:19], vcc
	s_and_saveexec_b64 s[18:19], s[20:21]
	s_cbranch_execz .LBB78_567
; %bb.566:
	v_ashrrev_i32_e32 v49, 31, v48
	v_lshl_add_u64 v[52:53], v[48:49], 2, v[20:21]
	global_load_dword v49, v[52:53], off
	global_load_dword v51, v[20:21], off offset:132
	s_waitcnt vmcnt(1)
	global_store_dword v[20:21], v49, off offset:132
	s_waitcnt vmcnt(1)
	global_store_dword v[52:53], v51, off
.LBB78_567:
	s_or_b64 exec, exec, s[18:19]
	v_mov_b32_e32 v49, v48
	v_mov_b32_e32 v51, v48
.LBB78_568:
	s_or_b64 exec, exec, s[2:3]
.LBB78_569:
	s_andn2_saveexec_b64 s[0:1], s[0:1]
	s_cbranch_execz .LBB78_571
; %bb.570:
	v_mov_b32_e32 v51, 33
	s_waitcnt vmcnt(4)
	ds_write2_b32 v17, v44, v45 offset0:34 offset1:35
	s_waitcnt vmcnt(2)
	ds_write2_b32 v17, v38, v39 offset0:36 offset1:37
	;; [unrolled: 2-line block ×3, first 2 shown]
.LBB78_571:
	s_or_b64 exec, exec, s[0:1]
	v_cmp_lt_i32_e32 vcc, 33, v51
	s_waitcnt lgkmcnt(0)
	s_barrier
	s_and_saveexec_b64 s[0:1], vcc
	s_cbranch_execz .LBB78_573
; %bb.572:
	ds_read2_b32 v[52:53], v17 offset0:34 offset1:35
	ds_read2_b32 v[54:55], v17 offset0:36 offset1:37
	;; [unrolled: 1-line block ×3, first 2 shown]
	v_mul_f32_e32 v48, v50, v47
	v_mov_b32_e32 v47, v48
	s_waitcnt vmcnt(4) lgkmcnt(2)
	v_pk_fma_f32 v[44:45], v[48:49], v[52:53], v[44:45] op_sel_hi:[0,1,1] neg_lo:[1,0,0] neg_hi:[1,0,0]
	s_waitcnt vmcnt(2) lgkmcnt(1)
	v_pk_fma_f32 v[38:39], v[48:49], v[54:55], v[38:39] op_sel_hi:[0,1,1] neg_lo:[1,0,0] neg_hi:[1,0,0]
	;; [unrolled: 2-line block ×3, first 2 shown]
.LBB78_573:
	s_or_b64 exec, exec, s[0:1]
	v_lshl_add_u32 v48, v51, 2, v17
	s_barrier
	s_waitcnt vmcnt(5)
	ds_write_b32 v48, v44
	s_waitcnt lgkmcnt(0)
	s_barrier
	ds_read_b32 v50, v17 offset:136
	s_cmp_lt_i32 s22, 36
	v_mov_b32_e32 v48, 34
	s_cbranch_scc1 .LBB78_576
; %bb.574:
	v_add_u32_e32 v52, 0x8c, v17
	v_mov_b32_e32 v48, 34
	s_mov_b32 s0, 35
.LBB78_575:                             ; =>This Inner Loop Header: Depth=1
	ds_read_b32 v53, v52
	v_mov_b32_e32 v54, s0
	s_add_i32 s0, s0, 1
	v_add_u32_e32 v52, 4, v52
	s_cmp_lg_u32 s22, s0
	s_waitcnt lgkmcnt(0)
	v_cmp_lt_f32_e64 vcc, |v50|, |v53|
	s_nop 1
	v_cndmask_b32_e32 v50, v50, v53, vcc
	v_cndmask_b32_e32 v48, v48, v54, vcc
	s_cbranch_scc1 .LBB78_575
.LBB78_576:
	s_waitcnt lgkmcnt(0)
	v_cmp_eq_f32_e32 vcc, 0, v50
	s_and_saveexec_b64 s[0:1], vcc
	s_xor_b64 s[0:1], exec, s[0:1]
; %bb.577:
	v_cmp_ne_u32_e32 vcc, 0, v19
	s_nop 1
	v_cndmask_b32_e32 v19, 35, v19, vcc
; %bb.578:
	s_andn2_saveexec_b64 s[0:1], s[0:1]
	s_cbranch_execz .LBB78_580
; %bb.579:
	v_div_scale_f32 v52, s[2:3], v50, v50, 1.0
	v_rcp_f32_e32 v53, v52
	v_div_scale_f32 v54, vcc, 1.0, v50, 1.0
	v_fma_f32 v55, -v52, v53, 1.0
	v_fmac_f32_e32 v53, v55, v53
	v_mul_f32_e32 v55, v54, v53
	v_fma_f32 v56, -v52, v55, v54
	v_fmac_f32_e32 v55, v56, v53
	v_fma_f32 v52, -v52, v55, v54
	v_div_fmas_f32 v52, v52, v53, v55
	v_div_fixup_f32 v50, v52, v50, 1.0
.LBB78_580:
	s_or_b64 exec, exec, s[0:1]
	v_cmp_ne_u32_e32 vcc, v51, v48
	s_and_saveexec_b64 s[0:1], vcc
	s_xor_b64 s[0:1], exec, s[0:1]
	s_cbranch_execz .LBB78_586
; %bb.581:
	v_cmp_eq_u32_e32 vcc, 34, v51
	s_and_saveexec_b64 s[2:3], vcc
	s_cbranch_execz .LBB78_585
; %bb.582:
	v_cmp_ne_u32_e32 vcc, 34, v48
	s_xor_b64 s[18:19], s[16:17], -1
	s_and_b64 s[20:21], s[18:19], vcc
	s_and_saveexec_b64 s[18:19], s[20:21]
	s_cbranch_execz .LBB78_584
; %bb.583:
	v_ashrrev_i32_e32 v49, 31, v48
	v_lshl_add_u64 v[52:53], v[48:49], 2, v[20:21]
	global_load_dword v49, v[52:53], off
	global_load_dword v51, v[20:21], off offset:136
	s_waitcnt vmcnt(1)
	global_store_dword v[20:21], v49, off offset:136
	s_waitcnt vmcnt(1)
	global_store_dword v[52:53], v51, off
.LBB78_584:
	s_or_b64 exec, exec, s[18:19]
	v_mov_b32_e32 v49, v48
	v_mov_b32_e32 v51, v48
.LBB78_585:
	s_or_b64 exec, exec, s[2:3]
.LBB78_586:
	s_andn2_saveexec_b64 s[0:1], s[0:1]
	s_cbranch_execz .LBB78_588
; %bb.587:
	s_waitcnt vmcnt(2)
	v_pk_mov_b32 v[52:53], v[44:45], v[38:39] op_sel:[1,0]
	ds_write2_b32 v17, v52, v53 offset0:35 offset1:36
	s_waitcnt vmcnt(0)
	v_pk_mov_b32 v[52:53], v[38:39], v[40:41] op_sel:[1,0]
	v_mov_b32_e32 v51, 34
	ds_write2_b32 v17, v52, v53 offset0:37 offset1:38
	ds_write_b32 v17, v41 offset:156
.LBB78_588:
	s_or_b64 exec, exec, s[0:1]
	v_cmp_lt_i32_e32 vcc, 34, v51
	s_waitcnt lgkmcnt(0)
	s_barrier
	s_and_saveexec_b64 s[0:1], vcc
	s_cbranch_execz .LBB78_590
; %bb.589:
	ds_read_b32 v48, v17 offset:140
	ds_read2_b32 v[52:53], v17 offset0:36 offset1:37
	ds_read2_b32 v[54:55], v17 offset0:38 offset1:39
	v_mul_f32_e32 v44, v50, v44
	s_waitcnt vmcnt(4) lgkmcnt(2)
	v_fma_f32 v45, -v44, v48, v45
	s_waitcnt vmcnt(2) lgkmcnt(1)
	v_pk_fma_f32 v[38:39], v[44:45], v[52:53], v[38:39] op_sel_hi:[0,1,1] neg_lo:[1,0,0] neg_hi:[1,0,0]
	s_waitcnt vmcnt(0) lgkmcnt(0)
	v_pk_fma_f32 v[40:41], v[44:45], v[54:55], v[40:41] op_sel_hi:[0,1,1] neg_lo:[1,0,0] neg_hi:[1,0,0]
.LBB78_590:
	s_or_b64 exec, exec, s[0:1]
	v_lshl_add_u32 v48, v51, 2, v17
	s_barrier
	s_waitcnt vmcnt(4)
	ds_write_b32 v48, v45
	s_waitcnt lgkmcnt(0)
	s_barrier
	ds_read_b32 v50, v17 offset:140
	s_cmp_lt_i32 s22, 37
	v_mov_b32_e32 v48, 35
	s_cbranch_scc1 .LBB78_593
; %bb.591:
	v_add_u32_e32 v52, 0x90, v17
	v_mov_b32_e32 v48, 35
	s_mov_b32 s0, 36
.LBB78_592:                             ; =>This Inner Loop Header: Depth=1
	ds_read_b32 v53, v52
	v_mov_b32_e32 v54, s0
	s_add_i32 s0, s0, 1
	v_add_u32_e32 v52, 4, v52
	s_cmp_lg_u32 s22, s0
	s_waitcnt lgkmcnt(0)
	v_cmp_lt_f32_e64 vcc, |v50|, |v53|
	s_nop 1
	v_cndmask_b32_e32 v50, v50, v53, vcc
	v_cndmask_b32_e32 v48, v48, v54, vcc
	s_cbranch_scc1 .LBB78_592
.LBB78_593:
	s_waitcnt lgkmcnt(0)
	v_cmp_eq_f32_e32 vcc, 0, v50
	s_and_saveexec_b64 s[0:1], vcc
	s_xor_b64 s[0:1], exec, s[0:1]
; %bb.594:
	v_cmp_ne_u32_e32 vcc, 0, v19
	s_nop 1
	v_cndmask_b32_e32 v19, 36, v19, vcc
; %bb.595:
	s_andn2_saveexec_b64 s[0:1], s[0:1]
	s_cbranch_execz .LBB78_597
; %bb.596:
	v_div_scale_f32 v52, s[2:3], v50, v50, 1.0
	v_rcp_f32_e32 v53, v52
	v_div_scale_f32 v54, vcc, 1.0, v50, 1.0
	v_fma_f32 v55, -v52, v53, 1.0
	v_fmac_f32_e32 v53, v55, v53
	v_mul_f32_e32 v55, v54, v53
	v_fma_f32 v56, -v52, v55, v54
	v_fmac_f32_e32 v55, v56, v53
	v_fma_f32 v52, -v52, v55, v54
	v_div_fmas_f32 v52, v52, v53, v55
	v_div_fixup_f32 v50, v52, v50, 1.0
.LBB78_597:
	s_or_b64 exec, exec, s[0:1]
	v_cmp_ne_u32_e32 vcc, v51, v48
	s_and_saveexec_b64 s[0:1], vcc
	s_xor_b64 s[0:1], exec, s[0:1]
	s_cbranch_execz .LBB78_603
; %bb.598:
	v_cmp_eq_u32_e32 vcc, 35, v51
	s_and_saveexec_b64 s[2:3], vcc
	s_cbranch_execz .LBB78_602
; %bb.599:
	v_cmp_ne_u32_e32 vcc, 35, v48
	s_xor_b64 s[18:19], s[16:17], -1
	s_and_b64 s[20:21], s[18:19], vcc
	s_and_saveexec_b64 s[18:19], s[20:21]
	s_cbranch_execz .LBB78_601
; %bb.600:
	v_ashrrev_i32_e32 v49, 31, v48
	v_lshl_add_u64 v[52:53], v[48:49], 2, v[20:21]
	global_load_dword v49, v[52:53], off
	global_load_dword v51, v[20:21], off offset:140
	s_waitcnt vmcnt(1)
	global_store_dword v[20:21], v49, off offset:140
	s_waitcnt vmcnt(1)
	global_store_dword v[52:53], v51, off
.LBB78_601:
	s_or_b64 exec, exec, s[18:19]
	v_mov_b32_e32 v49, v48
	v_mov_b32_e32 v51, v48
.LBB78_602:
	s_or_b64 exec, exec, s[2:3]
.LBB78_603:
	s_andn2_saveexec_b64 s[0:1], s[0:1]
	s_cbranch_execz .LBB78_605
; %bb.604:
	v_mov_b32_e32 v51, 35
	s_waitcnt vmcnt(2)
	ds_write2_b32 v17, v38, v39 offset0:36 offset1:37
	s_waitcnt vmcnt(0)
	ds_write2_b32 v17, v40, v41 offset0:38 offset1:39
.LBB78_605:
	s_or_b64 exec, exec, s[0:1]
	v_cmp_lt_i32_e32 vcc, 35, v51
	s_waitcnt lgkmcnt(0)
	s_barrier
	s_and_saveexec_b64 s[0:1], vcc
	s_cbranch_execz .LBB78_607
; %bb.606:
	ds_read2_b32 v[52:53], v17 offset0:36 offset1:37
	ds_read2_b32 v[54:55], v17 offset0:38 offset1:39
	v_mul_f32_e32 v48, v50, v45
	v_mov_b32_e32 v45, v48
	s_waitcnt vmcnt(2) lgkmcnt(1)
	v_pk_fma_f32 v[38:39], v[48:49], v[52:53], v[38:39] op_sel_hi:[0,1,1] neg_lo:[1,0,0] neg_hi:[1,0,0]
	s_waitcnt vmcnt(0) lgkmcnt(0)
	v_pk_fma_f32 v[40:41], v[48:49], v[54:55], v[40:41] op_sel_hi:[0,1,1] neg_lo:[1,0,0] neg_hi:[1,0,0]
.LBB78_607:
	s_or_b64 exec, exec, s[0:1]
	v_lshl_add_u32 v48, v51, 2, v17
	s_barrier
	s_waitcnt vmcnt(3)
	ds_write_b32 v48, v38
	s_waitcnt lgkmcnt(0)
	s_barrier
	ds_read_b32 v50, v17 offset:144
	s_cmp_lt_i32 s22, 38
	v_mov_b32_e32 v48, 36
	s_cbranch_scc1 .LBB78_610
; %bb.608:
	v_add_u32_e32 v52, 0x94, v17
	v_mov_b32_e32 v48, 36
	s_mov_b32 s0, 37
.LBB78_609:                             ; =>This Inner Loop Header: Depth=1
	ds_read_b32 v53, v52
	v_mov_b32_e32 v54, s0
	s_add_i32 s0, s0, 1
	v_add_u32_e32 v52, 4, v52
	s_cmp_lg_u32 s22, s0
	s_waitcnt lgkmcnt(0)
	v_cmp_lt_f32_e64 vcc, |v50|, |v53|
	s_nop 1
	v_cndmask_b32_e32 v50, v50, v53, vcc
	v_cndmask_b32_e32 v48, v48, v54, vcc
	s_cbranch_scc1 .LBB78_609
.LBB78_610:
	s_waitcnt lgkmcnt(0)
	v_cmp_eq_f32_e32 vcc, 0, v50
	s_and_saveexec_b64 s[0:1], vcc
	s_xor_b64 s[0:1], exec, s[0:1]
; %bb.611:
	v_cmp_ne_u32_e32 vcc, 0, v19
	s_nop 1
	v_cndmask_b32_e32 v19, 37, v19, vcc
; %bb.612:
	s_andn2_saveexec_b64 s[0:1], s[0:1]
	s_cbranch_execz .LBB78_614
; %bb.613:
	v_div_scale_f32 v52, s[2:3], v50, v50, 1.0
	v_rcp_f32_e32 v53, v52
	v_div_scale_f32 v54, vcc, 1.0, v50, 1.0
	v_fma_f32 v55, -v52, v53, 1.0
	v_fmac_f32_e32 v53, v55, v53
	v_mul_f32_e32 v55, v54, v53
	v_fma_f32 v56, -v52, v55, v54
	v_fmac_f32_e32 v55, v56, v53
	v_fma_f32 v52, -v52, v55, v54
	v_div_fmas_f32 v52, v52, v53, v55
	v_div_fixup_f32 v50, v52, v50, 1.0
.LBB78_614:
	s_or_b64 exec, exec, s[0:1]
	v_cmp_ne_u32_e32 vcc, v51, v48
	s_and_saveexec_b64 s[0:1], vcc
	s_xor_b64 s[0:1], exec, s[0:1]
	s_cbranch_execz .LBB78_620
; %bb.615:
	v_cmp_eq_u32_e32 vcc, 36, v51
	s_and_saveexec_b64 s[2:3], vcc
	s_cbranch_execz .LBB78_619
; %bb.616:
	v_cmp_ne_u32_e32 vcc, 36, v48
	s_xor_b64 s[18:19], s[16:17], -1
	s_and_b64 s[20:21], s[18:19], vcc
	s_and_saveexec_b64 s[18:19], s[20:21]
	s_cbranch_execz .LBB78_618
; %bb.617:
	v_ashrrev_i32_e32 v49, 31, v48
	v_lshl_add_u64 v[52:53], v[48:49], 2, v[20:21]
	global_load_dword v49, v[52:53], off
	global_load_dword v51, v[20:21], off offset:144
	s_waitcnt vmcnt(1)
	global_store_dword v[20:21], v49, off offset:144
	s_waitcnt vmcnt(1)
	global_store_dword v[52:53], v51, off
.LBB78_618:
	s_or_b64 exec, exec, s[18:19]
	v_mov_b32_e32 v49, v48
	v_mov_b32_e32 v51, v48
.LBB78_619:
	s_or_b64 exec, exec, s[2:3]
.LBB78_620:
	s_andn2_saveexec_b64 s[0:1], s[0:1]
	s_cbranch_execz .LBB78_622
; %bb.621:
	s_waitcnt vmcnt(0)
	v_pk_mov_b32 v[52:53], v[38:39], v[40:41] op_sel:[1,0]
	v_mov_b32_e32 v51, 36
	ds_write2_b32 v17, v52, v53 offset0:37 offset1:38
	ds_write_b32 v17, v41 offset:156
.LBB78_622:
	s_or_b64 exec, exec, s[0:1]
	v_cmp_lt_i32_e32 vcc, 36, v51
	s_waitcnt lgkmcnt(0)
	s_barrier
	s_and_saveexec_b64 s[0:1], vcc
	s_cbranch_execz .LBB78_624
; %bb.623:
	ds_read_b32 v48, v17 offset:148
	ds_read2_b32 v[52:53], v17 offset0:38 offset1:39
	v_mul_f32_e32 v38, v50, v38
	s_waitcnt vmcnt(2) lgkmcnt(1)
	v_fma_f32 v39, -v38, v48, v39
	s_waitcnt vmcnt(0) lgkmcnt(0)
	v_pk_fma_f32 v[40:41], v[38:39], v[52:53], v[40:41] op_sel_hi:[0,1,1] neg_lo:[1,0,0] neg_hi:[1,0,0]
.LBB78_624:
	s_or_b64 exec, exec, s[0:1]
	v_lshl_add_u32 v48, v51, 2, v17
	s_barrier
	s_waitcnt vmcnt(2)
	ds_write_b32 v48, v39
	s_waitcnt lgkmcnt(0)
	s_barrier
	ds_read_b32 v50, v17 offset:148
	s_cmp_lt_i32 s22, 39
	v_mov_b32_e32 v48, 37
	s_cbranch_scc1 .LBB78_627
; %bb.625:
	v_add_u32_e32 v52, 0x98, v17
	v_mov_b32_e32 v48, 37
	s_mov_b32 s0, 38
.LBB78_626:                             ; =>This Inner Loop Header: Depth=1
	ds_read_b32 v53, v52
	v_mov_b32_e32 v54, s0
	s_add_i32 s0, s0, 1
	v_add_u32_e32 v52, 4, v52
	s_cmp_lg_u32 s22, s0
	s_waitcnt lgkmcnt(0)
	v_cmp_lt_f32_e64 vcc, |v50|, |v53|
	s_nop 1
	v_cndmask_b32_e32 v50, v50, v53, vcc
	v_cndmask_b32_e32 v48, v48, v54, vcc
	s_cbranch_scc1 .LBB78_626
.LBB78_627:
	s_waitcnt lgkmcnt(0)
	v_cmp_eq_f32_e32 vcc, 0, v50
	s_and_saveexec_b64 s[0:1], vcc
	s_xor_b64 s[0:1], exec, s[0:1]
; %bb.628:
	v_cmp_ne_u32_e32 vcc, 0, v19
	s_nop 1
	v_cndmask_b32_e32 v19, 38, v19, vcc
; %bb.629:
	s_andn2_saveexec_b64 s[0:1], s[0:1]
	s_cbranch_execz .LBB78_631
; %bb.630:
	v_div_scale_f32 v52, s[2:3], v50, v50, 1.0
	v_rcp_f32_e32 v53, v52
	v_div_scale_f32 v54, vcc, 1.0, v50, 1.0
	v_fma_f32 v55, -v52, v53, 1.0
	v_fmac_f32_e32 v53, v55, v53
	v_mul_f32_e32 v55, v54, v53
	v_fma_f32 v56, -v52, v55, v54
	v_fmac_f32_e32 v55, v56, v53
	v_fma_f32 v52, -v52, v55, v54
	v_div_fmas_f32 v52, v52, v53, v55
	v_div_fixup_f32 v50, v52, v50, 1.0
.LBB78_631:
	s_or_b64 exec, exec, s[0:1]
	v_cmp_ne_u32_e32 vcc, v51, v48
	s_and_saveexec_b64 s[0:1], vcc
	s_xor_b64 s[0:1], exec, s[0:1]
	s_cbranch_execz .LBB78_637
; %bb.632:
	v_cmp_eq_u32_e32 vcc, 37, v51
	s_and_saveexec_b64 s[2:3], vcc
	s_cbranch_execz .LBB78_636
; %bb.633:
	v_cmp_ne_u32_e32 vcc, 37, v48
	s_xor_b64 s[18:19], s[16:17], -1
	s_and_b64 s[20:21], s[18:19], vcc
	s_and_saveexec_b64 s[18:19], s[20:21]
	s_cbranch_execz .LBB78_635
; %bb.634:
	v_ashrrev_i32_e32 v49, 31, v48
	v_lshl_add_u64 v[52:53], v[48:49], 2, v[20:21]
	global_load_dword v49, v[52:53], off
	global_load_dword v51, v[20:21], off offset:148
	s_waitcnt vmcnt(1)
	global_store_dword v[20:21], v49, off offset:148
	s_waitcnt vmcnt(1)
	global_store_dword v[52:53], v51, off
.LBB78_635:
	s_or_b64 exec, exec, s[18:19]
	v_mov_b32_e32 v49, v48
	v_mov_b32_e32 v51, v48
.LBB78_636:
	s_or_b64 exec, exec, s[2:3]
.LBB78_637:
	s_andn2_saveexec_b64 s[0:1], s[0:1]
	s_cbranch_execz .LBB78_639
; %bb.638:
	v_mov_b32_e32 v51, 37
	s_waitcnt vmcnt(0)
	ds_write2_b32 v17, v40, v41 offset0:38 offset1:39
.LBB78_639:
	s_or_b64 exec, exec, s[0:1]
	v_cmp_lt_i32_e32 vcc, 37, v51
	s_waitcnt lgkmcnt(0)
	s_barrier
	s_and_saveexec_b64 s[0:1], vcc
	s_cbranch_execz .LBB78_641
; %bb.640:
	ds_read2_b32 v[52:53], v17 offset0:38 offset1:39
	v_mul_f32_e32 v48, v50, v39
	v_mov_b32_e32 v39, v48
	s_waitcnt vmcnt(0) lgkmcnt(0)
	v_pk_fma_f32 v[40:41], v[48:49], v[52:53], v[40:41] op_sel_hi:[0,1,1] neg_lo:[1,0,0] neg_hi:[1,0,0]
.LBB78_641:
	s_or_b64 exec, exec, s[0:1]
	v_lshl_add_u32 v48, v51, 2, v17
	s_barrier
	s_waitcnt vmcnt(1)
	ds_write_b32 v48, v40
	s_waitcnt lgkmcnt(0)
	s_barrier
	ds_read_b32 v50, v17 offset:152
	s_cmp_lt_i32 s22, 40
	v_mov_b32_e32 v48, 38
	s_cbranch_scc1 .LBB78_644
; %bb.642:
	v_add_u32_e32 v52, 0x9c, v17
	v_mov_b32_e32 v48, 38
	s_mov_b32 s0, 39
.LBB78_643:                             ; =>This Inner Loop Header: Depth=1
	ds_read_b32 v53, v52
	v_mov_b32_e32 v54, s0
	s_add_i32 s0, s0, 1
	v_add_u32_e32 v52, 4, v52
	s_cmp_lg_u32 s22, s0
	s_waitcnt lgkmcnt(0)
	v_cmp_lt_f32_e64 vcc, |v50|, |v53|
	s_nop 1
	v_cndmask_b32_e32 v50, v50, v53, vcc
	v_cndmask_b32_e32 v48, v48, v54, vcc
	s_cbranch_scc1 .LBB78_643
.LBB78_644:
	s_waitcnt lgkmcnt(0)
	v_cmp_eq_f32_e32 vcc, 0, v50
	s_and_saveexec_b64 s[0:1], vcc
	s_xor_b64 s[0:1], exec, s[0:1]
; %bb.645:
	v_cmp_ne_u32_e32 vcc, 0, v19
	s_nop 1
	v_cndmask_b32_e32 v19, 39, v19, vcc
; %bb.646:
	s_andn2_saveexec_b64 s[0:1], s[0:1]
	s_cbranch_execz .LBB78_648
; %bb.647:
	v_div_scale_f32 v52, s[2:3], v50, v50, 1.0
	v_rcp_f32_e32 v53, v52
	v_div_scale_f32 v54, vcc, 1.0, v50, 1.0
	v_fma_f32 v55, -v52, v53, 1.0
	v_fmac_f32_e32 v53, v55, v53
	v_mul_f32_e32 v55, v54, v53
	v_fma_f32 v56, -v52, v55, v54
	v_fmac_f32_e32 v55, v56, v53
	v_fma_f32 v52, -v52, v55, v54
	v_div_fmas_f32 v52, v52, v53, v55
	v_div_fixup_f32 v50, v52, v50, 1.0
.LBB78_648:
	s_or_b64 exec, exec, s[0:1]
	v_cmp_ne_u32_e32 vcc, v51, v48
	s_and_saveexec_b64 s[0:1], vcc
	s_xor_b64 s[0:1], exec, s[0:1]
	s_cbranch_execz .LBB78_654
; %bb.649:
	v_cmp_eq_u32_e32 vcc, 38, v51
	s_and_saveexec_b64 s[2:3], vcc
	s_cbranch_execz .LBB78_653
; %bb.650:
	v_cmp_ne_u32_e32 vcc, 38, v48
	s_xor_b64 s[18:19], s[16:17], -1
	s_and_b64 s[20:21], s[18:19], vcc
	s_and_saveexec_b64 s[18:19], s[20:21]
	s_cbranch_execz .LBB78_652
; %bb.651:
	v_ashrrev_i32_e32 v49, 31, v48
	v_lshl_add_u64 v[52:53], v[48:49], 2, v[20:21]
	global_load_dword v49, v[52:53], off
	global_load_dword v51, v[20:21], off offset:152
	s_waitcnt vmcnt(1)
	global_store_dword v[20:21], v49, off offset:152
	s_waitcnt vmcnt(1)
	global_store_dword v[52:53], v51, off
.LBB78_652:
	s_or_b64 exec, exec, s[18:19]
	v_mov_b32_e32 v49, v48
	v_mov_b32_e32 v51, v48
.LBB78_653:
	s_or_b64 exec, exec, s[2:3]
.LBB78_654:
	s_andn2_saveexec_b64 s[0:1], s[0:1]
	s_cbranch_execz .LBB78_656
; %bb.655:
	v_mov_b32_e32 v51, 38
	s_waitcnt vmcnt(0)
	ds_write_b32 v17, v41 offset:156
.LBB78_656:
	s_or_b64 exec, exec, s[0:1]
	v_cmp_lt_i32_e32 vcc, 38, v51
	s_waitcnt lgkmcnt(0)
	s_barrier
	s_and_saveexec_b64 s[0:1], vcc
	s_cbranch_execz .LBB78_658
; %bb.657:
	ds_read_b32 v48, v17 offset:156
	v_mul_f32_e32 v40, v50, v40
	s_waitcnt vmcnt(0) lgkmcnt(0)
	v_fma_f32 v41, -v40, v48, v41
.LBB78_658:
	s_or_b64 exec, exec, s[0:1]
	v_lshl_add_u32 v48, v51, 2, v17
	s_barrier
	s_waitcnt vmcnt(0)
	ds_write_b32 v48, v41
	s_waitcnt lgkmcnt(0)
	s_barrier
	ds_read_b32 v52, v17 offset:156
	s_cmp_lt_i32 s22, 41
	v_mov_b32_e32 v48, 39
	s_cbranch_scc1 .LBB78_661
; %bb.659:
	v_add_u32_e32 v17, 0xa0, v17
	v_mov_b32_e32 v48, 39
	s_mov_b32 s0, 40
.LBB78_660:                             ; =>This Inner Loop Header: Depth=1
	ds_read_b32 v50, v17
	v_mov_b32_e32 v53, s0
	s_add_i32 s0, s0, 1
	v_add_u32_e32 v17, 4, v17
	s_cmp_lg_u32 s22, s0
	s_waitcnt lgkmcnt(0)
	v_cmp_lt_f32_e64 vcc, |v52|, |v50|
	s_nop 1
	v_cndmask_b32_e32 v52, v52, v50, vcc
	v_cndmask_b32_e32 v48, v48, v53, vcc
	s_cbranch_scc1 .LBB78_660
.LBB78_661:
	s_waitcnt lgkmcnt(0)
	v_cmp_eq_f32_e32 vcc, 0, v52
	s_and_saveexec_b64 s[0:1], vcc
	s_xor_b64 s[0:1], exec, s[0:1]
; %bb.662:
	v_cmp_ne_u32_e32 vcc, 0, v19
	s_nop 1
	v_cndmask_b32_e32 v19, 40, v19, vcc
; %bb.663:
	s_andn2_saveexec_b64 s[0:1], s[0:1]
	s_cbranch_execz .LBB78_665
; %bb.664:
	v_div_scale_f32 v17, s[2:3], v52, v52, 1.0
	v_rcp_f32_e32 v50, v17
	v_div_scale_f32 v53, vcc, 1.0, v52, 1.0
	v_fma_f32 v54, -v17, v50, 1.0
	v_fmac_f32_e32 v50, v54, v50
	v_mul_f32_e32 v54, v53, v50
	v_fma_f32 v55, -v17, v54, v53
	v_fmac_f32_e32 v54, v55, v50
	v_fma_f32 v17, -v17, v54, v53
	v_div_fmas_f32 v17, v17, v50, v54
	v_div_fixup_f32 v52, v17, v52, 1.0
.LBB78_665:
	s_or_b64 exec, exec, s[0:1]
	v_cmp_ne_u32_e32 vcc, v51, v48
	v_mov_b32_e32 v50, 39
	s_and_saveexec_b64 s[0:1], vcc
	s_cbranch_execz .LBB78_671
; %bb.666:
	v_cmp_eq_u32_e32 vcc, 39, v51
	s_and_saveexec_b64 s[2:3], vcc
	s_cbranch_execz .LBB78_670
; %bb.667:
	v_cmp_ne_u32_e32 vcc, 39, v48
	s_xor_b64 s[16:17], s[16:17], -1
	s_and_b64 s[18:19], s[16:17], vcc
	s_and_saveexec_b64 s[16:17], s[18:19]
	s_cbranch_execz .LBB78_669
; %bb.668:
	v_ashrrev_i32_e32 v49, 31, v48
	v_lshl_add_u64 v[50:51], v[48:49], 2, v[20:21]
	global_load_dword v17, v[50:51], off
	global_load_dword v49, v[20:21], off offset:156
	s_waitcnt vmcnt(1)
	global_store_dword v[20:21], v17, off offset:156
	s_waitcnt vmcnt(1)
	global_store_dword v[50:51], v49, off
.LBB78_669:
	s_or_b64 exec, exec, s[16:17]
	v_mov_b32_e32 v49, v48
	v_mov_b32_e32 v51, v48
.LBB78_670:
	s_or_b64 exec, exec, s[2:3]
	v_mov_b32_e32 v50, v51
.LBB78_671:
	s_or_b64 exec, exec, s[0:1]
	v_cmp_gt_i32_e32 vcc, 40, v50
	v_ashrrev_i32_e32 v51, 31, v50
	s_barrier
	s_barrier
	s_and_saveexec_b64 s[0:1], vcc
	s_cbranch_execz .LBB78_673
; %bb.672:
	v_mul_lo_u32 v17, s11, v4
	v_mul_lo_u32 v48, s10, v5
	v_mad_u64_u32 v[54:55], s[2:3], s10, v4, 0
	v_mov_b32_e32 v20, s6
	v_mov_b32_e32 v21, s7
	v_add3_u32 v55, v55, v48, v17
	v_lshl_add_u64 v[20:21], v[54:55], 2, v[20:21]
	v_lshl_add_u64 v[20:21], s[8:9], 2, v[20:21]
	;; [unrolled: 1-line block ×3, first 2 shown]
	v_add3_u32 v17, v49, s15, 1
	global_store_dword v[20:21], v17, off
.LBB78_673:
	s_or_b64 exec, exec, s[0:1]
	v_cmp_eq_u32_e32 vcc, 0, v50
	s_and_saveexec_b64 s[2:3], vcc
	s_cbranch_execz .LBB78_676
; %bb.674:
	v_mov_b32_e32 v20, s4
	v_mov_b32_e32 v21, s5
	v_lshl_add_u64 v[4:5], v[4:5], 2, v[20:21]
	global_load_dword v17, v[4:5], off
	v_cmp_ne_u32_e64 s[0:1], 0, v19
	s_waitcnt vmcnt(0)
	v_cmp_eq_u32_e32 vcc, 0, v17
	s_and_b64 s[0:1], vcc, s[0:1]
	s_and_b64 exec, exec, s[0:1]
	s_cbranch_execz .LBB78_676
; %bb.675:
	v_add_u32_e32 v17, s15, v19
	global_store_dword v[4:5], v17, off
.LBB78_676:
	s_or_b64 exec, exec, s[2:3]
	v_mul_f32_e32 v4, v52, v41
	v_cmp_lt_i32_e32 vcc, 39, v50
	s_nop 1
	v_cndmask_b32_e32 v19, v41, v4, vcc
	v_lshl_add_u64 v[4:5], v[50:51], 2, v[2:3]
	global_store_dword v[4:5], v18, off
	v_lshl_add_u64 v[4:5], s[12:13], 2, v[4:5]
	global_store_dword v[4:5], v16, off
	v_add_u32_e32 v4, s14, v50
	v_ashrrev_i32_e32 v5, 31, v4
	v_lshl_add_u64 v[16:17], v[4:5], 2, v[2:3]
	v_add_u32_e32 v4, s12, v4
	v_ashrrev_i32_e32 v5, 31, v4
	global_store_dword v[16:17], v10, off
	v_lshl_add_u64 v[16:17], v[4:5], 2, v[2:3]
	v_add_u32_e32 v4, s12, v4
	v_ashrrev_i32_e32 v5, 31, v4
	global_store_dword v[16:17], v11, off
	;; [unrolled: 4-line block ×5, first 2 shown]
	v_lshl_add_u64 v[6:7], v[4:5], 2, v[2:3]
	v_add_u32_e32 v0, s12, v4
	global_store_dword v[6:7], v1, off
	v_ashrrev_i32_e32 v1, 31, v0
	v_lshl_add_u64 v[4:5], v[0:1], 2, v[2:3]
	v_add_u32_e32 v0, s12, v0
	v_ashrrev_i32_e32 v1, 31, v0
	global_store_dword v[4:5], v28, off
	v_lshl_add_u64 v[4:5], v[0:1], 2, v[2:3]
	v_add_u32_e32 v0, s12, v0
	v_ashrrev_i32_e32 v1, 31, v0
	global_store_dword v[4:5], v29, off
	;; [unrolled: 4-line block ×30, first 2 shown]
	v_lshl_add_u64 v[4:5], v[0:1], 2, v[2:3]
	v_add_u32_e32 v0, s12, v0
	v_ashrrev_i32_e32 v1, 31, v0
	v_lshl_add_u64 v[0:1], v[0:1], 2, v[2:3]
	global_store_dword v[4:5], v40, off
	global_store_dword v[0:1], v19, off
.LBB78_677:
	s_endpgm
	.section	.rodata,"a",@progbits
	.p2align	6, 0x0
	.amdhsa_kernel _ZN9rocsolver6v33100L18getf2_small_kernelILi40EfiiPfEEvT1_T3_lS3_lPS3_llPT2_S3_S3_S5_l
		.amdhsa_group_segment_fixed_size 0
		.amdhsa_private_segment_fixed_size 0
		.amdhsa_kernarg_size 352
		.amdhsa_user_sgpr_count 2
		.amdhsa_user_sgpr_dispatch_ptr 0
		.amdhsa_user_sgpr_queue_ptr 0
		.amdhsa_user_sgpr_kernarg_segment_ptr 1
		.amdhsa_user_sgpr_dispatch_id 0
		.amdhsa_user_sgpr_kernarg_preload_length 0
		.amdhsa_user_sgpr_kernarg_preload_offset 0
		.amdhsa_user_sgpr_private_segment_size 0
		.amdhsa_uses_dynamic_stack 0
		.amdhsa_enable_private_segment 0
		.amdhsa_system_sgpr_workgroup_id_x 1
		.amdhsa_system_sgpr_workgroup_id_y 1
		.amdhsa_system_sgpr_workgroup_id_z 0
		.amdhsa_system_sgpr_workgroup_info 0
		.amdhsa_system_vgpr_workitem_id 1
		.amdhsa_next_free_vgpr 64
		.amdhsa_next_free_sgpr 26
		.amdhsa_accum_offset 64
		.amdhsa_reserve_vcc 1
		.amdhsa_float_round_mode_32 0
		.amdhsa_float_round_mode_16_64 0
		.amdhsa_float_denorm_mode_32 3
		.amdhsa_float_denorm_mode_16_64 3
		.amdhsa_dx10_clamp 1
		.amdhsa_ieee_mode 1
		.amdhsa_fp16_overflow 0
		.amdhsa_tg_split 0
		.amdhsa_exception_fp_ieee_invalid_op 0
		.amdhsa_exception_fp_denorm_src 0
		.amdhsa_exception_fp_ieee_div_zero 0
		.amdhsa_exception_fp_ieee_overflow 0
		.amdhsa_exception_fp_ieee_underflow 0
		.amdhsa_exception_fp_ieee_inexact 0
		.amdhsa_exception_int_div_zero 0
	.end_amdhsa_kernel
	.section	.text._ZN9rocsolver6v33100L18getf2_small_kernelILi40EfiiPfEEvT1_T3_lS3_lPS3_llPT2_S3_S3_S5_l,"axG",@progbits,_ZN9rocsolver6v33100L18getf2_small_kernelILi40EfiiPfEEvT1_T3_lS3_lPS3_llPT2_S3_S3_S5_l,comdat
.Lfunc_end78:
	.size	_ZN9rocsolver6v33100L18getf2_small_kernelILi40EfiiPfEEvT1_T3_lS3_lPS3_llPT2_S3_S3_S5_l, .Lfunc_end78-_ZN9rocsolver6v33100L18getf2_small_kernelILi40EfiiPfEEvT1_T3_lS3_lPS3_llPT2_S3_S3_S5_l
                                        ; -- End function
	.set _ZN9rocsolver6v33100L18getf2_small_kernelILi40EfiiPfEEvT1_T3_lS3_lPS3_llPT2_S3_S3_S5_l.num_vgpr, 64
	.set _ZN9rocsolver6v33100L18getf2_small_kernelILi40EfiiPfEEvT1_T3_lS3_lPS3_llPT2_S3_S3_S5_l.num_agpr, 0
	.set _ZN9rocsolver6v33100L18getf2_small_kernelILi40EfiiPfEEvT1_T3_lS3_lPS3_llPT2_S3_S3_S5_l.numbered_sgpr, 26
	.set _ZN9rocsolver6v33100L18getf2_small_kernelILi40EfiiPfEEvT1_T3_lS3_lPS3_llPT2_S3_S3_S5_l.num_named_barrier, 0
	.set _ZN9rocsolver6v33100L18getf2_small_kernelILi40EfiiPfEEvT1_T3_lS3_lPS3_llPT2_S3_S3_S5_l.private_seg_size, 0
	.set _ZN9rocsolver6v33100L18getf2_small_kernelILi40EfiiPfEEvT1_T3_lS3_lPS3_llPT2_S3_S3_S5_l.uses_vcc, 1
	.set _ZN9rocsolver6v33100L18getf2_small_kernelILi40EfiiPfEEvT1_T3_lS3_lPS3_llPT2_S3_S3_S5_l.uses_flat_scratch, 0
	.set _ZN9rocsolver6v33100L18getf2_small_kernelILi40EfiiPfEEvT1_T3_lS3_lPS3_llPT2_S3_S3_S5_l.has_dyn_sized_stack, 0
	.set _ZN9rocsolver6v33100L18getf2_small_kernelILi40EfiiPfEEvT1_T3_lS3_lPS3_llPT2_S3_S3_S5_l.has_recursion, 0
	.set _ZN9rocsolver6v33100L18getf2_small_kernelILi40EfiiPfEEvT1_T3_lS3_lPS3_llPT2_S3_S3_S5_l.has_indirect_call, 0
	.section	.AMDGPU.csdata,"",@progbits
; Kernel info:
; codeLenInByte = 32164
; TotalNumSgprs: 32
; NumVgprs: 64
; NumAgprs: 0
; TotalNumVgprs: 64
; ScratchSize: 0
; MemoryBound: 0
; FloatMode: 240
; IeeeMode: 1
; LDSByteSize: 0 bytes/workgroup (compile time only)
; SGPRBlocks: 3
; VGPRBlocks: 7
; NumSGPRsForWavesPerEU: 32
; NumVGPRsForWavesPerEU: 64
; AccumOffset: 64
; Occupancy: 8
; WaveLimiterHint : 0
; COMPUTE_PGM_RSRC2:SCRATCH_EN: 0
; COMPUTE_PGM_RSRC2:USER_SGPR: 2
; COMPUTE_PGM_RSRC2:TRAP_HANDLER: 0
; COMPUTE_PGM_RSRC2:TGID_X_EN: 1
; COMPUTE_PGM_RSRC2:TGID_Y_EN: 1
; COMPUTE_PGM_RSRC2:TGID_Z_EN: 0
; COMPUTE_PGM_RSRC2:TIDIG_COMP_CNT: 1
; COMPUTE_PGM_RSRC3_GFX90A:ACCUM_OFFSET: 15
; COMPUTE_PGM_RSRC3_GFX90A:TG_SPLIT: 0
	.section	.text._ZN9rocsolver6v33100L23getf2_npvt_small_kernelILi40EfiiPfEEvT1_T3_lS3_lPT2_S3_S3_,"axG",@progbits,_ZN9rocsolver6v33100L23getf2_npvt_small_kernelILi40EfiiPfEEvT1_T3_lS3_lPT2_S3_S3_,comdat
	.globl	_ZN9rocsolver6v33100L23getf2_npvt_small_kernelILi40EfiiPfEEvT1_T3_lS3_lPT2_S3_S3_ ; -- Begin function _ZN9rocsolver6v33100L23getf2_npvt_small_kernelILi40EfiiPfEEvT1_T3_lS3_lPT2_S3_S3_
	.p2align	8
	.type	_ZN9rocsolver6v33100L23getf2_npvt_small_kernelILi40EfiiPfEEvT1_T3_lS3_lPT2_S3_S3_,@function
_ZN9rocsolver6v33100L23getf2_npvt_small_kernelILi40EfiiPfEEvT1_T3_lS3_lPT2_S3_S3_: ; @_ZN9rocsolver6v33100L23getf2_npvt_small_kernelILi40EfiiPfEEvT1_T3_lS3_lPT2_S3_S3_
; %bb.0:
	s_load_dword s2, s[0:1], 0x44
	s_load_dwordx2 s[8:9], s[0:1], 0x30
	v_bfe_u32 v123, v0, 10, 10
	s_waitcnt lgkmcnt(0)
	s_lshr_b32 s10, s2, 16
	s_mul_i32 s3, s3, s10
	v_add_u32_e32 v24, s3, v123
	v_cmp_gt_i32_e32 vcc, s8, v24
	s_and_saveexec_b64 s[2:3], vcc
	s_cbranch_execz .LBB79_221
; %bb.1:
	s_load_dwordx4 s[12:15], s[0:1], 0x8
	s_load_dword s2, s[0:1], 0x18
	s_load_dwordx4 s[4:7], s[0:1], 0x20
	v_ashrrev_i32_e32 v25, 31, v24
	v_and_b32_e32 v121, 0x3ff, v0
	s_waitcnt lgkmcnt(0)
	v_mov_b32_e32 v0, s12
	v_mov_b32_e32 v1, s13
	v_mad_u64_u32 v[2:3], s[0:1], s4, v24, 0
	v_mul_lo_u32 v4, s5, v24
	v_mul_lo_u32 v5, s4, v25
	s_add_i32 s0, s2, s2
	v_add3_u32 v3, v3, v5, v4
	v_add_u32_e32 v4, s0, v121
	v_add_u32_e32 v6, s2, v4
	;; [unrolled: 1-line block ×36, first 2 shown]
	v_lshl_add_u64 v[0:1], v[2:3], 2, v[0:1]
	v_add_u32_e32 v80, s2, v76
	v_lshl_add_u64 v[78:79], s[14:15], 2, v[0:1]
	v_ashrrev_i32_e32 v5, 31, v4
	v_ashrrev_i32_e32 v7, 31, v6
	;; [unrolled: 1-line block ×37, first 2 shown]
	v_lshl_add_u64 v[2:3], v[4:5], 2, v[78:79]
	v_lshl_add_u64 v[4:5], v[6:7], 2, v[78:79]
	;; [unrolled: 1-line block ×37, first 2 shown]
	v_add_u32_e32 v80, s2, v80
	v_lshlrev_b32_e32 v0, 2, v121
	v_mov_b32_e32 v1, 0
	v_ashrrev_i32_e32 v81, 31, v80
	v_lshl_add_u64 v[0:1], v[78:79], 0, v[0:1]
	v_lshl_add_u64 v[78:79], v[80:81], 2, v[78:79]
	global_load_dword v108, v[14:15], off
	global_load_dword v109, v[16:17], off
	;; [unrolled: 1-line block ×32, first 2 shown]
	s_ashr_i32 s3, s2, 31
	v_lshl_add_u64 v[118:119], s[2:3], 2, v[0:1]
	global_load_dword v114, v[2:3], off
	global_load_dword v115, v[4:5], off
	;; [unrolled: 1-line block ×8, first 2 shown]
	s_mulk_i32 s10, 0xa0
	s_movk_i32 s0, 0xa0
	s_add_i32 s1, s10, 0
	v_mad_u32_u24 v125, v123, s0, 0
	v_lshl_add_u32 v123, v123, 2, s1
	v_cmp_ne_u32_e64 s[2:3], 0, v121
	v_cmp_eq_u32_e64 s[0:1], 0, v121
	s_and_saveexec_b64 s[4:5], s[0:1]
	s_cbranch_execz .LBB79_4
; %bb.2:
	s_waitcnt vmcnt(1)
	ds_write_b32 v123, v120
	s_waitcnt vmcnt(0)
	ds_write2_b32 v125, v122, v114 offset0:1 offset1:2
	ds_write2_b32 v125, v115, v116 offset0:3 offset1:4
	;; [unrolled: 1-line block ×19, first 2 shown]
	ds_write_b32 v125, v111 offset:156
	ds_read_b32 v124, v123
	s_waitcnt lgkmcnt(0)
	v_cmp_neq_f32_e32 vcc, 0, v124
	s_and_b64 exec, exec, vcc
	s_cbranch_execz .LBB79_4
; %bb.3:
	v_div_scale_f32 v126, s[10:11], v124, v124, 1.0
	v_rcp_f32_e32 v127, v126
	v_div_scale_f32 v128, vcc, 1.0, v124, 1.0
	v_fma_f32 v129, -v126, v127, 1.0
	v_fmac_f32_e32 v127, v129, v127
	v_mul_f32_e32 v129, v128, v127
	v_fma_f32 v130, -v126, v129, v128
	v_fmac_f32_e32 v129, v130, v127
	v_fma_f32 v126, -v126, v129, v128
	v_div_fmas_f32 v126, v126, v127, v129
	v_div_fixup_f32 v124, v126, v124, 1.0
	ds_write_b32 v123, v124
.LBB79_4:
	s_or_b64 exec, exec, s[4:5]
	s_waitcnt lgkmcnt(0)
	s_barrier
	ds_read_b32 v124, v123
	s_and_saveexec_b64 s[4:5], s[2:3]
	s_cbranch_execz .LBB79_6
; %bb.5:
	ds_read_b32 v134, v125 offset:4
	ds_read2_b64 v[126:129], v125 offset0:1 offset1:2
	s_waitcnt vmcnt(1) lgkmcnt(2)
	v_mul_f32_e32 v120, v124, v120
	ds_read2_b64 v[130:133], v125 offset0:3 offset1:4
	s_waitcnt vmcnt(0) lgkmcnt(2)
	v_fma_f32 v122, -v120, v134, v122
	s_waitcnt lgkmcnt(1)
	v_pk_fma_f32 v[114:115], v[120:121], v[126:127], v[114:115] op_sel_hi:[0,1,1] neg_lo:[1,0,0] neg_hi:[1,0,0]
	ds_read2_b64 v[134:137], v125 offset0:5 offset1:6
	v_pk_fma_f32 v[116:117], v[120:121], v[128:129], v[116:117] op_sel_hi:[0,1,1] neg_lo:[1,0,0] neg_hi:[1,0,0]
	ds_read2_b64 v[126:129], v125 offset0:7 offset1:8
	s_waitcnt lgkmcnt(2)
	v_pk_fma_f32 v[112:113], v[120:121], v[130:131], v[112:113] op_sel_hi:[0,1,1] neg_lo:[1,0,0] neg_hi:[1,0,0]
	v_pk_fma_f32 v[108:109], v[120:121], v[132:133], v[108:109] op_sel_hi:[0,1,1] neg_lo:[1,0,0] neg_hi:[1,0,0]
	s_waitcnt lgkmcnt(1)
	v_pk_fma_f32 v[92:93], v[120:121], v[134:135], v[92:93] op_sel_hi:[0,1,1] neg_lo:[1,0,0] neg_hi:[1,0,0]
	ds_read2_b64 v[130:133], v125 offset0:9 offset1:10
	v_pk_fma_f32 v[106:107], v[120:121], v[136:137], v[106:107] op_sel_hi:[0,1,1] neg_lo:[1,0,0] neg_hi:[1,0,0]
	s_waitcnt lgkmcnt(1)
	v_pk_fma_f32 v[90:91], v[120:121], v[126:127], v[90:91] op_sel_hi:[0,1,1] neg_lo:[1,0,0] neg_hi:[1,0,0]
	ds_read2_b64 v[134:137], v125 offset0:11 offset1:12
	v_pk_fma_f32 v[104:105], v[120:121], v[128:129], v[104:105] op_sel_hi:[0,1,1] neg_lo:[1,0,0] neg_hi:[1,0,0]
	ds_read2_b64 v[126:129], v125 offset0:13 offset1:14
	s_waitcnt lgkmcnt(2)
	v_pk_fma_f32 v[88:89], v[120:121], v[130:131], v[88:89] op_sel_hi:[0,1,1] neg_lo:[1,0,0] neg_hi:[1,0,0]
	v_pk_fma_f32 v[102:103], v[120:121], v[132:133], v[102:103] op_sel_hi:[0,1,1] neg_lo:[1,0,0] neg_hi:[1,0,0]
	s_waitcnt lgkmcnt(1)
	v_pk_fma_f32 v[86:87], v[120:121], v[134:135], v[86:87] op_sel_hi:[0,1,1] neg_lo:[1,0,0] neg_hi:[1,0,0]
	v_pk_fma_f32 v[100:101], v[120:121], v[136:137], v[100:101] op_sel_hi:[0,1,1] neg_lo:[1,0,0] neg_hi:[1,0,0]
	ds_read2_b64 v[130:133], v125 offset0:15 offset1:16
	ds_read2_b64 v[134:137], v125 offset0:17 offset1:18
	s_waitcnt lgkmcnt(2)
	v_pk_fma_f32 v[84:85], v[120:121], v[126:127], v[84:85] op_sel_hi:[0,1,1] neg_lo:[1,0,0] neg_hi:[1,0,0]
	ds_read_b64 v[126:127], v125 offset:152
	v_pk_fma_f32 v[98:99], v[120:121], v[128:129], v[98:99] op_sel_hi:[0,1,1] neg_lo:[1,0,0] neg_hi:[1,0,0]
	s_waitcnt lgkmcnt(2)
	v_pk_fma_f32 v[82:83], v[120:121], v[130:131], v[82:83] op_sel_hi:[0,1,1] neg_lo:[1,0,0] neg_hi:[1,0,0]
	v_pk_fma_f32 v[96:97], v[120:121], v[132:133], v[96:97] op_sel_hi:[0,1,1] neg_lo:[1,0,0] neg_hi:[1,0,0]
	s_waitcnt lgkmcnt(1)
	v_pk_fma_f32 v[80:81], v[120:121], v[134:135], v[80:81] op_sel_hi:[0,1,1] neg_lo:[1,0,0] neg_hi:[1,0,0]
	;; [unrolled: 3-line block ×3, first 2 shown]
.LBB79_6:
	s_or_b64 exec, exec, s[4:5]
	v_cmp_eq_u32_e32 vcc, 1, v121
	s_waitcnt lgkmcnt(0)
	s_barrier
	s_and_saveexec_b64 s[2:3], vcc
	s_cbranch_execz .LBB79_9
; %bb.7:
	s_waitcnt vmcnt(0)
	ds_write_b32 v123, v122
	ds_write2_b64 v125, v[114:115], v[116:117] offset0:1 offset1:2
	ds_write2_b64 v125, v[112:113], v[108:109] offset0:3 offset1:4
	;; [unrolled: 1-line block ×9, first 2 shown]
	ds_write_b64 v125, v[110:111] offset:152
	ds_read_b32 v126, v123
	s_waitcnt lgkmcnt(0)
	v_cmp_neq_f32_e32 vcc, 0, v126
	s_and_b64 exec, exec, vcc
	s_cbranch_execz .LBB79_9
; %bb.8:
	v_div_scale_f32 v127, s[4:5], v126, v126, 1.0
	v_rcp_f32_e32 v128, v127
	v_div_scale_f32 v129, vcc, 1.0, v126, 1.0
	v_fma_f32 v130, -v127, v128, 1.0
	v_fmac_f32_e32 v128, v130, v128
	v_mul_f32_e32 v130, v129, v128
	v_fma_f32 v131, -v127, v130, v129
	v_fmac_f32_e32 v130, v131, v128
	v_fma_f32 v127, -v127, v130, v129
	v_div_fmas_f32 v127, v127, v128, v130
	v_div_fixup_f32 v126, v127, v126, 1.0
	ds_write_b32 v123, v126
.LBB79_9:
	s_or_b64 exec, exec, s[2:3]
	s_waitcnt lgkmcnt(0)
	s_barrier
	ds_read_b32 v126, v123
	v_cmp_lt_u32_e32 vcc, 1, v121
	s_and_saveexec_b64 s[2:3], vcc
	s_cbranch_execz .LBB79_11
; %bb.10:
	ds_read2_b64 v[128:131], v125 offset0:1 offset1:2
	ds_read2_b64 v[132:135], v125 offset0:3 offset1:4
	s_waitcnt vmcnt(0) lgkmcnt(2)
	v_mul_f32_e32 v122, v126, v122
	ds_read2_b64 v[136:139], v125 offset0:5 offset1:6
	s_waitcnt lgkmcnt(2)
	v_pk_fma_f32 v[114:115], v[122:123], v[128:129], v[114:115] op_sel_hi:[0,1,1] neg_lo:[1,0,0] neg_hi:[1,0,0]
	v_pk_fma_f32 v[116:117], v[122:123], v[130:131], v[116:117] op_sel_hi:[0,1,1] neg_lo:[1,0,0] neg_hi:[1,0,0]
	ds_read2_b64 v[128:131], v125 offset0:7 offset1:8
	s_waitcnt lgkmcnt(2)
	v_pk_fma_f32 v[112:113], v[122:123], v[132:133], v[112:113] op_sel_hi:[0,1,1] neg_lo:[1,0,0] neg_hi:[1,0,0]
	v_pk_fma_f32 v[108:109], v[122:123], v[134:135], v[108:109] op_sel_hi:[0,1,1] neg_lo:[1,0,0] neg_hi:[1,0,0]
	s_waitcnt lgkmcnt(1)
	v_pk_fma_f32 v[92:93], v[122:123], v[136:137], v[92:93] op_sel_hi:[0,1,1] neg_lo:[1,0,0] neg_hi:[1,0,0]
	ds_read2_b64 v[132:135], v125 offset0:9 offset1:10
	v_pk_fma_f32 v[106:107], v[122:123], v[138:139], v[106:107] op_sel_hi:[0,1,1] neg_lo:[1,0,0] neg_hi:[1,0,0]
	s_waitcnt lgkmcnt(1)
	v_pk_fma_f32 v[90:91], v[122:123], v[128:129], v[90:91] op_sel_hi:[0,1,1] neg_lo:[1,0,0] neg_hi:[1,0,0]
	ds_read2_b64 v[136:139], v125 offset0:11 offset1:12
	v_pk_fma_f32 v[104:105], v[122:123], v[130:131], v[104:105] op_sel_hi:[0,1,1] neg_lo:[1,0,0] neg_hi:[1,0,0]
	ds_read2_b64 v[128:131], v125 offset0:13 offset1:14
	s_waitcnt lgkmcnt(2)
	v_pk_fma_f32 v[88:89], v[122:123], v[132:133], v[88:89] op_sel_hi:[0,1,1] neg_lo:[1,0,0] neg_hi:[1,0,0]
	v_pk_fma_f32 v[102:103], v[122:123], v[134:135], v[102:103] op_sel_hi:[0,1,1] neg_lo:[1,0,0] neg_hi:[1,0,0]
	s_waitcnt lgkmcnt(1)
	v_pk_fma_f32 v[86:87], v[122:123], v[136:137], v[86:87] op_sel_hi:[0,1,1] neg_lo:[1,0,0] neg_hi:[1,0,0]
	v_pk_fma_f32 v[100:101], v[122:123], v[138:139], v[100:101] op_sel_hi:[0,1,1] neg_lo:[1,0,0] neg_hi:[1,0,0]
	ds_read2_b64 v[132:135], v125 offset0:15 offset1:16
	s_waitcnt lgkmcnt(1)
	v_pk_fma_f32 v[84:85], v[122:123], v[128:129], v[84:85] op_sel_hi:[0,1,1] neg_lo:[1,0,0] neg_hi:[1,0,0]
	ds_read2_b64 v[136:139], v125 offset0:17 offset1:18
	ds_read_b64 v[128:129], v125 offset:152
	v_pk_fma_f32 v[98:99], v[122:123], v[130:131], v[98:99] op_sel_hi:[0,1,1] neg_lo:[1,0,0] neg_hi:[1,0,0]
	s_waitcnt lgkmcnt(2)
	v_pk_fma_f32 v[82:83], v[122:123], v[132:133], v[82:83] op_sel_hi:[0,1,1] neg_lo:[1,0,0] neg_hi:[1,0,0]
	v_pk_fma_f32 v[96:97], v[122:123], v[134:135], v[96:97] op_sel_hi:[0,1,1] neg_lo:[1,0,0] neg_hi:[1,0,0]
	s_waitcnt lgkmcnt(1)
	v_pk_fma_f32 v[80:81], v[122:123], v[136:137], v[80:81] op_sel_hi:[0,1,1] neg_lo:[1,0,0] neg_hi:[1,0,0]
	;; [unrolled: 3-line block ×3, first 2 shown]
.LBB79_11:
	s_or_b64 exec, exec, s[2:3]
	v_cmp_eq_u32_e32 vcc, 2, v121
	s_waitcnt lgkmcnt(0)
	s_barrier
	s_and_saveexec_b64 s[2:3], vcc
	s_cbranch_execz .LBB79_14
; %bb.12:
	s_waitcnt vmcnt(4)
	v_pk_mov_b32 v[128:129], v[114:115], v[116:117] op_sel:[1,0]
	ds_write_b32 v123, v114
	ds_write2_b32 v125, v128, v129 offset0:3 offset1:4
	s_waitcnt vmcnt(2)
	v_pk_mov_b32 v[128:129], v[116:117], v[112:113] op_sel:[1,0]
	ds_write2_b32 v125, v128, v129 offset0:5 offset1:6
	v_pk_mov_b32 v[128:129], v[112:113], v[108:109] op_sel:[1,0]
	ds_write2_b32 v125, v128, v129 offset0:7 offset1:8
	;; [unrolled: 2-line block ×17, first 2 shown]
	ds_write_b32 v125, v111 offset:156
	ds_read_b32 v127, v123
	s_waitcnt lgkmcnt(0)
	v_cmp_neq_f32_e32 vcc, 0, v127
	s_and_b64 exec, exec, vcc
	s_cbranch_execz .LBB79_14
; %bb.13:
	v_div_scale_f32 v128, s[4:5], v127, v127, 1.0
	v_rcp_f32_e32 v129, v128
	v_div_scale_f32 v130, vcc, 1.0, v127, 1.0
	v_fma_f32 v131, -v128, v129, 1.0
	v_fmac_f32_e32 v129, v131, v129
	v_mul_f32_e32 v131, v130, v129
	v_fma_f32 v132, -v128, v131, v130
	v_fmac_f32_e32 v131, v132, v129
	v_fma_f32 v128, -v128, v131, v130
	v_div_fmas_f32 v128, v128, v129, v131
	v_div_fixup_f32 v127, v128, v127, 1.0
	ds_write_b32 v123, v127
.LBB79_14:
	s_or_b64 exec, exec, s[2:3]
	s_waitcnt lgkmcnt(0)
	s_barrier
	ds_read_b32 v127, v123
	v_cmp_lt_u32_e32 vcc, 2, v121
	s_and_saveexec_b64 s[2:3], vcc
	s_cbranch_execz .LBB79_16
; %bb.15:
	ds_read_b32 v140, v125 offset:12
	ds_read2_b64 v[128:131], v125 offset0:2 offset1:3
	ds_read2_b64 v[132:135], v125 offset0:4 offset1:5
	;; [unrolled: 1-line block ×3, first 2 shown]
	s_waitcnt vmcnt(7) lgkmcnt(4)
	v_mul_f32_e32 v114, v127, v114
	s_waitcnt vmcnt(6) lgkmcnt(3)
	v_fma_f32 v115, -v114, v140, v115
	s_waitcnt vmcnt(4) lgkmcnt(2)
	v_pk_fma_f32 v[116:117], v[114:115], v[128:129], v[116:117] op_sel_hi:[0,1,1] neg_lo:[1,0,0] neg_hi:[1,0,0]
	s_waitcnt vmcnt(2)
	v_pk_fma_f32 v[112:113], v[114:115], v[130:131], v[112:113] op_sel_hi:[0,1,1] neg_lo:[1,0,0] neg_hi:[1,0,0]
	s_waitcnt lgkmcnt(1)
	v_pk_fma_f32 v[108:109], v[114:115], v[132:133], v[108:109] op_sel_hi:[0,1,1] neg_lo:[1,0,0] neg_hi:[1,0,0]
	ds_read2_b64 v[128:131], v125 offset0:8 offset1:9
	v_pk_fma_f32 v[92:93], v[114:115], v[134:135], v[92:93] op_sel_hi:[0,1,1] neg_lo:[1,0,0] neg_hi:[1,0,0]
	s_waitcnt lgkmcnt(1)
	v_pk_fma_f32 v[106:107], v[114:115], v[136:137], v[106:107] op_sel_hi:[0,1,1] neg_lo:[1,0,0] neg_hi:[1,0,0]
	ds_read2_b64 v[132:135], v125 offset0:10 offset1:11
	v_pk_fma_f32 v[90:91], v[114:115], v[138:139], v[90:91] op_sel_hi:[0,1,1] neg_lo:[1,0,0] neg_hi:[1,0,0]
	ds_read2_b64 v[136:139], v125 offset0:12 offset1:13
	s_waitcnt lgkmcnt(2)
	v_pk_fma_f32 v[104:105], v[114:115], v[128:129], v[104:105] op_sel_hi:[0,1,1] neg_lo:[1,0,0] neg_hi:[1,0,0]
	v_pk_fma_f32 v[88:89], v[114:115], v[130:131], v[88:89] op_sel_hi:[0,1,1] neg_lo:[1,0,0] neg_hi:[1,0,0]
	s_waitcnt lgkmcnt(1)
	v_pk_fma_f32 v[102:103], v[114:115], v[132:133], v[102:103] op_sel_hi:[0,1,1] neg_lo:[1,0,0] neg_hi:[1,0,0]
	v_pk_fma_f32 v[86:87], v[114:115], v[134:135], v[86:87] op_sel_hi:[0,1,1] neg_lo:[1,0,0] neg_hi:[1,0,0]
	ds_read2_b64 v[128:131], v125 offset0:14 offset1:15
	s_waitcnt lgkmcnt(1)
	v_pk_fma_f32 v[100:101], v[114:115], v[136:137], v[100:101] op_sel_hi:[0,1,1] neg_lo:[1,0,0] neg_hi:[1,0,0]
	ds_read2_b64 v[132:135], v125 offset0:16 offset1:17
	v_pk_fma_f32 v[84:85], v[114:115], v[138:139], v[84:85] op_sel_hi:[0,1,1] neg_lo:[1,0,0] neg_hi:[1,0,0]
	ds_read2_b64 v[136:139], v125 offset0:18 offset1:19
	s_waitcnt lgkmcnt(2)
	v_pk_fma_f32 v[98:99], v[114:115], v[128:129], v[98:99] op_sel_hi:[0,1,1] neg_lo:[1,0,0] neg_hi:[1,0,0]
	v_pk_fma_f32 v[82:83], v[114:115], v[130:131], v[82:83] op_sel_hi:[0,1,1] neg_lo:[1,0,0] neg_hi:[1,0,0]
	s_waitcnt lgkmcnt(1)
	v_pk_fma_f32 v[96:97], v[114:115], v[132:133], v[96:97] op_sel_hi:[0,1,1] neg_lo:[1,0,0] neg_hi:[1,0,0]
	v_pk_fma_f32 v[80:81], v[114:115], v[134:135], v[80:81] op_sel_hi:[0,1,1] neg_lo:[1,0,0] neg_hi:[1,0,0]
	;; [unrolled: 3-line block ×3, first 2 shown]
.LBB79_16:
	s_or_b64 exec, exec, s[2:3]
	v_cmp_eq_u32_e32 vcc, 3, v121
	s_waitcnt lgkmcnt(0)
	s_barrier
	s_and_saveexec_b64 s[2:3], vcc
	s_cbranch_execz .LBB79_19
; %bb.17:
	s_waitcnt vmcnt(5)
	v_mov_b32_e32 v128, v116
	s_waitcnt vmcnt(4)
	v_mov_b32_e32 v129, v117
	s_waitcnt vmcnt(3)
	v_mov_b32_e32 v130, v112
	s_waitcnt vmcnt(2)
	v_mov_b32_e32 v131, v113
	ds_write_b32 v123, v115
	ds_write2_b64 v125, v[128:129], v[130:131] offset0:2 offset1:3
	v_mov_b32_e32 v128, v108
	v_mov_b32_e32 v129, v109
	v_mov_b32_e32 v130, v92
	v_mov_b32_e32 v131, v93
	ds_write2_b64 v125, v[128:129], v[130:131] offset0:4 offset1:5
	v_mov_b32_e32 v128, v106
	v_mov_b32_e32 v129, v107
	v_mov_b32_e32 v130, v90
	v_mov_b32_e32 v131, v91
	;; [unrolled: 5-line block ×7, first 2 shown]
	ds_write2_b64 v125, v[128:129], v[130:131] offset0:16 offset1:17
	v_mov_b32_e32 v128, v94
	v_mov_b32_e32 v129, v95
	ds_write2_b64 v125, v[128:129], v[110:111] offset0:18 offset1:19
	ds_read_b32 v128, v123
	s_waitcnt lgkmcnt(0)
	v_cmp_neq_f32_e32 vcc, 0, v128
	s_and_b64 exec, exec, vcc
	s_cbranch_execz .LBB79_19
; %bb.18:
	v_div_scale_f32 v129, s[4:5], v128, v128, 1.0
	v_rcp_f32_e32 v130, v129
	v_div_scale_f32 v131, vcc, 1.0, v128, 1.0
	v_fma_f32 v132, -v129, v130, 1.0
	v_fmac_f32_e32 v130, v132, v130
	v_mul_f32_e32 v132, v131, v130
	v_fma_f32 v133, -v129, v132, v131
	v_fmac_f32_e32 v132, v133, v130
	v_fma_f32 v129, -v129, v132, v131
	v_div_fmas_f32 v129, v129, v130, v132
	v_div_fixup_f32 v128, v129, v128, 1.0
	ds_write_b32 v123, v128
.LBB79_19:
	s_or_b64 exec, exec, s[2:3]
	s_waitcnt lgkmcnt(0)
	s_barrier
	ds_read_b32 v128, v123
	v_cmp_lt_u32_e32 vcc, 3, v121
	s_and_saveexec_b64 s[2:3], vcc
	s_cbranch_execz .LBB79_21
; %bb.20:
	ds_read2_b64 v[130:133], v125 offset0:2 offset1:3
	ds_read2_b64 v[134:137], v125 offset0:4 offset1:5
	ds_read2_b64 v[138:141], v125 offset0:6 offset1:7
	s_waitcnt vmcnt(6) lgkmcnt(3)
	v_mul_f32_e32 v142, v128, v115
	v_mov_b32_e32 v115, v142
	s_waitcnt vmcnt(4) lgkmcnt(2)
	v_pk_fma_f32 v[116:117], v[142:143], v[130:131], v[116:117] op_sel_hi:[0,1,1] neg_lo:[1,0,0] neg_hi:[1,0,0]
	s_waitcnt vmcnt(2)
	v_pk_fma_f32 v[112:113], v[142:143], v[132:133], v[112:113] op_sel_hi:[0,1,1] neg_lo:[1,0,0] neg_hi:[1,0,0]
	s_waitcnt lgkmcnt(1)
	v_pk_fma_f32 v[108:109], v[142:143], v[134:135], v[108:109] op_sel_hi:[0,1,1] neg_lo:[1,0,0] neg_hi:[1,0,0]
	ds_read2_b64 v[130:133], v125 offset0:8 offset1:9
	v_pk_fma_f32 v[92:93], v[142:143], v[136:137], v[92:93] op_sel_hi:[0,1,1] neg_lo:[1,0,0] neg_hi:[1,0,0]
	s_waitcnt lgkmcnt(1)
	v_pk_fma_f32 v[106:107], v[142:143], v[138:139], v[106:107] op_sel_hi:[0,1,1] neg_lo:[1,0,0] neg_hi:[1,0,0]
	ds_read2_b64 v[134:137], v125 offset0:10 offset1:11
	v_pk_fma_f32 v[90:91], v[142:143], v[140:141], v[90:91] op_sel_hi:[0,1,1] neg_lo:[1,0,0] neg_hi:[1,0,0]
	ds_read2_b64 v[138:141], v125 offset0:12 offset1:13
	s_waitcnt lgkmcnt(2)
	v_pk_fma_f32 v[104:105], v[142:143], v[130:131], v[104:105] op_sel_hi:[0,1,1] neg_lo:[1,0,0] neg_hi:[1,0,0]
	v_pk_fma_f32 v[88:89], v[142:143], v[132:133], v[88:89] op_sel_hi:[0,1,1] neg_lo:[1,0,0] neg_hi:[1,0,0]
	s_waitcnt lgkmcnt(1)
	v_pk_fma_f32 v[102:103], v[142:143], v[134:135], v[102:103] op_sel_hi:[0,1,1] neg_lo:[1,0,0] neg_hi:[1,0,0]
	v_pk_fma_f32 v[86:87], v[142:143], v[136:137], v[86:87] op_sel_hi:[0,1,1] neg_lo:[1,0,0] neg_hi:[1,0,0]
	ds_read2_b64 v[130:133], v125 offset0:14 offset1:15
	ds_read2_b64 v[134:137], v125 offset0:16 offset1:17
	s_waitcnt lgkmcnt(2)
	v_pk_fma_f32 v[100:101], v[142:143], v[138:139], v[100:101] op_sel_hi:[0,1,1] neg_lo:[1,0,0] neg_hi:[1,0,0]
	v_pk_fma_f32 v[84:85], v[142:143], v[140:141], v[84:85] op_sel_hi:[0,1,1] neg_lo:[1,0,0] neg_hi:[1,0,0]
	ds_read2_b64 v[138:141], v125 offset0:18 offset1:19
	s_waitcnt lgkmcnt(2)
	v_pk_fma_f32 v[98:99], v[142:143], v[130:131], v[98:99] op_sel_hi:[0,1,1] neg_lo:[1,0,0] neg_hi:[1,0,0]
	v_pk_fma_f32 v[82:83], v[142:143], v[132:133], v[82:83] op_sel_hi:[0,1,1] neg_lo:[1,0,0] neg_hi:[1,0,0]
	s_waitcnt lgkmcnt(1)
	v_pk_fma_f32 v[96:97], v[142:143], v[134:135], v[96:97] op_sel_hi:[0,1,1] neg_lo:[1,0,0] neg_hi:[1,0,0]
	v_pk_fma_f32 v[80:81], v[142:143], v[136:137], v[80:81] op_sel_hi:[0,1,1] neg_lo:[1,0,0] neg_hi:[1,0,0]
	;; [unrolled: 3-line block ×3, first 2 shown]
.LBB79_21:
	s_or_b64 exec, exec, s[2:3]
	v_cmp_eq_u32_e32 vcc, 4, v121
	s_waitcnt lgkmcnt(0)
	s_barrier
	s_and_saveexec_b64 s[2:3], vcc
	s_cbranch_execz .LBB79_24
; %bb.22:
	s_waitcnt vmcnt(2)
	v_pk_mov_b32 v[130:131], v[116:117], v[112:113] op_sel:[1,0]
	ds_write_b32 v123, v116
	ds_write2_b32 v125, v130, v131 offset0:5 offset1:6
	v_pk_mov_b32 v[130:131], v[112:113], v[108:109] op_sel:[1,0]
	ds_write2_b32 v125, v130, v131 offset0:7 offset1:8
	v_pk_mov_b32 v[130:131], v[108:109], v[92:93] op_sel:[1,0]
	;; [unrolled: 2-line block ×16, first 2 shown]
	ds_write2_b32 v125, v130, v131 offset0:37 offset1:38
	ds_write_b32 v125, v111 offset:156
	ds_read_b32 v129, v123
	s_waitcnt lgkmcnt(0)
	v_cmp_neq_f32_e32 vcc, 0, v129
	s_and_b64 exec, exec, vcc
	s_cbranch_execz .LBB79_24
; %bb.23:
	v_div_scale_f32 v130, s[4:5], v129, v129, 1.0
	v_rcp_f32_e32 v131, v130
	v_div_scale_f32 v132, vcc, 1.0, v129, 1.0
	v_fma_f32 v133, -v130, v131, 1.0
	v_fmac_f32_e32 v131, v133, v131
	v_mul_f32_e32 v133, v132, v131
	v_fma_f32 v134, -v130, v133, v132
	v_fmac_f32_e32 v133, v134, v131
	v_fma_f32 v130, -v130, v133, v132
	v_div_fmas_f32 v130, v130, v131, v133
	v_div_fixup_f32 v129, v130, v129, 1.0
	ds_write_b32 v123, v129
.LBB79_24:
	s_or_b64 exec, exec, s[2:3]
	s_waitcnt lgkmcnt(0)
	s_barrier
	ds_read_b32 v129, v123
	v_cmp_lt_u32_e32 vcc, 4, v121
	s_and_saveexec_b64 s[2:3], vcc
	s_cbranch_execz .LBB79_26
; %bb.25:
	ds_read_b32 v142, v125 offset:20
	ds_read2_b64 v[130:133], v125 offset0:3 offset1:4
	ds_read2_b64 v[134:137], v125 offset0:5 offset1:6
	;; [unrolled: 1-line block ×3, first 2 shown]
	s_waitcnt vmcnt(5) lgkmcnt(4)
	v_mul_f32_e32 v116, v129, v116
	s_waitcnt vmcnt(4) lgkmcnt(3)
	v_fma_f32 v117, -v116, v142, v117
	s_waitcnt vmcnt(2) lgkmcnt(2)
	v_pk_fma_f32 v[112:113], v[116:117], v[130:131], v[112:113] op_sel_hi:[0,1,1] neg_lo:[1,0,0] neg_hi:[1,0,0]
	v_pk_fma_f32 v[108:109], v[116:117], v[132:133], v[108:109] op_sel_hi:[0,1,1] neg_lo:[1,0,0] neg_hi:[1,0,0]
	s_waitcnt lgkmcnt(1)
	v_pk_fma_f32 v[92:93], v[116:117], v[134:135], v[92:93] op_sel_hi:[0,1,1] neg_lo:[1,0,0] neg_hi:[1,0,0]
	ds_read2_b64 v[130:133], v125 offset0:9 offset1:10
	v_pk_fma_f32 v[106:107], v[116:117], v[136:137], v[106:107] op_sel_hi:[0,1,1] neg_lo:[1,0,0] neg_hi:[1,0,0]
	s_waitcnt lgkmcnt(1)
	v_pk_fma_f32 v[90:91], v[116:117], v[138:139], v[90:91] op_sel_hi:[0,1,1] neg_lo:[1,0,0] neg_hi:[1,0,0]
	ds_read2_b64 v[134:137], v125 offset0:11 offset1:12
	v_pk_fma_f32 v[104:105], v[116:117], v[140:141], v[104:105] op_sel_hi:[0,1,1] neg_lo:[1,0,0] neg_hi:[1,0,0]
	ds_read2_b64 v[138:141], v125 offset0:13 offset1:14
	s_waitcnt lgkmcnt(2)
	v_pk_fma_f32 v[88:89], v[116:117], v[130:131], v[88:89] op_sel_hi:[0,1,1] neg_lo:[1,0,0] neg_hi:[1,0,0]
	v_pk_fma_f32 v[102:103], v[116:117], v[132:133], v[102:103] op_sel_hi:[0,1,1] neg_lo:[1,0,0] neg_hi:[1,0,0]
	s_waitcnt lgkmcnt(1)
	v_pk_fma_f32 v[86:87], v[116:117], v[134:135], v[86:87] op_sel_hi:[0,1,1] neg_lo:[1,0,0] neg_hi:[1,0,0]
	v_pk_fma_f32 v[100:101], v[116:117], v[136:137], v[100:101] op_sel_hi:[0,1,1] neg_lo:[1,0,0] neg_hi:[1,0,0]
	ds_read2_b64 v[130:133], v125 offset0:15 offset1:16
	s_waitcnt lgkmcnt(1)
	v_pk_fma_f32 v[84:85], v[116:117], v[138:139], v[84:85] op_sel_hi:[0,1,1] neg_lo:[1,0,0] neg_hi:[1,0,0]
	ds_read2_b64 v[134:137], v125 offset0:17 offset1:18
	ds_read_b64 v[138:139], v125 offset:152
	v_pk_fma_f32 v[98:99], v[116:117], v[140:141], v[98:99] op_sel_hi:[0,1,1] neg_lo:[1,0,0] neg_hi:[1,0,0]
	s_waitcnt lgkmcnt(2)
	v_pk_fma_f32 v[82:83], v[116:117], v[130:131], v[82:83] op_sel_hi:[0,1,1] neg_lo:[1,0,0] neg_hi:[1,0,0]
	v_pk_fma_f32 v[96:97], v[116:117], v[132:133], v[96:97] op_sel_hi:[0,1,1] neg_lo:[1,0,0] neg_hi:[1,0,0]
	s_waitcnt lgkmcnt(1)
	v_pk_fma_f32 v[80:81], v[116:117], v[134:135], v[80:81] op_sel_hi:[0,1,1] neg_lo:[1,0,0] neg_hi:[1,0,0]
	;; [unrolled: 3-line block ×3, first 2 shown]
.LBB79_26:
	s_or_b64 exec, exec, s[2:3]
	v_cmp_ne_u32_e32 vcc, 5, v121
	s_waitcnt lgkmcnt(0)
	s_barrier
	s_and_saveexec_b64 s[2:3], vcc
	s_xor_b64 s[2:3], exec, s[2:3]
	s_andn2_saveexec_b64 s[2:3], s[2:3]
	s_cbranch_execz .LBB79_30
; %bb.27:
	s_waitcnt vmcnt(4)
	ds_write_b32 v123, v117
	s_waitcnt vmcnt(2)
	ds_write2_b64 v125, v[112:113], v[108:109] offset0:3 offset1:4
	ds_write2_b64 v125, v[92:93], v[106:107] offset0:5 offset1:6
	;; [unrolled: 1-line block ×8, first 2 shown]
	ds_write_b64 v125, v[110:111] offset:152
	ds_read_b32 v130, v123
	s_waitcnt lgkmcnt(0)
	v_cmp_neq_f32_e32 vcc, 0, v130
	s_and_saveexec_b64 s[4:5], vcc
	s_cbranch_execz .LBB79_29
; %bb.28:
	v_div_scale_f32 v131, s[10:11], v130, v130, 1.0
	v_rcp_f32_e32 v132, v131
	v_div_scale_f32 v133, vcc, 1.0, v130, 1.0
	v_fma_f32 v134, -v131, v132, 1.0
	v_fmac_f32_e32 v132, v134, v132
	v_mul_f32_e32 v134, v133, v132
	v_fma_f32 v135, -v131, v134, v133
	v_fmac_f32_e32 v134, v135, v132
	v_fma_f32 v131, -v131, v134, v133
	v_div_fmas_f32 v131, v131, v132, v134
	v_div_fixup_f32 v130, v131, v130, 1.0
	ds_write_b32 v123, v130
.LBB79_29:
	s_or_b64 exec, exec, s[4:5]
.LBB79_30:
	s_or_b64 exec, exec, s[2:3]
	s_waitcnt lgkmcnt(0)
	s_barrier
	ds_read_b32 v130, v123
	v_cmp_lt_u32_e32 vcc, 5, v121
	s_and_saveexec_b64 s[2:3], vcc
	s_cbranch_execz .LBB79_32
; %bb.31:
	ds_read2_b64 v[132:135], v125 offset0:3 offset1:4
	ds_read2_b64 v[136:139], v125 offset0:5 offset1:6
	;; [unrolled: 1-line block ×3, first 2 shown]
	s_waitcnt vmcnt(4) lgkmcnt(3)
	v_mul_f32_e32 v144, v130, v117
	v_mov_b32_e32 v117, v144
	s_waitcnt vmcnt(2) lgkmcnt(2)
	v_pk_fma_f32 v[112:113], v[144:145], v[132:133], v[112:113] op_sel_hi:[0,1,1] neg_lo:[1,0,0] neg_hi:[1,0,0]
	v_pk_fma_f32 v[108:109], v[144:145], v[134:135], v[108:109] op_sel_hi:[0,1,1] neg_lo:[1,0,0] neg_hi:[1,0,0]
	s_waitcnt lgkmcnt(1)
	v_pk_fma_f32 v[92:93], v[144:145], v[136:137], v[92:93] op_sel_hi:[0,1,1] neg_lo:[1,0,0] neg_hi:[1,0,0]
	ds_read2_b64 v[132:135], v125 offset0:9 offset1:10
	v_pk_fma_f32 v[106:107], v[144:145], v[138:139], v[106:107] op_sel_hi:[0,1,1] neg_lo:[1,0,0] neg_hi:[1,0,0]
	s_waitcnt lgkmcnt(1)
	v_pk_fma_f32 v[90:91], v[144:145], v[140:141], v[90:91] op_sel_hi:[0,1,1] neg_lo:[1,0,0] neg_hi:[1,0,0]
	ds_read2_b64 v[136:139], v125 offset0:11 offset1:12
	v_pk_fma_f32 v[104:105], v[144:145], v[142:143], v[104:105] op_sel_hi:[0,1,1] neg_lo:[1,0,0] neg_hi:[1,0,0]
	ds_read2_b64 v[140:143], v125 offset0:13 offset1:14
	s_waitcnt lgkmcnt(2)
	v_pk_fma_f32 v[88:89], v[144:145], v[132:133], v[88:89] op_sel_hi:[0,1,1] neg_lo:[1,0,0] neg_hi:[1,0,0]
	v_pk_fma_f32 v[102:103], v[144:145], v[134:135], v[102:103] op_sel_hi:[0,1,1] neg_lo:[1,0,0] neg_hi:[1,0,0]
	s_waitcnt lgkmcnt(1)
	v_pk_fma_f32 v[86:87], v[144:145], v[136:137], v[86:87] op_sel_hi:[0,1,1] neg_lo:[1,0,0] neg_hi:[1,0,0]
	v_pk_fma_f32 v[100:101], v[144:145], v[138:139], v[100:101] op_sel_hi:[0,1,1] neg_lo:[1,0,0] neg_hi:[1,0,0]
	ds_read2_b64 v[132:135], v125 offset0:15 offset1:16
	ds_read2_b64 v[136:139], v125 offset0:17 offset1:18
	s_waitcnt lgkmcnt(2)
	v_pk_fma_f32 v[84:85], v[144:145], v[140:141], v[84:85] op_sel_hi:[0,1,1] neg_lo:[1,0,0] neg_hi:[1,0,0]
	ds_read_b64 v[140:141], v125 offset:152
	v_pk_fma_f32 v[98:99], v[144:145], v[142:143], v[98:99] op_sel_hi:[0,1,1] neg_lo:[1,0,0] neg_hi:[1,0,0]
	s_waitcnt lgkmcnt(2)
	v_pk_fma_f32 v[82:83], v[144:145], v[132:133], v[82:83] op_sel_hi:[0,1,1] neg_lo:[1,0,0] neg_hi:[1,0,0]
	v_pk_fma_f32 v[96:97], v[144:145], v[134:135], v[96:97] op_sel_hi:[0,1,1] neg_lo:[1,0,0] neg_hi:[1,0,0]
	s_waitcnt lgkmcnt(1)
	v_pk_fma_f32 v[80:81], v[144:145], v[136:137], v[80:81] op_sel_hi:[0,1,1] neg_lo:[1,0,0] neg_hi:[1,0,0]
	;; [unrolled: 3-line block ×3, first 2 shown]
.LBB79_32:
	s_or_b64 exec, exec, s[2:3]
	v_cmp_eq_u32_e32 vcc, 6, v121
	s_waitcnt lgkmcnt(0)
	s_barrier
	s_and_saveexec_b64 s[2:3], vcc
	s_cbranch_execz .LBB79_35
; %bb.33:
	s_waitcnt vmcnt(2)
	v_pk_mov_b32 v[132:133], v[112:113], v[108:109] op_sel:[1,0]
	ds_write_b32 v123, v112
	ds_write2_b32 v125, v132, v133 offset0:7 offset1:8
	v_pk_mov_b32 v[132:133], v[108:109], v[92:93] op_sel:[1,0]
	ds_write2_b32 v125, v132, v133 offset0:9 offset1:10
	v_pk_mov_b32 v[132:133], v[92:93], v[106:107] op_sel:[1,0]
	;; [unrolled: 2-line block ×15, first 2 shown]
	ds_write2_b32 v125, v132, v133 offset0:37 offset1:38
	ds_write_b32 v125, v111 offset:156
	ds_read_b32 v131, v123
	s_waitcnt lgkmcnt(0)
	v_cmp_neq_f32_e32 vcc, 0, v131
	s_and_b64 exec, exec, vcc
	s_cbranch_execz .LBB79_35
; %bb.34:
	v_div_scale_f32 v132, s[4:5], v131, v131, 1.0
	v_rcp_f32_e32 v133, v132
	v_div_scale_f32 v134, vcc, 1.0, v131, 1.0
	v_fma_f32 v135, -v132, v133, 1.0
	v_fmac_f32_e32 v133, v135, v133
	v_mul_f32_e32 v135, v134, v133
	v_fma_f32 v136, -v132, v135, v134
	v_fmac_f32_e32 v135, v136, v133
	v_fma_f32 v132, -v132, v135, v134
	v_div_fmas_f32 v132, v132, v133, v135
	v_div_fixup_f32 v131, v132, v131, 1.0
	ds_write_b32 v123, v131
.LBB79_35:
	s_or_b64 exec, exec, s[2:3]
	s_waitcnt lgkmcnt(0)
	s_barrier
	ds_read_b32 v131, v123
	v_cmp_lt_u32_e32 vcc, 6, v121
	s_and_saveexec_b64 s[2:3], vcc
	s_cbranch_execz .LBB79_37
; %bb.36:
	ds_read_b32 v144, v125 offset:28
	ds_read2_b64 v[132:135], v125 offset0:4 offset1:5
	ds_read2_b64 v[136:139], v125 offset0:6 offset1:7
	;; [unrolled: 1-line block ×3, first 2 shown]
	s_waitcnt vmcnt(3) lgkmcnt(4)
	v_mul_f32_e32 v112, v131, v112
	s_waitcnt vmcnt(2) lgkmcnt(3)
	v_fma_f32 v113, -v112, v144, v113
	s_waitcnt lgkmcnt(2)
	v_pk_fma_f32 v[108:109], v[112:113], v[132:133], v[108:109] op_sel_hi:[0,1,1] neg_lo:[1,0,0] neg_hi:[1,0,0]
	v_pk_fma_f32 v[92:93], v[112:113], v[134:135], v[92:93] op_sel_hi:[0,1,1] neg_lo:[1,0,0] neg_hi:[1,0,0]
	s_waitcnt lgkmcnt(1)
	v_pk_fma_f32 v[106:107], v[112:113], v[136:137], v[106:107] op_sel_hi:[0,1,1] neg_lo:[1,0,0] neg_hi:[1,0,0]
	ds_read2_b64 v[132:135], v125 offset0:10 offset1:11
	v_pk_fma_f32 v[90:91], v[112:113], v[138:139], v[90:91] op_sel_hi:[0,1,1] neg_lo:[1,0,0] neg_hi:[1,0,0]
	ds_read2_b64 v[136:139], v125 offset0:12 offset1:13
	s_waitcnt lgkmcnt(2)
	v_pk_fma_f32 v[104:105], v[112:113], v[140:141], v[104:105] op_sel_hi:[0,1,1] neg_lo:[1,0,0] neg_hi:[1,0,0]
	v_pk_fma_f32 v[88:89], v[112:113], v[142:143], v[88:89] op_sel_hi:[0,1,1] neg_lo:[1,0,0] neg_hi:[1,0,0]
	s_waitcnt lgkmcnt(1)
	v_pk_fma_f32 v[102:103], v[112:113], v[132:133], v[102:103] op_sel_hi:[0,1,1] neg_lo:[1,0,0] neg_hi:[1,0,0]
	v_pk_fma_f32 v[86:87], v[112:113], v[134:135], v[86:87] op_sel_hi:[0,1,1] neg_lo:[1,0,0] neg_hi:[1,0,0]
	ds_read2_b64 v[132:135], v125 offset0:14 offset1:15
	ds_read2_b64 v[140:143], v125 offset0:16 offset1:17
	s_waitcnt lgkmcnt(2)
	v_pk_fma_f32 v[100:101], v[112:113], v[136:137], v[100:101] op_sel_hi:[0,1,1] neg_lo:[1,0,0] neg_hi:[1,0,0]
	v_pk_fma_f32 v[84:85], v[112:113], v[138:139], v[84:85] op_sel_hi:[0,1,1] neg_lo:[1,0,0] neg_hi:[1,0,0]
	ds_read2_b64 v[136:139], v125 offset0:18 offset1:19
	s_waitcnt lgkmcnt(2)
	v_pk_fma_f32 v[98:99], v[112:113], v[132:133], v[98:99] op_sel_hi:[0,1,1] neg_lo:[1,0,0] neg_hi:[1,0,0]
	v_pk_fma_f32 v[82:83], v[112:113], v[134:135], v[82:83] op_sel_hi:[0,1,1] neg_lo:[1,0,0] neg_hi:[1,0,0]
	s_waitcnt lgkmcnt(1)
	v_pk_fma_f32 v[96:97], v[112:113], v[140:141], v[96:97] op_sel_hi:[0,1,1] neg_lo:[1,0,0] neg_hi:[1,0,0]
	v_pk_fma_f32 v[80:81], v[112:113], v[142:143], v[80:81] op_sel_hi:[0,1,1] neg_lo:[1,0,0] neg_hi:[1,0,0]
	s_waitcnt lgkmcnt(0)
	v_pk_fma_f32 v[94:95], v[112:113], v[136:137], v[94:95] op_sel_hi:[0,1,1] neg_lo:[1,0,0] neg_hi:[1,0,0]
	v_pk_fma_f32 v[110:111], v[112:113], v[138:139], v[110:111] op_sel_hi:[0,1,1] neg_lo:[1,0,0] neg_hi:[1,0,0]
.LBB79_37:
	s_or_b64 exec, exec, s[2:3]
	v_cmp_ne_u32_e32 vcc, 7, v121
	s_waitcnt lgkmcnt(0)
	s_barrier
	s_and_saveexec_b64 s[2:3], vcc
	s_xor_b64 s[2:3], exec, s[2:3]
	s_andn2_saveexec_b64 s[2:3], s[2:3]
	s_cbranch_execz .LBB79_41
; %bb.38:
	s_waitcnt vmcnt(39)
	v_mov_b32_e32 v132, v108
	s_waitcnt vmcnt(38)
	v_mov_b32_e32 v133, v109
	;; [unrolled: 2-line block ×4, first 2 shown]
	s_waitcnt vmcnt(2)
	ds_write_b32 v123, v113
	ds_write2_b64 v125, v[132:133], v[134:135] offset0:4 offset1:5
	v_mov_b32_e32 v132, v106
	v_mov_b32_e32 v133, v107
	v_mov_b32_e32 v134, v90
	v_mov_b32_e32 v135, v91
	ds_write2_b64 v125, v[132:133], v[134:135] offset0:6 offset1:7
	v_mov_b32_e32 v132, v104
	v_mov_b32_e32 v133, v105
	v_mov_b32_e32 v134, v88
	v_mov_b32_e32 v135, v89
	;; [unrolled: 5-line block ×6, first 2 shown]
	ds_write2_b64 v125, v[132:133], v[134:135] offset0:16 offset1:17
	v_mov_b32_e32 v132, v94
	v_mov_b32_e32 v133, v95
	ds_write2_b64 v125, v[132:133], v[110:111] offset0:18 offset1:19
	ds_read_b32 v132, v123
	s_waitcnt lgkmcnt(0)
	v_cmp_neq_f32_e32 vcc, 0, v132
	s_and_saveexec_b64 s[4:5], vcc
	s_cbranch_execz .LBB79_40
; %bb.39:
	v_div_scale_f32 v133, s[10:11], v132, v132, 1.0
	v_rcp_f32_e32 v134, v133
	v_div_scale_f32 v135, vcc, 1.0, v132, 1.0
	v_fma_f32 v136, -v133, v134, 1.0
	v_fmac_f32_e32 v134, v136, v134
	v_mul_f32_e32 v136, v135, v134
	v_fma_f32 v137, -v133, v136, v135
	v_fmac_f32_e32 v136, v137, v134
	v_fma_f32 v133, -v133, v136, v135
	v_div_fmas_f32 v133, v133, v134, v136
	v_div_fixup_f32 v132, v133, v132, 1.0
	ds_write_b32 v123, v132
.LBB79_40:
	s_or_b64 exec, exec, s[4:5]
.LBB79_41:
	s_or_b64 exec, exec, s[2:3]
	s_waitcnt lgkmcnt(0)
	s_barrier
	ds_read_b32 v132, v123
	v_cmp_lt_u32_e32 vcc, 7, v121
	s_and_saveexec_b64 s[2:3], vcc
	s_cbranch_execz .LBB79_43
; %bb.42:
	ds_read2_b64 v[134:137], v125 offset0:4 offset1:5
	ds_read2_b64 v[138:141], v125 offset0:6 offset1:7
	s_waitcnt vmcnt(2) lgkmcnt(2)
	v_mul_f32_e32 v146, v132, v113
	ds_read2_b64 v[142:145], v125 offset0:8 offset1:9
	v_mov_b32_e32 v113, v146
	s_waitcnt lgkmcnt(2)
	v_pk_fma_f32 v[108:109], v[146:147], v[134:135], v[108:109] op_sel_hi:[0,1,1] neg_lo:[1,0,0] neg_hi:[1,0,0]
	v_pk_fma_f32 v[92:93], v[146:147], v[136:137], v[92:93] op_sel_hi:[0,1,1] neg_lo:[1,0,0] neg_hi:[1,0,0]
	s_waitcnt lgkmcnt(1)
	v_pk_fma_f32 v[106:107], v[146:147], v[138:139], v[106:107] op_sel_hi:[0,1,1] neg_lo:[1,0,0] neg_hi:[1,0,0]
	ds_read2_b64 v[134:137], v125 offset0:10 offset1:11
	v_pk_fma_f32 v[90:91], v[146:147], v[140:141], v[90:91] op_sel_hi:[0,1,1] neg_lo:[1,0,0] neg_hi:[1,0,0]
	ds_read2_b64 v[138:141], v125 offset0:12 offset1:13
	s_waitcnt lgkmcnt(2)
	v_pk_fma_f32 v[104:105], v[146:147], v[142:143], v[104:105] op_sel_hi:[0,1,1] neg_lo:[1,0,0] neg_hi:[1,0,0]
	v_pk_fma_f32 v[88:89], v[146:147], v[144:145], v[88:89] op_sel_hi:[0,1,1] neg_lo:[1,0,0] neg_hi:[1,0,0]
	s_waitcnt lgkmcnt(1)
	v_pk_fma_f32 v[102:103], v[146:147], v[134:135], v[102:103] op_sel_hi:[0,1,1] neg_lo:[1,0,0] neg_hi:[1,0,0]
	v_pk_fma_f32 v[86:87], v[146:147], v[136:137], v[86:87] op_sel_hi:[0,1,1] neg_lo:[1,0,0] neg_hi:[1,0,0]
	ds_read2_b64 v[134:137], v125 offset0:14 offset1:15
	s_waitcnt lgkmcnt(1)
	v_pk_fma_f32 v[100:101], v[146:147], v[138:139], v[100:101] op_sel_hi:[0,1,1] neg_lo:[1,0,0] neg_hi:[1,0,0]
	ds_read2_b64 v[142:145], v125 offset0:16 offset1:17
	v_pk_fma_f32 v[84:85], v[146:147], v[140:141], v[84:85] op_sel_hi:[0,1,1] neg_lo:[1,0,0] neg_hi:[1,0,0]
	ds_read2_b64 v[138:141], v125 offset0:18 offset1:19
	s_waitcnt lgkmcnt(2)
	v_pk_fma_f32 v[98:99], v[146:147], v[134:135], v[98:99] op_sel_hi:[0,1,1] neg_lo:[1,0,0] neg_hi:[1,0,0]
	v_pk_fma_f32 v[82:83], v[146:147], v[136:137], v[82:83] op_sel_hi:[0,1,1] neg_lo:[1,0,0] neg_hi:[1,0,0]
	s_waitcnt lgkmcnt(1)
	v_pk_fma_f32 v[96:97], v[146:147], v[142:143], v[96:97] op_sel_hi:[0,1,1] neg_lo:[1,0,0] neg_hi:[1,0,0]
	v_pk_fma_f32 v[80:81], v[146:147], v[144:145], v[80:81] op_sel_hi:[0,1,1] neg_lo:[1,0,0] neg_hi:[1,0,0]
	;; [unrolled: 3-line block ×3, first 2 shown]
.LBB79_43:
	s_or_b64 exec, exec, s[2:3]
	v_cmp_eq_u32_e32 vcc, 8, v121
	s_waitcnt lgkmcnt(0)
	s_barrier
	s_and_saveexec_b64 s[2:3], vcc
	s_cbranch_execz .LBB79_46
; %bb.44:
	s_waitcnt vmcnt(36)
	v_pk_mov_b32 v[134:135], v[108:109], v[92:93] op_sel:[1,0]
	ds_write_b32 v123, v108
	ds_write2_b32 v125, v134, v135 offset0:9 offset1:10
	s_waitcnt vmcnt(34)
	v_pk_mov_b32 v[134:135], v[92:93], v[106:107] op_sel:[1,0]
	ds_write2_b32 v125, v134, v135 offset0:11 offset1:12
	s_waitcnt vmcnt(32)
	v_pk_mov_b32 v[134:135], v[106:107], v[90:91] op_sel:[1,0]
	;; [unrolled: 3-line block ×14, first 2 shown]
	ds_write2_b32 v125, v134, v135 offset0:37 offset1:38
	ds_write_b32 v125, v111 offset:156
	ds_read_b32 v133, v123
	s_waitcnt lgkmcnt(0)
	v_cmp_neq_f32_e32 vcc, 0, v133
	s_and_b64 exec, exec, vcc
	s_cbranch_execz .LBB79_46
; %bb.45:
	v_div_scale_f32 v134, s[4:5], v133, v133, 1.0
	v_rcp_f32_e32 v135, v134
	v_div_scale_f32 v136, vcc, 1.0, v133, 1.0
	v_fma_f32 v137, -v134, v135, 1.0
	v_fmac_f32_e32 v135, v137, v135
	v_mul_f32_e32 v137, v136, v135
	v_fma_f32 v138, -v134, v137, v136
	v_fmac_f32_e32 v137, v138, v135
	v_fma_f32 v134, -v134, v137, v136
	v_div_fmas_f32 v134, v134, v135, v137
	v_div_fixup_f32 v133, v134, v133, 1.0
	ds_write_b32 v123, v133
.LBB79_46:
	s_or_b64 exec, exec, s[2:3]
	s_waitcnt lgkmcnt(0)
	s_barrier
	ds_read_b32 v133, v123
	v_cmp_lt_u32_e32 vcc, 8, v121
	s_and_saveexec_b64 s[2:3], vcc
	s_cbranch_execz .LBB79_48
; %bb.47:
	ds_read_b32 v146, v125 offset:36
	ds_read2_b64 v[134:137], v125 offset0:5 offset1:6
	ds_read2_b64 v[138:141], v125 offset0:7 offset1:8
	;; [unrolled: 1-line block ×3, first 2 shown]
	s_waitcnt vmcnt(39) lgkmcnt(4)
	v_mul_f32_e32 v108, v133, v108
	s_waitcnt vmcnt(38) lgkmcnt(3)
	v_fma_f32 v109, -v108, v146, v109
	s_waitcnt vmcnt(36) lgkmcnt(2)
	v_pk_fma_f32 v[92:93], v[108:109], v[134:135], v[92:93] op_sel_hi:[0,1,1] neg_lo:[1,0,0] neg_hi:[1,0,0]
	s_waitcnt vmcnt(34)
	v_pk_fma_f32 v[106:107], v[108:109], v[136:137], v[106:107] op_sel_hi:[0,1,1] neg_lo:[1,0,0] neg_hi:[1,0,0]
	s_waitcnt vmcnt(32) lgkmcnt(1)
	v_pk_fma_f32 v[90:91], v[108:109], v[138:139], v[90:91] op_sel_hi:[0,1,1] neg_lo:[1,0,0] neg_hi:[1,0,0]
	ds_read2_b64 v[134:137], v125 offset0:11 offset1:12
	s_waitcnt vmcnt(30)
	v_pk_fma_f32 v[104:105], v[108:109], v[140:141], v[104:105] op_sel_hi:[0,1,1] neg_lo:[1,0,0] neg_hi:[1,0,0]
	ds_read2_b64 v[138:141], v125 offset0:13 offset1:14
	s_waitcnt vmcnt(28) lgkmcnt(2)
	v_pk_fma_f32 v[88:89], v[108:109], v[142:143], v[88:89] op_sel_hi:[0,1,1] neg_lo:[1,0,0] neg_hi:[1,0,0]
	s_waitcnt vmcnt(26)
	v_pk_fma_f32 v[102:103], v[108:109], v[144:145], v[102:103] op_sel_hi:[0,1,1] neg_lo:[1,0,0] neg_hi:[1,0,0]
	s_waitcnt vmcnt(24) lgkmcnt(1)
	v_pk_fma_f32 v[86:87], v[108:109], v[134:135], v[86:87] op_sel_hi:[0,1,1] neg_lo:[1,0,0] neg_hi:[1,0,0]
	s_waitcnt vmcnt(22)
	v_pk_fma_f32 v[100:101], v[108:109], v[136:137], v[100:101] op_sel_hi:[0,1,1] neg_lo:[1,0,0] neg_hi:[1,0,0]
	ds_read2_b64 v[134:137], v125 offset0:15 offset1:16
	ds_read2_b64 v[142:145], v125 offset0:17 offset1:18
	s_waitcnt vmcnt(20) lgkmcnt(2)
	v_pk_fma_f32 v[84:85], v[108:109], v[138:139], v[84:85] op_sel_hi:[0,1,1] neg_lo:[1,0,0] neg_hi:[1,0,0]
	ds_read_b64 v[138:139], v125 offset:152
	s_waitcnt vmcnt(18)
	v_pk_fma_f32 v[98:99], v[108:109], v[140:141], v[98:99] op_sel_hi:[0,1,1] neg_lo:[1,0,0] neg_hi:[1,0,0]
	s_waitcnt vmcnt(16) lgkmcnt(2)
	v_pk_fma_f32 v[82:83], v[108:109], v[134:135], v[82:83] op_sel_hi:[0,1,1] neg_lo:[1,0,0] neg_hi:[1,0,0]
	s_waitcnt vmcnt(14)
	v_pk_fma_f32 v[96:97], v[108:109], v[136:137], v[96:97] op_sel_hi:[0,1,1] neg_lo:[1,0,0] neg_hi:[1,0,0]
	s_waitcnt vmcnt(12) lgkmcnt(1)
	v_pk_fma_f32 v[80:81], v[108:109], v[142:143], v[80:81] op_sel_hi:[0,1,1] neg_lo:[1,0,0] neg_hi:[1,0,0]
	;; [unrolled: 4-line block ×3, first 2 shown]
.LBB79_48:
	s_or_b64 exec, exec, s[2:3]
	v_cmp_ne_u32_e32 vcc, 9, v121
	s_waitcnt lgkmcnt(0)
	s_barrier
	s_and_saveexec_b64 s[2:3], vcc
	s_xor_b64 s[2:3], exec, s[2:3]
	s_andn2_saveexec_b64 s[2:3], s[2:3]
	s_cbranch_execz .LBB79_52
; %bb.49:
	s_waitcnt vmcnt(38)
	ds_write_b32 v123, v109
	s_waitcnt vmcnt(34)
	ds_write2_b64 v125, v[92:93], v[106:107] offset0:5 offset1:6
	s_waitcnt vmcnt(30)
	ds_write2_b64 v125, v[90:91], v[104:105] offset0:7 offset1:8
	;; [unrolled: 2-line block ×7, first 2 shown]
	s_waitcnt vmcnt(8)
	ds_write_b64 v125, v[110:111] offset:152
	ds_read_b32 v134, v123
	s_waitcnt lgkmcnt(0)
	v_cmp_neq_f32_e32 vcc, 0, v134
	s_and_saveexec_b64 s[4:5], vcc
	s_cbranch_execz .LBB79_51
; %bb.50:
	v_div_scale_f32 v135, s[10:11], v134, v134, 1.0
	v_rcp_f32_e32 v136, v135
	v_div_scale_f32 v137, vcc, 1.0, v134, 1.0
	v_fma_f32 v138, -v135, v136, 1.0
	v_fmac_f32_e32 v136, v138, v136
	v_mul_f32_e32 v138, v137, v136
	v_fma_f32 v139, -v135, v138, v137
	v_fmac_f32_e32 v138, v139, v136
	v_fma_f32 v135, -v135, v138, v137
	v_div_fmas_f32 v135, v135, v136, v138
	v_div_fixup_f32 v134, v135, v134, 1.0
	ds_write_b32 v123, v134
.LBB79_51:
	s_or_b64 exec, exec, s[4:5]
.LBB79_52:
	s_or_b64 exec, exec, s[2:3]
	s_waitcnt lgkmcnt(0)
	s_barrier
	ds_read_b32 v134, v123
	v_cmp_lt_u32_e32 vcc, 9, v121
	s_and_saveexec_b64 s[2:3], vcc
	s_cbranch_execz .LBB79_54
; %bb.53:
	ds_read2_b64 v[136:139], v125 offset0:5 offset1:6
	ds_read2_b64 v[140:143], v125 offset0:7 offset1:8
	s_waitcnt vmcnt(38) lgkmcnt(2)
	v_mul_f32_e32 v148, v134, v109
	ds_read2_b64 v[144:147], v125 offset0:9 offset1:10
	v_mov_b32_e32 v109, v148
	s_waitcnt vmcnt(36) lgkmcnt(2)
	v_pk_fma_f32 v[92:93], v[148:149], v[136:137], v[92:93] op_sel_hi:[0,1,1] neg_lo:[1,0,0] neg_hi:[1,0,0]
	s_waitcnt vmcnt(34)
	v_pk_fma_f32 v[106:107], v[148:149], v[138:139], v[106:107] op_sel_hi:[0,1,1] neg_lo:[1,0,0] neg_hi:[1,0,0]
	s_waitcnt vmcnt(32) lgkmcnt(1)
	v_pk_fma_f32 v[90:91], v[148:149], v[140:141], v[90:91] op_sel_hi:[0,1,1] neg_lo:[1,0,0] neg_hi:[1,0,0]
	ds_read2_b64 v[136:139], v125 offset0:11 offset1:12
	s_waitcnt vmcnt(30)
	v_pk_fma_f32 v[104:105], v[148:149], v[142:143], v[104:105] op_sel_hi:[0,1,1] neg_lo:[1,0,0] neg_hi:[1,0,0]
	ds_read2_b64 v[140:143], v125 offset0:13 offset1:14
	s_waitcnt vmcnt(28) lgkmcnt(2)
	v_pk_fma_f32 v[88:89], v[148:149], v[144:145], v[88:89] op_sel_hi:[0,1,1] neg_lo:[1,0,0] neg_hi:[1,0,0]
	s_waitcnt vmcnt(26)
	v_pk_fma_f32 v[102:103], v[148:149], v[146:147], v[102:103] op_sel_hi:[0,1,1] neg_lo:[1,0,0] neg_hi:[1,0,0]
	s_waitcnt vmcnt(24) lgkmcnt(1)
	v_pk_fma_f32 v[86:87], v[148:149], v[136:137], v[86:87] op_sel_hi:[0,1,1] neg_lo:[1,0,0] neg_hi:[1,0,0]
	s_waitcnt vmcnt(22)
	v_pk_fma_f32 v[100:101], v[148:149], v[138:139], v[100:101] op_sel_hi:[0,1,1] neg_lo:[1,0,0] neg_hi:[1,0,0]
	ds_read2_b64 v[136:139], v125 offset0:15 offset1:16
	s_waitcnt vmcnt(20) lgkmcnt(1)
	v_pk_fma_f32 v[84:85], v[148:149], v[140:141], v[84:85] op_sel_hi:[0,1,1] neg_lo:[1,0,0] neg_hi:[1,0,0]
	ds_read2_b64 v[144:147], v125 offset0:17 offset1:18
	ds_read_b64 v[140:141], v125 offset:152
	s_waitcnt vmcnt(18)
	v_pk_fma_f32 v[98:99], v[148:149], v[142:143], v[98:99] op_sel_hi:[0,1,1] neg_lo:[1,0,0] neg_hi:[1,0,0]
	s_waitcnt vmcnt(16) lgkmcnt(2)
	v_pk_fma_f32 v[82:83], v[148:149], v[136:137], v[82:83] op_sel_hi:[0,1,1] neg_lo:[1,0,0] neg_hi:[1,0,0]
	s_waitcnt vmcnt(14)
	v_pk_fma_f32 v[96:97], v[148:149], v[138:139], v[96:97] op_sel_hi:[0,1,1] neg_lo:[1,0,0] neg_hi:[1,0,0]
	s_waitcnt vmcnt(12) lgkmcnt(1)
	v_pk_fma_f32 v[80:81], v[148:149], v[144:145], v[80:81] op_sel_hi:[0,1,1] neg_lo:[1,0,0] neg_hi:[1,0,0]
	;; [unrolled: 4-line block ×3, first 2 shown]
.LBB79_54:
	s_or_b64 exec, exec, s[2:3]
	v_cmp_eq_u32_e32 vcc, 10, v121
	s_waitcnt lgkmcnt(0)
	s_barrier
	s_and_saveexec_b64 s[2:3], vcc
	s_cbranch_execz .LBB79_57
; %bb.55:
	s_waitcnt vmcnt(34)
	v_pk_mov_b32 v[136:137], v[92:93], v[106:107] op_sel:[1,0]
	ds_write_b32 v123, v92
	ds_write2_b32 v125, v136, v137 offset0:11 offset1:12
	s_waitcnt vmcnt(32)
	v_pk_mov_b32 v[136:137], v[106:107], v[90:91] op_sel:[1,0]
	ds_write2_b32 v125, v136, v137 offset0:13 offset1:14
	s_waitcnt vmcnt(30)
	v_pk_mov_b32 v[136:137], v[90:91], v[104:105] op_sel:[1,0]
	ds_write2_b32 v125, v136, v137 offset0:15 offset1:16
	s_waitcnt vmcnt(28)
	v_pk_mov_b32 v[136:137], v[104:105], v[88:89] op_sel:[1,0]
	ds_write2_b32 v125, v136, v137 offset0:17 offset1:18
	s_waitcnt vmcnt(26)
	v_pk_mov_b32 v[136:137], v[88:89], v[102:103] op_sel:[1,0]
	ds_write2_b32 v125, v136, v137 offset0:19 offset1:20
	s_waitcnt vmcnt(24)
	v_pk_mov_b32 v[136:137], v[102:103], v[86:87] op_sel:[1,0]
	ds_write2_b32 v125, v136, v137 offset0:21 offset1:22
	s_waitcnt vmcnt(22)
	v_pk_mov_b32 v[136:137], v[86:87], v[100:101] op_sel:[1,0]
	ds_write2_b32 v125, v136, v137 offset0:23 offset1:24
	s_waitcnt vmcnt(20)
	v_pk_mov_b32 v[136:137], v[100:101], v[84:85] op_sel:[1,0]
	ds_write2_b32 v125, v136, v137 offset0:25 offset1:26
	s_waitcnt vmcnt(18)
	v_pk_mov_b32 v[136:137], v[84:85], v[98:99] op_sel:[1,0]
	ds_write2_b32 v125, v136, v137 offset0:27 offset1:28
	s_waitcnt vmcnt(16)
	v_pk_mov_b32 v[136:137], v[98:99], v[82:83] op_sel:[1,0]
	ds_write2_b32 v125, v136, v137 offset0:29 offset1:30
	s_waitcnt vmcnt(14)
	v_pk_mov_b32 v[136:137], v[82:83], v[96:97] op_sel:[1,0]
	ds_write2_b32 v125, v136, v137 offset0:31 offset1:32
	s_waitcnt vmcnt(12)
	v_pk_mov_b32 v[136:137], v[96:97], v[80:81] op_sel:[1,0]
	ds_write2_b32 v125, v136, v137 offset0:33 offset1:34
	s_waitcnt vmcnt(10)
	v_pk_mov_b32 v[136:137], v[80:81], v[94:95] op_sel:[1,0]
	ds_write2_b32 v125, v136, v137 offset0:35 offset1:36
	s_waitcnt vmcnt(8)
	v_pk_mov_b32 v[136:137], v[94:95], v[110:111] op_sel:[1,0]
	ds_write2_b32 v125, v136, v137 offset0:37 offset1:38
	ds_write_b32 v125, v111 offset:156
	ds_read_b32 v135, v123
	s_waitcnt lgkmcnt(0)
	v_cmp_neq_f32_e32 vcc, 0, v135
	s_and_b64 exec, exec, vcc
	s_cbranch_execz .LBB79_57
; %bb.56:
	v_div_scale_f32 v136, s[4:5], v135, v135, 1.0
	v_rcp_f32_e32 v137, v136
	v_div_scale_f32 v138, vcc, 1.0, v135, 1.0
	v_fma_f32 v139, -v136, v137, 1.0
	v_fmac_f32_e32 v137, v139, v137
	v_mul_f32_e32 v139, v138, v137
	v_fma_f32 v140, -v136, v139, v138
	v_fmac_f32_e32 v139, v140, v137
	v_fma_f32 v136, -v136, v139, v138
	v_div_fmas_f32 v136, v136, v137, v139
	v_div_fixup_f32 v135, v136, v135, 1.0
	ds_write_b32 v123, v135
.LBB79_57:
	s_or_b64 exec, exec, s[2:3]
	s_waitcnt lgkmcnt(0)
	s_barrier
	ds_read_b32 v135, v123
	v_cmp_lt_u32_e32 vcc, 10, v121
	s_and_saveexec_b64 s[2:3], vcc
	s_cbranch_execz .LBB79_59
; %bb.58:
	ds_read_b32 v148, v125 offset:44
	ds_read2_b64 v[136:139], v125 offset0:6 offset1:7
	s_waitcnt vmcnt(37) lgkmcnt(2)
	v_mul_f32_e32 v92, v135, v92
	ds_read2_b64 v[140:143], v125 offset0:8 offset1:9
	ds_read2_b64 v[144:147], v125 offset0:10 offset1:11
	s_waitcnt vmcnt(36) lgkmcnt(3)
	v_fma_f32 v93, -v92, v148, v93
	s_waitcnt vmcnt(34) lgkmcnt(2)
	v_pk_fma_f32 v[106:107], v[92:93], v[136:137], v[106:107] op_sel_hi:[0,1,1] neg_lo:[1,0,0] neg_hi:[1,0,0]
	s_waitcnt vmcnt(32)
	v_pk_fma_f32 v[90:91], v[92:93], v[138:139], v[90:91] op_sel_hi:[0,1,1] neg_lo:[1,0,0] neg_hi:[1,0,0]
	ds_read2_b64 v[136:139], v125 offset0:12 offset1:13
	s_waitcnt vmcnt(30) lgkmcnt(2)
	v_pk_fma_f32 v[104:105], v[92:93], v[140:141], v[104:105] op_sel_hi:[0,1,1] neg_lo:[1,0,0] neg_hi:[1,0,0]
	s_waitcnt vmcnt(28)
	v_pk_fma_f32 v[88:89], v[92:93], v[142:143], v[88:89] op_sel_hi:[0,1,1] neg_lo:[1,0,0] neg_hi:[1,0,0]
	s_waitcnt vmcnt(26) lgkmcnt(1)
	v_pk_fma_f32 v[102:103], v[92:93], v[144:145], v[102:103] op_sel_hi:[0,1,1] neg_lo:[1,0,0] neg_hi:[1,0,0]
	s_waitcnt vmcnt(24)
	v_pk_fma_f32 v[86:87], v[92:93], v[146:147], v[86:87] op_sel_hi:[0,1,1] neg_lo:[1,0,0] neg_hi:[1,0,0]
	ds_read2_b64 v[140:143], v125 offset0:14 offset1:15
	s_waitcnt vmcnt(22) lgkmcnt(1)
	v_pk_fma_f32 v[100:101], v[92:93], v[136:137], v[100:101] op_sel_hi:[0,1,1] neg_lo:[1,0,0] neg_hi:[1,0,0]
	ds_read2_b64 v[144:147], v125 offset0:16 offset1:17
	s_waitcnt vmcnt(20)
	v_pk_fma_f32 v[84:85], v[92:93], v[138:139], v[84:85] op_sel_hi:[0,1,1] neg_lo:[1,0,0] neg_hi:[1,0,0]
	ds_read2_b64 v[136:139], v125 offset0:18 offset1:19
	s_waitcnt vmcnt(18) lgkmcnt(2)
	v_pk_fma_f32 v[98:99], v[92:93], v[140:141], v[98:99] op_sel_hi:[0,1,1] neg_lo:[1,0,0] neg_hi:[1,0,0]
	s_waitcnt vmcnt(16)
	v_pk_fma_f32 v[82:83], v[92:93], v[142:143], v[82:83] op_sel_hi:[0,1,1] neg_lo:[1,0,0] neg_hi:[1,0,0]
	s_waitcnt vmcnt(14) lgkmcnt(1)
	v_pk_fma_f32 v[96:97], v[92:93], v[144:145], v[96:97] op_sel_hi:[0,1,1] neg_lo:[1,0,0] neg_hi:[1,0,0]
	s_waitcnt vmcnt(12)
	v_pk_fma_f32 v[80:81], v[92:93], v[146:147], v[80:81] op_sel_hi:[0,1,1] neg_lo:[1,0,0] neg_hi:[1,0,0]
	;; [unrolled: 4-line block ×3, first 2 shown]
.LBB79_59:
	s_or_b64 exec, exec, s[2:3]
	v_cmp_ne_u32_e32 vcc, 11, v121
	s_waitcnt lgkmcnt(0)
	s_barrier
	s_and_saveexec_b64 s[2:3], vcc
	s_xor_b64 s[2:3], exec, s[2:3]
	s_andn2_saveexec_b64 s[2:3], s[2:3]
	s_cbranch_execz .LBB79_63
; %bb.60:
	s_waitcnt vmcnt(35)
	v_mov_b32_e32 v136, v106
	s_waitcnt vmcnt(34)
	v_mov_b32_e32 v137, v107
	;; [unrolled: 2-line block ×4, first 2 shown]
	ds_write_b32 v123, v93
	ds_write2_b64 v125, v[136:137], v[138:139] offset0:6 offset1:7
	s_waitcnt vmcnt(31)
	v_mov_b32_e32 v136, v104
	s_waitcnt vmcnt(30)
	v_mov_b32_e32 v137, v105
	s_waitcnt vmcnt(29)
	v_mov_b32_e32 v138, v88
	s_waitcnt vmcnt(28)
	v_mov_b32_e32 v139, v89
	ds_write2_b64 v125, v[136:137], v[138:139] offset0:8 offset1:9
	s_waitcnt vmcnt(27)
	v_mov_b32_e32 v136, v102
	s_waitcnt vmcnt(26)
	v_mov_b32_e32 v137, v103
	s_waitcnt vmcnt(25)
	v_mov_b32_e32 v138, v86
	s_waitcnt vmcnt(24)
	v_mov_b32_e32 v139, v87
	;; [unrolled: 9-line block ×5, first 2 shown]
	ds_write2_b64 v125, v[136:137], v[138:139] offset0:16 offset1:17
	s_waitcnt vmcnt(11)
	v_mov_b32_e32 v136, v94
	s_waitcnt vmcnt(10)
	v_mov_b32_e32 v137, v95
	s_waitcnt vmcnt(8)
	ds_write2_b64 v125, v[136:137], v[110:111] offset0:18 offset1:19
	ds_read_b32 v136, v123
	s_waitcnt lgkmcnt(0)
	v_cmp_neq_f32_e32 vcc, 0, v136
	s_and_saveexec_b64 s[4:5], vcc
	s_cbranch_execz .LBB79_62
; %bb.61:
	v_div_scale_f32 v137, s[10:11], v136, v136, 1.0
	v_rcp_f32_e32 v138, v137
	v_div_scale_f32 v139, vcc, 1.0, v136, 1.0
	v_fma_f32 v140, -v137, v138, 1.0
	v_fmac_f32_e32 v138, v140, v138
	v_mul_f32_e32 v140, v139, v138
	v_fma_f32 v141, -v137, v140, v139
	v_fmac_f32_e32 v140, v141, v138
	v_fma_f32 v137, -v137, v140, v139
	v_div_fmas_f32 v137, v137, v138, v140
	v_div_fixup_f32 v136, v137, v136, 1.0
	ds_write_b32 v123, v136
.LBB79_62:
	s_or_b64 exec, exec, s[4:5]
.LBB79_63:
	s_or_b64 exec, exec, s[2:3]
	s_waitcnt lgkmcnt(0)
	s_barrier
	ds_read_b32 v136, v123
	v_cmp_lt_u32_e32 vcc, 11, v121
	s_and_saveexec_b64 s[2:3], vcc
	s_cbranch_execz .LBB79_65
; %bb.64:
	ds_read2_b64 v[138:141], v125 offset0:6 offset1:7
	ds_read2_b64 v[142:145], v125 offset0:8 offset1:9
	s_waitcnt vmcnt(36) lgkmcnt(2)
	v_mul_f32_e32 v150, v136, v93
	ds_read2_b64 v[146:149], v125 offset0:10 offset1:11
	v_mov_b32_e32 v93, v150
	s_waitcnt vmcnt(34) lgkmcnt(2)
	v_pk_fma_f32 v[106:107], v[150:151], v[138:139], v[106:107] op_sel_hi:[0,1,1] neg_lo:[1,0,0] neg_hi:[1,0,0]
	s_waitcnt vmcnt(32)
	v_pk_fma_f32 v[90:91], v[150:151], v[140:141], v[90:91] op_sel_hi:[0,1,1] neg_lo:[1,0,0] neg_hi:[1,0,0]
	ds_read2_b64 v[138:141], v125 offset0:12 offset1:13
	s_waitcnt vmcnt(30) lgkmcnt(2)
	v_pk_fma_f32 v[104:105], v[150:151], v[142:143], v[104:105] op_sel_hi:[0,1,1] neg_lo:[1,0,0] neg_hi:[1,0,0]
	s_waitcnt vmcnt(28)
	v_pk_fma_f32 v[88:89], v[150:151], v[144:145], v[88:89] op_sel_hi:[0,1,1] neg_lo:[1,0,0] neg_hi:[1,0,0]
	s_waitcnt vmcnt(26) lgkmcnt(1)
	v_pk_fma_f32 v[102:103], v[150:151], v[146:147], v[102:103] op_sel_hi:[0,1,1] neg_lo:[1,0,0] neg_hi:[1,0,0]
	s_waitcnt vmcnt(24)
	v_pk_fma_f32 v[86:87], v[150:151], v[148:149], v[86:87] op_sel_hi:[0,1,1] neg_lo:[1,0,0] neg_hi:[1,0,0]
	ds_read2_b64 v[142:145], v125 offset0:14 offset1:15
	ds_read2_b64 v[146:149], v125 offset0:16 offset1:17
	s_waitcnt vmcnt(22) lgkmcnt(2)
	v_pk_fma_f32 v[100:101], v[150:151], v[138:139], v[100:101] op_sel_hi:[0,1,1] neg_lo:[1,0,0] neg_hi:[1,0,0]
	s_waitcnt vmcnt(20)
	v_pk_fma_f32 v[84:85], v[150:151], v[140:141], v[84:85] op_sel_hi:[0,1,1] neg_lo:[1,0,0] neg_hi:[1,0,0]
	ds_read2_b64 v[138:141], v125 offset0:18 offset1:19
	s_waitcnt vmcnt(18) lgkmcnt(2)
	v_pk_fma_f32 v[98:99], v[150:151], v[142:143], v[98:99] op_sel_hi:[0,1,1] neg_lo:[1,0,0] neg_hi:[1,0,0]
	s_waitcnt vmcnt(16)
	v_pk_fma_f32 v[82:83], v[150:151], v[144:145], v[82:83] op_sel_hi:[0,1,1] neg_lo:[1,0,0] neg_hi:[1,0,0]
	s_waitcnt vmcnt(14) lgkmcnt(1)
	v_pk_fma_f32 v[96:97], v[150:151], v[146:147], v[96:97] op_sel_hi:[0,1,1] neg_lo:[1,0,0] neg_hi:[1,0,0]
	s_waitcnt vmcnt(12)
	v_pk_fma_f32 v[80:81], v[150:151], v[148:149], v[80:81] op_sel_hi:[0,1,1] neg_lo:[1,0,0] neg_hi:[1,0,0]
	;; [unrolled: 4-line block ×3, first 2 shown]
.LBB79_65:
	s_or_b64 exec, exec, s[2:3]
	v_cmp_eq_u32_e32 vcc, 12, v121
	s_waitcnt lgkmcnt(0)
	s_barrier
	s_and_saveexec_b64 s[2:3], vcc
	s_cbranch_execz .LBB79_68
; %bb.66:
	s_waitcnt vmcnt(32)
	v_pk_mov_b32 v[138:139], v[106:107], v[90:91] op_sel:[1,0]
	ds_write_b32 v123, v106
	ds_write2_b32 v125, v138, v139 offset0:13 offset1:14
	s_waitcnt vmcnt(30)
	v_pk_mov_b32 v[138:139], v[90:91], v[104:105] op_sel:[1,0]
	ds_write2_b32 v125, v138, v139 offset0:15 offset1:16
	s_waitcnt vmcnt(28)
	v_pk_mov_b32 v[138:139], v[104:105], v[88:89] op_sel:[1,0]
	;; [unrolled: 3-line block ×12, first 2 shown]
	ds_write2_b32 v125, v138, v139 offset0:37 offset1:38
	ds_write_b32 v125, v111 offset:156
	ds_read_b32 v137, v123
	s_waitcnt lgkmcnt(0)
	v_cmp_neq_f32_e32 vcc, 0, v137
	s_and_b64 exec, exec, vcc
	s_cbranch_execz .LBB79_68
; %bb.67:
	v_div_scale_f32 v138, s[4:5], v137, v137, 1.0
	v_rcp_f32_e32 v139, v138
	v_div_scale_f32 v140, vcc, 1.0, v137, 1.0
	v_fma_f32 v141, -v138, v139, 1.0
	v_fmac_f32_e32 v139, v141, v139
	v_mul_f32_e32 v141, v140, v139
	v_fma_f32 v142, -v138, v141, v140
	v_fmac_f32_e32 v141, v142, v139
	v_fma_f32 v138, -v138, v141, v140
	v_div_fmas_f32 v138, v138, v139, v141
	v_div_fixup_f32 v137, v138, v137, 1.0
	ds_write_b32 v123, v137
.LBB79_68:
	s_or_b64 exec, exec, s[2:3]
	s_waitcnt lgkmcnt(0)
	s_barrier
	ds_read_b32 v137, v123
	v_cmp_lt_u32_e32 vcc, 12, v121
	s_and_saveexec_b64 s[2:3], vcc
	s_cbranch_execz .LBB79_70
; %bb.69:
	ds_read_b32 v150, v125 offset:52
	ds_read2_b64 v[138:141], v125 offset0:7 offset1:8
	s_waitcnt vmcnt(35) lgkmcnt(2)
	v_mul_f32_e32 v106, v137, v106
	ds_read2_b64 v[142:145], v125 offset0:9 offset1:10
	ds_read2_b64 v[146:149], v125 offset0:11 offset1:12
	s_waitcnt vmcnt(34) lgkmcnt(3)
	v_fma_f32 v107, -v106, v150, v107
	s_waitcnt vmcnt(32) lgkmcnt(2)
	v_pk_fma_f32 v[90:91], v[106:107], v[138:139], v[90:91] op_sel_hi:[0,1,1] neg_lo:[1,0,0] neg_hi:[1,0,0]
	s_waitcnt vmcnt(30)
	v_pk_fma_f32 v[104:105], v[106:107], v[140:141], v[104:105] op_sel_hi:[0,1,1] neg_lo:[1,0,0] neg_hi:[1,0,0]
	ds_read2_b64 v[138:141], v125 offset0:13 offset1:14
	s_waitcnt vmcnt(28) lgkmcnt(2)
	v_pk_fma_f32 v[88:89], v[106:107], v[142:143], v[88:89] op_sel_hi:[0,1,1] neg_lo:[1,0,0] neg_hi:[1,0,0]
	s_waitcnt vmcnt(26)
	v_pk_fma_f32 v[102:103], v[106:107], v[144:145], v[102:103] op_sel_hi:[0,1,1] neg_lo:[1,0,0] neg_hi:[1,0,0]
	s_waitcnt vmcnt(24) lgkmcnt(1)
	v_pk_fma_f32 v[86:87], v[106:107], v[146:147], v[86:87] op_sel_hi:[0,1,1] neg_lo:[1,0,0] neg_hi:[1,0,0]
	s_waitcnt vmcnt(22)
	v_pk_fma_f32 v[100:101], v[106:107], v[148:149], v[100:101] op_sel_hi:[0,1,1] neg_lo:[1,0,0] neg_hi:[1,0,0]
	ds_read2_b64 v[142:145], v125 offset0:15 offset1:16
	s_waitcnt vmcnt(20) lgkmcnt(1)
	v_pk_fma_f32 v[84:85], v[106:107], v[138:139], v[84:85] op_sel_hi:[0,1,1] neg_lo:[1,0,0] neg_hi:[1,0,0]
	ds_read2_b64 v[146:149], v125 offset0:17 offset1:18
	ds_read_b64 v[138:139], v125 offset:152
	s_waitcnt vmcnt(18)
	v_pk_fma_f32 v[98:99], v[106:107], v[140:141], v[98:99] op_sel_hi:[0,1,1] neg_lo:[1,0,0] neg_hi:[1,0,0]
	s_waitcnt vmcnt(16) lgkmcnt(2)
	v_pk_fma_f32 v[82:83], v[106:107], v[142:143], v[82:83] op_sel_hi:[0,1,1] neg_lo:[1,0,0] neg_hi:[1,0,0]
	s_waitcnt vmcnt(14)
	v_pk_fma_f32 v[96:97], v[106:107], v[144:145], v[96:97] op_sel_hi:[0,1,1] neg_lo:[1,0,0] neg_hi:[1,0,0]
	s_waitcnt vmcnt(12) lgkmcnt(1)
	v_pk_fma_f32 v[80:81], v[106:107], v[146:147], v[80:81] op_sel_hi:[0,1,1] neg_lo:[1,0,0] neg_hi:[1,0,0]
	;; [unrolled: 4-line block ×3, first 2 shown]
.LBB79_70:
	s_or_b64 exec, exec, s[2:3]
	v_cmp_ne_u32_e32 vcc, 13, v121
	s_waitcnt lgkmcnt(0)
	s_barrier
	s_and_saveexec_b64 s[2:3], vcc
	s_xor_b64 s[2:3], exec, s[2:3]
	s_andn2_saveexec_b64 s[2:3], s[2:3]
	s_cbranch_execz .LBB79_74
; %bb.71:
	s_waitcnt vmcnt(34)
	ds_write_b32 v123, v107
	s_waitcnt vmcnt(30)
	ds_write2_b64 v125, v[90:91], v[104:105] offset0:7 offset1:8
	s_waitcnt vmcnt(26)
	ds_write2_b64 v125, v[88:89], v[102:103] offset0:9 offset1:10
	s_waitcnt vmcnt(22)
	ds_write2_b64 v125, v[86:87], v[100:101] offset0:11 offset1:12
	s_waitcnt vmcnt(18)
	ds_write2_b64 v125, v[84:85], v[98:99] offset0:13 offset1:14
	s_waitcnt vmcnt(14)
	ds_write2_b64 v125, v[82:83], v[96:97] offset0:15 offset1:16
	s_waitcnt vmcnt(10)
	ds_write2_b64 v125, v[80:81], v[94:95] offset0:17 offset1:18
	s_waitcnt vmcnt(8)
	ds_write_b64 v125, v[110:111] offset:152
	ds_read_b32 v138, v123
	s_waitcnt lgkmcnt(0)
	v_cmp_neq_f32_e32 vcc, 0, v138
	s_and_saveexec_b64 s[4:5], vcc
	s_cbranch_execz .LBB79_73
; %bb.72:
	v_div_scale_f32 v139, s[10:11], v138, v138, 1.0
	v_rcp_f32_e32 v140, v139
	v_div_scale_f32 v141, vcc, 1.0, v138, 1.0
	v_fma_f32 v142, -v139, v140, 1.0
	v_fmac_f32_e32 v140, v142, v140
	v_mul_f32_e32 v142, v141, v140
	v_fma_f32 v143, -v139, v142, v141
	v_fmac_f32_e32 v142, v143, v140
	v_fma_f32 v139, -v139, v142, v141
	v_div_fmas_f32 v139, v139, v140, v142
	v_div_fixup_f32 v138, v139, v138, 1.0
	ds_write_b32 v123, v138
.LBB79_73:
	s_or_b64 exec, exec, s[4:5]
.LBB79_74:
	s_or_b64 exec, exec, s[2:3]
	s_waitcnt lgkmcnt(0)
	s_barrier
	ds_read_b32 v138, v123
	v_cmp_lt_u32_e32 vcc, 13, v121
	s_and_saveexec_b64 s[2:3], vcc
	s_cbranch_execz .LBB79_76
; %bb.75:
	ds_read2_b64 v[140:143], v125 offset0:7 offset1:8
	ds_read2_b64 v[144:147], v125 offset0:9 offset1:10
	s_waitcnt vmcnt(34) lgkmcnt(2)
	v_mul_f32_e32 v152, v138, v107
	ds_read2_b64 v[148:151], v125 offset0:11 offset1:12
	v_mov_b32_e32 v107, v152
	s_waitcnt vmcnt(32) lgkmcnt(2)
	v_pk_fma_f32 v[90:91], v[152:153], v[140:141], v[90:91] op_sel_hi:[0,1,1] neg_lo:[1,0,0] neg_hi:[1,0,0]
	s_waitcnt vmcnt(30)
	v_pk_fma_f32 v[104:105], v[152:153], v[142:143], v[104:105] op_sel_hi:[0,1,1] neg_lo:[1,0,0] neg_hi:[1,0,0]
	ds_read2_b64 v[140:143], v125 offset0:13 offset1:14
	s_waitcnt vmcnt(28) lgkmcnt(2)
	v_pk_fma_f32 v[88:89], v[152:153], v[144:145], v[88:89] op_sel_hi:[0,1,1] neg_lo:[1,0,0] neg_hi:[1,0,0]
	s_waitcnt vmcnt(26)
	v_pk_fma_f32 v[102:103], v[152:153], v[146:147], v[102:103] op_sel_hi:[0,1,1] neg_lo:[1,0,0] neg_hi:[1,0,0]
	s_waitcnt vmcnt(24) lgkmcnt(1)
	v_pk_fma_f32 v[86:87], v[152:153], v[148:149], v[86:87] op_sel_hi:[0,1,1] neg_lo:[1,0,0] neg_hi:[1,0,0]
	s_waitcnt vmcnt(22)
	v_pk_fma_f32 v[100:101], v[152:153], v[150:151], v[100:101] op_sel_hi:[0,1,1] neg_lo:[1,0,0] neg_hi:[1,0,0]
	ds_read2_b64 v[144:147], v125 offset0:15 offset1:16
	ds_read2_b64 v[148:151], v125 offset0:17 offset1:18
	s_waitcnt vmcnt(20) lgkmcnt(2)
	v_pk_fma_f32 v[84:85], v[152:153], v[140:141], v[84:85] op_sel_hi:[0,1,1] neg_lo:[1,0,0] neg_hi:[1,0,0]
	ds_read_b64 v[140:141], v125 offset:152
	s_waitcnt vmcnt(18)
	v_pk_fma_f32 v[98:99], v[152:153], v[142:143], v[98:99] op_sel_hi:[0,1,1] neg_lo:[1,0,0] neg_hi:[1,0,0]
	s_waitcnt vmcnt(16) lgkmcnt(2)
	v_pk_fma_f32 v[82:83], v[152:153], v[144:145], v[82:83] op_sel_hi:[0,1,1] neg_lo:[1,0,0] neg_hi:[1,0,0]
	s_waitcnt vmcnt(14)
	v_pk_fma_f32 v[96:97], v[152:153], v[146:147], v[96:97] op_sel_hi:[0,1,1] neg_lo:[1,0,0] neg_hi:[1,0,0]
	s_waitcnt vmcnt(12) lgkmcnt(1)
	v_pk_fma_f32 v[80:81], v[152:153], v[148:149], v[80:81] op_sel_hi:[0,1,1] neg_lo:[1,0,0] neg_hi:[1,0,0]
	s_waitcnt vmcnt(10)
	v_pk_fma_f32 v[94:95], v[152:153], v[150:151], v[94:95] op_sel_hi:[0,1,1] neg_lo:[1,0,0] neg_hi:[1,0,0]
	s_waitcnt vmcnt(8) lgkmcnt(0)
	v_pk_fma_f32 v[110:111], v[152:153], v[140:141], v[110:111] op_sel_hi:[0,1,1] neg_lo:[1,0,0] neg_hi:[1,0,0]
.LBB79_76:
	s_or_b64 exec, exec, s[2:3]
	v_cmp_eq_u32_e32 vcc, 14, v121
	s_waitcnt lgkmcnt(0)
	s_barrier
	s_and_saveexec_b64 s[2:3], vcc
	s_cbranch_execz .LBB79_79
; %bb.77:
	s_waitcnt vmcnt(30)
	v_pk_mov_b32 v[140:141], v[90:91], v[104:105] op_sel:[1,0]
	ds_write_b32 v123, v90
	ds_write2_b32 v125, v140, v141 offset0:15 offset1:16
	s_waitcnt vmcnt(28)
	v_pk_mov_b32 v[140:141], v[104:105], v[88:89] op_sel:[1,0]
	ds_write2_b32 v125, v140, v141 offset0:17 offset1:18
	s_waitcnt vmcnt(26)
	v_pk_mov_b32 v[140:141], v[88:89], v[102:103] op_sel:[1,0]
	;; [unrolled: 3-line block ×11, first 2 shown]
	ds_write2_b32 v125, v140, v141 offset0:37 offset1:38
	ds_write_b32 v125, v111 offset:156
	ds_read_b32 v139, v123
	s_waitcnt lgkmcnt(0)
	v_cmp_neq_f32_e32 vcc, 0, v139
	s_and_b64 exec, exec, vcc
	s_cbranch_execz .LBB79_79
; %bb.78:
	v_div_scale_f32 v140, s[4:5], v139, v139, 1.0
	v_rcp_f32_e32 v141, v140
	v_div_scale_f32 v142, vcc, 1.0, v139, 1.0
	v_fma_f32 v143, -v140, v141, 1.0
	v_fmac_f32_e32 v141, v143, v141
	v_mul_f32_e32 v143, v142, v141
	v_fma_f32 v144, -v140, v143, v142
	v_fmac_f32_e32 v143, v144, v141
	v_fma_f32 v140, -v140, v143, v142
	v_div_fmas_f32 v140, v140, v141, v143
	v_div_fixup_f32 v139, v140, v139, 1.0
	ds_write_b32 v123, v139
.LBB79_79:
	s_or_b64 exec, exec, s[2:3]
	s_waitcnt lgkmcnt(0)
	s_barrier
	ds_read_b32 v139, v123
	v_cmp_lt_u32_e32 vcc, 14, v121
	s_and_saveexec_b64 s[2:3], vcc
	s_cbranch_execz .LBB79_81
; %bb.80:
	ds_read_b32 v152, v125 offset:60
	ds_read2_b64 v[140:143], v125 offset0:8 offset1:9
	ds_read2_b64 v[144:147], v125 offset0:10 offset1:11
	;; [unrolled: 1-line block ×3, first 2 shown]
	s_waitcnt vmcnt(33) lgkmcnt(4)
	v_mul_f32_e32 v90, v139, v90
	s_waitcnt vmcnt(32) lgkmcnt(3)
	v_fma_f32 v91, -v90, v152, v91
	s_waitcnt vmcnt(30) lgkmcnt(2)
	v_pk_fma_f32 v[104:105], v[90:91], v[140:141], v[104:105] op_sel_hi:[0,1,1] neg_lo:[1,0,0] neg_hi:[1,0,0]
	s_waitcnt vmcnt(28)
	v_pk_fma_f32 v[88:89], v[90:91], v[142:143], v[88:89] op_sel_hi:[0,1,1] neg_lo:[1,0,0] neg_hi:[1,0,0]
	s_waitcnt vmcnt(26) lgkmcnt(1)
	v_pk_fma_f32 v[102:103], v[90:91], v[144:145], v[102:103] op_sel_hi:[0,1,1] neg_lo:[1,0,0] neg_hi:[1,0,0]
	s_waitcnt vmcnt(24)
	v_pk_fma_f32 v[86:87], v[90:91], v[146:147], v[86:87] op_sel_hi:[0,1,1] neg_lo:[1,0,0] neg_hi:[1,0,0]
	ds_read2_b64 v[140:143], v125 offset0:14 offset1:15
	ds_read2_b64 v[144:147], v125 offset0:16 offset1:17
	s_waitcnt vmcnt(22) lgkmcnt(2)
	v_pk_fma_f32 v[100:101], v[90:91], v[148:149], v[100:101] op_sel_hi:[0,1,1] neg_lo:[1,0,0] neg_hi:[1,0,0]
	s_waitcnt vmcnt(20)
	v_pk_fma_f32 v[84:85], v[90:91], v[150:151], v[84:85] op_sel_hi:[0,1,1] neg_lo:[1,0,0] neg_hi:[1,0,0]
	ds_read2_b64 v[148:151], v125 offset0:18 offset1:19
	s_waitcnt vmcnt(18) lgkmcnt(2)
	v_pk_fma_f32 v[98:99], v[90:91], v[140:141], v[98:99] op_sel_hi:[0,1,1] neg_lo:[1,0,0] neg_hi:[1,0,0]
	s_waitcnt vmcnt(16)
	v_pk_fma_f32 v[82:83], v[90:91], v[142:143], v[82:83] op_sel_hi:[0,1,1] neg_lo:[1,0,0] neg_hi:[1,0,0]
	s_waitcnt vmcnt(14) lgkmcnt(1)
	v_pk_fma_f32 v[96:97], v[90:91], v[144:145], v[96:97] op_sel_hi:[0,1,1] neg_lo:[1,0,0] neg_hi:[1,0,0]
	s_waitcnt vmcnt(12)
	v_pk_fma_f32 v[80:81], v[90:91], v[146:147], v[80:81] op_sel_hi:[0,1,1] neg_lo:[1,0,0] neg_hi:[1,0,0]
	;; [unrolled: 4-line block ×3, first 2 shown]
.LBB79_81:
	s_or_b64 exec, exec, s[2:3]
	v_cmp_ne_u32_e32 vcc, 15, v121
	s_waitcnt lgkmcnt(0)
	s_barrier
	s_and_saveexec_b64 s[2:3], vcc
	s_xor_b64 s[2:3], exec, s[2:3]
	s_andn2_saveexec_b64 s[2:3], s[2:3]
	s_cbranch_execz .LBB79_85
; %bb.82:
	s_waitcnt vmcnt(31)
	v_mov_b32_e32 v140, v104
	s_waitcnt vmcnt(30)
	v_mov_b32_e32 v141, v105
	;; [unrolled: 2-line block ×4, first 2 shown]
	ds_write_b32 v123, v91
	ds_write2_b64 v125, v[140:141], v[142:143] offset0:8 offset1:9
	s_waitcnt vmcnt(27)
	v_mov_b32_e32 v140, v102
	s_waitcnt vmcnt(26)
	v_mov_b32_e32 v141, v103
	s_waitcnt vmcnt(25)
	v_mov_b32_e32 v142, v86
	s_waitcnt vmcnt(24)
	v_mov_b32_e32 v143, v87
	ds_write2_b64 v125, v[140:141], v[142:143] offset0:10 offset1:11
	s_waitcnt vmcnt(23)
	v_mov_b32_e32 v140, v100
	s_waitcnt vmcnt(22)
	v_mov_b32_e32 v141, v101
	s_waitcnt vmcnt(21)
	v_mov_b32_e32 v142, v84
	s_waitcnt vmcnt(20)
	v_mov_b32_e32 v143, v85
	;; [unrolled: 9-line block ×4, first 2 shown]
	ds_write2_b64 v125, v[140:141], v[142:143] offset0:16 offset1:17
	s_waitcnt vmcnt(11)
	v_mov_b32_e32 v140, v94
	s_waitcnt vmcnt(10)
	v_mov_b32_e32 v141, v95
	s_waitcnt vmcnt(8)
	ds_write2_b64 v125, v[140:141], v[110:111] offset0:18 offset1:19
	ds_read_b32 v140, v123
	s_waitcnt lgkmcnt(0)
	v_cmp_neq_f32_e32 vcc, 0, v140
	s_and_saveexec_b64 s[4:5], vcc
	s_cbranch_execz .LBB79_84
; %bb.83:
	v_div_scale_f32 v141, s[10:11], v140, v140, 1.0
	v_rcp_f32_e32 v142, v141
	v_div_scale_f32 v143, vcc, 1.0, v140, 1.0
	v_fma_f32 v144, -v141, v142, 1.0
	v_fmac_f32_e32 v142, v144, v142
	v_mul_f32_e32 v144, v143, v142
	v_fma_f32 v145, -v141, v144, v143
	v_fmac_f32_e32 v144, v145, v142
	v_fma_f32 v141, -v141, v144, v143
	v_div_fmas_f32 v141, v141, v142, v144
	v_div_fixup_f32 v140, v141, v140, 1.0
	ds_write_b32 v123, v140
.LBB79_84:
	s_or_b64 exec, exec, s[4:5]
.LBB79_85:
	s_or_b64 exec, exec, s[2:3]
	s_waitcnt lgkmcnt(0)
	s_barrier
	ds_read_b32 v140, v123
	v_cmp_lt_u32_e32 vcc, 15, v121
	s_and_saveexec_b64 s[2:3], vcc
	s_cbranch_execz .LBB79_87
; %bb.86:
	ds_read2_b64 v[142:145], v125 offset0:8 offset1:9
	ds_read2_b64 v[146:149], v125 offset0:10 offset1:11
	;; [unrolled: 1-line block ×3, first 2 shown]
	s_waitcnt vmcnt(32) lgkmcnt(3)
	v_mul_f32_e32 v154, v140, v91
	v_mov_b32_e32 v91, v154
	s_waitcnt vmcnt(30) lgkmcnt(2)
	v_pk_fma_f32 v[104:105], v[154:155], v[142:143], v[104:105] op_sel_hi:[0,1,1] neg_lo:[1,0,0] neg_hi:[1,0,0]
	s_waitcnt vmcnt(28)
	v_pk_fma_f32 v[88:89], v[154:155], v[144:145], v[88:89] op_sel_hi:[0,1,1] neg_lo:[1,0,0] neg_hi:[1,0,0]
	s_waitcnt vmcnt(26) lgkmcnt(1)
	v_pk_fma_f32 v[102:103], v[154:155], v[146:147], v[102:103] op_sel_hi:[0,1,1] neg_lo:[1,0,0] neg_hi:[1,0,0]
	s_waitcnt vmcnt(24)
	v_pk_fma_f32 v[86:87], v[154:155], v[148:149], v[86:87] op_sel_hi:[0,1,1] neg_lo:[1,0,0] neg_hi:[1,0,0]
	ds_read2_b64 v[142:145], v125 offset0:14 offset1:15
	s_waitcnt vmcnt(22) lgkmcnt(1)
	v_pk_fma_f32 v[100:101], v[154:155], v[150:151], v[100:101] op_sel_hi:[0,1,1] neg_lo:[1,0,0] neg_hi:[1,0,0]
	ds_read2_b64 v[146:149], v125 offset0:16 offset1:17
	s_waitcnt vmcnt(20)
	v_pk_fma_f32 v[84:85], v[154:155], v[152:153], v[84:85] op_sel_hi:[0,1,1] neg_lo:[1,0,0] neg_hi:[1,0,0]
	ds_read2_b64 v[150:153], v125 offset0:18 offset1:19
	s_waitcnt vmcnt(18) lgkmcnt(2)
	v_pk_fma_f32 v[98:99], v[154:155], v[142:143], v[98:99] op_sel_hi:[0,1,1] neg_lo:[1,0,0] neg_hi:[1,0,0]
	s_waitcnt vmcnt(16)
	v_pk_fma_f32 v[82:83], v[154:155], v[144:145], v[82:83] op_sel_hi:[0,1,1] neg_lo:[1,0,0] neg_hi:[1,0,0]
	s_waitcnt vmcnt(14) lgkmcnt(1)
	v_pk_fma_f32 v[96:97], v[154:155], v[146:147], v[96:97] op_sel_hi:[0,1,1] neg_lo:[1,0,0] neg_hi:[1,0,0]
	s_waitcnt vmcnt(12)
	v_pk_fma_f32 v[80:81], v[154:155], v[148:149], v[80:81] op_sel_hi:[0,1,1] neg_lo:[1,0,0] neg_hi:[1,0,0]
	;; [unrolled: 4-line block ×3, first 2 shown]
.LBB79_87:
	s_or_b64 exec, exec, s[2:3]
	v_cmp_eq_u32_e32 vcc, 16, v121
	s_waitcnt lgkmcnt(0)
	s_barrier
	s_and_saveexec_b64 s[2:3], vcc
	s_cbranch_execz .LBB79_90
; %bb.88:
	s_waitcnt vmcnt(28)
	v_pk_mov_b32 v[142:143], v[104:105], v[88:89] op_sel:[1,0]
	ds_write_b32 v123, v104
	ds_write2_b32 v125, v142, v143 offset0:17 offset1:18
	s_waitcnt vmcnt(26)
	v_pk_mov_b32 v[142:143], v[88:89], v[102:103] op_sel:[1,0]
	ds_write2_b32 v125, v142, v143 offset0:19 offset1:20
	s_waitcnt vmcnt(24)
	v_pk_mov_b32 v[142:143], v[102:103], v[86:87] op_sel:[1,0]
	;; [unrolled: 3-line block ×10, first 2 shown]
	ds_write2_b32 v125, v142, v143 offset0:37 offset1:38
	ds_write_b32 v125, v111 offset:156
	ds_read_b32 v141, v123
	s_waitcnt lgkmcnt(0)
	v_cmp_neq_f32_e32 vcc, 0, v141
	s_and_b64 exec, exec, vcc
	s_cbranch_execz .LBB79_90
; %bb.89:
	v_div_scale_f32 v142, s[4:5], v141, v141, 1.0
	v_rcp_f32_e32 v143, v142
	v_div_scale_f32 v144, vcc, 1.0, v141, 1.0
	v_fma_f32 v145, -v142, v143, 1.0
	v_fmac_f32_e32 v143, v145, v143
	v_mul_f32_e32 v145, v144, v143
	v_fma_f32 v146, -v142, v145, v144
	v_fmac_f32_e32 v145, v146, v143
	v_fma_f32 v142, -v142, v145, v144
	v_div_fmas_f32 v142, v142, v143, v145
	v_div_fixup_f32 v141, v142, v141, 1.0
	ds_write_b32 v123, v141
.LBB79_90:
	s_or_b64 exec, exec, s[2:3]
	s_waitcnt lgkmcnt(0)
	s_barrier
	ds_read_b32 v141, v123
	v_cmp_lt_u32_e32 vcc, 16, v121
	s_and_saveexec_b64 s[2:3], vcc
	s_cbranch_execz .LBB79_92
; %bb.91:
	ds_read_b32 v154, v125 offset:68
	ds_read2_b64 v[142:145], v125 offset0:9 offset1:10
	ds_read2_b64 v[146:149], v125 offset0:11 offset1:12
	;; [unrolled: 1-line block ×3, first 2 shown]
	s_waitcnt vmcnt(31) lgkmcnt(4)
	v_mul_f32_e32 v104, v141, v104
	s_waitcnt vmcnt(30) lgkmcnt(3)
	v_fma_f32 v105, -v104, v154, v105
	s_waitcnt vmcnt(28) lgkmcnt(2)
	v_pk_fma_f32 v[88:89], v[104:105], v[142:143], v[88:89] op_sel_hi:[0,1,1] neg_lo:[1,0,0] neg_hi:[1,0,0]
	s_waitcnt vmcnt(26)
	v_pk_fma_f32 v[102:103], v[104:105], v[144:145], v[102:103] op_sel_hi:[0,1,1] neg_lo:[1,0,0] neg_hi:[1,0,0]
	s_waitcnt vmcnt(24) lgkmcnt(1)
	v_pk_fma_f32 v[86:87], v[104:105], v[146:147], v[86:87] op_sel_hi:[0,1,1] neg_lo:[1,0,0] neg_hi:[1,0,0]
	s_waitcnt vmcnt(22)
	v_pk_fma_f32 v[100:101], v[104:105], v[148:149], v[100:101] op_sel_hi:[0,1,1] neg_lo:[1,0,0] neg_hi:[1,0,0]
	ds_read2_b64 v[142:145], v125 offset0:15 offset1:16
	ds_read2_b64 v[146:149], v125 offset0:17 offset1:18
	s_waitcnt vmcnt(20) lgkmcnt(2)
	v_pk_fma_f32 v[84:85], v[104:105], v[150:151], v[84:85] op_sel_hi:[0,1,1] neg_lo:[1,0,0] neg_hi:[1,0,0]
	ds_read_b64 v[150:151], v125 offset:152
	s_waitcnt vmcnt(18)
	v_pk_fma_f32 v[98:99], v[104:105], v[152:153], v[98:99] op_sel_hi:[0,1,1] neg_lo:[1,0,0] neg_hi:[1,0,0]
	s_waitcnt vmcnt(16) lgkmcnt(2)
	v_pk_fma_f32 v[82:83], v[104:105], v[142:143], v[82:83] op_sel_hi:[0,1,1] neg_lo:[1,0,0] neg_hi:[1,0,0]
	s_waitcnt vmcnt(14)
	v_pk_fma_f32 v[96:97], v[104:105], v[144:145], v[96:97] op_sel_hi:[0,1,1] neg_lo:[1,0,0] neg_hi:[1,0,0]
	s_waitcnt vmcnt(12) lgkmcnt(1)
	v_pk_fma_f32 v[80:81], v[104:105], v[146:147], v[80:81] op_sel_hi:[0,1,1] neg_lo:[1,0,0] neg_hi:[1,0,0]
	;; [unrolled: 4-line block ×3, first 2 shown]
.LBB79_92:
	s_or_b64 exec, exec, s[2:3]
	v_cmp_ne_u32_e32 vcc, 17, v121
	s_waitcnt lgkmcnt(0)
	s_barrier
	s_and_saveexec_b64 s[2:3], vcc
	s_xor_b64 s[2:3], exec, s[2:3]
	s_andn2_saveexec_b64 s[2:3], s[2:3]
	s_cbranch_execz .LBB79_96
; %bb.93:
	s_waitcnt vmcnt(30)
	ds_write_b32 v123, v105
	s_waitcnt vmcnt(26)
	ds_write2_b64 v125, v[88:89], v[102:103] offset0:9 offset1:10
	s_waitcnt vmcnt(22)
	ds_write2_b64 v125, v[86:87], v[100:101] offset0:11 offset1:12
	;; [unrolled: 2-line block ×5, first 2 shown]
	s_waitcnt vmcnt(8)
	ds_write_b64 v125, v[110:111] offset:152
	ds_read_b32 v142, v123
	s_waitcnt lgkmcnt(0)
	v_cmp_neq_f32_e32 vcc, 0, v142
	s_and_saveexec_b64 s[4:5], vcc
	s_cbranch_execz .LBB79_95
; %bb.94:
	v_div_scale_f32 v143, s[10:11], v142, v142, 1.0
	v_rcp_f32_e32 v144, v143
	v_div_scale_f32 v145, vcc, 1.0, v142, 1.0
	v_fma_f32 v146, -v143, v144, 1.0
	v_fmac_f32_e32 v144, v146, v144
	v_mul_f32_e32 v146, v145, v144
	v_fma_f32 v147, -v143, v146, v145
	v_fmac_f32_e32 v146, v147, v144
	v_fma_f32 v143, -v143, v146, v145
	v_div_fmas_f32 v143, v143, v144, v146
	v_div_fixup_f32 v142, v143, v142, 1.0
	ds_write_b32 v123, v142
.LBB79_95:
	s_or_b64 exec, exec, s[4:5]
.LBB79_96:
	s_or_b64 exec, exec, s[2:3]
	s_waitcnt lgkmcnt(0)
	s_barrier
	ds_read_b32 v142, v123
	v_cmp_lt_u32_e32 vcc, 17, v121
	s_and_saveexec_b64 s[2:3], vcc
	s_cbranch_execz .LBB79_98
; %bb.97:
	ds_read2_b64 v[144:147], v125 offset0:9 offset1:10
	ds_read2_b64 v[148:151], v125 offset0:11 offset1:12
	;; [unrolled: 1-line block ×3, first 2 shown]
	s_waitcnt vmcnt(30) lgkmcnt(3)
	v_mul_f32_e32 v156, v142, v105
	v_mov_b32_e32 v105, v156
	s_waitcnt vmcnt(28) lgkmcnt(2)
	v_pk_fma_f32 v[88:89], v[156:157], v[144:145], v[88:89] op_sel_hi:[0,1,1] neg_lo:[1,0,0] neg_hi:[1,0,0]
	s_waitcnt vmcnt(26)
	v_pk_fma_f32 v[102:103], v[156:157], v[146:147], v[102:103] op_sel_hi:[0,1,1] neg_lo:[1,0,0] neg_hi:[1,0,0]
	s_waitcnt vmcnt(24) lgkmcnt(1)
	v_pk_fma_f32 v[86:87], v[156:157], v[148:149], v[86:87] op_sel_hi:[0,1,1] neg_lo:[1,0,0] neg_hi:[1,0,0]
	s_waitcnt vmcnt(22)
	v_pk_fma_f32 v[100:101], v[156:157], v[150:151], v[100:101] op_sel_hi:[0,1,1] neg_lo:[1,0,0] neg_hi:[1,0,0]
	ds_read2_b64 v[144:147], v125 offset0:15 offset1:16
	s_waitcnt vmcnt(20) lgkmcnt(1)
	v_pk_fma_f32 v[84:85], v[156:157], v[152:153], v[84:85] op_sel_hi:[0,1,1] neg_lo:[1,0,0] neg_hi:[1,0,0]
	ds_read2_b64 v[148:151], v125 offset0:17 offset1:18
	ds_read_b64 v[152:153], v125 offset:152
	s_waitcnt vmcnt(18)
	v_pk_fma_f32 v[98:99], v[156:157], v[154:155], v[98:99] op_sel_hi:[0,1,1] neg_lo:[1,0,0] neg_hi:[1,0,0]
	s_waitcnt vmcnt(16) lgkmcnt(2)
	v_pk_fma_f32 v[82:83], v[156:157], v[144:145], v[82:83] op_sel_hi:[0,1,1] neg_lo:[1,0,0] neg_hi:[1,0,0]
	s_waitcnt vmcnt(14)
	v_pk_fma_f32 v[96:97], v[156:157], v[146:147], v[96:97] op_sel_hi:[0,1,1] neg_lo:[1,0,0] neg_hi:[1,0,0]
	s_waitcnt vmcnt(12) lgkmcnt(1)
	v_pk_fma_f32 v[80:81], v[156:157], v[148:149], v[80:81] op_sel_hi:[0,1,1] neg_lo:[1,0,0] neg_hi:[1,0,0]
	;; [unrolled: 4-line block ×3, first 2 shown]
.LBB79_98:
	s_or_b64 exec, exec, s[2:3]
	v_cmp_eq_u32_e32 vcc, 18, v121
	s_waitcnt lgkmcnt(0)
	s_barrier
	s_and_saveexec_b64 s[2:3], vcc
	s_cbranch_execz .LBB79_101
; %bb.99:
	s_waitcnt vmcnt(26)
	v_pk_mov_b32 v[144:145], v[88:89], v[102:103] op_sel:[1,0]
	ds_write_b32 v123, v88
	ds_write2_b32 v125, v144, v145 offset0:19 offset1:20
	s_waitcnt vmcnt(24)
	v_pk_mov_b32 v[144:145], v[102:103], v[86:87] op_sel:[1,0]
	ds_write2_b32 v125, v144, v145 offset0:21 offset1:22
	s_waitcnt vmcnt(22)
	v_pk_mov_b32 v[144:145], v[86:87], v[100:101] op_sel:[1,0]
	ds_write2_b32 v125, v144, v145 offset0:23 offset1:24
	s_waitcnt vmcnt(20)
	v_pk_mov_b32 v[144:145], v[100:101], v[84:85] op_sel:[1,0]
	ds_write2_b32 v125, v144, v145 offset0:25 offset1:26
	s_waitcnt vmcnt(18)
	v_pk_mov_b32 v[144:145], v[84:85], v[98:99] op_sel:[1,0]
	ds_write2_b32 v125, v144, v145 offset0:27 offset1:28
	s_waitcnt vmcnt(16)
	v_pk_mov_b32 v[144:145], v[98:99], v[82:83] op_sel:[1,0]
	ds_write2_b32 v125, v144, v145 offset0:29 offset1:30
	s_waitcnt vmcnt(14)
	v_pk_mov_b32 v[144:145], v[82:83], v[96:97] op_sel:[1,0]
	ds_write2_b32 v125, v144, v145 offset0:31 offset1:32
	s_waitcnt vmcnt(12)
	v_pk_mov_b32 v[144:145], v[96:97], v[80:81] op_sel:[1,0]
	ds_write2_b32 v125, v144, v145 offset0:33 offset1:34
	s_waitcnt vmcnt(10)
	v_pk_mov_b32 v[144:145], v[80:81], v[94:95] op_sel:[1,0]
	ds_write2_b32 v125, v144, v145 offset0:35 offset1:36
	s_waitcnt vmcnt(8)
	v_pk_mov_b32 v[144:145], v[94:95], v[110:111] op_sel:[1,0]
	ds_write2_b32 v125, v144, v145 offset0:37 offset1:38
	ds_write_b32 v125, v111 offset:156
	ds_read_b32 v143, v123
	s_waitcnt lgkmcnt(0)
	v_cmp_neq_f32_e32 vcc, 0, v143
	s_and_b64 exec, exec, vcc
	s_cbranch_execz .LBB79_101
; %bb.100:
	v_div_scale_f32 v144, s[4:5], v143, v143, 1.0
	v_rcp_f32_e32 v145, v144
	v_div_scale_f32 v146, vcc, 1.0, v143, 1.0
	v_fma_f32 v147, -v144, v145, 1.0
	v_fmac_f32_e32 v145, v147, v145
	v_mul_f32_e32 v147, v146, v145
	v_fma_f32 v148, -v144, v147, v146
	v_fmac_f32_e32 v147, v148, v145
	v_fma_f32 v144, -v144, v147, v146
	v_div_fmas_f32 v144, v144, v145, v147
	v_div_fixup_f32 v143, v144, v143, 1.0
	ds_write_b32 v123, v143
.LBB79_101:
	s_or_b64 exec, exec, s[2:3]
	s_waitcnt lgkmcnt(0)
	s_barrier
	ds_read_b32 v143, v123
	v_cmp_lt_u32_e32 vcc, 18, v121
	s_and_saveexec_b64 s[2:3], vcc
	s_cbranch_execz .LBB79_103
; %bb.102:
	ds_read_b32 v152, v125 offset:76
	ds_read2_b64 v[144:147], v125 offset0:10 offset1:11
	ds_read2_b64 v[148:151], v125 offset0:12 offset1:13
	s_waitcnt vmcnt(29) lgkmcnt(3)
	v_mul_f32_e32 v88, v143, v88
	s_waitcnt vmcnt(28) lgkmcnt(2)
	v_fma_f32 v89, -v88, v152, v89
	s_waitcnt vmcnt(26) lgkmcnt(1)
	v_pk_fma_f32 v[102:103], v[88:89], v[144:145], v[102:103] op_sel_hi:[0,1,1] neg_lo:[1,0,0] neg_hi:[1,0,0]
	s_waitcnt vmcnt(24)
	v_pk_fma_f32 v[86:87], v[88:89], v[146:147], v[86:87] op_sel_hi:[0,1,1] neg_lo:[1,0,0] neg_hi:[1,0,0]
	ds_read2_b64 v[144:147], v125 offset0:14 offset1:15
	s_waitcnt vmcnt(22) lgkmcnt(1)
	v_pk_fma_f32 v[100:101], v[88:89], v[148:149], v[100:101] op_sel_hi:[0,1,1] neg_lo:[1,0,0] neg_hi:[1,0,0]
	ds_read2_b64 v[152:155], v125 offset0:16 offset1:17
	s_waitcnt vmcnt(20)
	v_pk_fma_f32 v[84:85], v[88:89], v[150:151], v[84:85] op_sel_hi:[0,1,1] neg_lo:[1,0,0] neg_hi:[1,0,0]
	ds_read2_b64 v[148:151], v125 offset0:18 offset1:19
	s_waitcnt vmcnt(18) lgkmcnt(2)
	v_pk_fma_f32 v[98:99], v[88:89], v[144:145], v[98:99] op_sel_hi:[0,1,1] neg_lo:[1,0,0] neg_hi:[1,0,0]
	s_waitcnt vmcnt(16)
	v_pk_fma_f32 v[82:83], v[88:89], v[146:147], v[82:83] op_sel_hi:[0,1,1] neg_lo:[1,0,0] neg_hi:[1,0,0]
	s_waitcnt vmcnt(14) lgkmcnt(1)
	v_pk_fma_f32 v[96:97], v[88:89], v[152:153], v[96:97] op_sel_hi:[0,1,1] neg_lo:[1,0,0] neg_hi:[1,0,0]
	s_waitcnt vmcnt(12)
	v_pk_fma_f32 v[80:81], v[88:89], v[154:155], v[80:81] op_sel_hi:[0,1,1] neg_lo:[1,0,0] neg_hi:[1,0,0]
	;; [unrolled: 4-line block ×3, first 2 shown]
.LBB79_103:
	s_or_b64 exec, exec, s[2:3]
	v_cmp_ne_u32_e32 vcc, 19, v121
	s_waitcnt lgkmcnt(0)
	s_barrier
	s_and_saveexec_b64 s[2:3], vcc
	s_xor_b64 s[2:3], exec, s[2:3]
	s_andn2_saveexec_b64 s[2:3], s[2:3]
	s_cbranch_execz .LBB79_107
; %bb.104:
	s_waitcnt vmcnt(27)
	v_mov_b32_e32 v144, v102
	s_waitcnt vmcnt(26)
	v_mov_b32_e32 v145, v103
	;; [unrolled: 2-line block ×4, first 2 shown]
	ds_write_b32 v123, v89
	ds_write2_b64 v125, v[144:145], v[146:147] offset0:10 offset1:11
	s_waitcnt vmcnt(23)
	v_mov_b32_e32 v144, v100
	s_waitcnt vmcnt(22)
	v_mov_b32_e32 v145, v101
	s_waitcnt vmcnt(21)
	v_mov_b32_e32 v146, v84
	s_waitcnt vmcnt(20)
	v_mov_b32_e32 v147, v85
	ds_write2_b64 v125, v[144:145], v[146:147] offset0:12 offset1:13
	s_waitcnt vmcnt(19)
	v_mov_b32_e32 v144, v98
	s_waitcnt vmcnt(18)
	v_mov_b32_e32 v145, v99
	s_waitcnt vmcnt(17)
	v_mov_b32_e32 v146, v82
	s_waitcnt vmcnt(16)
	v_mov_b32_e32 v147, v83
	ds_write2_b64 v125, v[144:145], v[146:147] offset0:14 offset1:15
	s_waitcnt vmcnt(15)
	v_mov_b32_e32 v144, v96
	s_waitcnt vmcnt(14)
	v_mov_b32_e32 v145, v97
	s_waitcnt vmcnt(13)
	v_mov_b32_e32 v146, v80
	s_waitcnt vmcnt(12)
	v_mov_b32_e32 v147, v81
	ds_write2_b64 v125, v[144:145], v[146:147] offset0:16 offset1:17
	s_waitcnt vmcnt(11)
	v_mov_b32_e32 v144, v94
	s_waitcnt vmcnt(10)
	v_mov_b32_e32 v145, v95
	s_waitcnt vmcnt(8)
	ds_write2_b64 v125, v[144:145], v[110:111] offset0:18 offset1:19
	ds_read_b32 v144, v123
	s_waitcnt lgkmcnt(0)
	v_cmp_neq_f32_e32 vcc, 0, v144
	s_and_saveexec_b64 s[4:5], vcc
	s_cbranch_execz .LBB79_106
; %bb.105:
	v_div_scale_f32 v145, s[10:11], v144, v144, 1.0
	v_rcp_f32_e32 v146, v145
	v_div_scale_f32 v147, vcc, 1.0, v144, 1.0
	v_fma_f32 v148, -v145, v146, 1.0
	v_fmac_f32_e32 v146, v148, v146
	v_mul_f32_e32 v148, v147, v146
	v_fma_f32 v149, -v145, v148, v147
	v_fmac_f32_e32 v148, v149, v146
	v_fma_f32 v145, -v145, v148, v147
	v_div_fmas_f32 v145, v145, v146, v148
	v_div_fixup_f32 v144, v145, v144, 1.0
	ds_write_b32 v123, v144
.LBB79_106:
	s_or_b64 exec, exec, s[4:5]
.LBB79_107:
	s_or_b64 exec, exec, s[2:3]
	s_waitcnt lgkmcnt(0)
	s_barrier
	ds_read_b32 v144, v123
	v_cmp_lt_u32_e32 vcc, 19, v121
	s_and_saveexec_b64 s[2:3], vcc
	s_cbranch_execz .LBB79_109
; %bb.108:
	ds_read2_b64 v[146:149], v125 offset0:10 offset1:11
	ds_read2_b64 v[150:153], v125 offset0:12 offset1:13
	s_waitcnt vmcnt(28) lgkmcnt(2)
	v_mul_f32_e32 v158, v144, v89
	ds_read2_b64 v[154:157], v125 offset0:14 offset1:15
	v_mov_b32_e32 v89, v158
	s_waitcnt vmcnt(26) lgkmcnt(2)
	v_pk_fma_f32 v[102:103], v[158:159], v[146:147], v[102:103] op_sel_hi:[0,1,1] neg_lo:[1,0,0] neg_hi:[1,0,0]
	s_waitcnt vmcnt(24)
	v_pk_fma_f32 v[86:87], v[158:159], v[148:149], v[86:87] op_sel_hi:[0,1,1] neg_lo:[1,0,0] neg_hi:[1,0,0]
	s_waitcnt vmcnt(22) lgkmcnt(1)
	v_pk_fma_f32 v[100:101], v[158:159], v[150:151], v[100:101] op_sel_hi:[0,1,1] neg_lo:[1,0,0] neg_hi:[1,0,0]
	ds_read2_b64 v[146:149], v125 offset0:16 offset1:17
	s_waitcnt vmcnt(20)
	v_pk_fma_f32 v[84:85], v[158:159], v[152:153], v[84:85] op_sel_hi:[0,1,1] neg_lo:[1,0,0] neg_hi:[1,0,0]
	ds_read2_b64 v[150:153], v125 offset0:18 offset1:19
	s_waitcnt vmcnt(18) lgkmcnt(2)
	v_pk_fma_f32 v[98:99], v[158:159], v[154:155], v[98:99] op_sel_hi:[0,1,1] neg_lo:[1,0,0] neg_hi:[1,0,0]
	s_waitcnt vmcnt(16)
	v_pk_fma_f32 v[82:83], v[158:159], v[156:157], v[82:83] op_sel_hi:[0,1,1] neg_lo:[1,0,0] neg_hi:[1,0,0]
	s_waitcnt vmcnt(14) lgkmcnt(1)
	v_pk_fma_f32 v[96:97], v[158:159], v[146:147], v[96:97] op_sel_hi:[0,1,1] neg_lo:[1,0,0] neg_hi:[1,0,0]
	s_waitcnt vmcnt(12)
	v_pk_fma_f32 v[80:81], v[158:159], v[148:149], v[80:81] op_sel_hi:[0,1,1] neg_lo:[1,0,0] neg_hi:[1,0,0]
	;; [unrolled: 4-line block ×3, first 2 shown]
.LBB79_109:
	s_or_b64 exec, exec, s[2:3]
	v_cmp_eq_u32_e32 vcc, 20, v121
	s_waitcnt lgkmcnt(0)
	s_barrier
	s_and_saveexec_b64 s[2:3], vcc
	s_cbranch_execz .LBB79_112
; %bb.110:
	s_waitcnt vmcnt(24)
	v_pk_mov_b32 v[146:147], v[102:103], v[86:87] op_sel:[1,0]
	ds_write_b32 v123, v102
	ds_write2_b32 v125, v146, v147 offset0:21 offset1:22
	s_waitcnt vmcnt(22)
	v_pk_mov_b32 v[146:147], v[86:87], v[100:101] op_sel:[1,0]
	ds_write2_b32 v125, v146, v147 offset0:23 offset1:24
	s_waitcnt vmcnt(20)
	v_pk_mov_b32 v[146:147], v[100:101], v[84:85] op_sel:[1,0]
	;; [unrolled: 3-line block ×8, first 2 shown]
	ds_write2_b32 v125, v146, v147 offset0:37 offset1:38
	ds_write_b32 v125, v111 offset:156
	ds_read_b32 v145, v123
	s_waitcnt lgkmcnt(0)
	v_cmp_neq_f32_e32 vcc, 0, v145
	s_and_b64 exec, exec, vcc
	s_cbranch_execz .LBB79_112
; %bb.111:
	v_div_scale_f32 v146, s[4:5], v145, v145, 1.0
	v_rcp_f32_e32 v147, v146
	v_div_scale_f32 v148, vcc, 1.0, v145, 1.0
	v_fma_f32 v149, -v146, v147, 1.0
	v_fmac_f32_e32 v147, v149, v147
	v_mul_f32_e32 v149, v148, v147
	v_fma_f32 v150, -v146, v149, v148
	v_fmac_f32_e32 v149, v150, v147
	v_fma_f32 v146, -v146, v149, v148
	v_div_fmas_f32 v146, v146, v147, v149
	v_div_fixup_f32 v145, v146, v145, 1.0
	ds_write_b32 v123, v145
.LBB79_112:
	s_or_b64 exec, exec, s[2:3]
	s_waitcnt lgkmcnt(0)
	s_barrier
	ds_read_b32 v145, v123
	v_cmp_lt_u32_e32 vcc, 20, v121
	s_and_saveexec_b64 s[2:3], vcc
	s_cbranch_execz .LBB79_114
; %bb.113:
	ds_read_b32 v154, v125 offset:84
	ds_read2_b64 v[146:149], v125 offset0:11 offset1:12
	ds_read2_b64 v[150:153], v125 offset0:13 offset1:14
	s_waitcnt vmcnt(27) lgkmcnt(3)
	v_mul_f32_e32 v102, v145, v102
	s_waitcnt vmcnt(26) lgkmcnt(2)
	v_fma_f32 v103, -v102, v154, v103
	s_waitcnt vmcnt(24) lgkmcnt(1)
	v_pk_fma_f32 v[86:87], v[102:103], v[146:147], v[86:87] op_sel_hi:[0,1,1] neg_lo:[1,0,0] neg_hi:[1,0,0]
	s_waitcnt vmcnt(22)
	v_pk_fma_f32 v[100:101], v[102:103], v[148:149], v[100:101] op_sel_hi:[0,1,1] neg_lo:[1,0,0] neg_hi:[1,0,0]
	ds_read2_b64 v[146:149], v125 offset0:15 offset1:16
	s_waitcnt vmcnt(20) lgkmcnt(1)
	v_pk_fma_f32 v[84:85], v[102:103], v[150:151], v[84:85] op_sel_hi:[0,1,1] neg_lo:[1,0,0] neg_hi:[1,0,0]
	ds_read2_b64 v[154:157], v125 offset0:17 offset1:18
	ds_read_b64 v[150:151], v125 offset:152
	s_waitcnt vmcnt(18)
	v_pk_fma_f32 v[98:99], v[102:103], v[152:153], v[98:99] op_sel_hi:[0,1,1] neg_lo:[1,0,0] neg_hi:[1,0,0]
	s_waitcnt vmcnt(16) lgkmcnt(2)
	v_pk_fma_f32 v[82:83], v[102:103], v[146:147], v[82:83] op_sel_hi:[0,1,1] neg_lo:[1,0,0] neg_hi:[1,0,0]
	s_waitcnt vmcnt(14)
	v_pk_fma_f32 v[96:97], v[102:103], v[148:149], v[96:97] op_sel_hi:[0,1,1] neg_lo:[1,0,0] neg_hi:[1,0,0]
	s_waitcnt vmcnt(12) lgkmcnt(1)
	v_pk_fma_f32 v[80:81], v[102:103], v[154:155], v[80:81] op_sel_hi:[0,1,1] neg_lo:[1,0,0] neg_hi:[1,0,0]
	;; [unrolled: 4-line block ×3, first 2 shown]
.LBB79_114:
	s_or_b64 exec, exec, s[2:3]
	v_cmp_ne_u32_e32 vcc, 21, v121
	s_waitcnt lgkmcnt(0)
	s_barrier
	s_and_saveexec_b64 s[2:3], vcc
	s_xor_b64 s[2:3], exec, s[2:3]
	s_andn2_saveexec_b64 s[2:3], s[2:3]
	s_cbranch_execz .LBB79_118
; %bb.115:
	s_waitcnt vmcnt(26)
	ds_write_b32 v123, v103
	s_waitcnt vmcnt(22)
	ds_write2_b64 v125, v[86:87], v[100:101] offset0:11 offset1:12
	s_waitcnt vmcnt(18)
	ds_write2_b64 v125, v[84:85], v[98:99] offset0:13 offset1:14
	;; [unrolled: 2-line block ×4, first 2 shown]
	s_waitcnt vmcnt(8)
	ds_write_b64 v125, v[110:111] offset:152
	ds_read_b32 v146, v123
	s_waitcnt lgkmcnt(0)
	v_cmp_neq_f32_e32 vcc, 0, v146
	s_and_saveexec_b64 s[4:5], vcc
	s_cbranch_execz .LBB79_117
; %bb.116:
	v_div_scale_f32 v147, s[10:11], v146, v146, 1.0
	v_rcp_f32_e32 v148, v147
	v_div_scale_f32 v149, vcc, 1.0, v146, 1.0
	v_fma_f32 v150, -v147, v148, 1.0
	v_fmac_f32_e32 v148, v150, v148
	v_mul_f32_e32 v150, v149, v148
	v_fma_f32 v151, -v147, v150, v149
	v_fmac_f32_e32 v150, v151, v148
	v_fma_f32 v147, -v147, v150, v149
	v_div_fmas_f32 v147, v147, v148, v150
	v_div_fixup_f32 v146, v147, v146, 1.0
	ds_write_b32 v123, v146
.LBB79_117:
	s_or_b64 exec, exec, s[4:5]
.LBB79_118:
	s_or_b64 exec, exec, s[2:3]
	s_waitcnt lgkmcnt(0)
	s_barrier
	ds_read_b32 v146, v123
	v_cmp_lt_u32_e32 vcc, 21, v121
	s_and_saveexec_b64 s[2:3], vcc
	s_cbranch_execz .LBB79_120
; %bb.119:
	ds_read2_b64 v[148:151], v125 offset0:11 offset1:12
	ds_read2_b64 v[152:155], v125 offset0:13 offset1:14
	s_waitcnt vmcnt(26) lgkmcnt(2)
	v_mul_f32_e32 v160, v146, v103
	ds_read2_b64 v[156:159], v125 offset0:15 offset1:16
	v_mov_b32_e32 v103, v160
	s_waitcnt vmcnt(24) lgkmcnt(2)
	v_pk_fma_f32 v[86:87], v[160:161], v[148:149], v[86:87] op_sel_hi:[0,1,1] neg_lo:[1,0,0] neg_hi:[1,0,0]
	s_waitcnt vmcnt(22)
	v_pk_fma_f32 v[100:101], v[160:161], v[150:151], v[100:101] op_sel_hi:[0,1,1] neg_lo:[1,0,0] neg_hi:[1,0,0]
	s_waitcnt vmcnt(20) lgkmcnt(1)
	v_pk_fma_f32 v[84:85], v[160:161], v[152:153], v[84:85] op_sel_hi:[0,1,1] neg_lo:[1,0,0] neg_hi:[1,0,0]
	ds_read2_b64 v[148:151], v125 offset0:17 offset1:18
	ds_read_b64 v[152:153], v125 offset:152
	s_waitcnt vmcnt(18)
	v_pk_fma_f32 v[98:99], v[160:161], v[154:155], v[98:99] op_sel_hi:[0,1,1] neg_lo:[1,0,0] neg_hi:[1,0,0]
	s_waitcnt vmcnt(16) lgkmcnt(2)
	v_pk_fma_f32 v[82:83], v[160:161], v[156:157], v[82:83] op_sel_hi:[0,1,1] neg_lo:[1,0,0] neg_hi:[1,0,0]
	s_waitcnt vmcnt(14)
	v_pk_fma_f32 v[96:97], v[160:161], v[158:159], v[96:97] op_sel_hi:[0,1,1] neg_lo:[1,0,0] neg_hi:[1,0,0]
	s_waitcnt vmcnt(12) lgkmcnt(1)
	v_pk_fma_f32 v[80:81], v[160:161], v[148:149], v[80:81] op_sel_hi:[0,1,1] neg_lo:[1,0,0] neg_hi:[1,0,0]
	;; [unrolled: 4-line block ×3, first 2 shown]
.LBB79_120:
	s_or_b64 exec, exec, s[2:3]
	v_cmp_eq_u32_e32 vcc, 22, v121
	s_waitcnt lgkmcnt(0)
	s_barrier
	s_and_saveexec_b64 s[2:3], vcc
	s_cbranch_execz .LBB79_123
; %bb.121:
	s_waitcnt vmcnt(22)
	v_pk_mov_b32 v[148:149], v[86:87], v[100:101] op_sel:[1,0]
	ds_write_b32 v123, v86
	ds_write2_b32 v125, v148, v149 offset0:23 offset1:24
	s_waitcnt vmcnt(20)
	v_pk_mov_b32 v[148:149], v[100:101], v[84:85] op_sel:[1,0]
	ds_write2_b32 v125, v148, v149 offset0:25 offset1:26
	s_waitcnt vmcnt(18)
	v_pk_mov_b32 v[148:149], v[84:85], v[98:99] op_sel:[1,0]
	;; [unrolled: 3-line block ×7, first 2 shown]
	ds_write2_b32 v125, v148, v149 offset0:37 offset1:38
	ds_write_b32 v125, v111 offset:156
	ds_read_b32 v147, v123
	s_waitcnt lgkmcnt(0)
	v_cmp_neq_f32_e32 vcc, 0, v147
	s_and_b64 exec, exec, vcc
	s_cbranch_execz .LBB79_123
; %bb.122:
	v_div_scale_f32 v148, s[4:5], v147, v147, 1.0
	v_rcp_f32_e32 v149, v148
	v_div_scale_f32 v150, vcc, 1.0, v147, 1.0
	v_fma_f32 v151, -v148, v149, 1.0
	v_fmac_f32_e32 v149, v151, v149
	v_mul_f32_e32 v151, v150, v149
	v_fma_f32 v152, -v148, v151, v150
	v_fmac_f32_e32 v151, v152, v149
	v_fma_f32 v148, -v148, v151, v150
	v_div_fmas_f32 v148, v148, v149, v151
	v_div_fixup_f32 v147, v148, v147, 1.0
	ds_write_b32 v123, v147
.LBB79_123:
	s_or_b64 exec, exec, s[2:3]
	s_waitcnt lgkmcnt(0)
	s_barrier
	ds_read_b32 v147, v123
	v_cmp_lt_u32_e32 vcc, 22, v121
	s_and_saveexec_b64 s[2:3], vcc
	s_cbranch_execz .LBB79_125
; %bb.124:
	ds_read_b32 v160, v125 offset:92
	ds_read2_b64 v[148:151], v125 offset0:12 offset1:13
	s_waitcnt vmcnt(25) lgkmcnt(2)
	v_mul_f32_e32 v86, v147, v86
	ds_read2_b64 v[152:155], v125 offset0:14 offset1:15
	ds_read2_b64 v[156:159], v125 offset0:16 offset1:17
	s_waitcnt vmcnt(24) lgkmcnt(3)
	v_fma_f32 v87, -v86, v160, v87
	s_waitcnt vmcnt(22) lgkmcnt(2)
	v_pk_fma_f32 v[100:101], v[86:87], v[148:149], v[100:101] op_sel_hi:[0,1,1] neg_lo:[1,0,0] neg_hi:[1,0,0]
	s_waitcnt vmcnt(20)
	v_pk_fma_f32 v[84:85], v[86:87], v[150:151], v[84:85] op_sel_hi:[0,1,1] neg_lo:[1,0,0] neg_hi:[1,0,0]
	ds_read2_b64 v[148:151], v125 offset0:18 offset1:19
	s_waitcnt vmcnt(18) lgkmcnt(2)
	v_pk_fma_f32 v[98:99], v[86:87], v[152:153], v[98:99] op_sel_hi:[0,1,1] neg_lo:[1,0,0] neg_hi:[1,0,0]
	s_waitcnt vmcnt(16)
	v_pk_fma_f32 v[82:83], v[86:87], v[154:155], v[82:83] op_sel_hi:[0,1,1] neg_lo:[1,0,0] neg_hi:[1,0,0]
	s_waitcnt vmcnt(14) lgkmcnt(1)
	v_pk_fma_f32 v[96:97], v[86:87], v[156:157], v[96:97] op_sel_hi:[0,1,1] neg_lo:[1,0,0] neg_hi:[1,0,0]
	s_waitcnt vmcnt(12)
	v_pk_fma_f32 v[80:81], v[86:87], v[158:159], v[80:81] op_sel_hi:[0,1,1] neg_lo:[1,0,0] neg_hi:[1,0,0]
	;; [unrolled: 4-line block ×3, first 2 shown]
.LBB79_125:
	s_or_b64 exec, exec, s[2:3]
	v_cmp_ne_u32_e32 vcc, 23, v121
	s_waitcnt lgkmcnt(0)
	s_barrier
	s_and_saveexec_b64 s[2:3], vcc
	s_xor_b64 s[2:3], exec, s[2:3]
	s_andn2_saveexec_b64 s[2:3], s[2:3]
	s_cbranch_execz .LBB79_129
; %bb.126:
	s_waitcnt vmcnt(23)
	v_mov_b32_e32 v148, v100
	s_waitcnt vmcnt(22)
	v_mov_b32_e32 v149, v101
	;; [unrolled: 2-line block ×4, first 2 shown]
	ds_write_b32 v123, v87
	ds_write2_b64 v125, v[148:149], v[150:151] offset0:12 offset1:13
	s_waitcnt vmcnt(19)
	v_mov_b32_e32 v148, v98
	s_waitcnt vmcnt(18)
	v_mov_b32_e32 v149, v99
	;; [unrolled: 2-line block ×4, first 2 shown]
	ds_write2_b64 v125, v[148:149], v[150:151] offset0:14 offset1:15
	s_waitcnt vmcnt(15)
	v_mov_b32_e32 v148, v96
	s_waitcnt vmcnt(14)
	v_mov_b32_e32 v149, v97
	s_waitcnt vmcnt(13)
	v_mov_b32_e32 v150, v80
	s_waitcnt vmcnt(12)
	v_mov_b32_e32 v151, v81
	ds_write2_b64 v125, v[148:149], v[150:151] offset0:16 offset1:17
	s_waitcnt vmcnt(11)
	v_mov_b32_e32 v148, v94
	s_waitcnt vmcnt(10)
	v_mov_b32_e32 v149, v95
	s_waitcnt vmcnt(8)
	ds_write2_b64 v125, v[148:149], v[110:111] offset0:18 offset1:19
	ds_read_b32 v148, v123
	s_waitcnt lgkmcnt(0)
	v_cmp_neq_f32_e32 vcc, 0, v148
	s_and_saveexec_b64 s[4:5], vcc
	s_cbranch_execz .LBB79_128
; %bb.127:
	v_div_scale_f32 v149, s[10:11], v148, v148, 1.0
	v_rcp_f32_e32 v150, v149
	v_div_scale_f32 v151, vcc, 1.0, v148, 1.0
	v_fma_f32 v152, -v149, v150, 1.0
	v_fmac_f32_e32 v150, v152, v150
	v_mul_f32_e32 v152, v151, v150
	v_fma_f32 v153, -v149, v152, v151
	v_fmac_f32_e32 v152, v153, v150
	v_fma_f32 v149, -v149, v152, v151
	v_div_fmas_f32 v149, v149, v150, v152
	v_div_fixup_f32 v148, v149, v148, 1.0
	ds_write_b32 v123, v148
.LBB79_128:
	s_or_b64 exec, exec, s[4:5]
.LBB79_129:
	s_or_b64 exec, exec, s[2:3]
	s_waitcnt lgkmcnt(0)
	s_barrier
	ds_read_b32 v148, v123
	v_cmp_lt_u32_e32 vcc, 23, v121
	s_and_saveexec_b64 s[2:3], vcc
	s_cbranch_execz .LBB79_131
; %bb.130:
	ds_read2_b64 v[150:153], v125 offset0:12 offset1:13
	s_waitcnt vmcnt(24) lgkmcnt(1)
	v_mul_f32_e32 v162, v148, v87
	ds_read2_b64 v[154:157], v125 offset0:14 offset1:15
	ds_read2_b64 v[158:161], v125 offset0:16 offset1:17
	v_mov_b32_e32 v87, v162
	s_waitcnt vmcnt(22) lgkmcnt(2)
	v_pk_fma_f32 v[100:101], v[162:163], v[150:151], v[100:101] op_sel_hi:[0,1,1] neg_lo:[1,0,0] neg_hi:[1,0,0]
	s_waitcnt vmcnt(20)
	v_pk_fma_f32 v[84:85], v[162:163], v[152:153], v[84:85] op_sel_hi:[0,1,1] neg_lo:[1,0,0] neg_hi:[1,0,0]
	ds_read2_b64 v[150:153], v125 offset0:18 offset1:19
	s_waitcnt vmcnt(18) lgkmcnt(2)
	v_pk_fma_f32 v[98:99], v[162:163], v[154:155], v[98:99] op_sel_hi:[0,1,1] neg_lo:[1,0,0] neg_hi:[1,0,0]
	s_waitcnt vmcnt(16)
	v_pk_fma_f32 v[82:83], v[162:163], v[156:157], v[82:83] op_sel_hi:[0,1,1] neg_lo:[1,0,0] neg_hi:[1,0,0]
	s_waitcnt vmcnt(14) lgkmcnt(1)
	v_pk_fma_f32 v[96:97], v[162:163], v[158:159], v[96:97] op_sel_hi:[0,1,1] neg_lo:[1,0,0] neg_hi:[1,0,0]
	s_waitcnt vmcnt(12)
	v_pk_fma_f32 v[80:81], v[162:163], v[160:161], v[80:81] op_sel_hi:[0,1,1] neg_lo:[1,0,0] neg_hi:[1,0,0]
	;; [unrolled: 4-line block ×3, first 2 shown]
.LBB79_131:
	s_or_b64 exec, exec, s[2:3]
	v_cmp_eq_u32_e32 vcc, 24, v121
	s_waitcnt lgkmcnt(0)
	s_barrier
	s_and_saveexec_b64 s[2:3], vcc
	s_cbranch_execz .LBB79_134
; %bb.132:
	s_waitcnt vmcnt(20)
	v_pk_mov_b32 v[150:151], v[100:101], v[84:85] op_sel:[1,0]
	ds_write_b32 v123, v100
	ds_write2_b32 v125, v150, v151 offset0:25 offset1:26
	s_waitcnt vmcnt(18)
	v_pk_mov_b32 v[150:151], v[84:85], v[98:99] op_sel:[1,0]
	ds_write2_b32 v125, v150, v151 offset0:27 offset1:28
	s_waitcnt vmcnt(16)
	v_pk_mov_b32 v[150:151], v[98:99], v[82:83] op_sel:[1,0]
	;; [unrolled: 3-line block ×6, first 2 shown]
	ds_write2_b32 v125, v150, v151 offset0:37 offset1:38
	ds_write_b32 v125, v111 offset:156
	ds_read_b32 v149, v123
	s_waitcnt lgkmcnt(0)
	v_cmp_neq_f32_e32 vcc, 0, v149
	s_and_b64 exec, exec, vcc
	s_cbranch_execz .LBB79_134
; %bb.133:
	v_div_scale_f32 v150, s[4:5], v149, v149, 1.0
	v_rcp_f32_e32 v151, v150
	v_div_scale_f32 v152, vcc, 1.0, v149, 1.0
	v_fma_f32 v153, -v150, v151, 1.0
	v_fmac_f32_e32 v151, v153, v151
	v_mul_f32_e32 v153, v152, v151
	v_fma_f32 v154, -v150, v153, v152
	v_fmac_f32_e32 v153, v154, v151
	v_fma_f32 v150, -v150, v153, v152
	v_div_fmas_f32 v150, v150, v151, v153
	v_div_fixup_f32 v149, v150, v149, 1.0
	ds_write_b32 v123, v149
.LBB79_134:
	s_or_b64 exec, exec, s[2:3]
	s_waitcnt lgkmcnt(0)
	s_barrier
	ds_read_b32 v149, v123
	v_cmp_lt_u32_e32 vcc, 24, v121
	s_and_saveexec_b64 s[2:3], vcc
	s_cbranch_execz .LBB79_136
; %bb.135:
	ds_read_b32 v158, v125 offset:100
	s_waitcnt vmcnt(23) lgkmcnt(1)
	v_mul_f32_e32 v100, v149, v100
	ds_read2_b64 v[150:153], v125 offset0:13 offset1:14
	ds_read_b64 v[162:163], v125 offset:152
	ds_read2_b64 v[154:157], v125 offset0:15 offset1:16
	s_waitcnt vmcnt(22) lgkmcnt(3)
	v_fma_f32 v101, -v100, v158, v101
	ds_read2_b64 v[158:161], v125 offset0:17 offset1:18
	s_waitcnt vmcnt(20) lgkmcnt(3)
	v_pk_fma_f32 v[84:85], v[100:101], v[150:151], v[84:85] op_sel_hi:[0,1,1] neg_lo:[1,0,0] neg_hi:[1,0,0]
	s_waitcnt vmcnt(18)
	v_pk_fma_f32 v[98:99], v[100:101], v[152:153], v[98:99] op_sel_hi:[0,1,1] neg_lo:[1,0,0] neg_hi:[1,0,0]
	s_waitcnt vmcnt(16) lgkmcnt(1)
	v_pk_fma_f32 v[82:83], v[100:101], v[154:155], v[82:83] op_sel_hi:[0,1,1] neg_lo:[1,0,0] neg_hi:[1,0,0]
	s_waitcnt vmcnt(14)
	v_pk_fma_f32 v[96:97], v[100:101], v[156:157], v[96:97] op_sel_hi:[0,1,1] neg_lo:[1,0,0] neg_hi:[1,0,0]
	;; [unrolled: 4-line block ×3, first 2 shown]
	s_waitcnt vmcnt(8)
	v_pk_fma_f32 v[110:111], v[100:101], v[162:163], v[110:111] op_sel_hi:[0,1,1] neg_lo:[1,0,0] neg_hi:[1,0,0]
.LBB79_136:
	s_or_b64 exec, exec, s[2:3]
	v_cmp_ne_u32_e32 vcc, 25, v121
	s_waitcnt lgkmcnt(0)
	s_barrier
	s_and_saveexec_b64 s[2:3], vcc
	s_xor_b64 s[2:3], exec, s[2:3]
	s_andn2_saveexec_b64 s[2:3], s[2:3]
	s_cbranch_execz .LBB79_140
; %bb.137:
	s_waitcnt vmcnt(22)
	ds_write_b32 v123, v101
	s_waitcnt vmcnt(18)
	ds_write2_b64 v125, v[84:85], v[98:99] offset0:13 offset1:14
	s_waitcnt vmcnt(14)
	ds_write2_b64 v125, v[82:83], v[96:97] offset0:15 offset1:16
	s_waitcnt vmcnt(10)
	ds_write2_b64 v125, v[80:81], v[94:95] offset0:17 offset1:18
	s_waitcnt vmcnt(8)
	ds_write_b64 v125, v[110:111] offset:152
	ds_read_b32 v150, v123
	s_waitcnt lgkmcnt(0)
	v_cmp_neq_f32_e32 vcc, 0, v150
	s_and_saveexec_b64 s[4:5], vcc
	s_cbranch_execz .LBB79_139
; %bb.138:
	v_div_scale_f32 v151, s[10:11], v150, v150, 1.0
	v_rcp_f32_e32 v152, v151
	v_div_scale_f32 v153, vcc, 1.0, v150, 1.0
	v_fma_f32 v154, -v151, v152, 1.0
	v_fmac_f32_e32 v152, v154, v152
	v_mul_f32_e32 v154, v153, v152
	v_fma_f32 v155, -v151, v154, v153
	v_fmac_f32_e32 v154, v155, v152
	v_fma_f32 v151, -v151, v154, v153
	v_div_fmas_f32 v151, v151, v152, v154
	v_div_fixup_f32 v150, v151, v150, 1.0
	ds_write_b32 v123, v150
.LBB79_139:
	s_or_b64 exec, exec, s[4:5]
.LBB79_140:
	s_or_b64 exec, exec, s[2:3]
	s_waitcnt lgkmcnt(0)
	s_barrier
	ds_read_b32 v150, v123
	v_cmp_lt_u32_e32 vcc, 25, v121
	s_and_saveexec_b64 s[2:3], vcc
	s_cbranch_execz .LBB79_142
; %bb.141:
	ds_read2_b64 v[152:155], v125 offset0:13 offset1:14
	s_waitcnt vmcnt(22) lgkmcnt(1)
	v_mul_f32_e32 v164, v150, v101
	ds_read2_b64 v[156:159], v125 offset0:15 offset1:16
	ds_read2_b64 v[160:163], v125 offset0:17 offset1:18
	v_mov_b32_e32 v101, v164
	s_waitcnt vmcnt(20) lgkmcnt(2)
	v_pk_fma_f32 v[84:85], v[164:165], v[152:153], v[84:85] op_sel_hi:[0,1,1] neg_lo:[1,0,0] neg_hi:[1,0,0]
	ds_read_b64 v[152:153], v125 offset:152
	s_waitcnt vmcnt(18)
	v_pk_fma_f32 v[98:99], v[164:165], v[154:155], v[98:99] op_sel_hi:[0,1,1] neg_lo:[1,0,0] neg_hi:[1,0,0]
	s_waitcnt vmcnt(16) lgkmcnt(2)
	v_pk_fma_f32 v[82:83], v[164:165], v[156:157], v[82:83] op_sel_hi:[0,1,1] neg_lo:[1,0,0] neg_hi:[1,0,0]
	s_waitcnt vmcnt(14)
	v_pk_fma_f32 v[96:97], v[164:165], v[158:159], v[96:97] op_sel_hi:[0,1,1] neg_lo:[1,0,0] neg_hi:[1,0,0]
	s_waitcnt vmcnt(12) lgkmcnt(1)
	v_pk_fma_f32 v[80:81], v[164:165], v[160:161], v[80:81] op_sel_hi:[0,1,1] neg_lo:[1,0,0] neg_hi:[1,0,0]
	s_waitcnt vmcnt(10)
	v_pk_fma_f32 v[94:95], v[164:165], v[162:163], v[94:95] op_sel_hi:[0,1,1] neg_lo:[1,0,0] neg_hi:[1,0,0]
	s_waitcnt vmcnt(8) lgkmcnt(0)
	v_pk_fma_f32 v[110:111], v[164:165], v[152:153], v[110:111] op_sel_hi:[0,1,1] neg_lo:[1,0,0] neg_hi:[1,0,0]
.LBB79_142:
	s_or_b64 exec, exec, s[2:3]
	v_cmp_eq_u32_e32 vcc, 26, v121
	s_waitcnt lgkmcnt(0)
	s_barrier
	s_and_saveexec_b64 s[2:3], vcc
	s_cbranch_execz .LBB79_145
; %bb.143:
	s_waitcnt vmcnt(18)
	v_pk_mov_b32 v[152:153], v[84:85], v[98:99] op_sel:[1,0]
	ds_write_b32 v123, v84
	ds_write2_b32 v125, v152, v153 offset0:27 offset1:28
	s_waitcnt vmcnt(16)
	v_pk_mov_b32 v[152:153], v[98:99], v[82:83] op_sel:[1,0]
	ds_write2_b32 v125, v152, v153 offset0:29 offset1:30
	s_waitcnt vmcnt(14)
	v_pk_mov_b32 v[152:153], v[82:83], v[96:97] op_sel:[1,0]
	;; [unrolled: 3-line block ×5, first 2 shown]
	ds_write2_b32 v125, v152, v153 offset0:37 offset1:38
	ds_write_b32 v125, v111 offset:156
	ds_read_b32 v151, v123
	s_waitcnt lgkmcnt(0)
	v_cmp_neq_f32_e32 vcc, 0, v151
	s_and_b64 exec, exec, vcc
	s_cbranch_execz .LBB79_145
; %bb.144:
	v_div_scale_f32 v152, s[4:5], v151, v151, 1.0
	v_rcp_f32_e32 v153, v152
	v_div_scale_f32 v154, vcc, 1.0, v151, 1.0
	v_fma_f32 v155, -v152, v153, 1.0
	v_fmac_f32_e32 v153, v155, v153
	v_mul_f32_e32 v155, v154, v153
	v_fma_f32 v156, -v152, v155, v154
	v_fmac_f32_e32 v155, v156, v153
	v_fma_f32 v152, -v152, v155, v154
	v_div_fmas_f32 v152, v152, v153, v155
	v_div_fixup_f32 v151, v152, v151, 1.0
	ds_write_b32 v123, v151
.LBB79_145:
	s_or_b64 exec, exec, s[2:3]
	s_waitcnt lgkmcnt(0)
	s_barrier
	ds_read_b32 v151, v123
	v_cmp_lt_u32_e32 vcc, 26, v121
	s_and_saveexec_b64 s[2:3], vcc
	s_cbranch_execz .LBB79_147
; %bb.146:
	ds_read_b32 v164, v125 offset:108
	ds_read2_b64 v[152:155], v125 offset0:14 offset1:15
	ds_read2_b64 v[156:159], v125 offset0:16 offset1:17
	;; [unrolled: 1-line block ×3, first 2 shown]
	s_waitcnt vmcnt(21) lgkmcnt(4)
	v_mul_f32_e32 v84, v151, v84
	s_waitcnt vmcnt(20) lgkmcnt(3)
	v_fma_f32 v85, -v84, v164, v85
	s_waitcnt vmcnt(18) lgkmcnt(2)
	v_pk_fma_f32 v[98:99], v[84:85], v[152:153], v[98:99] op_sel_hi:[0,1,1] neg_lo:[1,0,0] neg_hi:[1,0,0]
	s_waitcnt vmcnt(16)
	v_pk_fma_f32 v[82:83], v[84:85], v[154:155], v[82:83] op_sel_hi:[0,1,1] neg_lo:[1,0,0] neg_hi:[1,0,0]
	s_waitcnt vmcnt(14) lgkmcnt(1)
	v_pk_fma_f32 v[96:97], v[84:85], v[156:157], v[96:97] op_sel_hi:[0,1,1] neg_lo:[1,0,0] neg_hi:[1,0,0]
	s_waitcnt vmcnt(12)
	v_pk_fma_f32 v[80:81], v[84:85], v[158:159], v[80:81] op_sel_hi:[0,1,1] neg_lo:[1,0,0] neg_hi:[1,0,0]
	;; [unrolled: 4-line block ×3, first 2 shown]
.LBB79_147:
	s_or_b64 exec, exec, s[2:3]
	v_cmp_ne_u32_e32 vcc, 27, v121
	s_waitcnt lgkmcnt(0)
	s_barrier
	s_and_saveexec_b64 s[2:3], vcc
	s_xor_b64 s[2:3], exec, s[2:3]
	s_andn2_saveexec_b64 s[2:3], s[2:3]
	s_cbranch_execz .LBB79_151
; %bb.148:
	s_waitcnt vmcnt(19)
	v_mov_b32_e32 v152, v98
	s_waitcnt vmcnt(18)
	v_mov_b32_e32 v153, v99
	;; [unrolled: 2-line block ×4, first 2 shown]
	ds_write_b32 v123, v85
	ds_write2_b64 v125, v[152:153], v[154:155] offset0:14 offset1:15
	s_waitcnt vmcnt(15)
	v_mov_b32_e32 v152, v96
	s_waitcnt vmcnt(14)
	v_mov_b32_e32 v153, v97
	;; [unrolled: 2-line block ×4, first 2 shown]
	ds_write2_b64 v125, v[152:153], v[154:155] offset0:16 offset1:17
	s_waitcnt vmcnt(11)
	v_mov_b32_e32 v152, v94
	s_waitcnt vmcnt(10)
	v_mov_b32_e32 v153, v95
	s_waitcnt vmcnt(8)
	ds_write2_b64 v125, v[152:153], v[110:111] offset0:18 offset1:19
	ds_read_b32 v152, v123
	s_waitcnt lgkmcnt(0)
	v_cmp_neq_f32_e32 vcc, 0, v152
	s_and_saveexec_b64 s[4:5], vcc
	s_cbranch_execz .LBB79_150
; %bb.149:
	v_div_scale_f32 v153, s[10:11], v152, v152, 1.0
	v_rcp_f32_e32 v154, v153
	v_div_scale_f32 v155, vcc, 1.0, v152, 1.0
	v_fma_f32 v156, -v153, v154, 1.0
	v_fmac_f32_e32 v154, v156, v154
	v_mul_f32_e32 v156, v155, v154
	v_fma_f32 v157, -v153, v156, v155
	v_fmac_f32_e32 v156, v157, v154
	v_fma_f32 v153, -v153, v156, v155
	v_div_fmas_f32 v153, v153, v154, v156
	v_div_fixup_f32 v152, v153, v152, 1.0
	ds_write_b32 v123, v152
.LBB79_150:
	s_or_b64 exec, exec, s[4:5]
.LBB79_151:
	s_or_b64 exec, exec, s[2:3]
	s_waitcnt lgkmcnt(0)
	s_barrier
	ds_read_b32 v152, v123
	v_cmp_lt_u32_e32 vcc, 27, v121
	s_and_saveexec_b64 s[2:3], vcc
	s_cbranch_execz .LBB79_153
; %bb.152:
	ds_read2_b64 v[154:157], v125 offset0:14 offset1:15
	ds_read2_b64 v[158:161], v125 offset0:16 offset1:17
	ds_read2_b64 v[162:165], v125 offset0:18 offset1:19
	s_waitcnt vmcnt(20) lgkmcnt(3)
	v_mul_f32_e32 v166, v152, v85
	v_mov_b32_e32 v85, v166
	s_waitcnt vmcnt(18) lgkmcnt(2)
	v_pk_fma_f32 v[98:99], v[166:167], v[154:155], v[98:99] op_sel_hi:[0,1,1] neg_lo:[1,0,0] neg_hi:[1,0,0]
	s_waitcnt vmcnt(16)
	v_pk_fma_f32 v[82:83], v[166:167], v[156:157], v[82:83] op_sel_hi:[0,1,1] neg_lo:[1,0,0] neg_hi:[1,0,0]
	s_waitcnt vmcnt(14) lgkmcnt(1)
	v_pk_fma_f32 v[96:97], v[166:167], v[158:159], v[96:97] op_sel_hi:[0,1,1] neg_lo:[1,0,0] neg_hi:[1,0,0]
	s_waitcnt vmcnt(12)
	v_pk_fma_f32 v[80:81], v[166:167], v[160:161], v[80:81] op_sel_hi:[0,1,1] neg_lo:[1,0,0] neg_hi:[1,0,0]
	;; [unrolled: 4-line block ×3, first 2 shown]
.LBB79_153:
	s_or_b64 exec, exec, s[2:3]
	v_cmp_eq_u32_e32 vcc, 28, v121
	s_waitcnt lgkmcnt(0)
	s_barrier
	s_and_saveexec_b64 s[2:3], vcc
	s_cbranch_execz .LBB79_156
; %bb.154:
	s_waitcnt vmcnt(16)
	v_pk_mov_b32 v[154:155], v[98:99], v[82:83] op_sel:[1,0]
	ds_write_b32 v123, v98
	ds_write2_b32 v125, v154, v155 offset0:29 offset1:30
	s_waitcnt vmcnt(14)
	v_pk_mov_b32 v[154:155], v[82:83], v[96:97] op_sel:[1,0]
	ds_write2_b32 v125, v154, v155 offset0:31 offset1:32
	s_waitcnt vmcnt(12)
	v_pk_mov_b32 v[154:155], v[96:97], v[80:81] op_sel:[1,0]
	;; [unrolled: 3-line block ×4, first 2 shown]
	ds_write2_b32 v125, v154, v155 offset0:37 offset1:38
	ds_write_b32 v125, v111 offset:156
	ds_read_b32 v153, v123
	s_waitcnt lgkmcnt(0)
	v_cmp_neq_f32_e32 vcc, 0, v153
	s_and_b64 exec, exec, vcc
	s_cbranch_execz .LBB79_156
; %bb.155:
	v_div_scale_f32 v154, s[4:5], v153, v153, 1.0
	v_rcp_f32_e32 v155, v154
	v_div_scale_f32 v156, vcc, 1.0, v153, 1.0
	v_fma_f32 v157, -v154, v155, 1.0
	v_fmac_f32_e32 v155, v157, v155
	v_mul_f32_e32 v157, v156, v155
	v_fma_f32 v158, -v154, v157, v156
	v_fmac_f32_e32 v157, v158, v155
	v_fma_f32 v154, -v154, v157, v156
	v_div_fmas_f32 v154, v154, v155, v157
	v_div_fixup_f32 v153, v154, v153, 1.0
	ds_write_b32 v123, v153
.LBB79_156:
	s_or_b64 exec, exec, s[2:3]
	s_waitcnt lgkmcnt(0)
	s_barrier
	ds_read_b32 v153, v123
	v_cmp_lt_u32_e32 vcc, 28, v121
	s_and_saveexec_b64 s[2:3], vcc
	s_cbranch_execz .LBB79_158
; %bb.157:
	ds_read_b32 v164, v125 offset:116
	ds_read2_b64 v[154:157], v125 offset0:15 offset1:16
	ds_read_b64 v[162:163], v125 offset:152
	ds_read2_b64 v[158:161], v125 offset0:17 offset1:18
	s_waitcnt vmcnt(19) lgkmcnt(4)
	v_mul_f32_e32 v98, v153, v98
	s_waitcnt vmcnt(18) lgkmcnt(3)
	v_fma_f32 v99, -v98, v164, v99
	s_waitcnt vmcnt(16) lgkmcnt(2)
	v_pk_fma_f32 v[82:83], v[98:99], v[154:155], v[82:83] op_sel_hi:[0,1,1] neg_lo:[1,0,0] neg_hi:[1,0,0]
	s_waitcnt vmcnt(14)
	v_pk_fma_f32 v[96:97], v[98:99], v[156:157], v[96:97] op_sel_hi:[0,1,1] neg_lo:[1,0,0] neg_hi:[1,0,0]
	s_waitcnt vmcnt(12) lgkmcnt(0)
	v_pk_fma_f32 v[80:81], v[98:99], v[158:159], v[80:81] op_sel_hi:[0,1,1] neg_lo:[1,0,0] neg_hi:[1,0,0]
	s_waitcnt vmcnt(10)
	v_pk_fma_f32 v[94:95], v[98:99], v[160:161], v[94:95] op_sel_hi:[0,1,1] neg_lo:[1,0,0] neg_hi:[1,0,0]
	s_waitcnt vmcnt(8)
	v_pk_fma_f32 v[110:111], v[98:99], v[162:163], v[110:111] op_sel_hi:[0,1,1] neg_lo:[1,0,0] neg_hi:[1,0,0]
.LBB79_158:
	s_or_b64 exec, exec, s[2:3]
	v_cmp_ne_u32_e32 vcc, 29, v121
	s_waitcnt lgkmcnt(0)
	s_barrier
	s_and_saveexec_b64 s[2:3], vcc
	s_xor_b64 s[2:3], exec, s[2:3]
	s_andn2_saveexec_b64 s[2:3], s[2:3]
	s_cbranch_execz .LBB79_162
; %bb.159:
	s_waitcnt vmcnt(18)
	ds_write_b32 v123, v99
	s_waitcnt vmcnt(14)
	ds_write2_b64 v125, v[82:83], v[96:97] offset0:15 offset1:16
	s_waitcnt vmcnt(10)
	ds_write2_b64 v125, v[80:81], v[94:95] offset0:17 offset1:18
	s_waitcnt vmcnt(8)
	ds_write_b64 v125, v[110:111] offset:152
	ds_read_b32 v154, v123
	s_waitcnt lgkmcnt(0)
	v_cmp_neq_f32_e32 vcc, 0, v154
	s_and_saveexec_b64 s[4:5], vcc
	s_cbranch_execz .LBB79_161
; %bb.160:
	v_div_scale_f32 v155, s[10:11], v154, v154, 1.0
	v_rcp_f32_e32 v156, v155
	v_div_scale_f32 v157, vcc, 1.0, v154, 1.0
	v_fma_f32 v158, -v155, v156, 1.0
	v_fmac_f32_e32 v156, v158, v156
	v_mul_f32_e32 v158, v157, v156
	v_fma_f32 v159, -v155, v158, v157
	v_fmac_f32_e32 v158, v159, v156
	v_fma_f32 v155, -v155, v158, v157
	v_div_fmas_f32 v155, v155, v156, v158
	v_div_fixup_f32 v154, v155, v154, 1.0
	ds_write_b32 v123, v154
.LBB79_161:
	s_or_b64 exec, exec, s[4:5]
.LBB79_162:
	s_or_b64 exec, exec, s[2:3]
	s_waitcnt lgkmcnt(0)
	s_barrier
	ds_read_b32 v154, v123
	v_cmp_lt_u32_e32 vcc, 29, v121
	s_and_saveexec_b64 s[2:3], vcc
	s_cbranch_execz .LBB79_164
; %bb.163:
	ds_read2_b64 v[156:159], v125 offset0:15 offset1:16
	ds_read2_b64 v[160:163], v125 offset0:17 offset1:18
	ds_read_b64 v[166:167], v125 offset:152
	s_waitcnt vmcnt(18) lgkmcnt(3)
	v_mul_f32_e32 v164, v154, v99
	v_mov_b32_e32 v99, v164
	s_waitcnt vmcnt(16) lgkmcnt(2)
	v_pk_fma_f32 v[82:83], v[164:165], v[156:157], v[82:83] op_sel_hi:[0,1,1] neg_lo:[1,0,0] neg_hi:[1,0,0]
	s_waitcnt vmcnt(14)
	v_pk_fma_f32 v[96:97], v[164:165], v[158:159], v[96:97] op_sel_hi:[0,1,1] neg_lo:[1,0,0] neg_hi:[1,0,0]
	s_waitcnt vmcnt(12) lgkmcnt(1)
	v_pk_fma_f32 v[80:81], v[164:165], v[160:161], v[80:81] op_sel_hi:[0,1,1] neg_lo:[1,0,0] neg_hi:[1,0,0]
	s_waitcnt vmcnt(10)
	v_pk_fma_f32 v[94:95], v[164:165], v[162:163], v[94:95] op_sel_hi:[0,1,1] neg_lo:[1,0,0] neg_hi:[1,0,0]
	s_waitcnt vmcnt(8) lgkmcnt(0)
	v_pk_fma_f32 v[110:111], v[164:165], v[166:167], v[110:111] op_sel_hi:[0,1,1] neg_lo:[1,0,0] neg_hi:[1,0,0]
.LBB79_164:
	s_or_b64 exec, exec, s[2:3]
	v_cmp_eq_u32_e32 vcc, 30, v121
	s_waitcnt lgkmcnt(0)
	s_barrier
	s_and_saveexec_b64 s[2:3], vcc
	s_cbranch_execz .LBB79_167
; %bb.165:
	s_waitcnt vmcnt(14)
	v_pk_mov_b32 v[156:157], v[82:83], v[96:97] op_sel:[1,0]
	ds_write_b32 v123, v82
	ds_write2_b32 v125, v156, v157 offset0:31 offset1:32
	s_waitcnt vmcnt(12)
	v_pk_mov_b32 v[156:157], v[96:97], v[80:81] op_sel:[1,0]
	ds_write2_b32 v125, v156, v157 offset0:33 offset1:34
	s_waitcnt vmcnt(10)
	v_pk_mov_b32 v[156:157], v[80:81], v[94:95] op_sel:[1,0]
	;; [unrolled: 3-line block ×3, first 2 shown]
	ds_write2_b32 v125, v156, v157 offset0:37 offset1:38
	ds_write_b32 v125, v111 offset:156
	ds_read_b32 v155, v123
	s_waitcnt lgkmcnt(0)
	v_cmp_neq_f32_e32 vcc, 0, v155
	s_and_b64 exec, exec, vcc
	s_cbranch_execz .LBB79_167
; %bb.166:
	v_div_scale_f32 v156, s[4:5], v155, v155, 1.0
	v_rcp_f32_e32 v157, v156
	v_div_scale_f32 v158, vcc, 1.0, v155, 1.0
	v_fma_f32 v159, -v156, v157, 1.0
	v_fmac_f32_e32 v157, v159, v157
	v_mul_f32_e32 v159, v158, v157
	v_fma_f32 v160, -v156, v159, v158
	v_fmac_f32_e32 v159, v160, v157
	v_fma_f32 v156, -v156, v159, v158
	v_div_fmas_f32 v156, v156, v157, v159
	v_div_fixup_f32 v155, v156, v155, 1.0
	ds_write_b32 v123, v155
.LBB79_167:
	s_or_b64 exec, exec, s[2:3]
	s_waitcnt lgkmcnt(0)
	s_barrier
	ds_read_b32 v155, v123
	v_cmp_lt_u32_e32 vcc, 30, v121
	s_and_saveexec_b64 s[2:3], vcc
	s_cbranch_execz .LBB79_169
; %bb.168:
	ds_read_b32 v164, v125 offset:124
	ds_read2_b64 v[156:159], v125 offset0:16 offset1:17
	ds_read2_b64 v[160:163], v125 offset0:18 offset1:19
	s_waitcnt vmcnt(17) lgkmcnt(3)
	v_mul_f32_e32 v82, v155, v82
	s_waitcnt vmcnt(16) lgkmcnt(2)
	v_fma_f32 v83, -v82, v164, v83
	s_waitcnt vmcnt(14) lgkmcnt(1)
	v_pk_fma_f32 v[96:97], v[82:83], v[156:157], v[96:97] op_sel_hi:[0,1,1] neg_lo:[1,0,0] neg_hi:[1,0,0]
	s_waitcnt vmcnt(12)
	v_pk_fma_f32 v[80:81], v[82:83], v[158:159], v[80:81] op_sel_hi:[0,1,1] neg_lo:[1,0,0] neg_hi:[1,0,0]
	s_waitcnt vmcnt(10) lgkmcnt(0)
	v_pk_fma_f32 v[94:95], v[82:83], v[160:161], v[94:95] op_sel_hi:[0,1,1] neg_lo:[1,0,0] neg_hi:[1,0,0]
	s_waitcnt vmcnt(8)
	v_pk_fma_f32 v[110:111], v[82:83], v[162:163], v[110:111] op_sel_hi:[0,1,1] neg_lo:[1,0,0] neg_hi:[1,0,0]
.LBB79_169:
	s_or_b64 exec, exec, s[2:3]
	v_cmp_ne_u32_e32 vcc, 31, v121
	s_waitcnt lgkmcnt(0)
	s_barrier
	s_and_saveexec_b64 s[2:3], vcc
	s_xor_b64 s[2:3], exec, s[2:3]
	s_andn2_saveexec_b64 s[2:3], s[2:3]
	s_cbranch_execz .LBB79_173
; %bb.170:
	s_waitcnt vmcnt(15)
	v_mov_b32_e32 v156, v96
	s_waitcnt vmcnt(14)
	v_mov_b32_e32 v157, v97
	;; [unrolled: 2-line block ×4, first 2 shown]
	ds_write_b32 v123, v83
	ds_write2_b64 v125, v[156:157], v[158:159] offset0:16 offset1:17
	s_waitcnt vmcnt(11)
	v_mov_b32_e32 v156, v94
	s_waitcnt vmcnt(10)
	v_mov_b32_e32 v157, v95
	s_waitcnt vmcnt(8)
	ds_write2_b64 v125, v[156:157], v[110:111] offset0:18 offset1:19
	ds_read_b32 v156, v123
	s_waitcnt lgkmcnt(0)
	v_cmp_neq_f32_e32 vcc, 0, v156
	s_and_saveexec_b64 s[4:5], vcc
	s_cbranch_execz .LBB79_172
; %bb.171:
	v_div_scale_f32 v157, s[10:11], v156, v156, 1.0
	v_rcp_f32_e32 v158, v157
	v_div_scale_f32 v159, vcc, 1.0, v156, 1.0
	v_fma_f32 v160, -v157, v158, 1.0
	v_fmac_f32_e32 v158, v160, v158
	v_mul_f32_e32 v160, v159, v158
	v_fma_f32 v161, -v157, v160, v159
	v_fmac_f32_e32 v160, v161, v158
	v_fma_f32 v157, -v157, v160, v159
	v_div_fmas_f32 v157, v157, v158, v160
	v_div_fixup_f32 v156, v157, v156, 1.0
	ds_write_b32 v123, v156
.LBB79_172:
	s_or_b64 exec, exec, s[4:5]
.LBB79_173:
	s_or_b64 exec, exec, s[2:3]
	s_waitcnt lgkmcnt(0)
	s_barrier
	ds_read_b32 v156, v123
	v_cmp_lt_u32_e32 vcc, 31, v121
	s_and_saveexec_b64 s[2:3], vcc
	s_cbranch_execz .LBB79_175
; %bb.174:
	ds_read2_b64 v[158:161], v125 offset0:16 offset1:17
	ds_read2_b64 v[162:165], v125 offset0:18 offset1:19
	s_waitcnt vmcnt(16) lgkmcnt(2)
	v_mul_f32_e32 v166, v156, v83
	v_mov_b32_e32 v83, v166
	s_waitcnt vmcnt(14) lgkmcnt(1)
	v_pk_fma_f32 v[96:97], v[166:167], v[158:159], v[96:97] op_sel_hi:[0,1,1] neg_lo:[1,0,0] neg_hi:[1,0,0]
	s_waitcnt vmcnt(12)
	v_pk_fma_f32 v[80:81], v[166:167], v[160:161], v[80:81] op_sel_hi:[0,1,1] neg_lo:[1,0,0] neg_hi:[1,0,0]
	s_waitcnt vmcnt(10) lgkmcnt(0)
	v_pk_fma_f32 v[94:95], v[166:167], v[162:163], v[94:95] op_sel_hi:[0,1,1] neg_lo:[1,0,0] neg_hi:[1,0,0]
	s_waitcnt vmcnt(8)
	v_pk_fma_f32 v[110:111], v[166:167], v[164:165], v[110:111] op_sel_hi:[0,1,1] neg_lo:[1,0,0] neg_hi:[1,0,0]
.LBB79_175:
	s_or_b64 exec, exec, s[2:3]
	v_cmp_eq_u32_e32 vcc, 32, v121
	s_waitcnt lgkmcnt(0)
	s_barrier
	s_and_saveexec_b64 s[2:3], vcc
	s_cbranch_execz .LBB79_178
; %bb.176:
	s_waitcnt vmcnt(12)
	v_pk_mov_b32 v[158:159], v[96:97], v[80:81] op_sel:[1,0]
	ds_write_b32 v123, v96
	ds_write2_b32 v125, v158, v159 offset0:33 offset1:34
	s_waitcnt vmcnt(10)
	v_pk_mov_b32 v[158:159], v[80:81], v[94:95] op_sel:[1,0]
	ds_write2_b32 v125, v158, v159 offset0:35 offset1:36
	s_waitcnt vmcnt(8)
	v_pk_mov_b32 v[158:159], v[94:95], v[110:111] op_sel:[1,0]
	ds_write2_b32 v125, v158, v159 offset0:37 offset1:38
	ds_write_b32 v125, v111 offset:156
	ds_read_b32 v157, v123
	s_waitcnt lgkmcnt(0)
	v_cmp_neq_f32_e32 vcc, 0, v157
	s_and_b64 exec, exec, vcc
	s_cbranch_execz .LBB79_178
; %bb.177:
	v_div_scale_f32 v158, s[4:5], v157, v157, 1.0
	v_rcp_f32_e32 v159, v158
	v_div_scale_f32 v160, vcc, 1.0, v157, 1.0
	v_fma_f32 v161, -v158, v159, 1.0
	v_fmac_f32_e32 v159, v161, v159
	v_mul_f32_e32 v161, v160, v159
	v_fma_f32 v162, -v158, v161, v160
	v_fmac_f32_e32 v161, v162, v159
	v_fma_f32 v158, -v158, v161, v160
	v_div_fmas_f32 v158, v158, v159, v161
	v_div_fixup_f32 v157, v158, v157, 1.0
	ds_write_b32 v123, v157
.LBB79_178:
	s_or_b64 exec, exec, s[2:3]
	s_waitcnt lgkmcnt(0)
	s_barrier
	ds_read_b32 v157, v123
	v_cmp_lt_u32_e32 vcc, 32, v121
	s_and_saveexec_b64 s[2:3], vcc
	s_cbranch_execz .LBB79_180
; %bb.179:
	ds_read_b32 v164, v125 offset:132
	ds_read2_b64 v[158:161], v125 offset0:17 offset1:18
	ds_read_b64 v[162:163], v125 offset:152
	s_waitcnt vmcnt(15) lgkmcnt(3)
	v_mul_f32_e32 v96, v157, v96
	s_waitcnt vmcnt(14) lgkmcnt(2)
	v_fma_f32 v97, -v96, v164, v97
	s_waitcnt vmcnt(12) lgkmcnt(1)
	v_pk_fma_f32 v[80:81], v[96:97], v[158:159], v[80:81] op_sel_hi:[0,1,1] neg_lo:[1,0,0] neg_hi:[1,0,0]
	s_waitcnt vmcnt(10)
	v_pk_fma_f32 v[94:95], v[96:97], v[160:161], v[94:95] op_sel_hi:[0,1,1] neg_lo:[1,0,0] neg_hi:[1,0,0]
	s_waitcnt vmcnt(8) lgkmcnt(0)
	v_pk_fma_f32 v[110:111], v[96:97], v[162:163], v[110:111] op_sel_hi:[0,1,1] neg_lo:[1,0,0] neg_hi:[1,0,0]
.LBB79_180:
	s_or_b64 exec, exec, s[2:3]
	v_cmp_ne_u32_e32 vcc, 33, v121
	s_waitcnt lgkmcnt(0)
	s_barrier
	s_and_saveexec_b64 s[2:3], vcc
	s_xor_b64 s[2:3], exec, s[2:3]
	s_andn2_saveexec_b64 s[2:3], s[2:3]
	s_cbranch_execz .LBB79_184
; %bb.181:
	s_waitcnt vmcnt(14)
	ds_write_b32 v123, v97
	s_waitcnt vmcnt(10)
	ds_write2_b64 v125, v[80:81], v[94:95] offset0:17 offset1:18
	s_waitcnt vmcnt(8)
	ds_write_b64 v125, v[110:111] offset:152
	ds_read_b32 v158, v123
	s_waitcnt lgkmcnt(0)
	v_cmp_neq_f32_e32 vcc, 0, v158
	s_and_saveexec_b64 s[4:5], vcc
	s_cbranch_execz .LBB79_183
; %bb.182:
	v_div_scale_f32 v159, s[10:11], v158, v158, 1.0
	v_rcp_f32_e32 v160, v159
	v_div_scale_f32 v161, vcc, 1.0, v158, 1.0
	v_fma_f32 v162, -v159, v160, 1.0
	v_fmac_f32_e32 v160, v162, v160
	v_mul_f32_e32 v162, v161, v160
	v_fma_f32 v163, -v159, v162, v161
	v_fmac_f32_e32 v162, v163, v160
	v_fma_f32 v159, -v159, v162, v161
	v_div_fmas_f32 v159, v159, v160, v162
	v_div_fixup_f32 v158, v159, v158, 1.0
	ds_write_b32 v123, v158
.LBB79_183:
	s_or_b64 exec, exec, s[4:5]
.LBB79_184:
	s_or_b64 exec, exec, s[2:3]
	s_waitcnt lgkmcnt(0)
	s_barrier
	ds_read_b32 v158, v123
	v_cmp_lt_u32_e32 vcc, 33, v121
	s_and_saveexec_b64 s[2:3], vcc
	s_cbranch_execz .LBB79_186
; %bb.185:
	ds_read2_b64 v[160:163], v125 offset0:17 offset1:18
	ds_read_b64 v[164:165], v125 offset:152
	s_waitcnt vmcnt(14) lgkmcnt(2)
	v_mul_f32_e32 v166, v158, v97
	v_mov_b32_e32 v97, v166
	s_waitcnt vmcnt(12) lgkmcnt(1)
	v_pk_fma_f32 v[80:81], v[166:167], v[160:161], v[80:81] op_sel_hi:[0,1,1] neg_lo:[1,0,0] neg_hi:[1,0,0]
	s_waitcnt vmcnt(10)
	v_pk_fma_f32 v[94:95], v[166:167], v[162:163], v[94:95] op_sel_hi:[0,1,1] neg_lo:[1,0,0] neg_hi:[1,0,0]
	s_waitcnt vmcnt(8) lgkmcnt(0)
	v_pk_fma_f32 v[110:111], v[166:167], v[164:165], v[110:111] op_sel_hi:[0,1,1] neg_lo:[1,0,0] neg_hi:[1,0,0]
.LBB79_186:
	s_or_b64 exec, exec, s[2:3]
	v_cmp_eq_u32_e32 vcc, 34, v121
	s_waitcnt lgkmcnt(0)
	s_barrier
	s_and_saveexec_b64 s[2:3], vcc
	s_cbranch_execz .LBB79_189
; %bb.187:
	s_waitcnt vmcnt(10)
	v_pk_mov_b32 v[160:161], v[80:81], v[94:95] op_sel:[1,0]
	ds_write_b32 v123, v80
	ds_write2_b32 v125, v160, v161 offset0:35 offset1:36
	s_waitcnt vmcnt(8)
	v_pk_mov_b32 v[160:161], v[94:95], v[110:111] op_sel:[1,0]
	ds_write2_b32 v125, v160, v161 offset0:37 offset1:38
	ds_write_b32 v125, v111 offset:156
	ds_read_b32 v159, v123
	s_waitcnt lgkmcnt(0)
	v_cmp_neq_f32_e32 vcc, 0, v159
	s_and_b64 exec, exec, vcc
	s_cbranch_execz .LBB79_189
; %bb.188:
	v_div_scale_f32 v160, s[4:5], v159, v159, 1.0
	v_rcp_f32_e32 v161, v160
	v_div_scale_f32 v162, vcc, 1.0, v159, 1.0
	v_fma_f32 v163, -v160, v161, 1.0
	v_fmac_f32_e32 v161, v163, v161
	v_mul_f32_e32 v163, v162, v161
	v_fma_f32 v164, -v160, v163, v162
	v_fmac_f32_e32 v163, v164, v161
	v_fma_f32 v160, -v160, v163, v162
	v_div_fmas_f32 v160, v160, v161, v163
	v_div_fixup_f32 v159, v160, v159, 1.0
	ds_write_b32 v123, v159
.LBB79_189:
	s_or_b64 exec, exec, s[2:3]
	s_waitcnt lgkmcnt(0)
	s_barrier
	ds_read_b32 v159, v123
	v_cmp_lt_u32_e32 vcc, 34, v121
	s_and_saveexec_b64 s[2:3], vcc
	s_cbranch_execz .LBB79_191
; %bb.190:
	ds_read_b32 v164, v125 offset:140
	ds_read2_b64 v[160:163], v125 offset0:18 offset1:19
	s_waitcnt vmcnt(13) lgkmcnt(2)
	v_mul_f32_e32 v80, v159, v80
	s_waitcnt vmcnt(12) lgkmcnt(1)
	v_fma_f32 v81, -v80, v164, v81
	s_waitcnt vmcnt(10) lgkmcnt(0)
	v_pk_fma_f32 v[94:95], v[80:81], v[160:161], v[94:95] op_sel_hi:[0,1,1] neg_lo:[1,0,0] neg_hi:[1,0,0]
	s_waitcnt vmcnt(8)
	v_pk_fma_f32 v[110:111], v[80:81], v[162:163], v[110:111] op_sel_hi:[0,1,1] neg_lo:[1,0,0] neg_hi:[1,0,0]
.LBB79_191:
	s_or_b64 exec, exec, s[2:3]
	v_cmp_ne_u32_e32 vcc, 35, v121
	s_waitcnt lgkmcnt(0)
	s_barrier
	s_and_saveexec_b64 s[2:3], vcc
	s_xor_b64 s[2:3], exec, s[2:3]
	s_andn2_saveexec_b64 s[2:3], s[2:3]
	s_cbranch_execz .LBB79_195
; %bb.192:
	s_waitcnt vmcnt(11)
	v_mov_b32_e32 v160, v94
	s_waitcnt vmcnt(10)
	v_mov_b32_e32 v161, v95
	ds_write_b32 v123, v81
	s_waitcnt vmcnt(8)
	ds_write2_b64 v125, v[160:161], v[110:111] offset0:18 offset1:19
	ds_read_b32 v160, v123
	s_waitcnt lgkmcnt(0)
	v_cmp_neq_f32_e32 vcc, 0, v160
	s_and_saveexec_b64 s[4:5], vcc
	s_cbranch_execz .LBB79_194
; %bb.193:
	v_div_scale_f32 v161, s[10:11], v160, v160, 1.0
	v_rcp_f32_e32 v162, v161
	v_div_scale_f32 v163, vcc, 1.0, v160, 1.0
	v_fma_f32 v164, -v161, v162, 1.0
	v_fmac_f32_e32 v162, v164, v162
	v_mul_f32_e32 v164, v163, v162
	v_fma_f32 v165, -v161, v164, v163
	v_fmac_f32_e32 v164, v165, v162
	v_fma_f32 v161, -v161, v164, v163
	v_div_fmas_f32 v161, v161, v162, v164
	v_div_fixup_f32 v160, v161, v160, 1.0
	ds_write_b32 v123, v160
.LBB79_194:
	s_or_b64 exec, exec, s[4:5]
.LBB79_195:
	s_or_b64 exec, exec, s[2:3]
	s_waitcnt lgkmcnt(0)
	s_barrier
	ds_read_b32 v160, v123
	v_cmp_lt_u32_e32 vcc, 35, v121
	s_and_saveexec_b64 s[2:3], vcc
	s_cbranch_execz .LBB79_197
; %bb.196:
	ds_read2_b64 v[162:165], v125 offset0:18 offset1:19
	s_waitcnt vmcnt(12) lgkmcnt(1)
	v_mul_f32_e32 v166, v160, v81
	v_mov_b32_e32 v81, v166
	s_waitcnt vmcnt(10) lgkmcnt(0)
	v_pk_fma_f32 v[94:95], v[166:167], v[162:163], v[94:95] op_sel_hi:[0,1,1] neg_lo:[1,0,0] neg_hi:[1,0,0]
	s_waitcnt vmcnt(8)
	v_pk_fma_f32 v[110:111], v[166:167], v[164:165], v[110:111] op_sel_hi:[0,1,1] neg_lo:[1,0,0] neg_hi:[1,0,0]
.LBB79_197:
	s_or_b64 exec, exec, s[2:3]
	v_cmp_eq_u32_e32 vcc, 36, v121
	s_waitcnt lgkmcnt(0)
	s_barrier
	s_and_saveexec_b64 s[2:3], vcc
	s_cbranch_execz .LBB79_200
; %bb.198:
	s_waitcnt vmcnt(8)
	v_pk_mov_b32 v[162:163], v[94:95], v[110:111] op_sel:[1,0]
	ds_write_b32 v123, v94
	ds_write2_b32 v125, v162, v163 offset0:37 offset1:38
	ds_write_b32 v125, v111 offset:156
	ds_read_b32 v161, v123
	s_waitcnt lgkmcnt(0)
	v_cmp_neq_f32_e32 vcc, 0, v161
	s_and_b64 exec, exec, vcc
	s_cbranch_execz .LBB79_200
; %bb.199:
	v_div_scale_f32 v162, s[4:5], v161, v161, 1.0
	v_rcp_f32_e32 v163, v162
	v_div_scale_f32 v164, vcc, 1.0, v161, 1.0
	v_fma_f32 v165, -v162, v163, 1.0
	v_fmac_f32_e32 v163, v165, v163
	v_mul_f32_e32 v165, v164, v163
	v_fma_f32 v166, -v162, v165, v164
	v_fmac_f32_e32 v165, v166, v163
	v_fma_f32 v162, -v162, v165, v164
	v_div_fmas_f32 v162, v162, v163, v165
	v_div_fixup_f32 v161, v162, v161, 1.0
	ds_write_b32 v123, v161
.LBB79_200:
	s_or_b64 exec, exec, s[2:3]
	s_waitcnt lgkmcnt(0)
	s_barrier
	ds_read_b32 v161, v123
	v_cmp_lt_u32_e32 vcc, 36, v121
	s_and_saveexec_b64 s[2:3], vcc
	s_cbranch_execz .LBB79_202
; %bb.201:
	ds_read_b32 v164, v125 offset:148
	ds_read_b64 v[162:163], v125 offset:152
	s_waitcnt vmcnt(11) lgkmcnt(2)
	v_mul_f32_e32 v94, v161, v94
	s_waitcnt vmcnt(10) lgkmcnt(1)
	v_fma_f32 v95, -v94, v164, v95
	s_waitcnt vmcnt(8) lgkmcnt(0)
	v_pk_fma_f32 v[110:111], v[94:95], v[162:163], v[110:111] op_sel_hi:[0,1,1] neg_lo:[1,0,0] neg_hi:[1,0,0]
.LBB79_202:
	s_or_b64 exec, exec, s[2:3]
	v_cmp_ne_u32_e32 vcc, 37, v121
	s_waitcnt lgkmcnt(0)
	s_barrier
	s_and_saveexec_b64 s[2:3], vcc
	s_xor_b64 s[2:3], exec, s[2:3]
	s_andn2_saveexec_b64 s[2:3], s[2:3]
	s_cbranch_execz .LBB79_206
; %bb.203:
	s_waitcnt vmcnt(10)
	ds_write_b32 v123, v95
	s_waitcnt vmcnt(8)
	ds_write_b64 v125, v[110:111] offset:152
	ds_read_b32 v162, v123
	s_waitcnt lgkmcnt(0)
	v_cmp_neq_f32_e32 vcc, 0, v162
	s_and_saveexec_b64 s[4:5], vcc
	s_cbranch_execz .LBB79_205
; %bb.204:
	v_div_scale_f32 v163, s[10:11], v162, v162, 1.0
	v_rcp_f32_e32 v164, v163
	v_div_scale_f32 v165, vcc, 1.0, v162, 1.0
	v_fma_f32 v166, -v163, v164, 1.0
	v_fmac_f32_e32 v164, v166, v164
	v_mul_f32_e32 v166, v165, v164
	v_fma_f32 v167, -v163, v166, v165
	v_fmac_f32_e32 v166, v167, v164
	v_fma_f32 v163, -v163, v166, v165
	v_div_fmas_f32 v163, v163, v164, v166
	v_div_fixup_f32 v162, v163, v162, 1.0
	ds_write_b32 v123, v162
.LBB79_205:
	s_or_b64 exec, exec, s[4:5]
.LBB79_206:
	s_or_b64 exec, exec, s[2:3]
	s_waitcnt lgkmcnt(0)
	s_barrier
	ds_read_b32 v162, v123
	v_cmp_lt_u32_e32 vcc, 37, v121
	s_and_saveexec_b64 s[2:3], vcc
	s_cbranch_execz .LBB79_208
; %bb.207:
	ds_read_b64 v[164:165], v125 offset:152
	s_waitcnt vmcnt(10) lgkmcnt(1)
	v_mul_f32_e32 v166, v162, v95
	v_mov_b32_e32 v95, v166
	s_waitcnt vmcnt(8) lgkmcnt(0)
	v_pk_fma_f32 v[110:111], v[166:167], v[164:165], v[110:111] op_sel_hi:[0,1,1] neg_lo:[1,0,0] neg_hi:[1,0,0]
.LBB79_208:
	s_or_b64 exec, exec, s[2:3]
	v_cmp_eq_u32_e32 vcc, 38, v121
	s_waitcnt lgkmcnt(0)
	s_barrier
	s_and_saveexec_b64 s[2:3], vcc
	s_cbranch_execz .LBB79_211
; %bb.209:
	s_waitcnt vmcnt(9)
	ds_write_b32 v123, v110
	s_waitcnt vmcnt(8)
	ds_write_b32 v125, v111 offset:156
	ds_read_b32 v163, v123
	s_waitcnt lgkmcnt(0)
	v_cmp_neq_f32_e32 vcc, 0, v163
	s_and_b64 exec, exec, vcc
	s_cbranch_execz .LBB79_211
; %bb.210:
	v_div_scale_f32 v164, s[4:5], v163, v163, 1.0
	v_rcp_f32_e32 v165, v164
	v_div_scale_f32 v166, vcc, 1.0, v163, 1.0
	v_fma_f32 v167, -v164, v165, 1.0
	v_fmac_f32_e32 v165, v167, v165
	v_mul_f32_e32 v167, v166, v165
	v_fma_f32 v168, -v164, v167, v166
	v_fmac_f32_e32 v167, v168, v165
	v_fma_f32 v164, -v164, v167, v166
	v_div_fmas_f32 v164, v164, v165, v167
	v_div_fixup_f32 v163, v164, v163, 1.0
	ds_write_b32 v123, v163
.LBB79_211:
	s_or_b64 exec, exec, s[2:3]
	s_waitcnt lgkmcnt(0)
	s_barrier
	ds_read_b32 v163, v123
	v_cmp_lt_u32_e32 vcc, 38, v121
	s_and_saveexec_b64 s[2:3], vcc
	s_cbranch_execz .LBB79_213
; %bb.212:
	ds_read_b32 v125, v125 offset:156
	s_waitcnt vmcnt(9) lgkmcnt(1)
	v_mul_f32_e32 v110, v163, v110
	s_waitcnt vmcnt(8) lgkmcnt(0)
	v_fma_f32 v111, -v110, v125, v111
.LBB79_213:
	s_or_b64 exec, exec, s[2:3]
	v_cmp_ne_u32_e32 vcc, 39, v121
	s_waitcnt lgkmcnt(0)
	s_barrier
	s_and_saveexec_b64 s[2:3], vcc
	s_xor_b64 s[2:3], exec, s[2:3]
	s_andn2_saveexec_b64 s[2:3], s[2:3]
	s_cbranch_execz .LBB79_217
; %bb.214:
	s_waitcnt vmcnt(8)
	v_cmp_neq_f32_e32 vcc, 0, v111
	ds_write_b32 v123, v111
	s_and_saveexec_b64 s[4:5], vcc
	s_cbranch_execz .LBB79_216
; %bb.215:
	v_div_scale_f32 v125, s[10:11], v111, v111, 1.0
	v_rcp_f32_e32 v164, v125
	v_div_scale_f32 v165, vcc, 1.0, v111, 1.0
	v_fma_f32 v166, -v125, v164, 1.0
	v_fmac_f32_e32 v164, v166, v164
	v_mul_f32_e32 v166, v165, v164
	v_fma_f32 v167, -v125, v166, v165
	v_fmac_f32_e32 v166, v167, v164
	v_fma_f32 v125, -v125, v166, v165
	v_div_fmas_f32 v125, v125, v164, v166
	v_div_fixup_f32 v125, v125, v111, 1.0
	ds_write_b32 v123, v125
.LBB79_216:
	s_or_b64 exec, exec, s[4:5]
.LBB79_217:
	s_or_b64 exec, exec, s[2:3]
	s_waitcnt lgkmcnt(0)
	s_barrier
	ds_read_b32 v123, v123
	s_waitcnt lgkmcnt(0)
	s_barrier
	s_and_saveexec_b64 s[2:3], s[0:1]
	s_cbranch_execz .LBB79_220
; %bb.218:
	v_cmp_eq_f32_e32 vcc, 0, v124
	v_cmp_neq_f32_e64 s[0:1], 0, v126
	v_mov_b32_e32 v125, s7
	v_cndmask_b32_e64 v124, 0, 1, vcc
	s_or_b64 vcc, s[0:1], vcc
	v_cndmask_b32_e32 v124, 2, v124, vcc
	v_cmp_eq_f32_e32 vcc, 0, v127
	v_cmp_eq_u32_e64 s[0:1], 0, v124
	s_and_b64 s[0:1], vcc, s[0:1]
	v_cmp_eq_f32_e32 vcc, 0, v128
	v_cndmask_b32_e64 v124, v124, 3, s[0:1]
	v_cmp_eq_u32_e64 s[0:1], 0, v124
	s_and_b64 s[0:1], vcc, s[0:1]
	v_cmp_eq_f32_e32 vcc, 0, v129
	v_cndmask_b32_e64 v124, v124, 4, s[0:1]
	;; [unrolled: 4-line block ×18, first 2 shown]
	v_mov_b32_e32 v124, s6
	v_lshl_add_u64 v[24:25], v[24:25], 2, v[124:125]
	global_load_dword v125, v[24:25], off
	v_cmp_eq_u32_e64 s[0:1], 0, v126
	s_and_b64 s[0:1], vcc, s[0:1]
	v_cmp_eq_f32_e32 vcc, 0, v146
	v_cndmask_b32_e64 v124, v126, 21, s[0:1]
	v_cmp_eq_u32_e64 s[0:1], 0, v124
	s_and_b64 s[0:1], vcc, s[0:1]
	v_cmp_eq_f32_e32 vcc, 0, v147
	v_cndmask_b32_e64 v124, v124, 22, s[0:1]
	v_cmp_eq_u32_e64 s[0:1], 0, v124
	s_and_b64 s[0:1], vcc, s[0:1]
	v_cmp_eq_f32_e32 vcc, 0, v148
	v_cndmask_b32_e64 v124, v124, 23, s[0:1]
	v_cmp_eq_u32_e64 s[0:1], 0, v124
	s_and_b64 s[0:1], vcc, s[0:1]
	v_cmp_eq_f32_e32 vcc, 0, v149
	v_cndmask_b32_e64 v124, v124, 24, s[0:1]
	v_cmp_eq_u32_e64 s[0:1], 0, v124
	s_and_b64 s[0:1], vcc, s[0:1]
	v_cmp_eq_f32_e32 vcc, 0, v150
	v_cndmask_b32_e64 v124, v124, 25, s[0:1]
	v_cmp_eq_u32_e64 s[0:1], 0, v124
	s_and_b64 s[0:1], vcc, s[0:1]
	v_cmp_eq_f32_e32 vcc, 0, v151
	v_cndmask_b32_e64 v124, v124, 26, s[0:1]
	v_cmp_eq_u32_e64 s[0:1], 0, v124
	s_and_b64 s[0:1], vcc, s[0:1]
	v_cmp_eq_f32_e32 vcc, 0, v152
	v_cndmask_b32_e64 v124, v124, 27, s[0:1]
	v_cmp_eq_u32_e64 s[0:1], 0, v124
	s_and_b64 s[0:1], vcc, s[0:1]
	v_cmp_eq_f32_e32 vcc, 0, v153
	v_cndmask_b32_e64 v124, v124, 28, s[0:1]
	v_cmp_eq_u32_e64 s[0:1], 0, v124
	s_and_b64 s[0:1], vcc, s[0:1]
	v_cmp_eq_f32_e32 vcc, 0, v154
	v_cndmask_b32_e64 v124, v124, 29, s[0:1]
	v_cmp_eq_u32_e64 s[0:1], 0, v124
	s_and_b64 s[0:1], vcc, s[0:1]
	v_cmp_eq_f32_e32 vcc, 0, v155
	v_cndmask_b32_e64 v124, v124, 30, s[0:1]
	v_cmp_eq_u32_e64 s[0:1], 0, v124
	s_and_b64 s[0:1], vcc, s[0:1]
	v_cmp_eq_f32_e32 vcc, 0, v156
	v_cndmask_b32_e64 v124, v124, 31, s[0:1]
	v_cmp_eq_u32_e64 s[0:1], 0, v124
	s_and_b64 s[0:1], vcc, s[0:1]
	v_cmp_eq_f32_e32 vcc, 0, v157
	v_cndmask_b32_e64 v124, v124, 32, s[0:1]
	v_cmp_eq_u32_e64 s[0:1], 0, v124
	s_and_b64 s[0:1], vcc, s[0:1]
	v_cmp_eq_f32_e32 vcc, 0, v158
	v_cndmask_b32_e64 v124, v124, 33, s[0:1]
	v_cmp_eq_u32_e64 s[0:1], 0, v124
	s_and_b64 s[0:1], vcc, s[0:1]
	v_cmp_eq_f32_e32 vcc, 0, v159
	v_cndmask_b32_e64 v124, v124, 34, s[0:1]
	v_cmp_eq_u32_e64 s[0:1], 0, v124
	s_and_b64 s[0:1], vcc, s[0:1]
	v_cmp_eq_f32_e32 vcc, 0, v160
	v_cndmask_b32_e64 v124, v124, 35, s[0:1]
	v_cmp_eq_u32_e64 s[0:1], 0, v124
	s_and_b64 s[0:1], vcc, s[0:1]
	v_cmp_eq_f32_e32 vcc, 0, v161
	v_cndmask_b32_e64 v124, v124, 36, s[0:1]
	v_cmp_eq_u32_e64 s[0:1], 0, v124
	s_and_b64 s[0:1], vcc, s[0:1]
	v_cmp_eq_f32_e32 vcc, 0, v162
	v_cndmask_b32_e64 v124, v124, 37, s[0:1]
	v_cmp_eq_u32_e64 s[0:1], 0, v124
	s_and_b64 s[0:1], vcc, s[0:1]
	v_cmp_eq_f32_e32 vcc, 0, v163
	v_cndmask_b32_e64 v124, v124, 38, s[0:1]
	v_cmp_eq_u32_e64 s[0:1], 0, v124
	s_and_b64 s[0:1], vcc, s[0:1]
	v_cmp_eq_f32_e32 vcc, 0, v123
	v_cndmask_b32_e64 v124, v124, 39, s[0:1]
	v_cmp_eq_u32_e64 s[0:1], 0, v124
	s_and_b64 s[0:1], vcc, s[0:1]
	s_waitcnt vmcnt(0)
	v_cmp_eq_u32_e32 vcc, 0, v125
	v_cndmask_b32_e64 v124, v124, 40, s[0:1]
	v_cmp_ne_u32_e64 s[0:1], 0, v124
	s_and_b64 s[0:1], vcc, s[0:1]
	s_and_b64 exec, exec, s[0:1]
	s_cbranch_execz .LBB79_220
; %bb.219:
	v_add_u32_e32 v124, s9, v124
	global_store_dword v[24:25], v124, off
.LBB79_220:
	s_or_b64 exec, exec, s[2:3]
	s_waitcnt vmcnt(8)
	v_mul_f32_e32 v24, v123, v111
	v_cmp_lt_u32_e32 vcc, 39, v121
	s_nop 1
	v_cndmask_b32_e32 v24, v111, v24, vcc
	s_waitcnt vmcnt(1)
	global_store_dword v[0:1], v120, off
	s_waitcnt vmcnt(1)
	global_store_dword v[118:119], v122, off
	global_store_dword v[2:3], v114, off
	;; [unrolled: 1-line block ×39, first 2 shown]
.LBB79_221:
	s_endpgm
	.section	.rodata,"a",@progbits
	.p2align	6, 0x0
	.amdhsa_kernel _ZN9rocsolver6v33100L23getf2_npvt_small_kernelILi40EfiiPfEEvT1_T3_lS3_lPT2_S3_S3_
		.amdhsa_group_segment_fixed_size 0
		.amdhsa_private_segment_fixed_size 0
		.amdhsa_kernarg_size 312
		.amdhsa_user_sgpr_count 2
		.amdhsa_user_sgpr_dispatch_ptr 0
		.amdhsa_user_sgpr_queue_ptr 0
		.amdhsa_user_sgpr_kernarg_segment_ptr 1
		.amdhsa_user_sgpr_dispatch_id 0
		.amdhsa_user_sgpr_kernarg_preload_length 0
		.amdhsa_user_sgpr_kernarg_preload_offset 0
		.amdhsa_user_sgpr_private_segment_size 0
		.amdhsa_uses_dynamic_stack 0
		.amdhsa_enable_private_segment 0
		.amdhsa_system_sgpr_workgroup_id_x 1
		.amdhsa_system_sgpr_workgroup_id_y 1
		.amdhsa_system_sgpr_workgroup_id_z 0
		.amdhsa_system_sgpr_workgroup_info 0
		.amdhsa_system_vgpr_workitem_id 1
		.amdhsa_next_free_vgpr 169
		.amdhsa_next_free_sgpr 16
		.amdhsa_accum_offset 172
		.amdhsa_reserve_vcc 1
		.amdhsa_float_round_mode_32 0
		.amdhsa_float_round_mode_16_64 0
		.amdhsa_float_denorm_mode_32 3
		.amdhsa_float_denorm_mode_16_64 3
		.amdhsa_dx10_clamp 1
		.amdhsa_ieee_mode 1
		.amdhsa_fp16_overflow 0
		.amdhsa_tg_split 0
		.amdhsa_exception_fp_ieee_invalid_op 0
		.amdhsa_exception_fp_denorm_src 0
		.amdhsa_exception_fp_ieee_div_zero 0
		.amdhsa_exception_fp_ieee_overflow 0
		.amdhsa_exception_fp_ieee_underflow 0
		.amdhsa_exception_fp_ieee_inexact 0
		.amdhsa_exception_int_div_zero 0
	.end_amdhsa_kernel
	.section	.text._ZN9rocsolver6v33100L23getf2_npvt_small_kernelILi40EfiiPfEEvT1_T3_lS3_lPT2_S3_S3_,"axG",@progbits,_ZN9rocsolver6v33100L23getf2_npvt_small_kernelILi40EfiiPfEEvT1_T3_lS3_lPT2_S3_S3_,comdat
.Lfunc_end79:
	.size	_ZN9rocsolver6v33100L23getf2_npvt_small_kernelILi40EfiiPfEEvT1_T3_lS3_lPT2_S3_S3_, .Lfunc_end79-_ZN9rocsolver6v33100L23getf2_npvt_small_kernelILi40EfiiPfEEvT1_T3_lS3_lPT2_S3_S3_
                                        ; -- End function
	.set _ZN9rocsolver6v33100L23getf2_npvt_small_kernelILi40EfiiPfEEvT1_T3_lS3_lPT2_S3_S3_.num_vgpr, 169
	.set _ZN9rocsolver6v33100L23getf2_npvt_small_kernelILi40EfiiPfEEvT1_T3_lS3_lPT2_S3_S3_.num_agpr, 0
	.set _ZN9rocsolver6v33100L23getf2_npvt_small_kernelILi40EfiiPfEEvT1_T3_lS3_lPT2_S3_S3_.numbered_sgpr, 16
	.set _ZN9rocsolver6v33100L23getf2_npvt_small_kernelILi40EfiiPfEEvT1_T3_lS3_lPT2_S3_S3_.num_named_barrier, 0
	.set _ZN9rocsolver6v33100L23getf2_npvt_small_kernelILi40EfiiPfEEvT1_T3_lS3_lPT2_S3_S3_.private_seg_size, 0
	.set _ZN9rocsolver6v33100L23getf2_npvt_small_kernelILi40EfiiPfEEvT1_T3_lS3_lPT2_S3_S3_.uses_vcc, 1
	.set _ZN9rocsolver6v33100L23getf2_npvt_small_kernelILi40EfiiPfEEvT1_T3_lS3_lPT2_S3_S3_.uses_flat_scratch, 0
	.set _ZN9rocsolver6v33100L23getf2_npvt_small_kernelILi40EfiiPfEEvT1_T3_lS3_lPT2_S3_S3_.has_dyn_sized_stack, 0
	.set _ZN9rocsolver6v33100L23getf2_npvt_small_kernelILi40EfiiPfEEvT1_T3_lS3_lPT2_S3_S3_.has_recursion, 0
	.set _ZN9rocsolver6v33100L23getf2_npvt_small_kernelILi40EfiiPfEEvT1_T3_lS3_lPT2_S3_S3_.has_indirect_call, 0
	.section	.AMDGPU.csdata,"",@progbits
; Kernel info:
; codeLenInByte = 21756
; TotalNumSgprs: 22
; NumVgprs: 169
; NumAgprs: 0
; TotalNumVgprs: 169
; ScratchSize: 0
; MemoryBound: 0
; FloatMode: 240
; IeeeMode: 1
; LDSByteSize: 0 bytes/workgroup (compile time only)
; SGPRBlocks: 2
; VGPRBlocks: 21
; NumSGPRsForWavesPerEU: 22
; NumVGPRsForWavesPerEU: 169
; AccumOffset: 172
; Occupancy: 2
; WaveLimiterHint : 0
; COMPUTE_PGM_RSRC2:SCRATCH_EN: 0
; COMPUTE_PGM_RSRC2:USER_SGPR: 2
; COMPUTE_PGM_RSRC2:TRAP_HANDLER: 0
; COMPUTE_PGM_RSRC2:TGID_X_EN: 1
; COMPUTE_PGM_RSRC2:TGID_Y_EN: 1
; COMPUTE_PGM_RSRC2:TGID_Z_EN: 0
; COMPUTE_PGM_RSRC2:TIDIG_COMP_CNT: 1
; COMPUTE_PGM_RSRC3_GFX90A:ACCUM_OFFSET: 42
; COMPUTE_PGM_RSRC3_GFX90A:TG_SPLIT: 0
	.section	.text._ZN9rocsolver6v33100L18getf2_small_kernelILi41EfiiPfEEvT1_T3_lS3_lPS3_llPT2_S3_S3_S5_l,"axG",@progbits,_ZN9rocsolver6v33100L18getf2_small_kernelILi41EfiiPfEEvT1_T3_lS3_lPS3_llPT2_S3_S3_S5_l,comdat
	.globl	_ZN9rocsolver6v33100L18getf2_small_kernelILi41EfiiPfEEvT1_T3_lS3_lPS3_llPT2_S3_S3_S5_l ; -- Begin function _ZN9rocsolver6v33100L18getf2_small_kernelILi41EfiiPfEEvT1_T3_lS3_lPS3_llPT2_S3_S3_S5_l
	.p2align	8
	.type	_ZN9rocsolver6v33100L18getf2_small_kernelILi41EfiiPfEEvT1_T3_lS3_lPS3_llPT2_S3_S3_S5_l,@function
_ZN9rocsolver6v33100L18getf2_small_kernelILi41EfiiPfEEvT1_T3_lS3_lPS3_llPT2_S3_S3_S5_l: ; @_ZN9rocsolver6v33100L18getf2_small_kernelILi41EfiiPfEEvT1_T3_lS3_lPS3_llPT2_S3_S3_S5_l
; %bb.0:
	s_load_dword s2, s[0:1], 0x6c
	s_load_dwordx2 s[14:15], s[0:1], 0x48
	v_bfe_u32 v21, v0, 10, 10
	s_waitcnt lgkmcnt(0)
	s_lshr_b32 s2, s2, 16
	s_mul_i32 s3, s3, s2
	v_add_u32_e32 v4, s3, v21
	v_cmp_gt_i32_e32 vcc, s14, v4
	s_and_saveexec_b64 s[2:3], vcc
	s_cbranch_execz .LBB80_694
; %bb.1:
	s_load_dwordx4 s[4:7], s[0:1], 0x50
	v_ashrrev_i32_e32 v5, 31, v4
	v_mov_b64_e32 v[22:23], 0
	s_waitcnt lgkmcnt(0)
	s_cmp_eq_u64 s[4:5], 0
	s_cselect_b64 s[16:17], -1, 0
	s_and_b64 vcc, exec, s[16:17]
	s_cbranch_vccnz .LBB80_3
; %bb.2:
	v_mul_lo_u32 v1, s7, v4
	v_mul_lo_u32 v6, s6, v5
	v_mad_u64_u32 v[2:3], s[2:3], s6, v4, 0
	v_add3_u32 v3, v3, v6, v1
	v_lshl_add_u64 v[22:23], v[2:3], 2, s[4:5]
.LBB80_3:
	s_load_dwordx4 s[20:23], s[0:1], 0x8
	s_load_dwordx8 s[4:11], s[0:1], 0x20
	s_load_dword s12, s[0:1], 0x18
	v_and_b32_e32 v52, 0x3ff, v0
	v_lshlrev_b32_e32 v48, 2, v52
	s_waitcnt lgkmcnt(0)
	v_mov_b32_e32 v2, s20
	v_mul_lo_u32 v1, s5, v4
	v_mul_lo_u32 v8, s4, v5
	v_mad_u64_u32 v[6:7], s[2:3], s4, v4, 0
	v_mov_b32_e32 v3, s21
	v_add3_u32 v7, v7, v8, v1
	s_add_i32 s14, s12, s12
	v_lshl_add_u64 v[2:3], v[6:7], 2, v[2:3]
	v_add_u32_e32 v0, s14, v52
	v_lshl_add_u64 v[2:3], s[22:23], 2, v[2:3]
	v_ashrrev_i32_e32 v1, 31, v0
	v_lshl_add_u64 v[16:17], v[0:1], 2, v[2:3]
	v_add_u32_e32 v0, s12, v0
	v_ashrrev_i32_e32 v1, 31, v0
	v_lshl_add_u64 v[18:19], v[0:1], 2, v[2:3]
	v_add_u32_e32 v0, s12, v0
	;; [unrolled: 3-line block ×4, first 2 shown]
	v_mov_b32_e32 v49, 0
	v_add_u32_e32 v30, s12, v0
	v_lshl_add_u64 v[8:9], v[2:3], 0, v[48:49]
	s_ashr_i32 s13, s12, 31
	v_ashrrev_i32_e32 v1, 31, v0
	v_ashrrev_i32_e32 v31, 31, v30
	v_lshl_add_u64 v[12:13], s[12:13], 2, v[8:9]
	v_lshl_add_u64 v[28:29], v[0:1], 2, v[2:3]
	;; [unrolled: 1-line block ×3, first 2 shown]
	global_load_dword v20, v[8:9], off
	global_load_dword v14, v[12:13], off
	global_load_dword v15, v[16:17], off
	global_load_dword v10, v[18:19], off
	global_load_dword v11, v[24:25], off
	global_load_dword v6, v[26:27], off
	global_load_dword v7, v[28:29], off
	global_load_dword v0, v[32:33], off
	v_add_u32_e32 v8, s12, v30
	v_ashrrev_i32_e32 v9, 31, v8
	v_lshl_add_u64 v[16:17], v[8:9], 2, v[2:3]
	v_add_u32_e32 v8, s12, v8
	v_ashrrev_i32_e32 v9, 31, v8
	v_lshl_add_u64 v[24:25], v[8:9], 2, v[2:3]
	v_add_u32_e32 v8, s12, v8
	v_ashrrev_i32_e32 v9, 31, v8
	v_lshl_add_u64 v[26:27], v[8:9], 2, v[2:3]
	v_add_u32_e32 v8, s12, v8
	v_ashrrev_i32_e32 v9, 31, v8
	v_lshl_add_u64 v[30:31], v[8:9], 2, v[2:3]
	v_add_u32_e32 v8, s12, v8
	v_ashrrev_i32_e32 v9, 31, v8
	v_lshl_add_u64 v[32:33], v[8:9], 2, v[2:3]
	v_add_u32_e32 v8, s12, v8
	v_ashrrev_i32_e32 v9, 31, v8
	v_lshl_add_u64 v[34:35], v[8:9], 2, v[2:3]
	v_add_u32_e32 v8, s12, v8
	v_add_u32_e32 v38, s12, v8
	v_ashrrev_i32_e32 v9, 31, v8
	v_ashrrev_i32_e32 v39, 31, v38
	v_lshl_add_u64 v[36:37], v[8:9], 2, v[2:3]
	v_lshl_add_u64 v[40:41], v[38:39], 2, v[2:3]
	global_load_dword v1, v[16:17], off
	global_load_dword v28, v[24:25], off
	global_load_dword v29, v[26:27], off
	global_load_dword v18, v[30:31], off
	global_load_dword v19, v[32:33], off
	global_load_dword v12, v[34:35], off
	global_load_dword v13, v[36:37], off
	global_load_dword v8, v[40:41], off
	v_add_u32_e32 v16, s12, v38
	v_ashrrev_i32_e32 v17, 31, v16
	v_lshl_add_u64 v[26:27], v[16:17], 2, v[2:3]
	v_add_u32_e32 v16, s12, v16
	v_ashrrev_i32_e32 v17, 31, v16
	v_lshl_add_u64 v[32:33], v[16:17], 2, v[2:3]
	v_add_u32_e32 v16, s12, v16
	v_ashrrev_i32_e32 v17, 31, v16
	v_lshl_add_u64 v[36:37], v[16:17], 2, v[2:3]
	v_add_u32_e32 v16, s12, v16
	v_ashrrev_i32_e32 v17, 31, v16
	v_lshl_add_u64 v[38:39], v[16:17], 2, v[2:3]
	v_add_u32_e32 v16, s12, v16
	v_ashrrev_i32_e32 v17, 31, v16
	v_lshl_add_u64 v[40:41], v[16:17], 2, v[2:3]
	v_add_u32_e32 v16, s12, v16
	v_ashrrev_i32_e32 v17, 31, v16
	v_lshl_add_u64 v[42:43], v[16:17], 2, v[2:3]
	v_add_u32_e32 v16, s12, v16
	v_add_u32_e32 v46, s12, v16
	v_ashrrev_i32_e32 v17, 31, v16
	v_ashrrev_i32_e32 v47, 31, v46
	v_lshl_add_u64 v[44:45], v[16:17], 2, v[2:3]
	v_lshl_add_u64 v[50:51], v[46:47], 2, v[2:3]
	;; [unrolled: 32-line block ×4, first 2 shown]
	global_load_dword v27, v[40:41], off
	global_load_dword v46, v[50:51], off
	;; [unrolled: 1-line block ×5, first 2 shown]
                                        ; kill: killed $vgpr58_vgpr59
                                        ; kill: killed $vgpr40_vgpr41
                                        ; kill: killed $vgpr50_vgpr51
                                        ; kill: killed $vgpr54_vgpr55
                                        ; kill: killed $vgpr56_vgpr57
	s_nop 0
	global_load_dword v40, v[60:61], off
	global_load_dword v41, v[62:63], off
	;; [unrolled: 1-line block ×3, first 2 shown]
	v_add_u32_e32 v50, s12, v64
	v_ashrrev_i32_e32 v51, 31, v50
	v_lshl_add_u64 v[50:51], v[50:51], 2, v[2:3]
	global_load_dword v39, v[50:51], off
	s_load_dword s22, s[0:1], 0x0
	s_load_dwordx2 s[4:5], s[0:1], 0x40
	s_waitcnt lgkmcnt(0)
	s_max_i32 s0, s22, 41
	v_mul_lo_u32 v50, s0, v21
	v_lshl_add_u32 v21, v50, 2, 0
	v_add_u32_e32 v48, v21, v48
	s_waitcnt vmcnt(40)
	ds_write_b32 v48, v20
	s_waitcnt lgkmcnt(0)
	s_barrier
	ds_read_b32 v48, v21
	s_cmp_lt_i32 s22, 2
	v_lshlrev_b32_e32 v50, 2, v50
	s_cbranch_scc1 .LBB80_6
; %bb.4:
	v_add3_u32 v51, v50, 0, 4
	v_mov_b32_e32 v49, 0
	s_mov_b32 s0, 1
.LBB80_5:                               ; =>This Inner Loop Header: Depth=1
	ds_read_b32 v53, v51
	v_mov_b32_e32 v54, s0
	s_add_i32 s0, s0, 1
	v_add_u32_e32 v51, 4, v51
	s_cmp_eq_u32 s22, s0
	s_waitcnt lgkmcnt(0)
	v_cmp_lt_f32_e64 vcc, |v48|, |v53|
	s_nop 1
	v_cndmask_b32_e32 v48, v48, v53, vcc
	v_cndmask_b32_e32 v49, v49, v54, vcc
	s_cbranch_scc0 .LBB80_5
.LBB80_6:
	v_cmp_ne_u32_e32 vcc, v52, v49
                                        ; implicit-def: $vgpr51
	s_and_saveexec_b64 s[0:1], vcc
	s_xor_b64 s[0:1], exec, s[0:1]
	s_cbranch_execz .LBB80_12
; %bb.7:
	v_cmp_eq_u32_e32 vcc, 0, v52
	s_and_saveexec_b64 s[2:3], vcc
	s_cbranch_execz .LBB80_11
; %bb.8:
	v_cmp_ne_u32_e32 vcc, 0, v49
	s_xor_b64 s[18:19], s[16:17], -1
	s_and_b64 s[20:21], s[18:19], vcc
	s_and_saveexec_b64 s[18:19], s[20:21]
	s_cbranch_execz .LBB80_10
; %bb.9:
	v_ashrrev_i32_e32 v53, 31, v49
	v_mov_b32_e32 v52, v49
	v_lshl_add_u64 v[52:53], v[52:53], 2, v[22:23]
	global_load_dword v51, v[52:53], off
	global_load_dword v54, v[22:23], off
	s_waitcnt vmcnt(1)
	global_store_dword v[22:23], v51, off
	s_waitcnt vmcnt(1)
	global_store_dword v[52:53], v54, off
.LBB80_10:
	s_or_b64 exec, exec, s[18:19]
	v_mov_b32_e32 v52, v49
.LBB80_11:
	s_or_b64 exec, exec, s[2:3]
	v_mov_b32_e32 v51, v52
                                        ; implicit-def: $vgpr52
.LBB80_12:
	s_or_saveexec_b64 s[0:1], s[0:1]
	v_mov_b32_e32 v49, v51
	s_xor_b64 exec, exec, s[0:1]
	s_cbranch_execz .LBB80_14
; %bb.13:
	v_mov_b32_e32 v51, 0
	v_mov_b32_e32 v49, v52
	s_waitcnt vmcnt(38)
	ds_write2_b32 v21, v14, v15 offset0:1 offset1:2
	s_waitcnt vmcnt(36)
	ds_write2_b32 v21, v10, v11 offset0:3 offset1:4
	s_waitcnt vmcnt(34)
	ds_write2_b32 v21, v6, v7 offset0:5 offset1:6
	s_waitcnt vmcnt(32)
	ds_write2_b32 v21, v0, v1 offset0:7 offset1:8
	s_waitcnt vmcnt(30)
	ds_write2_b32 v21, v28, v29 offset0:9 offset1:10
	s_waitcnt vmcnt(28)
	ds_write2_b32 v21, v18, v19 offset0:11 offset1:12
	s_waitcnt vmcnt(26)
	ds_write2_b32 v21, v12, v13 offset0:13 offset1:14
	s_waitcnt vmcnt(24)
	ds_write2_b32 v21, v8, v9 offset0:15 offset1:16
	s_waitcnt vmcnt(22)
	ds_write2_b32 v21, v34, v35 offset0:17 offset1:18
	s_waitcnt vmcnt(20)
	ds_write2_b32 v21, v30, v31 offset0:19 offset1:20
	s_waitcnt vmcnt(18)
	ds_write2_b32 v21, v24, v25 offset0:21 offset1:22
	s_waitcnt vmcnt(16)
	ds_write2_b32 v21, v16, v17 offset0:23 offset1:24
	s_waitcnt vmcnt(14)
	ds_write2_b32 v21, v42, v43 offset0:25 offset1:26
	s_waitcnt vmcnt(12)
	ds_write2_b32 v21, v36, v37 offset0:27 offset1:28
	s_waitcnt vmcnt(10)
	ds_write2_b32 v21, v32, v33 offset0:29 offset1:30
	s_waitcnt vmcnt(8)
	ds_write2_b32 v21, v26, v27 offset0:31 offset1:32
	s_waitcnt vmcnt(6)
	ds_write2_b32 v21, v46, v47 offset0:33 offset1:34
	s_waitcnt vmcnt(4)
	ds_write2_b32 v21, v44, v45 offset0:35 offset1:36
	s_waitcnt vmcnt(2)
	ds_write2_b32 v21, v40, v41 offset0:37 offset1:38
	s_waitcnt vmcnt(0)
	ds_write2_b32 v21, v38, v39 offset0:39 offset1:40
.LBB80_14:
	s_or_b64 exec, exec, s[0:1]
	s_waitcnt lgkmcnt(0)
	v_cmp_eq_f32_e64 s[0:1], 0, v48
	v_cmp_lt_i32_e32 vcc, 0, v51
	s_barrier
	s_and_saveexec_b64 s[2:3], vcc
	s_cbranch_execz .LBB80_16
; %bb.15:
	v_div_scale_f32 v52, s[18:19], v48, v48, 1.0
	v_rcp_f32_e32 v53, v52
	v_div_scale_f32 v54, vcc, 1.0, v48, 1.0
	v_fma_f32 v55, -v52, v53, 1.0
	v_fmac_f32_e32 v53, v55, v53
	v_mul_f32_e32 v55, v54, v53
	v_fma_f32 v56, -v52, v55, v54
	v_fmac_f32_e32 v55, v56, v53
	v_fma_f32 v52, -v52, v55, v54
	v_div_fmas_f32 v52, v52, v53, v55
	v_div_fixup_f32 v52, v52, v48, 1.0
	v_cndmask_b32_e64 v48, v52, v48, s[0:1]
	ds_read2_b32 v[52:53], v21 offset0:1 offset1:2
	ds_read2_b32 v[54:55], v21 offset0:3 offset1:4
	;; [unrolled: 1-line block ×3, first 2 shown]
	v_mul_f32_e32 v20, v48, v20
	ds_read2_b32 v[58:59], v21 offset0:7 offset1:8
	s_waitcnt vmcnt(38) lgkmcnt(3)
	v_pk_fma_f32 v[14:15], v[20:21], v[52:53], v[14:15] op_sel_hi:[0,1,1] neg_lo:[1,0,0] neg_hi:[1,0,0]
	s_waitcnt vmcnt(36) lgkmcnt(2)
	v_pk_fma_f32 v[10:11], v[20:21], v[54:55], v[10:11] op_sel_hi:[0,1,1] neg_lo:[1,0,0] neg_hi:[1,0,0]
	s_waitcnt vmcnt(34) lgkmcnt(1)
	v_pk_fma_f32 v[6:7], v[20:21], v[56:57], v[6:7] op_sel_hi:[0,1,1] neg_lo:[1,0,0] neg_hi:[1,0,0]
	ds_read2_b32 v[52:53], v21 offset0:9 offset1:10
	ds_read2_b32 v[54:55], v21 offset0:11 offset1:12
	ds_read2_b32 v[56:57], v21 offset0:13 offset1:14
	s_waitcnt vmcnt(32) lgkmcnt(3)
	v_pk_fma_f32 v[0:1], v[20:21], v[58:59], v[0:1] op_sel_hi:[0,1,1] neg_lo:[1,0,0] neg_hi:[1,0,0]
	ds_read2_b32 v[58:59], v21 offset0:15 offset1:16
	s_waitcnt vmcnt(30) lgkmcnt(3)
	v_pk_fma_f32 v[28:29], v[20:21], v[52:53], v[28:29] op_sel_hi:[0,1,1] neg_lo:[1,0,0] neg_hi:[1,0,0]
	s_waitcnt vmcnt(28) lgkmcnt(2)
	v_pk_fma_f32 v[18:19], v[20:21], v[54:55], v[18:19] op_sel_hi:[0,1,1] neg_lo:[1,0,0] neg_hi:[1,0,0]
	s_waitcnt vmcnt(26) lgkmcnt(1)
	v_pk_fma_f32 v[12:13], v[20:21], v[56:57], v[12:13] op_sel_hi:[0,1,1] neg_lo:[1,0,0] neg_hi:[1,0,0]
	ds_read2_b32 v[52:53], v21 offset0:17 offset1:18
	ds_read2_b32 v[54:55], v21 offset0:19 offset1:20
	ds_read2_b32 v[56:57], v21 offset0:21 offset1:22
	s_waitcnt vmcnt(24) lgkmcnt(3)
	v_pk_fma_f32 v[8:9], v[20:21], v[58:59], v[8:9] op_sel_hi:[0,1,1] neg_lo:[1,0,0] neg_hi:[1,0,0]
	;; [unrolled: 12-line block ×3, first 2 shown]
	ds_read2_b32 v[58:59], v21 offset0:31 offset1:32
	s_waitcnt vmcnt(14) lgkmcnt(3)
	v_pk_fma_f32 v[42:43], v[20:21], v[52:53], v[42:43] op_sel_hi:[0,1,1] neg_lo:[1,0,0] neg_hi:[1,0,0]
	s_waitcnt vmcnt(12) lgkmcnt(2)
	v_pk_fma_f32 v[36:37], v[20:21], v[54:55], v[36:37] op_sel_hi:[0,1,1] neg_lo:[1,0,0] neg_hi:[1,0,0]
	;; [unrolled: 2-line block ×3, first 2 shown]
	ds_read2_b32 v[52:53], v21 offset0:33 offset1:34
	ds_read2_b32 v[54:55], v21 offset0:35 offset1:36
	;; [unrolled: 1-line block ×4, first 2 shown]
	s_waitcnt vmcnt(8) lgkmcnt(4)
	v_pk_fma_f32 v[26:27], v[20:21], v[58:59], v[26:27] op_sel_hi:[0,1,1] neg_lo:[1,0,0] neg_hi:[1,0,0]
	s_waitcnt vmcnt(6) lgkmcnt(3)
	v_pk_fma_f32 v[46:47], v[20:21], v[52:53], v[46:47] op_sel_hi:[0,1,1] neg_lo:[1,0,0] neg_hi:[1,0,0]
	;; [unrolled: 2-line block ×5, first 2 shown]
.LBB80_16:
	s_or_b64 exec, exec, s[2:3]
	v_lshl_add_u32 v48, v51, 2, v21
	s_barrier
	s_waitcnt vmcnt(39)
	ds_write_b32 v48, v14
	s_waitcnt lgkmcnt(0)
	s_barrier
	ds_read_b32 v52, v21 offset:4
	s_mov_b32 s2, 2
	s_cmp_lt_i32 s22, 3
	v_mov_b32_e32 v48, 1
	s_cbranch_scc1 .LBB80_19
; %bb.17:
	v_add3_u32 v53, v50, 0, 8
	v_mov_b32_e32 v48, 1
.LBB80_18:                              ; =>This Inner Loop Header: Depth=1
	ds_read_b32 v54, v53
	v_mov_b32_e32 v55, s2
	s_add_i32 s2, s2, 1
	v_add_u32_e32 v53, 4, v53
	s_cmp_lg_u32 s22, s2
	s_waitcnt lgkmcnt(0)
	v_cmp_lt_f32_e64 vcc, |v52|, |v54|
	s_nop 1
	v_cndmask_b32_e32 v52, v52, v54, vcc
	v_cndmask_b32_e32 v48, v48, v55, vcc
	s_cbranch_scc1 .LBB80_18
.LBB80_19:
	v_cmp_ne_u32_e32 vcc, v51, v48
	s_and_saveexec_b64 s[2:3], vcc
	s_xor_b64 s[2:3], exec, s[2:3]
	s_cbranch_execz .LBB80_25
; %bb.20:
	v_cmp_eq_u32_e32 vcc, 1, v51
	s_and_saveexec_b64 s[18:19], vcc
	s_cbranch_execz .LBB80_24
; %bb.21:
	v_cmp_ne_u32_e32 vcc, 1, v48
	s_xor_b64 s[20:21], s[16:17], -1
	s_and_b64 s[24:25], s[20:21], vcc
	s_and_saveexec_b64 s[20:21], s[24:25]
	s_cbranch_execz .LBB80_23
; %bb.22:
	v_ashrrev_i32_e32 v49, 31, v48
	v_lshl_add_u64 v[54:55], v[48:49], 2, v[22:23]
	global_load_dword v49, v[54:55], off
	global_load_dword v51, v[22:23], off offset:4
	s_waitcnt vmcnt(1)
	global_store_dword v[22:23], v49, off offset:4
	s_waitcnt vmcnt(1)
	global_store_dword v[54:55], v51, off
.LBB80_23:
	s_or_b64 exec, exec, s[20:21]
	v_mov_b32_e32 v49, v48
	v_mov_b32_e32 v51, v48
.LBB80_24:
	s_or_b64 exec, exec, s[18:19]
.LBB80_25:
	s_andn2_saveexec_b64 s[2:3], s[2:3]
	s_cbranch_execz .LBB80_27
; %bb.26:
	s_waitcnt vmcnt(36)
	v_pk_mov_b32 v[54:55], v[14:15], v[10:11] op_sel:[1,0]
	ds_write2_b32 v21, v54, v55 offset0:2 offset1:3
	s_waitcnt vmcnt(34)
	v_pk_mov_b32 v[54:55], v[10:11], v[6:7] op_sel:[1,0]
	ds_write2_b32 v21, v54, v55 offset0:4 offset1:5
	;; [unrolled: 3-line block ×18, first 2 shown]
	s_waitcnt vmcnt(0)
	v_pk_mov_b32 v[54:55], v[40:41], v[38:39] op_sel:[1,0]
	v_mov_b32_e32 v51, 1
	ds_write2_b32 v21, v54, v55 offset0:38 offset1:39
	ds_write_b32 v21, v39 offset:160
.LBB80_27:
	s_or_b64 exec, exec, s[2:3]
	s_waitcnt lgkmcnt(0)
	v_cmp_neq_f32_e64 s[2:3], 0, v52
	v_cmp_lt_i32_e32 vcc, 1, v51
	s_barrier
	s_and_saveexec_b64 s[18:19], vcc
	s_cbranch_execz .LBB80_29
; %bb.28:
	v_div_scale_f32 v48, s[20:21], v52, v52, 1.0
	v_rcp_f32_e32 v53, v48
	v_div_scale_f32 v54, vcc, 1.0, v52, 1.0
	v_fma_f32 v55, -v48, v53, 1.0
	v_fmac_f32_e32 v53, v55, v53
	v_mul_f32_e32 v55, v54, v53
	v_fma_f32 v56, -v48, v55, v54
	v_fmac_f32_e32 v55, v56, v53
	v_fma_f32 v48, -v48, v55, v54
	v_div_fmas_f32 v48, v48, v53, v55
	v_div_fixup_f32 v48, v48, v52, 1.0
	v_cndmask_b32_e64 v48, v52, v48, s[2:3]
	ds_read_b32 v58, v21 offset:8
	ds_read2_b32 v[52:53], v21 offset0:3 offset1:4
	ds_read2_b32 v[54:55], v21 offset0:5 offset1:6
	v_mul_f32_e32 v14, v48, v14
	ds_read2_b32 v[56:57], v21 offset0:7 offset1:8
	s_waitcnt vmcnt(38) lgkmcnt(3)
	v_fma_f32 v15, -v14, v58, v15
	s_waitcnt vmcnt(36) lgkmcnt(2)
	v_pk_fma_f32 v[10:11], v[14:15], v[52:53], v[10:11] op_sel_hi:[0,1,1] neg_lo:[1,0,0] neg_hi:[1,0,0]
	s_waitcnt vmcnt(34) lgkmcnt(1)
	v_pk_fma_f32 v[6:7], v[14:15], v[54:55], v[6:7] op_sel_hi:[0,1,1] neg_lo:[1,0,0] neg_hi:[1,0,0]
	ds_read2_b32 v[52:53], v21 offset0:9 offset1:10
	ds_read2_b32 v[54:55], v21 offset0:11 offset1:12
	ds_read2_b32 v[58:59], v21 offset0:13 offset1:14
	s_waitcnt vmcnt(32) lgkmcnt(3)
	v_pk_fma_f32 v[0:1], v[14:15], v[56:57], v[0:1] op_sel_hi:[0,1,1] neg_lo:[1,0,0] neg_hi:[1,0,0]
	ds_read2_b32 v[56:57], v21 offset0:15 offset1:16
	s_waitcnt vmcnt(30) lgkmcnt(3)
	v_pk_fma_f32 v[28:29], v[14:15], v[52:53], v[28:29] op_sel_hi:[0,1,1] neg_lo:[1,0,0] neg_hi:[1,0,0]
	s_waitcnt vmcnt(28) lgkmcnt(2)
	v_pk_fma_f32 v[18:19], v[14:15], v[54:55], v[18:19] op_sel_hi:[0,1,1] neg_lo:[1,0,0] neg_hi:[1,0,0]
	s_waitcnt vmcnt(26) lgkmcnt(1)
	v_pk_fma_f32 v[12:13], v[14:15], v[58:59], v[12:13] op_sel_hi:[0,1,1] neg_lo:[1,0,0] neg_hi:[1,0,0]
	ds_read2_b32 v[52:53], v21 offset0:17 offset1:18
	ds_read2_b32 v[54:55], v21 offset0:19 offset1:20
	ds_read2_b32 v[58:59], v21 offset0:21 offset1:22
	s_waitcnt vmcnt(24) lgkmcnt(3)
	v_pk_fma_f32 v[8:9], v[14:15], v[56:57], v[8:9] op_sel_hi:[0,1,1] neg_lo:[1,0,0] neg_hi:[1,0,0]
	ds_read2_b32 v[56:57], v21 offset0:23 offset1:24
	s_waitcnt vmcnt(22) lgkmcnt(3)
	v_pk_fma_f32 v[34:35], v[14:15], v[52:53], v[34:35] op_sel_hi:[0,1,1] neg_lo:[1,0,0] neg_hi:[1,0,0]
	s_waitcnt vmcnt(20) lgkmcnt(2)
	v_pk_fma_f32 v[30:31], v[14:15], v[54:55], v[30:31] op_sel_hi:[0,1,1] neg_lo:[1,0,0] neg_hi:[1,0,0]
	s_waitcnt vmcnt(18) lgkmcnt(1)
	v_pk_fma_f32 v[24:25], v[14:15], v[58:59], v[24:25] op_sel_hi:[0,1,1] neg_lo:[1,0,0] neg_hi:[1,0,0]
	ds_read2_b32 v[52:53], v21 offset0:25 offset1:26
	ds_read2_b32 v[54:55], v21 offset0:27 offset1:28
	ds_read2_b32 v[58:59], v21 offset0:29 offset1:30
	s_waitcnt vmcnt(16) lgkmcnt(3)
	v_pk_fma_f32 v[16:17], v[14:15], v[56:57], v[16:17] op_sel_hi:[0,1,1] neg_lo:[1,0,0] neg_hi:[1,0,0]
	ds_read2_b32 v[56:57], v21 offset0:31 offset1:32
	s_waitcnt vmcnt(14) lgkmcnt(3)
	v_pk_fma_f32 v[42:43], v[14:15], v[52:53], v[42:43] op_sel_hi:[0,1,1] neg_lo:[1,0,0] neg_hi:[1,0,0]
	s_waitcnt vmcnt(12) lgkmcnt(2)
	v_pk_fma_f32 v[36:37], v[14:15], v[54:55], v[36:37] op_sel_hi:[0,1,1] neg_lo:[1,0,0] neg_hi:[1,0,0]
	s_waitcnt vmcnt(10) lgkmcnt(1)
	v_pk_fma_f32 v[32:33], v[14:15], v[58:59], v[32:33] op_sel_hi:[0,1,1] neg_lo:[1,0,0] neg_hi:[1,0,0]
	ds_read2_b32 v[52:53], v21 offset0:33 offset1:34
	ds_read2_b32 v[54:55], v21 offset0:35 offset1:36
	;; [unrolled: 1-line block ×4, first 2 shown]
	s_waitcnt vmcnt(8) lgkmcnt(4)
	v_pk_fma_f32 v[26:27], v[14:15], v[56:57], v[26:27] op_sel_hi:[0,1,1] neg_lo:[1,0,0] neg_hi:[1,0,0]
	s_waitcnt vmcnt(6) lgkmcnt(3)
	v_pk_fma_f32 v[46:47], v[14:15], v[52:53], v[46:47] op_sel_hi:[0,1,1] neg_lo:[1,0,0] neg_hi:[1,0,0]
	;; [unrolled: 2-line block ×5, first 2 shown]
.LBB80_29:
	s_or_b64 exec, exec, s[18:19]
	v_lshl_add_u32 v48, v51, 2, v21
	s_barrier
	s_waitcnt vmcnt(38)
	ds_write_b32 v48, v15
	s_waitcnt lgkmcnt(0)
	s_barrier
	ds_read_b32 v53, v21 offset:8
	s_cmp_lt_i32 s22, 4
	v_mov_b32_e32 v48, 2
	s_cbranch_scc1 .LBB80_32
; %bb.30:
	v_mov_b32_e32 v48, 2
	v_add3_u32 v52, v50, 0, 12
	s_mov_b32 s18, 3
.LBB80_31:                              ; =>This Inner Loop Header: Depth=1
	ds_read_b32 v54, v52
	v_mov_b32_e32 v55, s18
	s_add_i32 s18, s18, 1
	v_add_u32_e32 v52, 4, v52
	s_cmp_lg_u32 s22, s18
	s_waitcnt lgkmcnt(0)
	v_cmp_lt_f32_e64 vcc, |v53|, |v54|
	s_nop 1
	v_cndmask_b32_e32 v53, v53, v54, vcc
	v_cndmask_b32_e32 v48, v48, v55, vcc
	s_cbranch_scc1 .LBB80_31
.LBB80_32:
	v_cndmask_b32_e64 v52, 2, 1, s[0:1]
	v_cndmask_b32_e64 v54, 0, 1, s[0:1]
	;; [unrolled: 1-line block ×3, first 2 shown]
	s_waitcnt lgkmcnt(0)
	v_cmp_eq_f32_e32 vcc, 0, v53
	s_and_saveexec_b64 s[0:1], vcc
	s_xor_b64 s[0:1], exec, s[0:1]
; %bb.33:
	v_cmp_ne_u32_e32 vcc, 0, v52
	s_nop 1
	v_cndmask_b32_e32 v52, 3, v52, vcc
; %bb.34:
	s_andn2_saveexec_b64 s[0:1], s[0:1]
	s_cbranch_execz .LBB80_36
; %bb.35:
	v_div_scale_f32 v54, s[2:3], v53, v53, 1.0
	v_rcp_f32_e32 v55, v54
	v_div_scale_f32 v56, vcc, 1.0, v53, 1.0
	v_fma_f32 v57, -v54, v55, 1.0
	v_fmac_f32_e32 v55, v57, v55
	v_mul_f32_e32 v57, v56, v55
	v_fma_f32 v58, -v54, v57, v56
	v_fmac_f32_e32 v57, v58, v55
	v_fma_f32 v54, -v54, v57, v56
	v_div_fmas_f32 v54, v54, v55, v57
	v_div_fixup_f32 v53, v54, v53, 1.0
.LBB80_36:
	s_or_b64 exec, exec, s[0:1]
	v_cmp_ne_u32_e32 vcc, v51, v48
	s_and_saveexec_b64 s[0:1], vcc
	s_xor_b64 s[0:1], exec, s[0:1]
	s_cbranch_execz .LBB80_42
; %bb.37:
	v_cmp_eq_u32_e32 vcc, 2, v51
	s_and_saveexec_b64 s[2:3], vcc
	s_cbranch_execz .LBB80_41
; %bb.38:
	v_cmp_ne_u32_e32 vcc, 2, v48
	s_xor_b64 s[18:19], s[16:17], -1
	s_and_b64 s[20:21], s[18:19], vcc
	s_and_saveexec_b64 s[18:19], s[20:21]
	s_cbranch_execz .LBB80_40
; %bb.39:
	v_ashrrev_i32_e32 v49, 31, v48
	v_lshl_add_u64 v[54:55], v[48:49], 2, v[22:23]
	global_load_dword v49, v[54:55], off
	global_load_dword v51, v[22:23], off offset:8
	s_waitcnt vmcnt(1)
	global_store_dword v[22:23], v49, off offset:8
	s_waitcnt vmcnt(1)
	global_store_dword v[54:55], v51, off
.LBB80_40:
	s_or_b64 exec, exec, s[18:19]
	v_mov_b32_e32 v49, v48
	v_mov_b32_e32 v51, v48
.LBB80_41:
	s_or_b64 exec, exec, s[2:3]
.LBB80_42:
	s_andn2_saveexec_b64 s[0:1], s[0:1]
	s_cbranch_execz .LBB80_44
; %bb.43:
	v_mov_b32_e32 v51, 2
	s_waitcnt vmcnt(36)
	ds_write2_b32 v21, v10, v11 offset0:3 offset1:4
	s_waitcnt vmcnt(34)
	ds_write2_b32 v21, v6, v7 offset0:5 offset1:6
	;; [unrolled: 2-line block ×19, first 2 shown]
.LBB80_44:
	s_or_b64 exec, exec, s[0:1]
	v_cmp_lt_i32_e32 vcc, 2, v51
	s_waitcnt lgkmcnt(0)
	s_barrier
	s_and_saveexec_b64 s[0:1], vcc
	s_cbranch_execz .LBB80_46
; %bb.45:
	ds_read2_b32 v[54:55], v21 offset0:3 offset1:4
	ds_read2_b32 v[56:57], v21 offset0:5 offset1:6
	;; [unrolled: 1-line block ×3, first 2 shown]
	v_mul_f32_e32 v48, v53, v15
	ds_read2_b32 v[60:61], v21 offset0:9 offset1:10
	s_waitcnt vmcnt(36) lgkmcnt(3)
	v_pk_fma_f32 v[10:11], v[48:49], v[54:55], v[10:11] op_sel_hi:[0,1,1] neg_lo:[1,0,0] neg_hi:[1,0,0]
	s_waitcnt vmcnt(34) lgkmcnt(2)
	v_pk_fma_f32 v[6:7], v[48:49], v[56:57], v[6:7] op_sel_hi:[0,1,1] neg_lo:[1,0,0] neg_hi:[1,0,0]
	s_waitcnt vmcnt(32) lgkmcnt(1)
	v_pk_fma_f32 v[0:1], v[48:49], v[58:59], v[0:1] op_sel_hi:[0,1,1] neg_lo:[1,0,0] neg_hi:[1,0,0]
	ds_read2_b32 v[54:55], v21 offset0:11 offset1:12
	ds_read2_b32 v[56:57], v21 offset0:13 offset1:14
	;; [unrolled: 1-line block ×3, first 2 shown]
	s_waitcnt vmcnt(30) lgkmcnt(3)
	v_pk_fma_f32 v[28:29], v[48:49], v[60:61], v[28:29] op_sel_hi:[0,1,1] neg_lo:[1,0,0] neg_hi:[1,0,0]
	ds_read2_b32 v[60:61], v21 offset0:17 offset1:18
	s_waitcnt vmcnt(28) lgkmcnt(3)
	v_pk_fma_f32 v[18:19], v[48:49], v[54:55], v[18:19] op_sel_hi:[0,1,1] neg_lo:[1,0,0] neg_hi:[1,0,0]
	s_waitcnt vmcnt(26) lgkmcnt(2)
	v_pk_fma_f32 v[12:13], v[48:49], v[56:57], v[12:13] op_sel_hi:[0,1,1] neg_lo:[1,0,0] neg_hi:[1,0,0]
	;; [unrolled: 2-line block ×3, first 2 shown]
	ds_read2_b32 v[54:55], v21 offset0:19 offset1:20
	ds_read2_b32 v[56:57], v21 offset0:21 offset1:22
	;; [unrolled: 1-line block ×3, first 2 shown]
	s_waitcnt vmcnt(22) lgkmcnt(3)
	v_pk_fma_f32 v[34:35], v[48:49], v[60:61], v[34:35] op_sel_hi:[0,1,1] neg_lo:[1,0,0] neg_hi:[1,0,0]
	ds_read2_b32 v[60:61], v21 offset0:25 offset1:26
	s_waitcnt vmcnt(20) lgkmcnt(3)
	v_pk_fma_f32 v[30:31], v[48:49], v[54:55], v[30:31] op_sel_hi:[0,1,1] neg_lo:[1,0,0] neg_hi:[1,0,0]
	s_waitcnt vmcnt(18) lgkmcnt(2)
	v_pk_fma_f32 v[24:25], v[48:49], v[56:57], v[24:25] op_sel_hi:[0,1,1] neg_lo:[1,0,0] neg_hi:[1,0,0]
	ds_read2_b32 v[54:55], v21 offset0:27 offset1:28
	ds_read2_b32 v[56:57], v21 offset0:29 offset1:30
	s_waitcnt vmcnt(16) lgkmcnt(3)
	v_pk_fma_f32 v[16:17], v[48:49], v[58:59], v[16:17] op_sel_hi:[0,1,1] neg_lo:[1,0,0] neg_hi:[1,0,0]
	s_waitcnt vmcnt(14) lgkmcnt(2)
	v_pk_fma_f32 v[42:43], v[48:49], v[60:61], v[42:43] op_sel_hi:[0,1,1] neg_lo:[1,0,0] neg_hi:[1,0,0]
	ds_read2_b32 v[58:59], v21 offset0:31 offset1:32
	;; [unrolled: 6-line block ×3, first 2 shown]
	ds_read2_b32 v[56:57], v21 offset0:37 offset1:38
	ds_read2_b32 v[62:63], v21 offset0:39 offset1:40
	s_waitcnt vmcnt(8) lgkmcnt(4)
	v_pk_fma_f32 v[26:27], v[48:49], v[58:59], v[26:27] op_sel_hi:[0,1,1] neg_lo:[1,0,0] neg_hi:[1,0,0]
	s_waitcnt vmcnt(6) lgkmcnt(3)
	v_pk_fma_f32 v[46:47], v[48:49], v[60:61], v[46:47] op_sel_hi:[0,1,1] neg_lo:[1,0,0] neg_hi:[1,0,0]
	;; [unrolled: 2-line block ×5, first 2 shown]
	v_mov_b32_e32 v15, v48
.LBB80_46:
	s_or_b64 exec, exec, s[0:1]
	v_lshl_add_u32 v48, v51, 2, v21
	s_barrier
	s_waitcnt vmcnt(37)
	ds_write_b32 v48, v10
	s_waitcnt lgkmcnt(0)
	s_barrier
	ds_read_b32 v53, v21 offset:12
	s_cmp_lt_i32 s22, 5
	v_mov_b32_e32 v48, 3
	s_cbranch_scc1 .LBB80_49
; %bb.47:
	v_add3_u32 v54, v50, 0, 16
	v_mov_b32_e32 v48, 3
	s_mov_b32 s0, 4
.LBB80_48:                              ; =>This Inner Loop Header: Depth=1
	ds_read_b32 v55, v54
	v_mov_b32_e32 v56, s0
	s_add_i32 s0, s0, 1
	v_add_u32_e32 v54, 4, v54
	s_cmp_lg_u32 s22, s0
	s_waitcnt lgkmcnt(0)
	v_cmp_lt_f32_e64 vcc, |v53|, |v55|
	s_nop 1
	v_cndmask_b32_e32 v53, v53, v55, vcc
	v_cndmask_b32_e32 v48, v48, v56, vcc
	s_cbranch_scc1 .LBB80_48
.LBB80_49:
	s_waitcnt lgkmcnt(0)
	v_cmp_eq_f32_e32 vcc, 0, v53
	s_and_saveexec_b64 s[0:1], vcc
	s_xor_b64 s[0:1], exec, s[0:1]
; %bb.50:
	v_cmp_ne_u32_e32 vcc, 0, v52
	s_nop 1
	v_cndmask_b32_e32 v52, 4, v52, vcc
; %bb.51:
	s_andn2_saveexec_b64 s[0:1], s[0:1]
	s_cbranch_execz .LBB80_53
; %bb.52:
	v_div_scale_f32 v54, s[2:3], v53, v53, 1.0
	v_rcp_f32_e32 v55, v54
	v_div_scale_f32 v56, vcc, 1.0, v53, 1.0
	v_fma_f32 v57, -v54, v55, 1.0
	v_fmac_f32_e32 v55, v57, v55
	v_mul_f32_e32 v57, v56, v55
	v_fma_f32 v58, -v54, v57, v56
	v_fmac_f32_e32 v57, v58, v55
	v_fma_f32 v54, -v54, v57, v56
	v_div_fmas_f32 v54, v54, v55, v57
	v_div_fixup_f32 v53, v54, v53, 1.0
.LBB80_53:
	s_or_b64 exec, exec, s[0:1]
	v_cmp_ne_u32_e32 vcc, v51, v48
	s_and_saveexec_b64 s[0:1], vcc
	s_xor_b64 s[0:1], exec, s[0:1]
	s_cbranch_execz .LBB80_59
; %bb.54:
	v_cmp_eq_u32_e32 vcc, 3, v51
	s_and_saveexec_b64 s[2:3], vcc
	s_cbranch_execz .LBB80_58
; %bb.55:
	v_cmp_ne_u32_e32 vcc, 3, v48
	s_xor_b64 s[18:19], s[16:17], -1
	s_and_b64 s[20:21], s[18:19], vcc
	s_and_saveexec_b64 s[18:19], s[20:21]
	s_cbranch_execz .LBB80_57
; %bb.56:
	v_ashrrev_i32_e32 v49, 31, v48
	v_lshl_add_u64 v[54:55], v[48:49], 2, v[22:23]
	global_load_dword v49, v[54:55], off
	global_load_dword v51, v[22:23], off offset:12
	s_waitcnt vmcnt(1)
	global_store_dword v[22:23], v49, off offset:12
	s_waitcnt vmcnt(1)
	global_store_dword v[54:55], v51, off
.LBB80_57:
	s_or_b64 exec, exec, s[18:19]
	v_mov_b32_e32 v49, v48
	v_mov_b32_e32 v51, v48
.LBB80_58:
	s_or_b64 exec, exec, s[2:3]
.LBB80_59:
	s_andn2_saveexec_b64 s[0:1], s[0:1]
	s_cbranch_execz .LBB80_61
; %bb.60:
	s_waitcnt vmcnt(34)
	v_pk_mov_b32 v[54:55], v[10:11], v[6:7] op_sel:[1,0]
	ds_write2_b32 v21, v54, v55 offset0:4 offset1:5
	s_waitcnt vmcnt(32)
	v_pk_mov_b32 v[54:55], v[6:7], v[0:1] op_sel:[1,0]
	ds_write2_b32 v21, v54, v55 offset0:6 offset1:7
	;; [unrolled: 3-line block ×17, first 2 shown]
	s_waitcnt vmcnt(0)
	v_pk_mov_b32 v[54:55], v[40:41], v[38:39] op_sel:[1,0]
	v_mov_b32_e32 v51, 3
	ds_write2_b32 v21, v54, v55 offset0:38 offset1:39
	ds_write_b32 v21, v39 offset:160
.LBB80_61:
	s_or_b64 exec, exec, s[0:1]
	v_cmp_lt_i32_e32 vcc, 3, v51
	s_waitcnt lgkmcnt(0)
	s_barrier
	s_and_saveexec_b64 s[0:1], vcc
	s_cbranch_execz .LBB80_63
; %bb.62:
	ds_read_b32 v48, v21 offset:16
	ds_read2_b32 v[54:55], v21 offset0:5 offset1:6
	ds_read2_b32 v[56:57], v21 offset0:7 offset1:8
	v_mul_f32_e32 v10, v53, v10
	ds_read2_b32 v[58:59], v21 offset0:9 offset1:10
	s_waitcnt vmcnt(36) lgkmcnt(3)
	v_fma_f32 v11, -v10, v48, v11
	s_waitcnt vmcnt(34) lgkmcnt(2)
	v_pk_fma_f32 v[6:7], v[10:11], v[54:55], v[6:7] op_sel_hi:[0,1,1] neg_lo:[1,0,0] neg_hi:[1,0,0]
	s_waitcnt vmcnt(32) lgkmcnt(1)
	v_pk_fma_f32 v[0:1], v[10:11], v[56:57], v[0:1] op_sel_hi:[0,1,1] neg_lo:[1,0,0] neg_hi:[1,0,0]
	ds_read2_b32 v[54:55], v21 offset0:11 offset1:12
	ds_read2_b32 v[56:57], v21 offset0:13 offset1:14
	ds_read2_b32 v[60:61], v21 offset0:15 offset1:16
	s_waitcnt vmcnt(30) lgkmcnt(3)
	v_pk_fma_f32 v[28:29], v[10:11], v[58:59], v[28:29] op_sel_hi:[0,1,1] neg_lo:[1,0,0] neg_hi:[1,0,0]
	ds_read2_b32 v[58:59], v21 offset0:17 offset1:18
	s_waitcnt vmcnt(28) lgkmcnt(3)
	v_pk_fma_f32 v[18:19], v[10:11], v[54:55], v[18:19] op_sel_hi:[0,1,1] neg_lo:[1,0,0] neg_hi:[1,0,0]
	s_waitcnt vmcnt(26) lgkmcnt(2)
	v_pk_fma_f32 v[12:13], v[10:11], v[56:57], v[12:13] op_sel_hi:[0,1,1] neg_lo:[1,0,0] neg_hi:[1,0,0]
	;; [unrolled: 2-line block ×3, first 2 shown]
	ds_read2_b32 v[54:55], v21 offset0:19 offset1:20
	ds_read2_b32 v[56:57], v21 offset0:21 offset1:22
	;; [unrolled: 1-line block ×3, first 2 shown]
	s_waitcnt vmcnt(22) lgkmcnt(3)
	v_pk_fma_f32 v[34:35], v[10:11], v[58:59], v[34:35] op_sel_hi:[0,1,1] neg_lo:[1,0,0] neg_hi:[1,0,0]
	ds_read2_b32 v[58:59], v21 offset0:25 offset1:26
	s_waitcnt vmcnt(20) lgkmcnt(3)
	v_pk_fma_f32 v[30:31], v[10:11], v[54:55], v[30:31] op_sel_hi:[0,1,1] neg_lo:[1,0,0] neg_hi:[1,0,0]
	s_waitcnt vmcnt(18) lgkmcnt(2)
	v_pk_fma_f32 v[24:25], v[10:11], v[56:57], v[24:25] op_sel_hi:[0,1,1] neg_lo:[1,0,0] neg_hi:[1,0,0]
	ds_read2_b32 v[54:55], v21 offset0:27 offset1:28
	ds_read2_b32 v[56:57], v21 offset0:29 offset1:30
	s_waitcnt vmcnt(16) lgkmcnt(3)
	v_pk_fma_f32 v[16:17], v[10:11], v[60:61], v[16:17] op_sel_hi:[0,1,1] neg_lo:[1,0,0] neg_hi:[1,0,0]
	s_waitcnt vmcnt(14) lgkmcnt(2)
	v_pk_fma_f32 v[42:43], v[10:11], v[58:59], v[42:43] op_sel_hi:[0,1,1] neg_lo:[1,0,0] neg_hi:[1,0,0]
	ds_read2_b32 v[58:59], v21 offset0:31 offset1:32
	;; [unrolled: 6-line block ×3, first 2 shown]
	ds_read2_b32 v[56:57], v21 offset0:37 offset1:38
	ds_read2_b32 v[62:63], v21 offset0:39 offset1:40
	s_waitcnt vmcnt(8) lgkmcnt(4)
	v_pk_fma_f32 v[26:27], v[10:11], v[58:59], v[26:27] op_sel_hi:[0,1,1] neg_lo:[1,0,0] neg_hi:[1,0,0]
	s_waitcnt vmcnt(6) lgkmcnt(3)
	v_pk_fma_f32 v[46:47], v[10:11], v[60:61], v[46:47] op_sel_hi:[0,1,1] neg_lo:[1,0,0] neg_hi:[1,0,0]
	;; [unrolled: 2-line block ×5, first 2 shown]
.LBB80_63:
	s_or_b64 exec, exec, s[0:1]
	v_lshl_add_u32 v48, v51, 2, v21
	s_barrier
	s_waitcnt vmcnt(36)
	ds_write_b32 v48, v11
	s_waitcnt lgkmcnt(0)
	s_barrier
	ds_read_b32 v53, v21 offset:16
	s_cmp_lt_i32 s22, 6
	v_mov_b32_e32 v48, 4
	s_cbranch_scc1 .LBB80_66
; %bb.64:
	v_add3_u32 v54, v50, 0, 20
	v_mov_b32_e32 v48, 4
	s_mov_b32 s0, 5
.LBB80_65:                              ; =>This Inner Loop Header: Depth=1
	ds_read_b32 v55, v54
	v_mov_b32_e32 v56, s0
	s_add_i32 s0, s0, 1
	v_add_u32_e32 v54, 4, v54
	s_cmp_lg_u32 s22, s0
	s_waitcnt lgkmcnt(0)
	v_cmp_lt_f32_e64 vcc, |v53|, |v55|
	s_nop 1
	v_cndmask_b32_e32 v53, v53, v55, vcc
	v_cndmask_b32_e32 v48, v48, v56, vcc
	s_cbranch_scc1 .LBB80_65
.LBB80_66:
	s_waitcnt lgkmcnt(0)
	v_cmp_eq_f32_e32 vcc, 0, v53
	s_and_saveexec_b64 s[0:1], vcc
	s_xor_b64 s[0:1], exec, s[0:1]
; %bb.67:
	v_cmp_ne_u32_e32 vcc, 0, v52
	s_nop 1
	v_cndmask_b32_e32 v52, 5, v52, vcc
; %bb.68:
	s_andn2_saveexec_b64 s[0:1], s[0:1]
	s_cbranch_execz .LBB80_70
; %bb.69:
	v_div_scale_f32 v54, s[2:3], v53, v53, 1.0
	v_rcp_f32_e32 v55, v54
	v_div_scale_f32 v56, vcc, 1.0, v53, 1.0
	v_fma_f32 v57, -v54, v55, 1.0
	v_fmac_f32_e32 v55, v57, v55
	v_mul_f32_e32 v57, v56, v55
	v_fma_f32 v58, -v54, v57, v56
	v_fmac_f32_e32 v57, v58, v55
	v_fma_f32 v54, -v54, v57, v56
	v_div_fmas_f32 v54, v54, v55, v57
	v_div_fixup_f32 v53, v54, v53, 1.0
.LBB80_70:
	s_or_b64 exec, exec, s[0:1]
	v_cmp_ne_u32_e32 vcc, v51, v48
	s_and_saveexec_b64 s[0:1], vcc
	s_xor_b64 s[0:1], exec, s[0:1]
	s_cbranch_execz .LBB80_76
; %bb.71:
	v_cmp_eq_u32_e32 vcc, 4, v51
	s_and_saveexec_b64 s[2:3], vcc
	s_cbranch_execz .LBB80_75
; %bb.72:
	v_cmp_ne_u32_e32 vcc, 4, v48
	s_xor_b64 s[18:19], s[16:17], -1
	s_and_b64 s[20:21], s[18:19], vcc
	s_and_saveexec_b64 s[18:19], s[20:21]
	s_cbranch_execz .LBB80_74
; %bb.73:
	v_ashrrev_i32_e32 v49, 31, v48
	v_lshl_add_u64 v[54:55], v[48:49], 2, v[22:23]
	global_load_dword v49, v[54:55], off
	global_load_dword v51, v[22:23], off offset:16
	s_waitcnt vmcnt(1)
	global_store_dword v[22:23], v49, off offset:16
	s_waitcnt vmcnt(1)
	global_store_dword v[54:55], v51, off
.LBB80_74:
	s_or_b64 exec, exec, s[18:19]
	v_mov_b32_e32 v49, v48
	v_mov_b32_e32 v51, v48
.LBB80_75:
	s_or_b64 exec, exec, s[2:3]
.LBB80_76:
	s_andn2_saveexec_b64 s[0:1], s[0:1]
	s_cbranch_execz .LBB80_78
; %bb.77:
	v_mov_b32_e32 v51, 4
	s_waitcnt vmcnt(34)
	ds_write2_b32 v21, v6, v7 offset0:5 offset1:6
	s_waitcnt vmcnt(32)
	ds_write2_b32 v21, v0, v1 offset0:7 offset1:8
	;; [unrolled: 2-line block ×18, first 2 shown]
.LBB80_78:
	s_or_b64 exec, exec, s[0:1]
	v_cmp_lt_i32_e32 vcc, 4, v51
	s_waitcnt lgkmcnt(0)
	s_barrier
	s_and_saveexec_b64 s[0:1], vcc
	s_cbranch_execz .LBB80_80
; %bb.79:
	ds_read2_b32 v[54:55], v21 offset0:5 offset1:6
	ds_read2_b32 v[56:57], v21 offset0:7 offset1:8
	;; [unrolled: 1-line block ×4, first 2 shown]
	v_mul_f32_e32 v48, v53, v11
	s_waitcnt vmcnt(34) lgkmcnt(3)
	v_pk_fma_f32 v[6:7], v[48:49], v[54:55], v[6:7] op_sel_hi:[0,1,1] neg_lo:[1,0,0] neg_hi:[1,0,0]
	s_waitcnt vmcnt(32) lgkmcnt(2)
	v_pk_fma_f32 v[0:1], v[48:49], v[56:57], v[0:1] op_sel_hi:[0,1,1] neg_lo:[1,0,0] neg_hi:[1,0,0]
	;; [unrolled: 2-line block ×3, first 2 shown]
	ds_read2_b32 v[54:55], v21 offset0:13 offset1:14
	ds_read2_b32 v[56:57], v21 offset0:15 offset1:16
	;; [unrolled: 1-line block ×3, first 2 shown]
	s_waitcnt vmcnt(28) lgkmcnt(3)
	v_pk_fma_f32 v[18:19], v[48:49], v[60:61], v[18:19] op_sel_hi:[0,1,1] neg_lo:[1,0,0] neg_hi:[1,0,0]
	ds_read2_b32 v[60:61], v21 offset0:19 offset1:20
	s_waitcnt vmcnt(26) lgkmcnt(3)
	v_pk_fma_f32 v[12:13], v[48:49], v[54:55], v[12:13] op_sel_hi:[0,1,1] neg_lo:[1,0,0] neg_hi:[1,0,0]
	s_waitcnt vmcnt(24) lgkmcnt(2)
	v_pk_fma_f32 v[8:9], v[48:49], v[56:57], v[8:9] op_sel_hi:[0,1,1] neg_lo:[1,0,0] neg_hi:[1,0,0]
	;; [unrolled: 2-line block ×3, first 2 shown]
	ds_read2_b32 v[54:55], v21 offset0:21 offset1:22
	ds_read2_b32 v[56:57], v21 offset0:23 offset1:24
	;; [unrolled: 1-line block ×3, first 2 shown]
	s_waitcnt vmcnt(20) lgkmcnt(3)
	v_pk_fma_f32 v[30:31], v[48:49], v[60:61], v[30:31] op_sel_hi:[0,1,1] neg_lo:[1,0,0] neg_hi:[1,0,0]
	ds_read2_b32 v[60:61], v21 offset0:27 offset1:28
	s_waitcnt vmcnt(18) lgkmcnt(3)
	v_pk_fma_f32 v[24:25], v[48:49], v[54:55], v[24:25] op_sel_hi:[0,1,1] neg_lo:[1,0,0] neg_hi:[1,0,0]
	ds_read2_b32 v[54:55], v21 offset0:29 offset1:30
	s_waitcnt vmcnt(16) lgkmcnt(3)
	v_pk_fma_f32 v[16:17], v[48:49], v[56:57], v[16:17] op_sel_hi:[0,1,1] neg_lo:[1,0,0] neg_hi:[1,0,0]
	s_waitcnt vmcnt(14) lgkmcnt(2)
	v_pk_fma_f32 v[42:43], v[48:49], v[58:59], v[42:43] op_sel_hi:[0,1,1] neg_lo:[1,0,0] neg_hi:[1,0,0]
	;; [unrolled: 2-line block ×3, first 2 shown]
	ds_read2_b32 v[56:57], v21 offset0:31 offset1:32
	ds_read2_b32 v[58:59], v21 offset0:33 offset1:34
	;; [unrolled: 1-line block ×3, first 2 shown]
	s_waitcnt vmcnt(10) lgkmcnt(3)
	v_pk_fma_f32 v[32:33], v[48:49], v[54:55], v[32:33] op_sel_hi:[0,1,1] neg_lo:[1,0,0] neg_hi:[1,0,0]
	ds_read2_b32 v[54:55], v21 offset0:37 offset1:38
	ds_read2_b32 v[62:63], v21 offset0:39 offset1:40
	s_waitcnt vmcnt(8) lgkmcnt(4)
	v_pk_fma_f32 v[26:27], v[48:49], v[56:57], v[26:27] op_sel_hi:[0,1,1] neg_lo:[1,0,0] neg_hi:[1,0,0]
	s_waitcnt vmcnt(6) lgkmcnt(3)
	v_pk_fma_f32 v[46:47], v[48:49], v[58:59], v[46:47] op_sel_hi:[0,1,1] neg_lo:[1,0,0] neg_hi:[1,0,0]
	;; [unrolled: 2-line block ×5, first 2 shown]
	v_mov_b32_e32 v11, v48
.LBB80_80:
	s_or_b64 exec, exec, s[0:1]
	v_lshl_add_u32 v48, v51, 2, v21
	s_barrier
	s_waitcnt vmcnt(35)
	ds_write_b32 v48, v6
	s_waitcnt lgkmcnt(0)
	s_barrier
	ds_read_b32 v53, v21 offset:20
	s_cmp_lt_i32 s22, 7
	v_mov_b32_e32 v48, 5
	s_cbranch_scc1 .LBB80_83
; %bb.81:
	v_add3_u32 v54, v50, 0, 24
	v_mov_b32_e32 v48, 5
	s_mov_b32 s0, 6
.LBB80_82:                              ; =>This Inner Loop Header: Depth=1
	ds_read_b32 v55, v54
	v_mov_b32_e32 v56, s0
	s_add_i32 s0, s0, 1
	v_add_u32_e32 v54, 4, v54
	s_cmp_lg_u32 s22, s0
	s_waitcnt lgkmcnt(0)
	v_cmp_lt_f32_e64 vcc, |v53|, |v55|
	s_nop 1
	v_cndmask_b32_e32 v53, v53, v55, vcc
	v_cndmask_b32_e32 v48, v48, v56, vcc
	s_cbranch_scc1 .LBB80_82
.LBB80_83:
	s_waitcnt lgkmcnt(0)
	v_cmp_eq_f32_e32 vcc, 0, v53
	s_and_saveexec_b64 s[0:1], vcc
	s_xor_b64 s[0:1], exec, s[0:1]
; %bb.84:
	v_cmp_ne_u32_e32 vcc, 0, v52
	s_nop 1
	v_cndmask_b32_e32 v52, 6, v52, vcc
; %bb.85:
	s_andn2_saveexec_b64 s[0:1], s[0:1]
	s_cbranch_execz .LBB80_87
; %bb.86:
	v_div_scale_f32 v54, s[2:3], v53, v53, 1.0
	v_rcp_f32_e32 v55, v54
	v_div_scale_f32 v56, vcc, 1.0, v53, 1.0
	v_fma_f32 v57, -v54, v55, 1.0
	v_fmac_f32_e32 v55, v57, v55
	v_mul_f32_e32 v57, v56, v55
	v_fma_f32 v58, -v54, v57, v56
	v_fmac_f32_e32 v57, v58, v55
	v_fma_f32 v54, -v54, v57, v56
	v_div_fmas_f32 v54, v54, v55, v57
	v_div_fixup_f32 v53, v54, v53, 1.0
.LBB80_87:
	s_or_b64 exec, exec, s[0:1]
	v_cmp_ne_u32_e32 vcc, v51, v48
	s_and_saveexec_b64 s[0:1], vcc
	s_xor_b64 s[0:1], exec, s[0:1]
	s_cbranch_execz .LBB80_93
; %bb.88:
	v_cmp_eq_u32_e32 vcc, 5, v51
	s_and_saveexec_b64 s[2:3], vcc
	s_cbranch_execz .LBB80_92
; %bb.89:
	v_cmp_ne_u32_e32 vcc, 5, v48
	s_xor_b64 s[18:19], s[16:17], -1
	s_and_b64 s[20:21], s[18:19], vcc
	s_and_saveexec_b64 s[18:19], s[20:21]
	s_cbranch_execz .LBB80_91
; %bb.90:
	v_ashrrev_i32_e32 v49, 31, v48
	v_lshl_add_u64 v[54:55], v[48:49], 2, v[22:23]
	global_load_dword v49, v[54:55], off
	global_load_dword v51, v[22:23], off offset:20
	s_waitcnt vmcnt(1)
	global_store_dword v[22:23], v49, off offset:20
	s_waitcnt vmcnt(1)
	global_store_dword v[54:55], v51, off
.LBB80_91:
	s_or_b64 exec, exec, s[18:19]
	v_mov_b32_e32 v49, v48
	v_mov_b32_e32 v51, v48
.LBB80_92:
	s_or_b64 exec, exec, s[2:3]
.LBB80_93:
	s_andn2_saveexec_b64 s[0:1], s[0:1]
	s_cbranch_execz .LBB80_95
; %bb.94:
	s_waitcnt vmcnt(32)
	v_pk_mov_b32 v[54:55], v[6:7], v[0:1] op_sel:[1,0]
	ds_write2_b32 v21, v54, v55 offset0:6 offset1:7
	s_waitcnt vmcnt(30)
	v_pk_mov_b32 v[54:55], v[0:1], v[28:29] op_sel:[1,0]
	ds_write2_b32 v21, v54, v55 offset0:8 offset1:9
	;; [unrolled: 3-line block ×16, first 2 shown]
	s_waitcnt vmcnt(0)
	v_pk_mov_b32 v[54:55], v[40:41], v[38:39] op_sel:[1,0]
	v_mov_b32_e32 v51, 5
	ds_write2_b32 v21, v54, v55 offset0:38 offset1:39
	ds_write_b32 v21, v39 offset:160
.LBB80_95:
	s_or_b64 exec, exec, s[0:1]
	v_cmp_lt_i32_e32 vcc, 5, v51
	s_waitcnt lgkmcnt(0)
	s_barrier
	s_and_saveexec_b64 s[0:1], vcc
	s_cbranch_execz .LBB80_97
; %bb.96:
	ds_read_b32 v48, v21 offset:24
	ds_read2_b32 v[54:55], v21 offset0:7 offset1:8
	ds_read2_b32 v[56:57], v21 offset0:9 offset1:10
	v_mul_f32_e32 v6, v53, v6
	ds_read2_b32 v[58:59], v21 offset0:11 offset1:12
	s_waitcnt vmcnt(34) lgkmcnt(3)
	v_fma_f32 v7, -v6, v48, v7
	s_waitcnt vmcnt(32) lgkmcnt(2)
	v_pk_fma_f32 v[0:1], v[6:7], v[54:55], v[0:1] op_sel_hi:[0,1,1] neg_lo:[1,0,0] neg_hi:[1,0,0]
	s_waitcnt vmcnt(30) lgkmcnt(1)
	v_pk_fma_f32 v[28:29], v[6:7], v[56:57], v[28:29] op_sel_hi:[0,1,1] neg_lo:[1,0,0] neg_hi:[1,0,0]
	ds_read2_b32 v[54:55], v21 offset0:13 offset1:14
	ds_read2_b32 v[56:57], v21 offset0:15 offset1:16
	;; [unrolled: 1-line block ×3, first 2 shown]
	s_waitcnt vmcnt(28) lgkmcnt(3)
	v_pk_fma_f32 v[18:19], v[6:7], v[58:59], v[18:19] op_sel_hi:[0,1,1] neg_lo:[1,0,0] neg_hi:[1,0,0]
	ds_read2_b32 v[58:59], v21 offset0:19 offset1:20
	s_waitcnt vmcnt(26) lgkmcnt(3)
	v_pk_fma_f32 v[12:13], v[6:7], v[54:55], v[12:13] op_sel_hi:[0,1,1] neg_lo:[1,0,0] neg_hi:[1,0,0]
	s_waitcnt vmcnt(24) lgkmcnt(2)
	v_pk_fma_f32 v[8:9], v[6:7], v[56:57], v[8:9] op_sel_hi:[0,1,1] neg_lo:[1,0,0] neg_hi:[1,0,0]
	;; [unrolled: 2-line block ×3, first 2 shown]
	ds_read2_b32 v[54:55], v21 offset0:21 offset1:22
	ds_read2_b32 v[56:57], v21 offset0:23 offset1:24
	;; [unrolled: 1-line block ×3, first 2 shown]
	s_waitcnt vmcnt(20) lgkmcnt(3)
	v_pk_fma_f32 v[30:31], v[6:7], v[58:59], v[30:31] op_sel_hi:[0,1,1] neg_lo:[1,0,0] neg_hi:[1,0,0]
	ds_read2_b32 v[58:59], v21 offset0:27 offset1:28
	s_waitcnt vmcnt(18) lgkmcnt(3)
	v_pk_fma_f32 v[24:25], v[6:7], v[54:55], v[24:25] op_sel_hi:[0,1,1] neg_lo:[1,0,0] neg_hi:[1,0,0]
	ds_read2_b32 v[54:55], v21 offset0:29 offset1:30
	s_waitcnt vmcnt(16) lgkmcnt(3)
	v_pk_fma_f32 v[16:17], v[6:7], v[56:57], v[16:17] op_sel_hi:[0,1,1] neg_lo:[1,0,0] neg_hi:[1,0,0]
	s_waitcnt vmcnt(14) lgkmcnt(2)
	v_pk_fma_f32 v[42:43], v[6:7], v[60:61], v[42:43] op_sel_hi:[0,1,1] neg_lo:[1,0,0] neg_hi:[1,0,0]
	;; [unrolled: 2-line block ×3, first 2 shown]
	ds_read2_b32 v[56:57], v21 offset0:31 offset1:32
	ds_read2_b32 v[58:59], v21 offset0:33 offset1:34
	;; [unrolled: 1-line block ×3, first 2 shown]
	s_waitcnt vmcnt(10) lgkmcnt(3)
	v_pk_fma_f32 v[32:33], v[6:7], v[54:55], v[32:33] op_sel_hi:[0,1,1] neg_lo:[1,0,0] neg_hi:[1,0,0]
	ds_read2_b32 v[54:55], v21 offset0:37 offset1:38
	ds_read2_b32 v[62:63], v21 offset0:39 offset1:40
	s_waitcnt vmcnt(8) lgkmcnt(4)
	v_pk_fma_f32 v[26:27], v[6:7], v[56:57], v[26:27] op_sel_hi:[0,1,1] neg_lo:[1,0,0] neg_hi:[1,0,0]
	s_waitcnt vmcnt(6) lgkmcnt(3)
	v_pk_fma_f32 v[46:47], v[6:7], v[58:59], v[46:47] op_sel_hi:[0,1,1] neg_lo:[1,0,0] neg_hi:[1,0,0]
	;; [unrolled: 2-line block ×5, first 2 shown]
.LBB80_97:
	s_or_b64 exec, exec, s[0:1]
	v_lshl_add_u32 v48, v51, 2, v21
	s_barrier
	s_waitcnt vmcnt(34)
	ds_write_b32 v48, v7
	s_waitcnt lgkmcnt(0)
	s_barrier
	ds_read_b32 v53, v21 offset:24
	s_cmp_lt_i32 s22, 8
	v_mov_b32_e32 v48, 6
	s_cbranch_scc1 .LBB80_100
; %bb.98:
	v_add3_u32 v54, v50, 0, 28
	v_mov_b32_e32 v48, 6
	s_mov_b32 s0, 7
.LBB80_99:                              ; =>This Inner Loop Header: Depth=1
	ds_read_b32 v55, v54
	v_mov_b32_e32 v56, s0
	s_add_i32 s0, s0, 1
	v_add_u32_e32 v54, 4, v54
	s_cmp_lg_u32 s22, s0
	s_waitcnt lgkmcnt(0)
	v_cmp_lt_f32_e64 vcc, |v53|, |v55|
	s_nop 1
	v_cndmask_b32_e32 v53, v53, v55, vcc
	v_cndmask_b32_e32 v48, v48, v56, vcc
	s_cbranch_scc1 .LBB80_99
.LBB80_100:
	s_waitcnt lgkmcnt(0)
	v_cmp_eq_f32_e32 vcc, 0, v53
	s_and_saveexec_b64 s[0:1], vcc
	s_xor_b64 s[0:1], exec, s[0:1]
; %bb.101:
	v_cmp_ne_u32_e32 vcc, 0, v52
	s_nop 1
	v_cndmask_b32_e32 v52, 7, v52, vcc
; %bb.102:
	s_andn2_saveexec_b64 s[0:1], s[0:1]
	s_cbranch_execz .LBB80_104
; %bb.103:
	v_div_scale_f32 v54, s[2:3], v53, v53, 1.0
	v_rcp_f32_e32 v55, v54
	v_div_scale_f32 v56, vcc, 1.0, v53, 1.0
	v_fma_f32 v57, -v54, v55, 1.0
	v_fmac_f32_e32 v55, v57, v55
	v_mul_f32_e32 v57, v56, v55
	v_fma_f32 v58, -v54, v57, v56
	v_fmac_f32_e32 v57, v58, v55
	v_fma_f32 v54, -v54, v57, v56
	v_div_fmas_f32 v54, v54, v55, v57
	v_div_fixup_f32 v53, v54, v53, 1.0
.LBB80_104:
	s_or_b64 exec, exec, s[0:1]
	v_cmp_ne_u32_e32 vcc, v51, v48
	s_and_saveexec_b64 s[0:1], vcc
	s_xor_b64 s[0:1], exec, s[0:1]
	s_cbranch_execz .LBB80_110
; %bb.105:
	v_cmp_eq_u32_e32 vcc, 6, v51
	s_and_saveexec_b64 s[2:3], vcc
	s_cbranch_execz .LBB80_109
; %bb.106:
	v_cmp_ne_u32_e32 vcc, 6, v48
	s_xor_b64 s[18:19], s[16:17], -1
	s_and_b64 s[20:21], s[18:19], vcc
	s_and_saveexec_b64 s[18:19], s[20:21]
	s_cbranch_execz .LBB80_108
; %bb.107:
	v_ashrrev_i32_e32 v49, 31, v48
	v_lshl_add_u64 v[54:55], v[48:49], 2, v[22:23]
	global_load_dword v49, v[54:55], off
	global_load_dword v51, v[22:23], off offset:24
	s_waitcnt vmcnt(1)
	global_store_dword v[22:23], v49, off offset:24
	s_waitcnt vmcnt(1)
	global_store_dword v[54:55], v51, off
.LBB80_108:
	s_or_b64 exec, exec, s[18:19]
	v_mov_b32_e32 v49, v48
	v_mov_b32_e32 v51, v48
.LBB80_109:
	s_or_b64 exec, exec, s[2:3]
.LBB80_110:
	s_andn2_saveexec_b64 s[0:1], s[0:1]
	s_cbranch_execz .LBB80_112
; %bb.111:
	v_mov_b32_e32 v51, 6
	s_waitcnt vmcnt(32)
	ds_write2_b32 v21, v0, v1 offset0:7 offset1:8
	s_waitcnt vmcnt(30)
	ds_write2_b32 v21, v28, v29 offset0:9 offset1:10
	;; [unrolled: 2-line block ×17, first 2 shown]
.LBB80_112:
	s_or_b64 exec, exec, s[0:1]
	v_cmp_lt_i32_e32 vcc, 6, v51
	s_waitcnt lgkmcnt(0)
	s_barrier
	s_and_saveexec_b64 s[0:1], vcc
	s_cbranch_execz .LBB80_114
; %bb.113:
	ds_read2_b32 v[54:55], v21 offset0:7 offset1:8
	ds_read2_b32 v[56:57], v21 offset0:9 offset1:10
	;; [unrolled: 1-line block ×3, first 2 shown]
	v_mul_f32_e32 v48, v53, v7
	ds_read2_b32 v[60:61], v21 offset0:13 offset1:14
	s_waitcnt vmcnt(32) lgkmcnt(3)
	v_pk_fma_f32 v[0:1], v[48:49], v[54:55], v[0:1] op_sel_hi:[0,1,1] neg_lo:[1,0,0] neg_hi:[1,0,0]
	s_waitcnt vmcnt(30) lgkmcnt(2)
	v_pk_fma_f32 v[28:29], v[48:49], v[56:57], v[28:29] op_sel_hi:[0,1,1] neg_lo:[1,0,0] neg_hi:[1,0,0]
	s_waitcnt vmcnt(28) lgkmcnt(1)
	v_pk_fma_f32 v[18:19], v[48:49], v[58:59], v[18:19] op_sel_hi:[0,1,1] neg_lo:[1,0,0] neg_hi:[1,0,0]
	ds_read2_b32 v[54:55], v21 offset0:15 offset1:16
	ds_read2_b32 v[56:57], v21 offset0:17 offset1:18
	;; [unrolled: 1-line block ×3, first 2 shown]
	s_waitcnt vmcnt(26) lgkmcnt(3)
	v_pk_fma_f32 v[12:13], v[48:49], v[60:61], v[12:13] op_sel_hi:[0,1,1] neg_lo:[1,0,0] neg_hi:[1,0,0]
	ds_read2_b32 v[60:61], v21 offset0:21 offset1:22
	s_waitcnt vmcnt(24) lgkmcnt(3)
	v_pk_fma_f32 v[8:9], v[48:49], v[54:55], v[8:9] op_sel_hi:[0,1,1] neg_lo:[1,0,0] neg_hi:[1,0,0]
	s_waitcnt vmcnt(22) lgkmcnt(2)
	v_pk_fma_f32 v[34:35], v[48:49], v[56:57], v[34:35] op_sel_hi:[0,1,1] neg_lo:[1,0,0] neg_hi:[1,0,0]
	;; [unrolled: 2-line block ×3, first 2 shown]
	ds_read2_b32 v[54:55], v21 offset0:23 offset1:24
	ds_read2_b32 v[56:57], v21 offset0:25 offset1:26
	;; [unrolled: 1-line block ×4, first 2 shown]
	s_waitcnt vmcnt(18) lgkmcnt(4)
	v_pk_fma_f32 v[24:25], v[48:49], v[60:61], v[24:25] op_sel_hi:[0,1,1] neg_lo:[1,0,0] neg_hi:[1,0,0]
	s_waitcnt vmcnt(16) lgkmcnt(3)
	v_pk_fma_f32 v[16:17], v[48:49], v[54:55], v[16:17] op_sel_hi:[0,1,1] neg_lo:[1,0,0] neg_hi:[1,0,0]
	;; [unrolled: 2-line block ×5, first 2 shown]
	ds_read2_b32 v[54:55], v21 offset0:31 offset1:32
	ds_read2_b32 v[56:57], v21 offset0:33 offset1:34
	;; [unrolled: 1-line block ×5, first 2 shown]
	s_waitcnt vmcnt(8) lgkmcnt(4)
	v_pk_fma_f32 v[26:27], v[48:49], v[54:55], v[26:27] op_sel_hi:[0,1,1] neg_lo:[1,0,0] neg_hi:[1,0,0]
	s_waitcnt vmcnt(6) lgkmcnt(3)
	v_pk_fma_f32 v[46:47], v[48:49], v[56:57], v[46:47] op_sel_hi:[0,1,1] neg_lo:[1,0,0] neg_hi:[1,0,0]
	;; [unrolled: 2-line block ×5, first 2 shown]
	v_mov_b32_e32 v7, v48
.LBB80_114:
	s_or_b64 exec, exec, s[0:1]
	v_lshl_add_u32 v48, v51, 2, v21
	s_barrier
	s_waitcnt vmcnt(33)
	ds_write_b32 v48, v0
	s_waitcnt lgkmcnt(0)
	s_barrier
	ds_read_b32 v53, v21 offset:28
	s_cmp_lt_i32 s22, 9
	v_mov_b32_e32 v48, 7
	s_cbranch_scc1 .LBB80_117
; %bb.115:
	v_add3_u32 v54, v50, 0, 32
	v_mov_b32_e32 v48, 7
	s_mov_b32 s0, 8
.LBB80_116:                             ; =>This Inner Loop Header: Depth=1
	ds_read_b32 v55, v54
	v_mov_b32_e32 v56, s0
	s_add_i32 s0, s0, 1
	v_add_u32_e32 v54, 4, v54
	s_cmp_lg_u32 s22, s0
	s_waitcnt lgkmcnt(0)
	v_cmp_lt_f32_e64 vcc, |v53|, |v55|
	s_nop 1
	v_cndmask_b32_e32 v53, v53, v55, vcc
	v_cndmask_b32_e32 v48, v48, v56, vcc
	s_cbranch_scc1 .LBB80_116
.LBB80_117:
	s_waitcnt lgkmcnt(0)
	v_cmp_eq_f32_e32 vcc, 0, v53
	s_and_saveexec_b64 s[0:1], vcc
	s_xor_b64 s[0:1], exec, s[0:1]
; %bb.118:
	v_cmp_ne_u32_e32 vcc, 0, v52
	s_nop 1
	v_cndmask_b32_e32 v52, 8, v52, vcc
; %bb.119:
	s_andn2_saveexec_b64 s[0:1], s[0:1]
	s_cbranch_execz .LBB80_121
; %bb.120:
	v_div_scale_f32 v54, s[2:3], v53, v53, 1.0
	v_rcp_f32_e32 v55, v54
	v_div_scale_f32 v56, vcc, 1.0, v53, 1.0
	v_fma_f32 v57, -v54, v55, 1.0
	v_fmac_f32_e32 v55, v57, v55
	v_mul_f32_e32 v57, v56, v55
	v_fma_f32 v58, -v54, v57, v56
	v_fmac_f32_e32 v57, v58, v55
	v_fma_f32 v54, -v54, v57, v56
	v_div_fmas_f32 v54, v54, v55, v57
	v_div_fixup_f32 v53, v54, v53, 1.0
.LBB80_121:
	s_or_b64 exec, exec, s[0:1]
	v_cmp_ne_u32_e32 vcc, v51, v48
	s_and_saveexec_b64 s[0:1], vcc
	s_xor_b64 s[0:1], exec, s[0:1]
	s_cbranch_execz .LBB80_127
; %bb.122:
	v_cmp_eq_u32_e32 vcc, 7, v51
	s_and_saveexec_b64 s[2:3], vcc
	s_cbranch_execz .LBB80_126
; %bb.123:
	v_cmp_ne_u32_e32 vcc, 7, v48
	s_xor_b64 s[18:19], s[16:17], -1
	s_and_b64 s[20:21], s[18:19], vcc
	s_and_saveexec_b64 s[18:19], s[20:21]
	s_cbranch_execz .LBB80_125
; %bb.124:
	v_ashrrev_i32_e32 v49, 31, v48
	v_lshl_add_u64 v[54:55], v[48:49], 2, v[22:23]
	global_load_dword v49, v[54:55], off
	global_load_dword v51, v[22:23], off offset:28
	s_waitcnt vmcnt(1)
	global_store_dword v[22:23], v49, off offset:28
	s_waitcnt vmcnt(1)
	global_store_dword v[54:55], v51, off
.LBB80_125:
	s_or_b64 exec, exec, s[18:19]
	v_mov_b32_e32 v49, v48
	v_mov_b32_e32 v51, v48
.LBB80_126:
	s_or_b64 exec, exec, s[2:3]
.LBB80_127:
	s_andn2_saveexec_b64 s[0:1], s[0:1]
	s_cbranch_execz .LBB80_129
; %bb.128:
	s_waitcnt vmcnt(30)
	v_pk_mov_b32 v[54:55], v[0:1], v[28:29] op_sel:[1,0]
	ds_write2_b32 v21, v54, v55 offset0:8 offset1:9
	s_waitcnt vmcnt(28)
	v_pk_mov_b32 v[54:55], v[28:29], v[18:19] op_sel:[1,0]
	ds_write2_b32 v21, v54, v55 offset0:10 offset1:11
	;; [unrolled: 3-line block ×15, first 2 shown]
	s_waitcnt vmcnt(0)
	v_pk_mov_b32 v[54:55], v[40:41], v[38:39] op_sel:[1,0]
	v_mov_b32_e32 v51, 7
	ds_write2_b32 v21, v54, v55 offset0:38 offset1:39
	ds_write_b32 v21, v39 offset:160
.LBB80_129:
	s_or_b64 exec, exec, s[0:1]
	v_cmp_lt_i32_e32 vcc, 7, v51
	s_waitcnt lgkmcnt(0)
	s_barrier
	s_and_saveexec_b64 s[0:1], vcc
	s_cbranch_execz .LBB80_131
; %bb.130:
	ds_read_b32 v48, v21 offset:32
	ds_read2_b32 v[54:55], v21 offset0:9 offset1:10
	ds_read2_b32 v[56:57], v21 offset0:11 offset1:12
	v_mul_f32_e32 v0, v53, v0
	ds_read2_b32 v[58:59], v21 offset0:13 offset1:14
	s_waitcnt vmcnt(32) lgkmcnt(3)
	v_fma_f32 v1, -v0, v48, v1
	s_waitcnt vmcnt(30) lgkmcnt(2)
	v_pk_fma_f32 v[28:29], v[0:1], v[54:55], v[28:29] op_sel_hi:[0,1,1] neg_lo:[1,0,0] neg_hi:[1,0,0]
	s_waitcnt vmcnt(28) lgkmcnt(1)
	v_pk_fma_f32 v[18:19], v[0:1], v[56:57], v[18:19] op_sel_hi:[0,1,1] neg_lo:[1,0,0] neg_hi:[1,0,0]
	ds_read2_b32 v[54:55], v21 offset0:15 offset1:16
	ds_read2_b32 v[56:57], v21 offset0:17 offset1:18
	;; [unrolled: 1-line block ×3, first 2 shown]
	s_waitcnt vmcnt(26) lgkmcnt(3)
	v_pk_fma_f32 v[12:13], v[0:1], v[58:59], v[12:13] op_sel_hi:[0,1,1] neg_lo:[1,0,0] neg_hi:[1,0,0]
	ds_read2_b32 v[58:59], v21 offset0:21 offset1:22
	s_waitcnt vmcnt(24) lgkmcnt(3)
	v_pk_fma_f32 v[8:9], v[0:1], v[54:55], v[8:9] op_sel_hi:[0,1,1] neg_lo:[1,0,0] neg_hi:[1,0,0]
	s_waitcnt vmcnt(22) lgkmcnt(2)
	v_pk_fma_f32 v[34:35], v[0:1], v[56:57], v[34:35] op_sel_hi:[0,1,1] neg_lo:[1,0,0] neg_hi:[1,0,0]
	;; [unrolled: 2-line block ×3, first 2 shown]
	ds_read2_b32 v[54:55], v21 offset0:23 offset1:24
	ds_read2_b32 v[56:57], v21 offset0:25 offset1:26
	;; [unrolled: 1-line block ×4, first 2 shown]
	s_waitcnt vmcnt(18) lgkmcnt(4)
	v_pk_fma_f32 v[24:25], v[0:1], v[58:59], v[24:25] op_sel_hi:[0,1,1] neg_lo:[1,0,0] neg_hi:[1,0,0]
	s_waitcnt vmcnt(16) lgkmcnt(3)
	v_pk_fma_f32 v[16:17], v[0:1], v[54:55], v[16:17] op_sel_hi:[0,1,1] neg_lo:[1,0,0] neg_hi:[1,0,0]
	;; [unrolled: 2-line block ×5, first 2 shown]
	ds_read2_b32 v[54:55], v21 offset0:31 offset1:32
	ds_read2_b32 v[56:57], v21 offset0:33 offset1:34
	ds_read2_b32 v[58:59], v21 offset0:35 offset1:36
	ds_read2_b32 v[60:61], v21 offset0:37 offset1:38
	ds_read2_b32 v[62:63], v21 offset0:39 offset1:40
	s_waitcnt vmcnt(8) lgkmcnt(4)
	v_pk_fma_f32 v[26:27], v[0:1], v[54:55], v[26:27] op_sel_hi:[0,1,1] neg_lo:[1,0,0] neg_hi:[1,0,0]
	s_waitcnt vmcnt(6) lgkmcnt(3)
	v_pk_fma_f32 v[46:47], v[0:1], v[56:57], v[46:47] op_sel_hi:[0,1,1] neg_lo:[1,0,0] neg_hi:[1,0,0]
	;; [unrolled: 2-line block ×5, first 2 shown]
.LBB80_131:
	s_or_b64 exec, exec, s[0:1]
	v_lshl_add_u32 v48, v51, 2, v21
	s_barrier
	s_waitcnt vmcnt(32)
	ds_write_b32 v48, v1
	s_waitcnt lgkmcnt(0)
	s_barrier
	ds_read_b32 v53, v21 offset:32
	s_cmp_lt_i32 s22, 10
	v_mov_b32_e32 v48, 8
	s_cbranch_scc1 .LBB80_134
; %bb.132:
	v_add3_u32 v54, v50, 0, 36
	v_mov_b32_e32 v48, 8
	s_mov_b32 s0, 9
.LBB80_133:                             ; =>This Inner Loop Header: Depth=1
	ds_read_b32 v55, v54
	v_mov_b32_e32 v56, s0
	s_add_i32 s0, s0, 1
	v_add_u32_e32 v54, 4, v54
	s_cmp_lg_u32 s22, s0
	s_waitcnt lgkmcnt(0)
	v_cmp_lt_f32_e64 vcc, |v53|, |v55|
	s_nop 1
	v_cndmask_b32_e32 v53, v53, v55, vcc
	v_cndmask_b32_e32 v48, v48, v56, vcc
	s_cbranch_scc1 .LBB80_133
.LBB80_134:
	s_waitcnt lgkmcnt(0)
	v_cmp_eq_f32_e32 vcc, 0, v53
	s_and_saveexec_b64 s[0:1], vcc
	s_xor_b64 s[0:1], exec, s[0:1]
; %bb.135:
	v_cmp_ne_u32_e32 vcc, 0, v52
	s_nop 1
	v_cndmask_b32_e32 v52, 9, v52, vcc
; %bb.136:
	s_andn2_saveexec_b64 s[0:1], s[0:1]
	s_cbranch_execz .LBB80_138
; %bb.137:
	v_div_scale_f32 v54, s[2:3], v53, v53, 1.0
	v_rcp_f32_e32 v55, v54
	v_div_scale_f32 v56, vcc, 1.0, v53, 1.0
	v_fma_f32 v57, -v54, v55, 1.0
	v_fmac_f32_e32 v55, v57, v55
	v_mul_f32_e32 v57, v56, v55
	v_fma_f32 v58, -v54, v57, v56
	v_fmac_f32_e32 v57, v58, v55
	v_fma_f32 v54, -v54, v57, v56
	v_div_fmas_f32 v54, v54, v55, v57
	v_div_fixup_f32 v53, v54, v53, 1.0
.LBB80_138:
	s_or_b64 exec, exec, s[0:1]
	v_cmp_ne_u32_e32 vcc, v51, v48
	s_and_saveexec_b64 s[0:1], vcc
	s_xor_b64 s[0:1], exec, s[0:1]
	s_cbranch_execz .LBB80_144
; %bb.139:
	v_cmp_eq_u32_e32 vcc, 8, v51
	s_and_saveexec_b64 s[2:3], vcc
	s_cbranch_execz .LBB80_143
; %bb.140:
	v_cmp_ne_u32_e32 vcc, 8, v48
	s_xor_b64 s[18:19], s[16:17], -1
	s_and_b64 s[20:21], s[18:19], vcc
	s_and_saveexec_b64 s[18:19], s[20:21]
	s_cbranch_execz .LBB80_142
; %bb.141:
	v_ashrrev_i32_e32 v49, 31, v48
	v_lshl_add_u64 v[54:55], v[48:49], 2, v[22:23]
	global_load_dword v49, v[54:55], off
	global_load_dword v51, v[22:23], off offset:32
	s_waitcnt vmcnt(1)
	global_store_dword v[22:23], v49, off offset:32
	s_waitcnt vmcnt(1)
	global_store_dword v[54:55], v51, off
.LBB80_142:
	s_or_b64 exec, exec, s[18:19]
	v_mov_b32_e32 v49, v48
	v_mov_b32_e32 v51, v48
.LBB80_143:
	s_or_b64 exec, exec, s[2:3]
.LBB80_144:
	s_andn2_saveexec_b64 s[0:1], s[0:1]
	s_cbranch_execz .LBB80_146
; %bb.145:
	v_mov_b32_e32 v51, 8
	s_waitcnt vmcnt(30)
	ds_write2_b32 v21, v28, v29 offset0:9 offset1:10
	s_waitcnt vmcnt(28)
	ds_write2_b32 v21, v18, v19 offset0:11 offset1:12
	;; [unrolled: 2-line block ×16, first 2 shown]
.LBB80_146:
	s_or_b64 exec, exec, s[0:1]
	v_cmp_lt_i32_e32 vcc, 8, v51
	s_waitcnt lgkmcnt(0)
	s_barrier
	s_and_saveexec_b64 s[0:1], vcc
	s_cbranch_execz .LBB80_148
; %bb.147:
	ds_read2_b32 v[54:55], v21 offset0:9 offset1:10
	ds_read2_b32 v[56:57], v21 offset0:11 offset1:12
	;; [unrolled: 1-line block ×3, first 2 shown]
	v_mul_f32_e32 v48, v53, v1
	ds_read2_b32 v[60:61], v21 offset0:15 offset1:16
	s_waitcnt vmcnt(30) lgkmcnt(3)
	v_pk_fma_f32 v[28:29], v[48:49], v[54:55], v[28:29] op_sel_hi:[0,1,1] neg_lo:[1,0,0] neg_hi:[1,0,0]
	s_waitcnt vmcnt(28) lgkmcnt(2)
	v_pk_fma_f32 v[18:19], v[48:49], v[56:57], v[18:19] op_sel_hi:[0,1,1] neg_lo:[1,0,0] neg_hi:[1,0,0]
	;; [unrolled: 2-line block ×3, first 2 shown]
	ds_read2_b32 v[54:55], v21 offset0:17 offset1:18
	ds_read2_b32 v[56:57], v21 offset0:19 offset1:20
	;; [unrolled: 1-line block ×3, first 2 shown]
	s_waitcnt vmcnt(24) lgkmcnt(3)
	v_pk_fma_f32 v[8:9], v[48:49], v[60:61], v[8:9] op_sel_hi:[0,1,1] neg_lo:[1,0,0] neg_hi:[1,0,0]
	ds_read2_b32 v[60:61], v21 offset0:23 offset1:24
	s_waitcnt vmcnt(22) lgkmcnt(3)
	v_pk_fma_f32 v[34:35], v[48:49], v[54:55], v[34:35] op_sel_hi:[0,1,1] neg_lo:[1,0,0] neg_hi:[1,0,0]
	s_waitcnt vmcnt(20) lgkmcnt(2)
	v_pk_fma_f32 v[30:31], v[48:49], v[56:57], v[30:31] op_sel_hi:[0,1,1] neg_lo:[1,0,0] neg_hi:[1,0,0]
	;; [unrolled: 2-line block ×3, first 2 shown]
	ds_read2_b32 v[54:55], v21 offset0:25 offset1:26
	ds_read2_b32 v[56:57], v21 offset0:27 offset1:28
	;; [unrolled: 1-line block ×3, first 2 shown]
	s_waitcnt vmcnt(16) lgkmcnt(3)
	v_pk_fma_f32 v[16:17], v[48:49], v[60:61], v[16:17] op_sel_hi:[0,1,1] neg_lo:[1,0,0] neg_hi:[1,0,0]
	ds_read2_b32 v[60:61], v21 offset0:31 offset1:32
	s_waitcnt vmcnt(14) lgkmcnt(3)
	v_pk_fma_f32 v[42:43], v[48:49], v[54:55], v[42:43] op_sel_hi:[0,1,1] neg_lo:[1,0,0] neg_hi:[1,0,0]
	s_waitcnt vmcnt(12) lgkmcnt(2)
	v_pk_fma_f32 v[36:37], v[48:49], v[56:57], v[36:37] op_sel_hi:[0,1,1] neg_lo:[1,0,0] neg_hi:[1,0,0]
	;; [unrolled: 2-line block ×3, first 2 shown]
	ds_read2_b32 v[54:55], v21 offset0:33 offset1:34
	ds_read2_b32 v[56:57], v21 offset0:35 offset1:36
	;; [unrolled: 1-line block ×4, first 2 shown]
	s_waitcnt vmcnt(8) lgkmcnt(4)
	v_pk_fma_f32 v[26:27], v[48:49], v[60:61], v[26:27] op_sel_hi:[0,1,1] neg_lo:[1,0,0] neg_hi:[1,0,0]
	s_waitcnt vmcnt(6) lgkmcnt(3)
	v_pk_fma_f32 v[46:47], v[48:49], v[54:55], v[46:47] op_sel_hi:[0,1,1] neg_lo:[1,0,0] neg_hi:[1,0,0]
	s_waitcnt vmcnt(4) lgkmcnt(2)
	v_pk_fma_f32 v[44:45], v[48:49], v[56:57], v[44:45] op_sel_hi:[0,1,1] neg_lo:[1,0,0] neg_hi:[1,0,0]
	s_waitcnt vmcnt(2) lgkmcnt(1)
	v_pk_fma_f32 v[40:41], v[48:49], v[58:59], v[40:41] op_sel_hi:[0,1,1] neg_lo:[1,0,0] neg_hi:[1,0,0]
	s_waitcnt vmcnt(0) lgkmcnt(0)
	v_pk_fma_f32 v[38:39], v[48:49], v[62:63], v[38:39] op_sel_hi:[0,1,1] neg_lo:[1,0,0] neg_hi:[1,0,0]
	v_mov_b32_e32 v1, v48
.LBB80_148:
	s_or_b64 exec, exec, s[0:1]
	v_lshl_add_u32 v48, v51, 2, v21
	s_barrier
	s_waitcnt vmcnt(31)
	ds_write_b32 v48, v28
	s_waitcnt lgkmcnt(0)
	s_barrier
	ds_read_b32 v53, v21 offset:36
	s_cmp_lt_i32 s22, 11
	v_mov_b32_e32 v48, 9
	s_cbranch_scc1 .LBB80_151
; %bb.149:
	v_add3_u32 v54, v50, 0, 40
	v_mov_b32_e32 v48, 9
	s_mov_b32 s0, 10
.LBB80_150:                             ; =>This Inner Loop Header: Depth=1
	ds_read_b32 v55, v54
	v_mov_b32_e32 v56, s0
	s_add_i32 s0, s0, 1
	v_add_u32_e32 v54, 4, v54
	s_cmp_lg_u32 s22, s0
	s_waitcnt lgkmcnt(0)
	v_cmp_lt_f32_e64 vcc, |v53|, |v55|
	s_nop 1
	v_cndmask_b32_e32 v53, v53, v55, vcc
	v_cndmask_b32_e32 v48, v48, v56, vcc
	s_cbranch_scc1 .LBB80_150
.LBB80_151:
	s_waitcnt lgkmcnt(0)
	v_cmp_eq_f32_e32 vcc, 0, v53
	s_and_saveexec_b64 s[0:1], vcc
	s_xor_b64 s[0:1], exec, s[0:1]
; %bb.152:
	v_cmp_ne_u32_e32 vcc, 0, v52
	s_nop 1
	v_cndmask_b32_e32 v52, 10, v52, vcc
; %bb.153:
	s_andn2_saveexec_b64 s[0:1], s[0:1]
	s_cbranch_execz .LBB80_155
; %bb.154:
	v_div_scale_f32 v54, s[2:3], v53, v53, 1.0
	v_rcp_f32_e32 v55, v54
	v_div_scale_f32 v56, vcc, 1.0, v53, 1.0
	v_fma_f32 v57, -v54, v55, 1.0
	v_fmac_f32_e32 v55, v57, v55
	v_mul_f32_e32 v57, v56, v55
	v_fma_f32 v58, -v54, v57, v56
	v_fmac_f32_e32 v57, v58, v55
	v_fma_f32 v54, -v54, v57, v56
	v_div_fmas_f32 v54, v54, v55, v57
	v_div_fixup_f32 v53, v54, v53, 1.0
.LBB80_155:
	s_or_b64 exec, exec, s[0:1]
	v_cmp_ne_u32_e32 vcc, v51, v48
	s_and_saveexec_b64 s[0:1], vcc
	s_xor_b64 s[0:1], exec, s[0:1]
	s_cbranch_execz .LBB80_161
; %bb.156:
	v_cmp_eq_u32_e32 vcc, 9, v51
	s_and_saveexec_b64 s[2:3], vcc
	s_cbranch_execz .LBB80_160
; %bb.157:
	v_cmp_ne_u32_e32 vcc, 9, v48
	s_xor_b64 s[18:19], s[16:17], -1
	s_and_b64 s[20:21], s[18:19], vcc
	s_and_saveexec_b64 s[18:19], s[20:21]
	s_cbranch_execz .LBB80_159
; %bb.158:
	v_ashrrev_i32_e32 v49, 31, v48
	v_lshl_add_u64 v[54:55], v[48:49], 2, v[22:23]
	global_load_dword v49, v[54:55], off
	global_load_dword v51, v[22:23], off offset:36
	s_waitcnt vmcnt(1)
	global_store_dword v[22:23], v49, off offset:36
	s_waitcnt vmcnt(1)
	global_store_dword v[54:55], v51, off
.LBB80_159:
	s_or_b64 exec, exec, s[18:19]
	v_mov_b32_e32 v49, v48
	v_mov_b32_e32 v51, v48
.LBB80_160:
	s_or_b64 exec, exec, s[2:3]
.LBB80_161:
	s_andn2_saveexec_b64 s[0:1], s[0:1]
	s_cbranch_execz .LBB80_163
; %bb.162:
	s_waitcnt vmcnt(28)
	v_pk_mov_b32 v[54:55], v[28:29], v[18:19] op_sel:[1,0]
	ds_write2_b32 v21, v54, v55 offset0:10 offset1:11
	s_waitcnt vmcnt(26)
	v_pk_mov_b32 v[54:55], v[18:19], v[12:13] op_sel:[1,0]
	ds_write2_b32 v21, v54, v55 offset0:12 offset1:13
	s_waitcnt vmcnt(24)
	v_pk_mov_b32 v[54:55], v[12:13], v[8:9] op_sel:[1,0]
	ds_write2_b32 v21, v54, v55 offset0:14 offset1:15
	s_waitcnt vmcnt(22)
	v_pk_mov_b32 v[54:55], v[8:9], v[34:35] op_sel:[1,0]
	ds_write2_b32 v21, v54, v55 offset0:16 offset1:17
	s_waitcnt vmcnt(20)
	v_pk_mov_b32 v[54:55], v[34:35], v[30:31] op_sel:[1,0]
	ds_write2_b32 v21, v54, v55 offset0:18 offset1:19
	s_waitcnt vmcnt(18)
	v_pk_mov_b32 v[54:55], v[30:31], v[24:25] op_sel:[1,0]
	ds_write2_b32 v21, v54, v55 offset0:20 offset1:21
	s_waitcnt vmcnt(16)
	v_pk_mov_b32 v[54:55], v[24:25], v[16:17] op_sel:[1,0]
	ds_write2_b32 v21, v54, v55 offset0:22 offset1:23
	s_waitcnt vmcnt(14)
	v_pk_mov_b32 v[54:55], v[16:17], v[42:43] op_sel:[1,0]
	ds_write2_b32 v21, v54, v55 offset0:24 offset1:25
	s_waitcnt vmcnt(12)
	v_pk_mov_b32 v[54:55], v[42:43], v[36:37] op_sel:[1,0]
	ds_write2_b32 v21, v54, v55 offset0:26 offset1:27
	s_waitcnt vmcnt(10)
	v_pk_mov_b32 v[54:55], v[36:37], v[32:33] op_sel:[1,0]
	ds_write2_b32 v21, v54, v55 offset0:28 offset1:29
	s_waitcnt vmcnt(8)
	v_pk_mov_b32 v[54:55], v[32:33], v[26:27] op_sel:[1,0]
	ds_write2_b32 v21, v54, v55 offset0:30 offset1:31
	s_waitcnt vmcnt(6)
	v_pk_mov_b32 v[54:55], v[26:27], v[46:47] op_sel:[1,0]
	ds_write2_b32 v21, v54, v55 offset0:32 offset1:33
	s_waitcnt vmcnt(4)
	v_pk_mov_b32 v[54:55], v[46:47], v[44:45] op_sel:[1,0]
	ds_write2_b32 v21, v54, v55 offset0:34 offset1:35
	s_waitcnt vmcnt(2)
	v_pk_mov_b32 v[54:55], v[44:45], v[40:41] op_sel:[1,0]
	ds_write2_b32 v21, v54, v55 offset0:36 offset1:37
	s_waitcnt vmcnt(0)
	v_pk_mov_b32 v[54:55], v[40:41], v[38:39] op_sel:[1,0]
	v_mov_b32_e32 v51, 9
	ds_write2_b32 v21, v54, v55 offset0:38 offset1:39
	ds_write_b32 v21, v39 offset:160
.LBB80_163:
	s_or_b64 exec, exec, s[0:1]
	v_cmp_lt_i32_e32 vcc, 9, v51
	s_waitcnt lgkmcnt(0)
	s_barrier
	s_and_saveexec_b64 s[0:1], vcc
	s_cbranch_execz .LBB80_165
; %bb.164:
	ds_read_b32 v48, v21 offset:40
	ds_read2_b32 v[54:55], v21 offset0:11 offset1:12
	ds_read2_b32 v[56:57], v21 offset0:13 offset1:14
	v_mul_f32_e32 v28, v53, v28
	ds_read2_b32 v[58:59], v21 offset0:15 offset1:16
	s_waitcnt vmcnt(30) lgkmcnt(3)
	v_fma_f32 v29, -v28, v48, v29
	s_waitcnt vmcnt(28) lgkmcnt(2)
	v_pk_fma_f32 v[18:19], v[28:29], v[54:55], v[18:19] op_sel_hi:[0,1,1] neg_lo:[1,0,0] neg_hi:[1,0,0]
	s_waitcnt vmcnt(26) lgkmcnt(1)
	v_pk_fma_f32 v[12:13], v[28:29], v[56:57], v[12:13] op_sel_hi:[0,1,1] neg_lo:[1,0,0] neg_hi:[1,0,0]
	ds_read2_b32 v[54:55], v21 offset0:17 offset1:18
	ds_read2_b32 v[56:57], v21 offset0:19 offset1:20
	;; [unrolled: 1-line block ×3, first 2 shown]
	s_waitcnt vmcnt(24) lgkmcnt(3)
	v_pk_fma_f32 v[8:9], v[28:29], v[58:59], v[8:9] op_sel_hi:[0,1,1] neg_lo:[1,0,0] neg_hi:[1,0,0]
	ds_read2_b32 v[58:59], v21 offset0:23 offset1:24
	s_waitcnt vmcnt(22) lgkmcnt(3)
	v_pk_fma_f32 v[34:35], v[28:29], v[54:55], v[34:35] op_sel_hi:[0,1,1] neg_lo:[1,0,0] neg_hi:[1,0,0]
	s_waitcnt vmcnt(20) lgkmcnt(2)
	v_pk_fma_f32 v[30:31], v[28:29], v[56:57], v[30:31] op_sel_hi:[0,1,1] neg_lo:[1,0,0] neg_hi:[1,0,0]
	;; [unrolled: 2-line block ×3, first 2 shown]
	ds_read2_b32 v[54:55], v21 offset0:25 offset1:26
	ds_read2_b32 v[56:57], v21 offset0:27 offset1:28
	;; [unrolled: 1-line block ×3, first 2 shown]
	s_waitcnt vmcnt(16) lgkmcnt(3)
	v_pk_fma_f32 v[16:17], v[28:29], v[58:59], v[16:17] op_sel_hi:[0,1,1] neg_lo:[1,0,0] neg_hi:[1,0,0]
	ds_read2_b32 v[58:59], v21 offset0:31 offset1:32
	s_waitcnt vmcnt(14) lgkmcnt(3)
	v_pk_fma_f32 v[42:43], v[28:29], v[54:55], v[42:43] op_sel_hi:[0,1,1] neg_lo:[1,0,0] neg_hi:[1,0,0]
	s_waitcnt vmcnt(12) lgkmcnt(2)
	v_pk_fma_f32 v[36:37], v[28:29], v[56:57], v[36:37] op_sel_hi:[0,1,1] neg_lo:[1,0,0] neg_hi:[1,0,0]
	;; [unrolled: 2-line block ×3, first 2 shown]
	ds_read2_b32 v[54:55], v21 offset0:33 offset1:34
	ds_read2_b32 v[56:57], v21 offset0:35 offset1:36
	;; [unrolled: 1-line block ×4, first 2 shown]
	s_waitcnt vmcnt(8) lgkmcnt(4)
	v_pk_fma_f32 v[26:27], v[28:29], v[58:59], v[26:27] op_sel_hi:[0,1,1] neg_lo:[1,0,0] neg_hi:[1,0,0]
	s_waitcnt vmcnt(6) lgkmcnt(3)
	v_pk_fma_f32 v[46:47], v[28:29], v[54:55], v[46:47] op_sel_hi:[0,1,1] neg_lo:[1,0,0] neg_hi:[1,0,0]
	;; [unrolled: 2-line block ×5, first 2 shown]
.LBB80_165:
	s_or_b64 exec, exec, s[0:1]
	v_lshl_add_u32 v48, v51, 2, v21
	s_barrier
	s_waitcnt vmcnt(30)
	ds_write_b32 v48, v29
	s_waitcnt lgkmcnt(0)
	s_barrier
	ds_read_b32 v53, v21 offset:40
	s_cmp_lt_i32 s22, 12
	v_mov_b32_e32 v48, 10
	s_cbranch_scc1 .LBB80_168
; %bb.166:
	v_add3_u32 v54, v50, 0, 44
	v_mov_b32_e32 v48, 10
	s_mov_b32 s0, 11
.LBB80_167:                             ; =>This Inner Loop Header: Depth=1
	ds_read_b32 v55, v54
	v_mov_b32_e32 v56, s0
	s_add_i32 s0, s0, 1
	v_add_u32_e32 v54, 4, v54
	s_cmp_lg_u32 s22, s0
	s_waitcnt lgkmcnt(0)
	v_cmp_lt_f32_e64 vcc, |v53|, |v55|
	s_nop 1
	v_cndmask_b32_e32 v53, v53, v55, vcc
	v_cndmask_b32_e32 v48, v48, v56, vcc
	s_cbranch_scc1 .LBB80_167
.LBB80_168:
	s_waitcnt lgkmcnt(0)
	v_cmp_eq_f32_e32 vcc, 0, v53
	s_and_saveexec_b64 s[0:1], vcc
	s_xor_b64 s[0:1], exec, s[0:1]
; %bb.169:
	v_cmp_ne_u32_e32 vcc, 0, v52
	s_nop 1
	v_cndmask_b32_e32 v52, 11, v52, vcc
; %bb.170:
	s_andn2_saveexec_b64 s[0:1], s[0:1]
	s_cbranch_execz .LBB80_172
; %bb.171:
	v_div_scale_f32 v54, s[2:3], v53, v53, 1.0
	v_rcp_f32_e32 v55, v54
	v_div_scale_f32 v56, vcc, 1.0, v53, 1.0
	v_fma_f32 v57, -v54, v55, 1.0
	v_fmac_f32_e32 v55, v57, v55
	v_mul_f32_e32 v57, v56, v55
	v_fma_f32 v58, -v54, v57, v56
	v_fmac_f32_e32 v57, v58, v55
	v_fma_f32 v54, -v54, v57, v56
	v_div_fmas_f32 v54, v54, v55, v57
	v_div_fixup_f32 v53, v54, v53, 1.0
.LBB80_172:
	s_or_b64 exec, exec, s[0:1]
	v_cmp_ne_u32_e32 vcc, v51, v48
	s_and_saveexec_b64 s[0:1], vcc
	s_xor_b64 s[0:1], exec, s[0:1]
	s_cbranch_execz .LBB80_178
; %bb.173:
	v_cmp_eq_u32_e32 vcc, 10, v51
	s_and_saveexec_b64 s[2:3], vcc
	s_cbranch_execz .LBB80_177
; %bb.174:
	v_cmp_ne_u32_e32 vcc, 10, v48
	s_xor_b64 s[18:19], s[16:17], -1
	s_and_b64 s[20:21], s[18:19], vcc
	s_and_saveexec_b64 s[18:19], s[20:21]
	s_cbranch_execz .LBB80_176
; %bb.175:
	v_ashrrev_i32_e32 v49, 31, v48
	v_lshl_add_u64 v[54:55], v[48:49], 2, v[22:23]
	global_load_dword v49, v[54:55], off
	global_load_dword v51, v[22:23], off offset:40
	s_waitcnt vmcnt(1)
	global_store_dword v[22:23], v49, off offset:40
	s_waitcnt vmcnt(1)
	global_store_dword v[54:55], v51, off
.LBB80_176:
	s_or_b64 exec, exec, s[18:19]
	v_mov_b32_e32 v49, v48
	v_mov_b32_e32 v51, v48
.LBB80_177:
	s_or_b64 exec, exec, s[2:3]
.LBB80_178:
	s_andn2_saveexec_b64 s[0:1], s[0:1]
	s_cbranch_execz .LBB80_180
; %bb.179:
	v_mov_b32_e32 v51, 10
	s_waitcnt vmcnt(28)
	ds_write2_b32 v21, v18, v19 offset0:11 offset1:12
	s_waitcnt vmcnt(26)
	ds_write2_b32 v21, v12, v13 offset0:13 offset1:14
	;; [unrolled: 2-line block ×15, first 2 shown]
.LBB80_180:
	s_or_b64 exec, exec, s[0:1]
	v_cmp_lt_i32_e32 vcc, 10, v51
	s_waitcnt lgkmcnt(0)
	s_barrier
	s_and_saveexec_b64 s[0:1], vcc
	s_cbranch_execz .LBB80_182
; %bb.181:
	ds_read2_b32 v[54:55], v21 offset0:11 offset1:12
	ds_read2_b32 v[56:57], v21 offset0:13 offset1:14
	;; [unrolled: 1-line block ×3, first 2 shown]
	v_mul_f32_e32 v48, v53, v29
	ds_read2_b32 v[60:61], v21 offset0:17 offset1:18
	s_waitcnt vmcnt(28) lgkmcnt(3)
	v_pk_fma_f32 v[18:19], v[48:49], v[54:55], v[18:19] op_sel_hi:[0,1,1] neg_lo:[1,0,0] neg_hi:[1,0,0]
	s_waitcnt vmcnt(26) lgkmcnt(2)
	v_pk_fma_f32 v[12:13], v[48:49], v[56:57], v[12:13] op_sel_hi:[0,1,1] neg_lo:[1,0,0] neg_hi:[1,0,0]
	;; [unrolled: 2-line block ×3, first 2 shown]
	ds_read2_b32 v[54:55], v21 offset0:19 offset1:20
	ds_read2_b32 v[56:57], v21 offset0:21 offset1:22
	;; [unrolled: 1-line block ×3, first 2 shown]
	s_waitcnt vmcnt(22) lgkmcnt(3)
	v_pk_fma_f32 v[34:35], v[48:49], v[60:61], v[34:35] op_sel_hi:[0,1,1] neg_lo:[1,0,0] neg_hi:[1,0,0]
	ds_read2_b32 v[60:61], v21 offset0:25 offset1:26
	s_waitcnt vmcnt(20) lgkmcnt(3)
	v_pk_fma_f32 v[30:31], v[48:49], v[54:55], v[30:31] op_sel_hi:[0,1,1] neg_lo:[1,0,0] neg_hi:[1,0,0]
	s_waitcnt vmcnt(18) lgkmcnt(2)
	v_pk_fma_f32 v[24:25], v[48:49], v[56:57], v[24:25] op_sel_hi:[0,1,1] neg_lo:[1,0,0] neg_hi:[1,0,0]
	ds_read2_b32 v[54:55], v21 offset0:27 offset1:28
	ds_read2_b32 v[56:57], v21 offset0:29 offset1:30
	s_waitcnt vmcnt(16) lgkmcnt(3)
	v_pk_fma_f32 v[16:17], v[48:49], v[58:59], v[16:17] op_sel_hi:[0,1,1] neg_lo:[1,0,0] neg_hi:[1,0,0]
	s_waitcnt vmcnt(14) lgkmcnt(2)
	v_pk_fma_f32 v[42:43], v[48:49], v[60:61], v[42:43] op_sel_hi:[0,1,1] neg_lo:[1,0,0] neg_hi:[1,0,0]
	ds_read2_b32 v[58:59], v21 offset0:31 offset1:32
	;; [unrolled: 6-line block ×3, first 2 shown]
	ds_read2_b32 v[56:57], v21 offset0:37 offset1:38
	ds_read2_b32 v[62:63], v21 offset0:39 offset1:40
	s_waitcnt vmcnt(8) lgkmcnt(4)
	v_pk_fma_f32 v[26:27], v[48:49], v[58:59], v[26:27] op_sel_hi:[0,1,1] neg_lo:[1,0,0] neg_hi:[1,0,0]
	s_waitcnt vmcnt(6) lgkmcnt(3)
	v_pk_fma_f32 v[46:47], v[48:49], v[60:61], v[46:47] op_sel_hi:[0,1,1] neg_lo:[1,0,0] neg_hi:[1,0,0]
	;; [unrolled: 2-line block ×5, first 2 shown]
	v_mov_b32_e32 v29, v48
.LBB80_182:
	s_or_b64 exec, exec, s[0:1]
	v_lshl_add_u32 v48, v51, 2, v21
	s_barrier
	s_waitcnt vmcnt(29)
	ds_write_b32 v48, v18
	s_waitcnt lgkmcnt(0)
	s_barrier
	ds_read_b32 v53, v21 offset:44
	s_cmp_lt_i32 s22, 13
	v_mov_b32_e32 v48, 11
	s_cbranch_scc1 .LBB80_185
; %bb.183:
	v_add3_u32 v54, v50, 0, 48
	v_mov_b32_e32 v48, 11
	s_mov_b32 s0, 12
.LBB80_184:                             ; =>This Inner Loop Header: Depth=1
	ds_read_b32 v55, v54
	v_mov_b32_e32 v56, s0
	s_add_i32 s0, s0, 1
	v_add_u32_e32 v54, 4, v54
	s_cmp_lg_u32 s22, s0
	s_waitcnt lgkmcnt(0)
	v_cmp_lt_f32_e64 vcc, |v53|, |v55|
	s_nop 1
	v_cndmask_b32_e32 v53, v53, v55, vcc
	v_cndmask_b32_e32 v48, v48, v56, vcc
	s_cbranch_scc1 .LBB80_184
.LBB80_185:
	s_waitcnt lgkmcnt(0)
	v_cmp_eq_f32_e32 vcc, 0, v53
	s_and_saveexec_b64 s[0:1], vcc
	s_xor_b64 s[0:1], exec, s[0:1]
; %bb.186:
	v_cmp_ne_u32_e32 vcc, 0, v52
	s_nop 1
	v_cndmask_b32_e32 v52, 12, v52, vcc
; %bb.187:
	s_andn2_saveexec_b64 s[0:1], s[0:1]
	s_cbranch_execz .LBB80_189
; %bb.188:
	v_div_scale_f32 v54, s[2:3], v53, v53, 1.0
	v_rcp_f32_e32 v55, v54
	v_div_scale_f32 v56, vcc, 1.0, v53, 1.0
	v_fma_f32 v57, -v54, v55, 1.0
	v_fmac_f32_e32 v55, v57, v55
	v_mul_f32_e32 v57, v56, v55
	v_fma_f32 v58, -v54, v57, v56
	v_fmac_f32_e32 v57, v58, v55
	v_fma_f32 v54, -v54, v57, v56
	v_div_fmas_f32 v54, v54, v55, v57
	v_div_fixup_f32 v53, v54, v53, 1.0
.LBB80_189:
	s_or_b64 exec, exec, s[0:1]
	v_cmp_ne_u32_e32 vcc, v51, v48
	s_and_saveexec_b64 s[0:1], vcc
	s_xor_b64 s[0:1], exec, s[0:1]
	s_cbranch_execz .LBB80_195
; %bb.190:
	v_cmp_eq_u32_e32 vcc, 11, v51
	s_and_saveexec_b64 s[2:3], vcc
	s_cbranch_execz .LBB80_194
; %bb.191:
	v_cmp_ne_u32_e32 vcc, 11, v48
	s_xor_b64 s[18:19], s[16:17], -1
	s_and_b64 s[20:21], s[18:19], vcc
	s_and_saveexec_b64 s[18:19], s[20:21]
	s_cbranch_execz .LBB80_193
; %bb.192:
	v_ashrrev_i32_e32 v49, 31, v48
	v_lshl_add_u64 v[54:55], v[48:49], 2, v[22:23]
	global_load_dword v49, v[54:55], off
	global_load_dword v51, v[22:23], off offset:44
	s_waitcnt vmcnt(1)
	global_store_dword v[22:23], v49, off offset:44
	s_waitcnt vmcnt(1)
	global_store_dword v[54:55], v51, off
.LBB80_193:
	s_or_b64 exec, exec, s[18:19]
	v_mov_b32_e32 v49, v48
	v_mov_b32_e32 v51, v48
.LBB80_194:
	s_or_b64 exec, exec, s[2:3]
.LBB80_195:
	s_andn2_saveexec_b64 s[0:1], s[0:1]
	s_cbranch_execz .LBB80_197
; %bb.196:
	s_waitcnt vmcnt(26)
	v_pk_mov_b32 v[54:55], v[18:19], v[12:13] op_sel:[1,0]
	ds_write2_b32 v21, v54, v55 offset0:12 offset1:13
	s_waitcnt vmcnt(24)
	v_pk_mov_b32 v[54:55], v[12:13], v[8:9] op_sel:[1,0]
	ds_write2_b32 v21, v54, v55 offset0:14 offset1:15
	;; [unrolled: 3-line block ×13, first 2 shown]
	s_waitcnt vmcnt(0)
	v_pk_mov_b32 v[54:55], v[40:41], v[38:39] op_sel:[1,0]
	v_mov_b32_e32 v51, 11
	ds_write2_b32 v21, v54, v55 offset0:38 offset1:39
	ds_write_b32 v21, v39 offset:160
.LBB80_197:
	s_or_b64 exec, exec, s[0:1]
	v_cmp_lt_i32_e32 vcc, 11, v51
	s_waitcnt lgkmcnt(0)
	s_barrier
	s_and_saveexec_b64 s[0:1], vcc
	s_cbranch_execz .LBB80_199
; %bb.198:
	ds_read_b32 v48, v21 offset:48
	ds_read2_b32 v[54:55], v21 offset0:13 offset1:14
	ds_read2_b32 v[56:57], v21 offset0:15 offset1:16
	v_mul_f32_e32 v18, v53, v18
	ds_read2_b32 v[58:59], v21 offset0:17 offset1:18
	s_waitcnt vmcnt(28) lgkmcnt(3)
	v_fma_f32 v19, -v18, v48, v19
	s_waitcnt vmcnt(26) lgkmcnt(2)
	v_pk_fma_f32 v[12:13], v[18:19], v[54:55], v[12:13] op_sel_hi:[0,1,1] neg_lo:[1,0,0] neg_hi:[1,0,0]
	s_waitcnt vmcnt(24) lgkmcnt(1)
	v_pk_fma_f32 v[8:9], v[18:19], v[56:57], v[8:9] op_sel_hi:[0,1,1] neg_lo:[1,0,0] neg_hi:[1,0,0]
	ds_read2_b32 v[54:55], v21 offset0:19 offset1:20
	ds_read2_b32 v[56:57], v21 offset0:21 offset1:22
	;; [unrolled: 1-line block ×3, first 2 shown]
	s_waitcnt vmcnt(22) lgkmcnt(3)
	v_pk_fma_f32 v[34:35], v[18:19], v[58:59], v[34:35] op_sel_hi:[0,1,1] neg_lo:[1,0,0] neg_hi:[1,0,0]
	ds_read2_b32 v[58:59], v21 offset0:25 offset1:26
	s_waitcnt vmcnt(20) lgkmcnt(3)
	v_pk_fma_f32 v[30:31], v[18:19], v[54:55], v[30:31] op_sel_hi:[0,1,1] neg_lo:[1,0,0] neg_hi:[1,0,0]
	s_waitcnt vmcnt(18) lgkmcnt(2)
	v_pk_fma_f32 v[24:25], v[18:19], v[56:57], v[24:25] op_sel_hi:[0,1,1] neg_lo:[1,0,0] neg_hi:[1,0,0]
	ds_read2_b32 v[54:55], v21 offset0:27 offset1:28
	ds_read2_b32 v[56:57], v21 offset0:29 offset1:30
	s_waitcnt vmcnt(16) lgkmcnt(3)
	v_pk_fma_f32 v[16:17], v[18:19], v[60:61], v[16:17] op_sel_hi:[0,1,1] neg_lo:[1,0,0] neg_hi:[1,0,0]
	s_waitcnt vmcnt(14) lgkmcnt(2)
	v_pk_fma_f32 v[42:43], v[18:19], v[58:59], v[42:43] op_sel_hi:[0,1,1] neg_lo:[1,0,0] neg_hi:[1,0,0]
	ds_read2_b32 v[58:59], v21 offset0:31 offset1:32
	;; [unrolled: 6-line block ×3, first 2 shown]
	ds_read2_b32 v[56:57], v21 offset0:37 offset1:38
	ds_read2_b32 v[62:63], v21 offset0:39 offset1:40
	s_waitcnt vmcnt(8) lgkmcnt(4)
	v_pk_fma_f32 v[26:27], v[18:19], v[58:59], v[26:27] op_sel_hi:[0,1,1] neg_lo:[1,0,0] neg_hi:[1,0,0]
	s_waitcnt vmcnt(6) lgkmcnt(3)
	v_pk_fma_f32 v[46:47], v[18:19], v[60:61], v[46:47] op_sel_hi:[0,1,1] neg_lo:[1,0,0] neg_hi:[1,0,0]
	s_waitcnt vmcnt(4) lgkmcnt(2)
	v_pk_fma_f32 v[44:45], v[18:19], v[54:55], v[44:45] op_sel_hi:[0,1,1] neg_lo:[1,0,0] neg_hi:[1,0,0]
	s_waitcnt vmcnt(2) lgkmcnt(1)
	v_pk_fma_f32 v[40:41], v[18:19], v[56:57], v[40:41] op_sel_hi:[0,1,1] neg_lo:[1,0,0] neg_hi:[1,0,0]
	s_waitcnt vmcnt(0) lgkmcnt(0)
	v_pk_fma_f32 v[38:39], v[18:19], v[62:63], v[38:39] op_sel_hi:[0,1,1] neg_lo:[1,0,0] neg_hi:[1,0,0]
.LBB80_199:
	s_or_b64 exec, exec, s[0:1]
	v_lshl_add_u32 v48, v51, 2, v21
	s_barrier
	s_waitcnt vmcnt(28)
	ds_write_b32 v48, v19
	s_waitcnt lgkmcnt(0)
	s_barrier
	ds_read_b32 v53, v21 offset:48
	s_cmp_lt_i32 s22, 14
	v_mov_b32_e32 v48, 12
	s_cbranch_scc1 .LBB80_202
; %bb.200:
	v_add3_u32 v54, v50, 0, 52
	v_mov_b32_e32 v48, 12
	s_mov_b32 s0, 13
.LBB80_201:                             ; =>This Inner Loop Header: Depth=1
	ds_read_b32 v55, v54
	v_mov_b32_e32 v56, s0
	s_add_i32 s0, s0, 1
	v_add_u32_e32 v54, 4, v54
	s_cmp_lg_u32 s22, s0
	s_waitcnt lgkmcnt(0)
	v_cmp_lt_f32_e64 vcc, |v53|, |v55|
	s_nop 1
	v_cndmask_b32_e32 v53, v53, v55, vcc
	v_cndmask_b32_e32 v48, v48, v56, vcc
	s_cbranch_scc1 .LBB80_201
.LBB80_202:
	s_waitcnt lgkmcnt(0)
	v_cmp_eq_f32_e32 vcc, 0, v53
	s_and_saveexec_b64 s[0:1], vcc
	s_xor_b64 s[0:1], exec, s[0:1]
; %bb.203:
	v_cmp_ne_u32_e32 vcc, 0, v52
	s_nop 1
	v_cndmask_b32_e32 v52, 13, v52, vcc
; %bb.204:
	s_andn2_saveexec_b64 s[0:1], s[0:1]
	s_cbranch_execz .LBB80_206
; %bb.205:
	v_div_scale_f32 v54, s[2:3], v53, v53, 1.0
	v_rcp_f32_e32 v55, v54
	v_div_scale_f32 v56, vcc, 1.0, v53, 1.0
	v_fma_f32 v57, -v54, v55, 1.0
	v_fmac_f32_e32 v55, v57, v55
	v_mul_f32_e32 v57, v56, v55
	v_fma_f32 v58, -v54, v57, v56
	v_fmac_f32_e32 v57, v58, v55
	v_fma_f32 v54, -v54, v57, v56
	v_div_fmas_f32 v54, v54, v55, v57
	v_div_fixup_f32 v53, v54, v53, 1.0
.LBB80_206:
	s_or_b64 exec, exec, s[0:1]
	v_cmp_ne_u32_e32 vcc, v51, v48
	s_and_saveexec_b64 s[0:1], vcc
	s_xor_b64 s[0:1], exec, s[0:1]
	s_cbranch_execz .LBB80_212
; %bb.207:
	v_cmp_eq_u32_e32 vcc, 12, v51
	s_and_saveexec_b64 s[2:3], vcc
	s_cbranch_execz .LBB80_211
; %bb.208:
	v_cmp_ne_u32_e32 vcc, 12, v48
	s_xor_b64 s[18:19], s[16:17], -1
	s_and_b64 s[20:21], s[18:19], vcc
	s_and_saveexec_b64 s[18:19], s[20:21]
	s_cbranch_execz .LBB80_210
; %bb.209:
	v_ashrrev_i32_e32 v49, 31, v48
	v_lshl_add_u64 v[54:55], v[48:49], 2, v[22:23]
	global_load_dword v49, v[54:55], off
	global_load_dword v51, v[22:23], off offset:48
	s_waitcnt vmcnt(1)
	global_store_dword v[22:23], v49, off offset:48
	s_waitcnt vmcnt(1)
	global_store_dword v[54:55], v51, off
.LBB80_210:
	s_or_b64 exec, exec, s[18:19]
	v_mov_b32_e32 v49, v48
	v_mov_b32_e32 v51, v48
.LBB80_211:
	s_or_b64 exec, exec, s[2:3]
.LBB80_212:
	s_andn2_saveexec_b64 s[0:1], s[0:1]
	s_cbranch_execz .LBB80_214
; %bb.213:
	v_mov_b32_e32 v51, 12
	s_waitcnt vmcnt(26)
	ds_write2_b32 v21, v12, v13 offset0:13 offset1:14
	s_waitcnt vmcnt(24)
	ds_write2_b32 v21, v8, v9 offset0:15 offset1:16
	;; [unrolled: 2-line block ×14, first 2 shown]
.LBB80_214:
	s_or_b64 exec, exec, s[0:1]
	v_cmp_lt_i32_e32 vcc, 12, v51
	s_waitcnt lgkmcnt(0)
	s_barrier
	s_and_saveexec_b64 s[0:1], vcc
	s_cbranch_execz .LBB80_216
; %bb.215:
	ds_read2_b32 v[54:55], v21 offset0:13 offset1:14
	ds_read2_b32 v[56:57], v21 offset0:15 offset1:16
	;; [unrolled: 1-line block ×4, first 2 shown]
	v_mul_f32_e32 v48, v53, v19
	s_waitcnt vmcnt(26) lgkmcnt(3)
	v_pk_fma_f32 v[12:13], v[48:49], v[54:55], v[12:13] op_sel_hi:[0,1,1] neg_lo:[1,0,0] neg_hi:[1,0,0]
	s_waitcnt vmcnt(24) lgkmcnt(2)
	v_pk_fma_f32 v[8:9], v[48:49], v[56:57], v[8:9] op_sel_hi:[0,1,1] neg_lo:[1,0,0] neg_hi:[1,0,0]
	;; [unrolled: 2-line block ×3, first 2 shown]
	ds_read2_b32 v[54:55], v21 offset0:21 offset1:22
	ds_read2_b32 v[56:57], v21 offset0:23 offset1:24
	;; [unrolled: 1-line block ×3, first 2 shown]
	s_waitcnt vmcnt(20) lgkmcnt(3)
	v_pk_fma_f32 v[30:31], v[48:49], v[60:61], v[30:31] op_sel_hi:[0,1,1] neg_lo:[1,0,0] neg_hi:[1,0,0]
	ds_read2_b32 v[60:61], v21 offset0:27 offset1:28
	s_waitcnt vmcnt(18) lgkmcnt(3)
	v_pk_fma_f32 v[24:25], v[48:49], v[54:55], v[24:25] op_sel_hi:[0,1,1] neg_lo:[1,0,0] neg_hi:[1,0,0]
	ds_read2_b32 v[54:55], v21 offset0:29 offset1:30
	s_waitcnt vmcnt(16) lgkmcnt(3)
	v_pk_fma_f32 v[16:17], v[48:49], v[56:57], v[16:17] op_sel_hi:[0,1,1] neg_lo:[1,0,0] neg_hi:[1,0,0]
	s_waitcnt vmcnt(14) lgkmcnt(2)
	v_pk_fma_f32 v[42:43], v[48:49], v[58:59], v[42:43] op_sel_hi:[0,1,1] neg_lo:[1,0,0] neg_hi:[1,0,0]
	;; [unrolled: 2-line block ×3, first 2 shown]
	ds_read2_b32 v[56:57], v21 offset0:31 offset1:32
	ds_read2_b32 v[58:59], v21 offset0:33 offset1:34
	;; [unrolled: 1-line block ×3, first 2 shown]
	s_waitcnt vmcnt(10) lgkmcnt(3)
	v_pk_fma_f32 v[32:33], v[48:49], v[54:55], v[32:33] op_sel_hi:[0,1,1] neg_lo:[1,0,0] neg_hi:[1,0,0]
	ds_read2_b32 v[54:55], v21 offset0:37 offset1:38
	ds_read2_b32 v[62:63], v21 offset0:39 offset1:40
	s_waitcnt vmcnt(8) lgkmcnt(4)
	v_pk_fma_f32 v[26:27], v[48:49], v[56:57], v[26:27] op_sel_hi:[0,1,1] neg_lo:[1,0,0] neg_hi:[1,0,0]
	s_waitcnt vmcnt(6) lgkmcnt(3)
	v_pk_fma_f32 v[46:47], v[48:49], v[58:59], v[46:47] op_sel_hi:[0,1,1] neg_lo:[1,0,0] neg_hi:[1,0,0]
	;; [unrolled: 2-line block ×5, first 2 shown]
	v_mov_b32_e32 v19, v48
.LBB80_216:
	s_or_b64 exec, exec, s[0:1]
	v_lshl_add_u32 v48, v51, 2, v21
	s_barrier
	s_waitcnt vmcnt(27)
	ds_write_b32 v48, v12
	s_waitcnt lgkmcnt(0)
	s_barrier
	ds_read_b32 v53, v21 offset:52
	s_cmp_lt_i32 s22, 15
	v_mov_b32_e32 v48, 13
	s_cbranch_scc1 .LBB80_219
; %bb.217:
	v_add3_u32 v54, v50, 0, 56
	v_mov_b32_e32 v48, 13
	s_mov_b32 s0, 14
.LBB80_218:                             ; =>This Inner Loop Header: Depth=1
	ds_read_b32 v55, v54
	v_mov_b32_e32 v56, s0
	s_add_i32 s0, s0, 1
	v_add_u32_e32 v54, 4, v54
	s_cmp_lg_u32 s22, s0
	s_waitcnt lgkmcnt(0)
	v_cmp_lt_f32_e64 vcc, |v53|, |v55|
	s_nop 1
	v_cndmask_b32_e32 v53, v53, v55, vcc
	v_cndmask_b32_e32 v48, v48, v56, vcc
	s_cbranch_scc1 .LBB80_218
.LBB80_219:
	s_waitcnt lgkmcnt(0)
	v_cmp_eq_f32_e32 vcc, 0, v53
	s_and_saveexec_b64 s[0:1], vcc
	s_xor_b64 s[0:1], exec, s[0:1]
; %bb.220:
	v_cmp_ne_u32_e32 vcc, 0, v52
	s_nop 1
	v_cndmask_b32_e32 v52, 14, v52, vcc
; %bb.221:
	s_andn2_saveexec_b64 s[0:1], s[0:1]
	s_cbranch_execz .LBB80_223
; %bb.222:
	v_div_scale_f32 v54, s[2:3], v53, v53, 1.0
	v_rcp_f32_e32 v55, v54
	v_div_scale_f32 v56, vcc, 1.0, v53, 1.0
	v_fma_f32 v57, -v54, v55, 1.0
	v_fmac_f32_e32 v55, v57, v55
	v_mul_f32_e32 v57, v56, v55
	v_fma_f32 v58, -v54, v57, v56
	v_fmac_f32_e32 v57, v58, v55
	v_fma_f32 v54, -v54, v57, v56
	v_div_fmas_f32 v54, v54, v55, v57
	v_div_fixup_f32 v53, v54, v53, 1.0
.LBB80_223:
	s_or_b64 exec, exec, s[0:1]
	v_cmp_ne_u32_e32 vcc, v51, v48
	s_and_saveexec_b64 s[0:1], vcc
	s_xor_b64 s[0:1], exec, s[0:1]
	s_cbranch_execz .LBB80_229
; %bb.224:
	v_cmp_eq_u32_e32 vcc, 13, v51
	s_and_saveexec_b64 s[2:3], vcc
	s_cbranch_execz .LBB80_228
; %bb.225:
	v_cmp_ne_u32_e32 vcc, 13, v48
	s_xor_b64 s[18:19], s[16:17], -1
	s_and_b64 s[20:21], s[18:19], vcc
	s_and_saveexec_b64 s[18:19], s[20:21]
	s_cbranch_execz .LBB80_227
; %bb.226:
	v_ashrrev_i32_e32 v49, 31, v48
	v_lshl_add_u64 v[54:55], v[48:49], 2, v[22:23]
	global_load_dword v49, v[54:55], off
	global_load_dword v51, v[22:23], off offset:52
	s_waitcnt vmcnt(1)
	global_store_dword v[22:23], v49, off offset:52
	s_waitcnt vmcnt(1)
	global_store_dword v[54:55], v51, off
.LBB80_227:
	s_or_b64 exec, exec, s[18:19]
	v_mov_b32_e32 v49, v48
	v_mov_b32_e32 v51, v48
.LBB80_228:
	s_or_b64 exec, exec, s[2:3]
.LBB80_229:
	s_andn2_saveexec_b64 s[0:1], s[0:1]
	s_cbranch_execz .LBB80_231
; %bb.230:
	s_waitcnt vmcnt(24)
	v_pk_mov_b32 v[54:55], v[12:13], v[8:9] op_sel:[1,0]
	ds_write2_b32 v21, v54, v55 offset0:14 offset1:15
	s_waitcnt vmcnt(22)
	v_pk_mov_b32 v[54:55], v[8:9], v[34:35] op_sel:[1,0]
	ds_write2_b32 v21, v54, v55 offset0:16 offset1:17
	;; [unrolled: 3-line block ×12, first 2 shown]
	s_waitcnt vmcnt(0)
	v_pk_mov_b32 v[54:55], v[40:41], v[38:39] op_sel:[1,0]
	v_mov_b32_e32 v51, 13
	ds_write2_b32 v21, v54, v55 offset0:38 offset1:39
	ds_write_b32 v21, v39 offset:160
.LBB80_231:
	s_or_b64 exec, exec, s[0:1]
	v_cmp_lt_i32_e32 vcc, 13, v51
	s_waitcnt lgkmcnt(0)
	s_barrier
	s_and_saveexec_b64 s[0:1], vcc
	s_cbranch_execz .LBB80_233
; %bb.232:
	ds_read_b32 v48, v21 offset:56
	ds_read2_b32 v[54:55], v21 offset0:15 offset1:16
	ds_read2_b32 v[56:57], v21 offset0:17 offset1:18
	v_mul_f32_e32 v12, v53, v12
	ds_read2_b32 v[58:59], v21 offset0:19 offset1:20
	s_waitcnt vmcnt(26) lgkmcnt(3)
	v_fma_f32 v13, -v12, v48, v13
	s_waitcnt vmcnt(24) lgkmcnt(2)
	v_pk_fma_f32 v[8:9], v[12:13], v[54:55], v[8:9] op_sel_hi:[0,1,1] neg_lo:[1,0,0] neg_hi:[1,0,0]
	s_waitcnt vmcnt(22) lgkmcnt(1)
	v_pk_fma_f32 v[34:35], v[12:13], v[56:57], v[34:35] op_sel_hi:[0,1,1] neg_lo:[1,0,0] neg_hi:[1,0,0]
	ds_read2_b32 v[54:55], v21 offset0:21 offset1:22
	ds_read2_b32 v[56:57], v21 offset0:23 offset1:24
	;; [unrolled: 1-line block ×3, first 2 shown]
	s_waitcnt vmcnt(20) lgkmcnt(3)
	v_pk_fma_f32 v[30:31], v[12:13], v[58:59], v[30:31] op_sel_hi:[0,1,1] neg_lo:[1,0,0] neg_hi:[1,0,0]
	ds_read2_b32 v[58:59], v21 offset0:27 offset1:28
	s_waitcnt vmcnt(18) lgkmcnt(3)
	v_pk_fma_f32 v[24:25], v[12:13], v[54:55], v[24:25] op_sel_hi:[0,1,1] neg_lo:[1,0,0] neg_hi:[1,0,0]
	ds_read2_b32 v[54:55], v21 offset0:29 offset1:30
	s_waitcnt vmcnt(16) lgkmcnt(3)
	v_pk_fma_f32 v[16:17], v[12:13], v[56:57], v[16:17] op_sel_hi:[0,1,1] neg_lo:[1,0,0] neg_hi:[1,0,0]
	s_waitcnt vmcnt(14) lgkmcnt(2)
	v_pk_fma_f32 v[42:43], v[12:13], v[60:61], v[42:43] op_sel_hi:[0,1,1] neg_lo:[1,0,0] neg_hi:[1,0,0]
	;; [unrolled: 2-line block ×3, first 2 shown]
	ds_read2_b32 v[56:57], v21 offset0:31 offset1:32
	ds_read2_b32 v[58:59], v21 offset0:33 offset1:34
	;; [unrolled: 1-line block ×3, first 2 shown]
	s_waitcnt vmcnt(10) lgkmcnt(3)
	v_pk_fma_f32 v[32:33], v[12:13], v[54:55], v[32:33] op_sel_hi:[0,1,1] neg_lo:[1,0,0] neg_hi:[1,0,0]
	ds_read2_b32 v[54:55], v21 offset0:37 offset1:38
	ds_read2_b32 v[62:63], v21 offset0:39 offset1:40
	s_waitcnt vmcnt(8) lgkmcnt(4)
	v_pk_fma_f32 v[26:27], v[12:13], v[56:57], v[26:27] op_sel_hi:[0,1,1] neg_lo:[1,0,0] neg_hi:[1,0,0]
	s_waitcnt vmcnt(6) lgkmcnt(3)
	v_pk_fma_f32 v[46:47], v[12:13], v[58:59], v[46:47] op_sel_hi:[0,1,1] neg_lo:[1,0,0] neg_hi:[1,0,0]
	;; [unrolled: 2-line block ×5, first 2 shown]
.LBB80_233:
	s_or_b64 exec, exec, s[0:1]
	v_lshl_add_u32 v48, v51, 2, v21
	s_barrier
	s_waitcnt vmcnt(26)
	ds_write_b32 v48, v13
	s_waitcnt lgkmcnt(0)
	s_barrier
	ds_read_b32 v53, v21 offset:56
	s_cmp_lt_i32 s22, 16
	v_mov_b32_e32 v48, 14
	s_cbranch_scc1 .LBB80_236
; %bb.234:
	v_add3_u32 v54, v50, 0, 60
	v_mov_b32_e32 v48, 14
	s_mov_b32 s0, 15
.LBB80_235:                             ; =>This Inner Loop Header: Depth=1
	ds_read_b32 v55, v54
	v_mov_b32_e32 v56, s0
	s_add_i32 s0, s0, 1
	v_add_u32_e32 v54, 4, v54
	s_cmp_lg_u32 s22, s0
	s_waitcnt lgkmcnt(0)
	v_cmp_lt_f32_e64 vcc, |v53|, |v55|
	s_nop 1
	v_cndmask_b32_e32 v53, v53, v55, vcc
	v_cndmask_b32_e32 v48, v48, v56, vcc
	s_cbranch_scc1 .LBB80_235
.LBB80_236:
	s_waitcnt lgkmcnt(0)
	v_cmp_eq_f32_e32 vcc, 0, v53
	s_and_saveexec_b64 s[0:1], vcc
	s_xor_b64 s[0:1], exec, s[0:1]
; %bb.237:
	v_cmp_ne_u32_e32 vcc, 0, v52
	s_nop 1
	v_cndmask_b32_e32 v52, 15, v52, vcc
; %bb.238:
	s_andn2_saveexec_b64 s[0:1], s[0:1]
	s_cbranch_execz .LBB80_240
; %bb.239:
	v_div_scale_f32 v54, s[2:3], v53, v53, 1.0
	v_rcp_f32_e32 v55, v54
	v_div_scale_f32 v56, vcc, 1.0, v53, 1.0
	v_fma_f32 v57, -v54, v55, 1.0
	v_fmac_f32_e32 v55, v57, v55
	v_mul_f32_e32 v57, v56, v55
	v_fma_f32 v58, -v54, v57, v56
	v_fmac_f32_e32 v57, v58, v55
	v_fma_f32 v54, -v54, v57, v56
	v_div_fmas_f32 v54, v54, v55, v57
	v_div_fixup_f32 v53, v54, v53, 1.0
.LBB80_240:
	s_or_b64 exec, exec, s[0:1]
	v_cmp_ne_u32_e32 vcc, v51, v48
	s_and_saveexec_b64 s[0:1], vcc
	s_xor_b64 s[0:1], exec, s[0:1]
	s_cbranch_execz .LBB80_246
; %bb.241:
	v_cmp_eq_u32_e32 vcc, 14, v51
	s_and_saveexec_b64 s[2:3], vcc
	s_cbranch_execz .LBB80_245
; %bb.242:
	v_cmp_ne_u32_e32 vcc, 14, v48
	s_xor_b64 s[18:19], s[16:17], -1
	s_and_b64 s[20:21], s[18:19], vcc
	s_and_saveexec_b64 s[18:19], s[20:21]
	s_cbranch_execz .LBB80_244
; %bb.243:
	v_ashrrev_i32_e32 v49, 31, v48
	v_lshl_add_u64 v[54:55], v[48:49], 2, v[22:23]
	global_load_dword v49, v[54:55], off
	global_load_dword v51, v[22:23], off offset:56
	s_waitcnt vmcnt(1)
	global_store_dword v[22:23], v49, off offset:56
	s_waitcnt vmcnt(1)
	global_store_dword v[54:55], v51, off
.LBB80_244:
	s_or_b64 exec, exec, s[18:19]
	v_mov_b32_e32 v49, v48
	v_mov_b32_e32 v51, v48
.LBB80_245:
	s_or_b64 exec, exec, s[2:3]
.LBB80_246:
	s_andn2_saveexec_b64 s[0:1], s[0:1]
	s_cbranch_execz .LBB80_248
; %bb.247:
	v_mov_b32_e32 v51, 14
	s_waitcnt vmcnt(24)
	ds_write2_b32 v21, v8, v9 offset0:15 offset1:16
	s_waitcnt vmcnt(22)
	ds_write2_b32 v21, v34, v35 offset0:17 offset1:18
	;; [unrolled: 2-line block ×13, first 2 shown]
.LBB80_248:
	s_or_b64 exec, exec, s[0:1]
	v_cmp_lt_i32_e32 vcc, 14, v51
	s_waitcnt lgkmcnt(0)
	s_barrier
	s_and_saveexec_b64 s[0:1], vcc
	s_cbranch_execz .LBB80_250
; %bb.249:
	ds_read2_b32 v[54:55], v21 offset0:15 offset1:16
	ds_read2_b32 v[56:57], v21 offset0:17 offset1:18
	;; [unrolled: 1-line block ×3, first 2 shown]
	v_mul_f32_e32 v48, v53, v13
	ds_read2_b32 v[60:61], v21 offset0:21 offset1:22
	s_waitcnt vmcnt(24) lgkmcnt(3)
	v_pk_fma_f32 v[8:9], v[48:49], v[54:55], v[8:9] op_sel_hi:[0,1,1] neg_lo:[1,0,0] neg_hi:[1,0,0]
	s_waitcnt vmcnt(22) lgkmcnt(2)
	v_pk_fma_f32 v[34:35], v[48:49], v[56:57], v[34:35] op_sel_hi:[0,1,1] neg_lo:[1,0,0] neg_hi:[1,0,0]
	;; [unrolled: 2-line block ×3, first 2 shown]
	ds_read2_b32 v[54:55], v21 offset0:23 offset1:24
	ds_read2_b32 v[56:57], v21 offset0:25 offset1:26
	;; [unrolled: 1-line block ×4, first 2 shown]
	s_waitcnt vmcnt(18) lgkmcnt(4)
	v_pk_fma_f32 v[24:25], v[48:49], v[60:61], v[24:25] op_sel_hi:[0,1,1] neg_lo:[1,0,0] neg_hi:[1,0,0]
	s_waitcnt vmcnt(16) lgkmcnt(3)
	v_pk_fma_f32 v[16:17], v[48:49], v[54:55], v[16:17] op_sel_hi:[0,1,1] neg_lo:[1,0,0] neg_hi:[1,0,0]
	;; [unrolled: 2-line block ×5, first 2 shown]
	ds_read2_b32 v[54:55], v21 offset0:31 offset1:32
	ds_read2_b32 v[56:57], v21 offset0:33 offset1:34
	;; [unrolled: 1-line block ×5, first 2 shown]
	s_waitcnt vmcnt(8) lgkmcnt(4)
	v_pk_fma_f32 v[26:27], v[48:49], v[54:55], v[26:27] op_sel_hi:[0,1,1] neg_lo:[1,0,0] neg_hi:[1,0,0]
	s_waitcnt vmcnt(6) lgkmcnt(3)
	v_pk_fma_f32 v[46:47], v[48:49], v[56:57], v[46:47] op_sel_hi:[0,1,1] neg_lo:[1,0,0] neg_hi:[1,0,0]
	;; [unrolled: 2-line block ×5, first 2 shown]
	v_mov_b32_e32 v13, v48
.LBB80_250:
	s_or_b64 exec, exec, s[0:1]
	v_lshl_add_u32 v48, v51, 2, v21
	s_barrier
	s_waitcnt vmcnt(25)
	ds_write_b32 v48, v8
	s_waitcnt lgkmcnt(0)
	s_barrier
	ds_read_b32 v53, v21 offset:60
	s_cmp_lt_i32 s22, 17
	v_mov_b32_e32 v48, 15
	s_cbranch_scc1 .LBB80_253
; %bb.251:
	v_add3_u32 v50, v50, 0, 64
	v_mov_b32_e32 v48, 15
	s_mov_b32 s0, 16
.LBB80_252:                             ; =>This Inner Loop Header: Depth=1
	ds_read_b32 v54, v50
	v_mov_b32_e32 v55, s0
	s_add_i32 s0, s0, 1
	v_add_u32_e32 v50, 4, v50
	s_cmp_lg_u32 s22, s0
	s_waitcnt lgkmcnt(0)
	v_cmp_lt_f32_e64 vcc, |v53|, |v54|
	s_nop 1
	v_cndmask_b32_e32 v53, v53, v54, vcc
	v_cndmask_b32_e32 v48, v48, v55, vcc
	s_cbranch_scc1 .LBB80_252
.LBB80_253:
	s_waitcnt lgkmcnt(0)
	v_cmp_eq_f32_e32 vcc, 0, v53
	s_and_saveexec_b64 s[0:1], vcc
	s_xor_b64 s[0:1], exec, s[0:1]
; %bb.254:
	v_cmp_ne_u32_e32 vcc, 0, v52
	s_nop 1
	v_cndmask_b32_e32 v52, 16, v52, vcc
; %bb.255:
	s_andn2_saveexec_b64 s[0:1], s[0:1]
	s_cbranch_execz .LBB80_257
; %bb.256:
	v_div_scale_f32 v50, s[2:3], v53, v53, 1.0
	v_rcp_f32_e32 v54, v50
	v_div_scale_f32 v55, vcc, 1.0, v53, 1.0
	v_fma_f32 v56, -v50, v54, 1.0
	v_fmac_f32_e32 v54, v56, v54
	v_mul_f32_e32 v56, v55, v54
	v_fma_f32 v57, -v50, v56, v55
	v_fmac_f32_e32 v56, v57, v54
	v_fma_f32 v50, -v50, v56, v55
	v_div_fmas_f32 v50, v50, v54, v56
	v_div_fixup_f32 v53, v50, v53, 1.0
.LBB80_257:
	s_or_b64 exec, exec, s[0:1]
	v_cmp_ne_u32_e32 vcc, v51, v48
	s_and_saveexec_b64 s[0:1], vcc
	s_xor_b64 s[0:1], exec, s[0:1]
	s_cbranch_execz .LBB80_263
; %bb.258:
	v_cmp_eq_u32_e32 vcc, 15, v51
	s_and_saveexec_b64 s[2:3], vcc
	s_cbranch_execz .LBB80_262
; %bb.259:
	v_cmp_ne_u32_e32 vcc, 15, v48
	s_xor_b64 s[18:19], s[16:17], -1
	s_and_b64 s[20:21], s[18:19], vcc
	s_and_saveexec_b64 s[18:19], s[20:21]
	s_cbranch_execz .LBB80_261
; %bb.260:
	v_ashrrev_i32_e32 v49, 31, v48
	v_lshl_add_u64 v[50:51], v[48:49], 2, v[22:23]
	global_load_dword v49, v[50:51], off
	global_load_dword v54, v[22:23], off offset:60
	s_waitcnt vmcnt(1)
	global_store_dword v[22:23], v49, off offset:60
	s_waitcnt vmcnt(1)
	global_store_dword v[50:51], v54, off
.LBB80_261:
	s_or_b64 exec, exec, s[18:19]
	v_mov_b32_e32 v49, v48
	v_mov_b32_e32 v51, v48
.LBB80_262:
	s_or_b64 exec, exec, s[2:3]
.LBB80_263:
	s_andn2_saveexec_b64 s[0:1], s[0:1]
	s_cbranch_execz .LBB80_265
; %bb.264:
	s_waitcnt vmcnt(22)
	v_pk_mov_b32 v[50:51], v[8:9], v[34:35] op_sel:[1,0]
	ds_write2_b32 v21, v50, v51 offset0:16 offset1:17
	s_waitcnt vmcnt(20)
	v_pk_mov_b32 v[50:51], v[34:35], v[30:31] op_sel:[1,0]
	ds_write2_b32 v21, v50, v51 offset0:18 offset1:19
	;; [unrolled: 3-line block ×12, first 2 shown]
	ds_write_b32 v21, v39 offset:160
	v_mov_b32_e32 v51, 15
.LBB80_265:
	s_or_b64 exec, exec, s[0:1]
	v_cmp_lt_i32_e32 vcc, 15, v51
	s_waitcnt lgkmcnt(0)
	s_barrier
	s_and_saveexec_b64 s[0:1], vcc
	s_cbranch_execz .LBB80_267
; %bb.266:
	ds_read_b32 v48, v21 offset:64
	ds_read2_b32 v[54:55], v21 offset0:17 offset1:18
	ds_read2_b32 v[56:57], v21 offset0:19 offset1:20
	v_mul_f32_e32 v8, v53, v8
	ds_read2_b32 v[58:59], v21 offset0:21 offset1:22
	s_waitcnt vmcnt(24) lgkmcnt(3)
	v_fma_f32 v9, -v8, v48, v9
	s_waitcnt vmcnt(22) lgkmcnt(2)
	v_pk_fma_f32 v[34:35], v[8:9], v[54:55], v[34:35] op_sel_hi:[0,1,1] neg_lo:[1,0,0] neg_hi:[1,0,0]
	s_waitcnt vmcnt(20) lgkmcnt(1)
	v_pk_fma_f32 v[30:31], v[8:9], v[56:57], v[30:31] op_sel_hi:[0,1,1] neg_lo:[1,0,0] neg_hi:[1,0,0]
	ds_read2_b32 v[54:55], v21 offset0:23 offset1:24
	ds_read2_b32 v[56:57], v21 offset0:25 offset1:26
	;; [unrolled: 1-line block ×4, first 2 shown]
	s_waitcnt vmcnt(18) lgkmcnt(4)
	v_pk_fma_f32 v[24:25], v[8:9], v[58:59], v[24:25] op_sel_hi:[0,1,1] neg_lo:[1,0,0] neg_hi:[1,0,0]
	s_waitcnt vmcnt(16) lgkmcnt(3)
	v_pk_fma_f32 v[16:17], v[8:9], v[54:55], v[16:17] op_sel_hi:[0,1,1] neg_lo:[1,0,0] neg_hi:[1,0,0]
	;; [unrolled: 2-line block ×5, first 2 shown]
	ds_read2_b32 v[54:55], v21 offset0:31 offset1:32
	ds_read2_b32 v[56:57], v21 offset0:33 offset1:34
	;; [unrolled: 1-line block ×5, first 2 shown]
	s_waitcnt vmcnt(8) lgkmcnt(4)
	v_pk_fma_f32 v[26:27], v[8:9], v[54:55], v[26:27] op_sel_hi:[0,1,1] neg_lo:[1,0,0] neg_hi:[1,0,0]
	s_waitcnt vmcnt(6) lgkmcnt(3)
	v_pk_fma_f32 v[46:47], v[8:9], v[56:57], v[46:47] op_sel_hi:[0,1,1] neg_lo:[1,0,0] neg_hi:[1,0,0]
	;; [unrolled: 2-line block ×5, first 2 shown]
.LBB80_267:
	s_or_b64 exec, exec, s[0:1]
	v_lshl_add_u32 v48, v51, 2, v21
	s_barrier
	s_waitcnt vmcnt(24)
	ds_write_b32 v48, v9
	s_waitcnt lgkmcnt(0)
	s_barrier
	ds_read_b32 v50, v21 offset:64
	s_cmp_lt_i32 s22, 18
	v_mov_b32_e32 v48, 16
	s_cbranch_scc1 .LBB80_270
; %bb.268:
	v_add_u32_e32 v53, 0x44, v21
	v_mov_b32_e32 v48, 16
	s_mov_b32 s0, 17
.LBB80_269:                             ; =>This Inner Loop Header: Depth=1
	ds_read_b32 v54, v53
	v_mov_b32_e32 v55, s0
	s_add_i32 s0, s0, 1
	v_add_u32_e32 v53, 4, v53
	s_cmp_lg_u32 s22, s0
	s_waitcnt lgkmcnt(0)
	v_cmp_lt_f32_e64 vcc, |v50|, |v54|
	s_nop 1
	v_cndmask_b32_e32 v50, v50, v54, vcc
	v_cndmask_b32_e32 v48, v48, v55, vcc
	s_cbranch_scc1 .LBB80_269
.LBB80_270:
	s_waitcnt lgkmcnt(0)
	v_cmp_eq_f32_e32 vcc, 0, v50
	s_and_saveexec_b64 s[0:1], vcc
	s_xor_b64 s[0:1], exec, s[0:1]
; %bb.271:
	v_cmp_ne_u32_e32 vcc, 0, v52
	s_nop 1
	v_cndmask_b32_e32 v52, 17, v52, vcc
; %bb.272:
	s_andn2_saveexec_b64 s[0:1], s[0:1]
	s_cbranch_execz .LBB80_274
; %bb.273:
	v_div_scale_f32 v53, s[2:3], v50, v50, 1.0
	v_rcp_f32_e32 v54, v53
	v_div_scale_f32 v55, vcc, 1.0, v50, 1.0
	v_fma_f32 v56, -v53, v54, 1.0
	v_fmac_f32_e32 v54, v56, v54
	v_mul_f32_e32 v56, v55, v54
	v_fma_f32 v57, -v53, v56, v55
	v_fmac_f32_e32 v56, v57, v54
	v_fma_f32 v53, -v53, v56, v55
	v_div_fmas_f32 v53, v53, v54, v56
	v_div_fixup_f32 v50, v53, v50, 1.0
.LBB80_274:
	s_or_b64 exec, exec, s[0:1]
	v_cmp_ne_u32_e32 vcc, v51, v48
	s_and_saveexec_b64 s[0:1], vcc
	s_xor_b64 s[0:1], exec, s[0:1]
	s_cbranch_execz .LBB80_280
; %bb.275:
	v_cmp_eq_u32_e32 vcc, 16, v51
	s_and_saveexec_b64 s[2:3], vcc
	s_cbranch_execz .LBB80_279
; %bb.276:
	v_cmp_ne_u32_e32 vcc, 16, v48
	s_xor_b64 s[18:19], s[16:17], -1
	s_and_b64 s[20:21], s[18:19], vcc
	s_and_saveexec_b64 s[18:19], s[20:21]
	s_cbranch_execz .LBB80_278
; %bb.277:
	v_ashrrev_i32_e32 v49, 31, v48
	v_lshl_add_u64 v[54:55], v[48:49], 2, v[22:23]
	global_load_dword v49, v[54:55], off
	global_load_dword v51, v[22:23], off offset:64
	s_waitcnt vmcnt(1)
	global_store_dword v[22:23], v49, off offset:64
	s_waitcnt vmcnt(1)
	global_store_dword v[54:55], v51, off
.LBB80_278:
	s_or_b64 exec, exec, s[18:19]
	v_mov_b32_e32 v49, v48
	v_mov_b32_e32 v51, v48
.LBB80_279:
	s_or_b64 exec, exec, s[2:3]
.LBB80_280:
	s_andn2_saveexec_b64 s[0:1], s[0:1]
	s_cbranch_execz .LBB80_282
; %bb.281:
	v_mov_b32_e32 v51, 16
	s_waitcnt vmcnt(22)
	ds_write2_b32 v21, v34, v35 offset0:17 offset1:18
	s_waitcnt vmcnt(20)
	ds_write2_b32 v21, v30, v31 offset0:19 offset1:20
	;; [unrolled: 2-line block ×12, first 2 shown]
.LBB80_282:
	s_or_b64 exec, exec, s[0:1]
	v_cmp_lt_i32_e32 vcc, 16, v51
	s_waitcnt lgkmcnt(0)
	s_barrier
	s_and_saveexec_b64 s[0:1], vcc
	s_cbranch_execz .LBB80_284
; %bb.283:
	ds_read2_b32 v[54:55], v21 offset0:17 offset1:18
	ds_read2_b32 v[56:57], v21 offset0:19 offset1:20
	;; [unrolled: 1-line block ×3, first 2 shown]
	v_mul_f32_e32 v48, v50, v9
	ds_read2_b32 v[60:61], v21 offset0:23 offset1:24
	s_waitcnt vmcnt(22) lgkmcnt(3)
	v_pk_fma_f32 v[34:35], v[48:49], v[54:55], v[34:35] op_sel_hi:[0,1,1] neg_lo:[1,0,0] neg_hi:[1,0,0]
	s_waitcnt vmcnt(20) lgkmcnt(2)
	v_pk_fma_f32 v[30:31], v[48:49], v[56:57], v[30:31] op_sel_hi:[0,1,1] neg_lo:[1,0,0] neg_hi:[1,0,0]
	;; [unrolled: 2-line block ×3, first 2 shown]
	ds_read2_b32 v[54:55], v21 offset0:25 offset1:26
	ds_read2_b32 v[56:57], v21 offset0:27 offset1:28
	;; [unrolled: 1-line block ×3, first 2 shown]
	s_waitcnt vmcnt(16) lgkmcnt(3)
	v_pk_fma_f32 v[16:17], v[48:49], v[60:61], v[16:17] op_sel_hi:[0,1,1] neg_lo:[1,0,0] neg_hi:[1,0,0]
	ds_read2_b32 v[60:61], v21 offset0:31 offset1:32
	s_waitcnt vmcnt(14) lgkmcnt(3)
	v_pk_fma_f32 v[42:43], v[48:49], v[54:55], v[42:43] op_sel_hi:[0,1,1] neg_lo:[1,0,0] neg_hi:[1,0,0]
	s_waitcnt vmcnt(12) lgkmcnt(2)
	v_pk_fma_f32 v[36:37], v[48:49], v[56:57], v[36:37] op_sel_hi:[0,1,1] neg_lo:[1,0,0] neg_hi:[1,0,0]
	;; [unrolled: 2-line block ×3, first 2 shown]
	ds_read2_b32 v[54:55], v21 offset0:33 offset1:34
	ds_read2_b32 v[56:57], v21 offset0:35 offset1:36
	;; [unrolled: 1-line block ×4, first 2 shown]
	s_waitcnt vmcnt(8) lgkmcnt(4)
	v_pk_fma_f32 v[26:27], v[48:49], v[60:61], v[26:27] op_sel_hi:[0,1,1] neg_lo:[1,0,0] neg_hi:[1,0,0]
	s_waitcnt vmcnt(6) lgkmcnt(3)
	v_pk_fma_f32 v[46:47], v[48:49], v[54:55], v[46:47] op_sel_hi:[0,1,1] neg_lo:[1,0,0] neg_hi:[1,0,0]
	;; [unrolled: 2-line block ×5, first 2 shown]
	v_mov_b32_e32 v9, v48
.LBB80_284:
	s_or_b64 exec, exec, s[0:1]
	v_lshl_add_u32 v48, v51, 2, v21
	s_barrier
	s_waitcnt vmcnt(23)
	ds_write_b32 v48, v34
	s_waitcnt lgkmcnt(0)
	s_barrier
	ds_read_b32 v50, v21 offset:68
	s_cmp_lt_i32 s22, 19
	v_mov_b32_e32 v48, 17
	s_cbranch_scc1 .LBB80_287
; %bb.285:
	v_add_u32_e32 v53, 0x48, v21
	v_mov_b32_e32 v48, 17
	s_mov_b32 s0, 18
.LBB80_286:                             ; =>This Inner Loop Header: Depth=1
	ds_read_b32 v54, v53
	v_mov_b32_e32 v55, s0
	s_add_i32 s0, s0, 1
	v_add_u32_e32 v53, 4, v53
	s_cmp_lg_u32 s22, s0
	s_waitcnt lgkmcnt(0)
	v_cmp_lt_f32_e64 vcc, |v50|, |v54|
	s_nop 1
	v_cndmask_b32_e32 v50, v50, v54, vcc
	v_cndmask_b32_e32 v48, v48, v55, vcc
	s_cbranch_scc1 .LBB80_286
.LBB80_287:
	s_waitcnt lgkmcnt(0)
	v_cmp_eq_f32_e32 vcc, 0, v50
	s_and_saveexec_b64 s[0:1], vcc
	s_xor_b64 s[0:1], exec, s[0:1]
; %bb.288:
	v_cmp_ne_u32_e32 vcc, 0, v52
	s_nop 1
	v_cndmask_b32_e32 v52, 18, v52, vcc
; %bb.289:
	s_andn2_saveexec_b64 s[0:1], s[0:1]
	s_cbranch_execz .LBB80_291
; %bb.290:
	v_div_scale_f32 v53, s[2:3], v50, v50, 1.0
	v_rcp_f32_e32 v54, v53
	v_div_scale_f32 v55, vcc, 1.0, v50, 1.0
	v_fma_f32 v56, -v53, v54, 1.0
	v_fmac_f32_e32 v54, v56, v54
	v_mul_f32_e32 v56, v55, v54
	v_fma_f32 v57, -v53, v56, v55
	v_fmac_f32_e32 v56, v57, v54
	v_fma_f32 v53, -v53, v56, v55
	v_div_fmas_f32 v53, v53, v54, v56
	v_div_fixup_f32 v50, v53, v50, 1.0
.LBB80_291:
	s_or_b64 exec, exec, s[0:1]
	v_cmp_ne_u32_e32 vcc, v51, v48
	s_and_saveexec_b64 s[0:1], vcc
	s_xor_b64 s[0:1], exec, s[0:1]
	s_cbranch_execz .LBB80_297
; %bb.292:
	v_cmp_eq_u32_e32 vcc, 17, v51
	s_and_saveexec_b64 s[2:3], vcc
	s_cbranch_execz .LBB80_296
; %bb.293:
	v_cmp_ne_u32_e32 vcc, 17, v48
	s_xor_b64 s[18:19], s[16:17], -1
	s_and_b64 s[20:21], s[18:19], vcc
	s_and_saveexec_b64 s[18:19], s[20:21]
	s_cbranch_execz .LBB80_295
; %bb.294:
	v_ashrrev_i32_e32 v49, 31, v48
	v_lshl_add_u64 v[54:55], v[48:49], 2, v[22:23]
	global_load_dword v49, v[54:55], off
	global_load_dword v51, v[22:23], off offset:68
	s_waitcnt vmcnt(1)
	global_store_dword v[22:23], v49, off offset:68
	s_waitcnt vmcnt(1)
	global_store_dword v[54:55], v51, off
.LBB80_295:
	s_or_b64 exec, exec, s[18:19]
	v_mov_b32_e32 v49, v48
	v_mov_b32_e32 v51, v48
.LBB80_296:
	s_or_b64 exec, exec, s[2:3]
.LBB80_297:
	s_andn2_saveexec_b64 s[0:1], s[0:1]
	s_cbranch_execz .LBB80_299
; %bb.298:
	s_waitcnt vmcnt(20)
	v_pk_mov_b32 v[54:55], v[34:35], v[30:31] op_sel:[1,0]
	ds_write2_b32 v21, v54, v55 offset0:18 offset1:19
	s_waitcnt vmcnt(18)
	v_pk_mov_b32 v[54:55], v[30:31], v[24:25] op_sel:[1,0]
	ds_write2_b32 v21, v54, v55 offset0:20 offset1:21
	;; [unrolled: 3-line block ×10, first 2 shown]
	s_waitcnt vmcnt(0)
	v_pk_mov_b32 v[54:55], v[40:41], v[38:39] op_sel:[1,0]
	v_mov_b32_e32 v51, 17
	ds_write2_b32 v21, v54, v55 offset0:38 offset1:39
	ds_write_b32 v21, v39 offset:160
.LBB80_299:
	s_or_b64 exec, exec, s[0:1]
	v_cmp_lt_i32_e32 vcc, 17, v51
	s_waitcnt lgkmcnt(0)
	s_barrier
	s_and_saveexec_b64 s[0:1], vcc
	s_cbranch_execz .LBB80_301
; %bb.300:
	ds_read_b32 v48, v21 offset:72
	ds_read2_b32 v[54:55], v21 offset0:19 offset1:20
	ds_read2_b32 v[56:57], v21 offset0:21 offset1:22
	v_mul_f32_e32 v34, v50, v34
	ds_read2_b32 v[58:59], v21 offset0:23 offset1:24
	s_waitcnt vmcnt(22) lgkmcnt(3)
	v_fma_f32 v35, -v34, v48, v35
	s_waitcnt vmcnt(20) lgkmcnt(2)
	v_pk_fma_f32 v[30:31], v[34:35], v[54:55], v[30:31] op_sel_hi:[0,1,1] neg_lo:[1,0,0] neg_hi:[1,0,0]
	s_waitcnt vmcnt(18) lgkmcnt(1)
	v_pk_fma_f32 v[24:25], v[34:35], v[56:57], v[24:25] op_sel_hi:[0,1,1] neg_lo:[1,0,0] neg_hi:[1,0,0]
	ds_read2_b32 v[54:55], v21 offset0:25 offset1:26
	ds_read2_b32 v[56:57], v21 offset0:27 offset1:28
	;; [unrolled: 1-line block ×3, first 2 shown]
	s_waitcnt vmcnt(16) lgkmcnt(3)
	v_pk_fma_f32 v[16:17], v[34:35], v[58:59], v[16:17] op_sel_hi:[0,1,1] neg_lo:[1,0,0] neg_hi:[1,0,0]
	ds_read2_b32 v[58:59], v21 offset0:31 offset1:32
	s_waitcnt vmcnt(14) lgkmcnt(3)
	v_pk_fma_f32 v[42:43], v[34:35], v[54:55], v[42:43] op_sel_hi:[0,1,1] neg_lo:[1,0,0] neg_hi:[1,0,0]
	s_waitcnt vmcnt(12) lgkmcnt(2)
	v_pk_fma_f32 v[36:37], v[34:35], v[56:57], v[36:37] op_sel_hi:[0,1,1] neg_lo:[1,0,0] neg_hi:[1,0,0]
	;; [unrolled: 2-line block ×3, first 2 shown]
	ds_read2_b32 v[54:55], v21 offset0:33 offset1:34
	ds_read2_b32 v[56:57], v21 offset0:35 offset1:36
	;; [unrolled: 1-line block ×4, first 2 shown]
	s_waitcnt vmcnt(8) lgkmcnt(4)
	v_pk_fma_f32 v[26:27], v[34:35], v[58:59], v[26:27] op_sel_hi:[0,1,1] neg_lo:[1,0,0] neg_hi:[1,0,0]
	s_waitcnt vmcnt(6) lgkmcnt(3)
	v_pk_fma_f32 v[46:47], v[34:35], v[54:55], v[46:47] op_sel_hi:[0,1,1] neg_lo:[1,0,0] neg_hi:[1,0,0]
	;; [unrolled: 2-line block ×5, first 2 shown]
.LBB80_301:
	s_or_b64 exec, exec, s[0:1]
	v_lshl_add_u32 v48, v51, 2, v21
	s_barrier
	s_waitcnt vmcnt(22)
	ds_write_b32 v48, v35
	s_waitcnt lgkmcnt(0)
	s_barrier
	ds_read_b32 v50, v21 offset:72
	s_cmp_lt_i32 s22, 20
	v_mov_b32_e32 v48, 18
	s_cbranch_scc1 .LBB80_304
; %bb.302:
	v_add_u32_e32 v53, 0x4c, v21
	v_mov_b32_e32 v48, 18
	s_mov_b32 s0, 19
.LBB80_303:                             ; =>This Inner Loop Header: Depth=1
	ds_read_b32 v54, v53
	v_mov_b32_e32 v55, s0
	s_add_i32 s0, s0, 1
	v_add_u32_e32 v53, 4, v53
	s_cmp_lg_u32 s22, s0
	s_waitcnt lgkmcnt(0)
	v_cmp_lt_f32_e64 vcc, |v50|, |v54|
	s_nop 1
	v_cndmask_b32_e32 v50, v50, v54, vcc
	v_cndmask_b32_e32 v48, v48, v55, vcc
	s_cbranch_scc1 .LBB80_303
.LBB80_304:
	s_waitcnt lgkmcnt(0)
	v_cmp_eq_f32_e32 vcc, 0, v50
	s_and_saveexec_b64 s[0:1], vcc
	s_xor_b64 s[0:1], exec, s[0:1]
; %bb.305:
	v_cmp_ne_u32_e32 vcc, 0, v52
	s_nop 1
	v_cndmask_b32_e32 v52, 19, v52, vcc
; %bb.306:
	s_andn2_saveexec_b64 s[0:1], s[0:1]
	s_cbranch_execz .LBB80_308
; %bb.307:
	v_div_scale_f32 v53, s[2:3], v50, v50, 1.0
	v_rcp_f32_e32 v54, v53
	v_div_scale_f32 v55, vcc, 1.0, v50, 1.0
	v_fma_f32 v56, -v53, v54, 1.0
	v_fmac_f32_e32 v54, v56, v54
	v_mul_f32_e32 v56, v55, v54
	v_fma_f32 v57, -v53, v56, v55
	v_fmac_f32_e32 v56, v57, v54
	v_fma_f32 v53, -v53, v56, v55
	v_div_fmas_f32 v53, v53, v54, v56
	v_div_fixup_f32 v50, v53, v50, 1.0
.LBB80_308:
	s_or_b64 exec, exec, s[0:1]
	v_cmp_ne_u32_e32 vcc, v51, v48
	s_and_saveexec_b64 s[0:1], vcc
	s_xor_b64 s[0:1], exec, s[0:1]
	s_cbranch_execz .LBB80_314
; %bb.309:
	v_cmp_eq_u32_e32 vcc, 18, v51
	s_and_saveexec_b64 s[2:3], vcc
	s_cbranch_execz .LBB80_313
; %bb.310:
	v_cmp_ne_u32_e32 vcc, 18, v48
	s_xor_b64 s[18:19], s[16:17], -1
	s_and_b64 s[20:21], s[18:19], vcc
	s_and_saveexec_b64 s[18:19], s[20:21]
	s_cbranch_execz .LBB80_312
; %bb.311:
	v_ashrrev_i32_e32 v49, 31, v48
	v_lshl_add_u64 v[54:55], v[48:49], 2, v[22:23]
	global_load_dword v49, v[54:55], off
	global_load_dword v51, v[22:23], off offset:72
	s_waitcnt vmcnt(1)
	global_store_dword v[22:23], v49, off offset:72
	s_waitcnt vmcnt(1)
	global_store_dword v[54:55], v51, off
.LBB80_312:
	s_or_b64 exec, exec, s[18:19]
	v_mov_b32_e32 v49, v48
	v_mov_b32_e32 v51, v48
.LBB80_313:
	s_or_b64 exec, exec, s[2:3]
.LBB80_314:
	s_andn2_saveexec_b64 s[0:1], s[0:1]
	s_cbranch_execz .LBB80_316
; %bb.315:
	v_mov_b32_e32 v51, 18
	s_waitcnt vmcnt(20)
	ds_write2_b32 v21, v30, v31 offset0:19 offset1:20
	s_waitcnt vmcnt(18)
	ds_write2_b32 v21, v24, v25 offset0:21 offset1:22
	s_waitcnt vmcnt(16)
	ds_write2_b32 v21, v16, v17 offset0:23 offset1:24
	s_waitcnt vmcnt(14)
	ds_write2_b32 v21, v42, v43 offset0:25 offset1:26
	s_waitcnt vmcnt(12)
	ds_write2_b32 v21, v36, v37 offset0:27 offset1:28
	s_waitcnt vmcnt(10)
	ds_write2_b32 v21, v32, v33 offset0:29 offset1:30
	s_waitcnt vmcnt(8)
	ds_write2_b32 v21, v26, v27 offset0:31 offset1:32
	s_waitcnt vmcnt(6)
	ds_write2_b32 v21, v46, v47 offset0:33 offset1:34
	s_waitcnt vmcnt(4)
	ds_write2_b32 v21, v44, v45 offset0:35 offset1:36
	s_waitcnt vmcnt(2)
	ds_write2_b32 v21, v40, v41 offset0:37 offset1:38
	s_waitcnt vmcnt(0)
	ds_write2_b32 v21, v38, v39 offset0:39 offset1:40
.LBB80_316:
	s_or_b64 exec, exec, s[0:1]
	v_cmp_lt_i32_e32 vcc, 18, v51
	s_waitcnt lgkmcnt(0)
	s_barrier
	s_and_saveexec_b64 s[0:1], vcc
	s_cbranch_execz .LBB80_318
; %bb.317:
	ds_read2_b32 v[54:55], v21 offset0:19 offset1:20
	ds_read2_b32 v[56:57], v21 offset0:21 offset1:22
	;; [unrolled: 1-line block ×3, first 2 shown]
	v_mul_f32_e32 v48, v50, v35
	ds_read2_b32 v[60:61], v21 offset0:25 offset1:26
	s_waitcnt vmcnt(20) lgkmcnt(3)
	v_pk_fma_f32 v[30:31], v[48:49], v[54:55], v[30:31] op_sel_hi:[0,1,1] neg_lo:[1,0,0] neg_hi:[1,0,0]
	s_waitcnt vmcnt(18) lgkmcnt(2)
	v_pk_fma_f32 v[24:25], v[48:49], v[56:57], v[24:25] op_sel_hi:[0,1,1] neg_lo:[1,0,0] neg_hi:[1,0,0]
	ds_read2_b32 v[54:55], v21 offset0:27 offset1:28
	ds_read2_b32 v[56:57], v21 offset0:29 offset1:30
	s_waitcnt vmcnt(16) lgkmcnt(3)
	v_pk_fma_f32 v[16:17], v[48:49], v[58:59], v[16:17] op_sel_hi:[0,1,1] neg_lo:[1,0,0] neg_hi:[1,0,0]
	s_waitcnt vmcnt(14) lgkmcnt(2)
	v_pk_fma_f32 v[42:43], v[48:49], v[60:61], v[42:43] op_sel_hi:[0,1,1] neg_lo:[1,0,0] neg_hi:[1,0,0]
	ds_read2_b32 v[58:59], v21 offset0:31 offset1:32
	;; [unrolled: 6-line block ×3, first 2 shown]
	ds_read2_b32 v[56:57], v21 offset0:37 offset1:38
	ds_read2_b32 v[62:63], v21 offset0:39 offset1:40
	s_waitcnt vmcnt(8) lgkmcnt(4)
	v_pk_fma_f32 v[26:27], v[48:49], v[58:59], v[26:27] op_sel_hi:[0,1,1] neg_lo:[1,0,0] neg_hi:[1,0,0]
	s_waitcnt vmcnt(6) lgkmcnt(3)
	v_pk_fma_f32 v[46:47], v[48:49], v[60:61], v[46:47] op_sel_hi:[0,1,1] neg_lo:[1,0,0] neg_hi:[1,0,0]
	;; [unrolled: 2-line block ×5, first 2 shown]
	v_mov_b32_e32 v35, v48
.LBB80_318:
	s_or_b64 exec, exec, s[0:1]
	v_lshl_add_u32 v48, v51, 2, v21
	s_barrier
	s_waitcnt vmcnt(21)
	ds_write_b32 v48, v30
	s_waitcnt lgkmcnt(0)
	s_barrier
	ds_read_b32 v50, v21 offset:76
	s_cmp_lt_i32 s22, 21
	v_mov_b32_e32 v48, 19
	s_cbranch_scc1 .LBB80_321
; %bb.319:
	v_add_u32_e32 v53, 0x50, v21
	v_mov_b32_e32 v48, 19
	s_mov_b32 s0, 20
.LBB80_320:                             ; =>This Inner Loop Header: Depth=1
	ds_read_b32 v54, v53
	v_mov_b32_e32 v55, s0
	s_add_i32 s0, s0, 1
	v_add_u32_e32 v53, 4, v53
	s_cmp_lg_u32 s22, s0
	s_waitcnt lgkmcnt(0)
	v_cmp_lt_f32_e64 vcc, |v50|, |v54|
	s_nop 1
	v_cndmask_b32_e32 v50, v50, v54, vcc
	v_cndmask_b32_e32 v48, v48, v55, vcc
	s_cbranch_scc1 .LBB80_320
.LBB80_321:
	s_waitcnt lgkmcnt(0)
	v_cmp_eq_f32_e32 vcc, 0, v50
	s_and_saveexec_b64 s[0:1], vcc
	s_xor_b64 s[0:1], exec, s[0:1]
; %bb.322:
	v_cmp_ne_u32_e32 vcc, 0, v52
	s_nop 1
	v_cndmask_b32_e32 v52, 20, v52, vcc
; %bb.323:
	s_andn2_saveexec_b64 s[0:1], s[0:1]
	s_cbranch_execz .LBB80_325
; %bb.324:
	v_div_scale_f32 v53, s[2:3], v50, v50, 1.0
	v_rcp_f32_e32 v54, v53
	v_div_scale_f32 v55, vcc, 1.0, v50, 1.0
	v_fma_f32 v56, -v53, v54, 1.0
	v_fmac_f32_e32 v54, v56, v54
	v_mul_f32_e32 v56, v55, v54
	v_fma_f32 v57, -v53, v56, v55
	v_fmac_f32_e32 v56, v57, v54
	v_fma_f32 v53, -v53, v56, v55
	v_div_fmas_f32 v53, v53, v54, v56
	v_div_fixup_f32 v50, v53, v50, 1.0
.LBB80_325:
	s_or_b64 exec, exec, s[0:1]
	v_cmp_ne_u32_e32 vcc, v51, v48
	s_and_saveexec_b64 s[0:1], vcc
	s_xor_b64 s[0:1], exec, s[0:1]
	s_cbranch_execz .LBB80_331
; %bb.326:
	v_cmp_eq_u32_e32 vcc, 19, v51
	s_and_saveexec_b64 s[2:3], vcc
	s_cbranch_execz .LBB80_330
; %bb.327:
	v_cmp_ne_u32_e32 vcc, 19, v48
	s_xor_b64 s[18:19], s[16:17], -1
	s_and_b64 s[20:21], s[18:19], vcc
	s_and_saveexec_b64 s[18:19], s[20:21]
	s_cbranch_execz .LBB80_329
; %bb.328:
	v_ashrrev_i32_e32 v49, 31, v48
	v_lshl_add_u64 v[54:55], v[48:49], 2, v[22:23]
	global_load_dword v49, v[54:55], off
	global_load_dword v51, v[22:23], off offset:76
	s_waitcnt vmcnt(1)
	global_store_dword v[22:23], v49, off offset:76
	s_waitcnt vmcnt(1)
	global_store_dword v[54:55], v51, off
.LBB80_329:
	s_or_b64 exec, exec, s[18:19]
	v_mov_b32_e32 v49, v48
	v_mov_b32_e32 v51, v48
.LBB80_330:
	s_or_b64 exec, exec, s[2:3]
.LBB80_331:
	s_andn2_saveexec_b64 s[0:1], s[0:1]
	s_cbranch_execz .LBB80_333
; %bb.332:
	s_waitcnt vmcnt(18)
	v_pk_mov_b32 v[54:55], v[30:31], v[24:25] op_sel:[1,0]
	ds_write2_b32 v21, v54, v55 offset0:20 offset1:21
	s_waitcnt vmcnt(16)
	v_pk_mov_b32 v[54:55], v[24:25], v[16:17] op_sel:[1,0]
	ds_write2_b32 v21, v54, v55 offset0:22 offset1:23
	;; [unrolled: 3-line block ×9, first 2 shown]
	s_waitcnt vmcnt(0)
	v_pk_mov_b32 v[54:55], v[40:41], v[38:39] op_sel:[1,0]
	v_mov_b32_e32 v51, 19
	ds_write2_b32 v21, v54, v55 offset0:38 offset1:39
	ds_write_b32 v21, v39 offset:160
.LBB80_333:
	s_or_b64 exec, exec, s[0:1]
	v_cmp_lt_i32_e32 vcc, 19, v51
	s_waitcnt lgkmcnt(0)
	s_barrier
	s_and_saveexec_b64 s[0:1], vcc
	s_cbranch_execz .LBB80_335
; %bb.334:
	ds_read_b32 v48, v21 offset:80
	ds_read2_b32 v[54:55], v21 offset0:21 offset1:22
	ds_read2_b32 v[56:57], v21 offset0:23 offset1:24
	v_mul_f32_e32 v30, v50, v30
	ds_read2_b32 v[58:59], v21 offset0:25 offset1:26
	s_waitcnt vmcnt(20) lgkmcnt(3)
	v_fma_f32 v31, -v30, v48, v31
	s_waitcnt vmcnt(18) lgkmcnt(2)
	v_pk_fma_f32 v[24:25], v[30:31], v[54:55], v[24:25] op_sel_hi:[0,1,1] neg_lo:[1,0,0] neg_hi:[1,0,0]
	s_waitcnt vmcnt(16) lgkmcnt(1)
	v_pk_fma_f32 v[16:17], v[30:31], v[56:57], v[16:17] op_sel_hi:[0,1,1] neg_lo:[1,0,0] neg_hi:[1,0,0]
	ds_read2_b32 v[54:55], v21 offset0:27 offset1:28
	ds_read2_b32 v[56:57], v21 offset0:29 offset1:30
	s_waitcnt vmcnt(14) lgkmcnt(2)
	v_pk_fma_f32 v[42:43], v[30:31], v[58:59], v[42:43] op_sel_hi:[0,1,1] neg_lo:[1,0,0] neg_hi:[1,0,0]
	ds_read2_b32 v[58:59], v21 offset0:31 offset1:32
	ds_read2_b32 v[60:61], v21 offset0:33 offset1:34
	s_waitcnt vmcnt(12) lgkmcnt(3)
	v_pk_fma_f32 v[36:37], v[30:31], v[54:55], v[36:37] op_sel_hi:[0,1,1] neg_lo:[1,0,0] neg_hi:[1,0,0]
	s_waitcnt vmcnt(10) lgkmcnt(2)
	v_pk_fma_f32 v[32:33], v[30:31], v[56:57], v[32:33] op_sel_hi:[0,1,1] neg_lo:[1,0,0] neg_hi:[1,0,0]
	ds_read2_b32 v[54:55], v21 offset0:35 offset1:36
	ds_read2_b32 v[56:57], v21 offset0:37 offset1:38
	;; [unrolled: 1-line block ×3, first 2 shown]
	s_waitcnt vmcnt(8) lgkmcnt(4)
	v_pk_fma_f32 v[26:27], v[30:31], v[58:59], v[26:27] op_sel_hi:[0,1,1] neg_lo:[1,0,0] neg_hi:[1,0,0]
	s_waitcnt vmcnt(6) lgkmcnt(3)
	v_pk_fma_f32 v[46:47], v[30:31], v[60:61], v[46:47] op_sel_hi:[0,1,1] neg_lo:[1,0,0] neg_hi:[1,0,0]
	;; [unrolled: 2-line block ×5, first 2 shown]
.LBB80_335:
	s_or_b64 exec, exec, s[0:1]
	v_lshl_add_u32 v48, v51, 2, v21
	s_barrier
	s_waitcnt vmcnt(20)
	ds_write_b32 v48, v31
	s_waitcnt lgkmcnt(0)
	s_barrier
	ds_read_b32 v50, v21 offset:80
	s_cmp_lt_i32 s22, 22
	v_mov_b32_e32 v48, 20
	s_cbranch_scc1 .LBB80_338
; %bb.336:
	v_add_u32_e32 v53, 0x54, v21
	v_mov_b32_e32 v48, 20
	s_mov_b32 s0, 21
.LBB80_337:                             ; =>This Inner Loop Header: Depth=1
	ds_read_b32 v54, v53
	v_mov_b32_e32 v55, s0
	s_add_i32 s0, s0, 1
	v_add_u32_e32 v53, 4, v53
	s_cmp_lg_u32 s22, s0
	s_waitcnt lgkmcnt(0)
	v_cmp_lt_f32_e64 vcc, |v50|, |v54|
	s_nop 1
	v_cndmask_b32_e32 v50, v50, v54, vcc
	v_cndmask_b32_e32 v48, v48, v55, vcc
	s_cbranch_scc1 .LBB80_337
.LBB80_338:
	s_waitcnt lgkmcnt(0)
	v_cmp_eq_f32_e32 vcc, 0, v50
	s_and_saveexec_b64 s[0:1], vcc
	s_xor_b64 s[0:1], exec, s[0:1]
; %bb.339:
	v_cmp_ne_u32_e32 vcc, 0, v52
	s_nop 1
	v_cndmask_b32_e32 v52, 21, v52, vcc
; %bb.340:
	s_andn2_saveexec_b64 s[0:1], s[0:1]
	s_cbranch_execz .LBB80_342
; %bb.341:
	v_div_scale_f32 v53, s[2:3], v50, v50, 1.0
	v_rcp_f32_e32 v54, v53
	v_div_scale_f32 v55, vcc, 1.0, v50, 1.0
	v_fma_f32 v56, -v53, v54, 1.0
	v_fmac_f32_e32 v54, v56, v54
	v_mul_f32_e32 v56, v55, v54
	v_fma_f32 v57, -v53, v56, v55
	v_fmac_f32_e32 v56, v57, v54
	v_fma_f32 v53, -v53, v56, v55
	v_div_fmas_f32 v53, v53, v54, v56
	v_div_fixup_f32 v50, v53, v50, 1.0
.LBB80_342:
	s_or_b64 exec, exec, s[0:1]
	v_cmp_ne_u32_e32 vcc, v51, v48
	s_and_saveexec_b64 s[0:1], vcc
	s_xor_b64 s[0:1], exec, s[0:1]
	s_cbranch_execz .LBB80_348
; %bb.343:
	v_cmp_eq_u32_e32 vcc, 20, v51
	s_and_saveexec_b64 s[2:3], vcc
	s_cbranch_execz .LBB80_347
; %bb.344:
	v_cmp_ne_u32_e32 vcc, 20, v48
	s_xor_b64 s[18:19], s[16:17], -1
	s_and_b64 s[20:21], s[18:19], vcc
	s_and_saveexec_b64 s[18:19], s[20:21]
	s_cbranch_execz .LBB80_346
; %bb.345:
	v_ashrrev_i32_e32 v49, 31, v48
	v_lshl_add_u64 v[54:55], v[48:49], 2, v[22:23]
	global_load_dword v49, v[54:55], off
	global_load_dword v51, v[22:23], off offset:80
	s_waitcnt vmcnt(1)
	global_store_dword v[22:23], v49, off offset:80
	s_waitcnt vmcnt(1)
	global_store_dword v[54:55], v51, off
.LBB80_346:
	s_or_b64 exec, exec, s[18:19]
	v_mov_b32_e32 v49, v48
	v_mov_b32_e32 v51, v48
.LBB80_347:
	s_or_b64 exec, exec, s[2:3]
.LBB80_348:
	s_andn2_saveexec_b64 s[0:1], s[0:1]
	s_cbranch_execz .LBB80_350
; %bb.349:
	v_mov_b32_e32 v51, 20
	s_waitcnt vmcnt(18)
	ds_write2_b32 v21, v24, v25 offset0:21 offset1:22
	s_waitcnt vmcnt(16)
	ds_write2_b32 v21, v16, v17 offset0:23 offset1:24
	;; [unrolled: 2-line block ×10, first 2 shown]
.LBB80_350:
	s_or_b64 exec, exec, s[0:1]
	v_cmp_lt_i32_e32 vcc, 20, v51
	s_waitcnt lgkmcnt(0)
	s_barrier
	s_and_saveexec_b64 s[0:1], vcc
	s_cbranch_execz .LBB80_352
; %bb.351:
	ds_read2_b32 v[54:55], v21 offset0:21 offset1:22
	ds_read2_b32 v[56:57], v21 offset0:23 offset1:24
	;; [unrolled: 1-line block ×3, first 2 shown]
	v_mul_f32_e32 v48, v50, v31
	ds_read2_b32 v[60:61], v21 offset0:27 offset1:28
	s_waitcnt vmcnt(18) lgkmcnt(3)
	v_pk_fma_f32 v[24:25], v[48:49], v[54:55], v[24:25] op_sel_hi:[0,1,1] neg_lo:[1,0,0] neg_hi:[1,0,0]
	ds_read2_b32 v[54:55], v21 offset0:29 offset1:30
	s_waitcnt vmcnt(16) lgkmcnt(3)
	v_pk_fma_f32 v[16:17], v[48:49], v[56:57], v[16:17] op_sel_hi:[0,1,1] neg_lo:[1,0,0] neg_hi:[1,0,0]
	s_waitcnt vmcnt(14) lgkmcnt(2)
	v_pk_fma_f32 v[42:43], v[48:49], v[58:59], v[42:43] op_sel_hi:[0,1,1] neg_lo:[1,0,0] neg_hi:[1,0,0]
	;; [unrolled: 2-line block ×3, first 2 shown]
	ds_read2_b32 v[56:57], v21 offset0:31 offset1:32
	ds_read2_b32 v[58:59], v21 offset0:33 offset1:34
	;; [unrolled: 1-line block ×3, first 2 shown]
	s_waitcnt vmcnt(10) lgkmcnt(3)
	v_pk_fma_f32 v[32:33], v[48:49], v[54:55], v[32:33] op_sel_hi:[0,1,1] neg_lo:[1,0,0] neg_hi:[1,0,0]
	ds_read2_b32 v[54:55], v21 offset0:37 offset1:38
	ds_read2_b32 v[62:63], v21 offset0:39 offset1:40
	s_waitcnt vmcnt(8) lgkmcnt(4)
	v_pk_fma_f32 v[26:27], v[48:49], v[56:57], v[26:27] op_sel_hi:[0,1,1] neg_lo:[1,0,0] neg_hi:[1,0,0]
	s_waitcnt vmcnt(6) lgkmcnt(3)
	v_pk_fma_f32 v[46:47], v[48:49], v[58:59], v[46:47] op_sel_hi:[0,1,1] neg_lo:[1,0,0] neg_hi:[1,0,0]
	;; [unrolled: 2-line block ×5, first 2 shown]
	v_mov_b32_e32 v31, v48
.LBB80_352:
	s_or_b64 exec, exec, s[0:1]
	v_lshl_add_u32 v48, v51, 2, v21
	s_barrier
	s_waitcnt vmcnt(19)
	ds_write_b32 v48, v24
	s_waitcnt lgkmcnt(0)
	s_barrier
	ds_read_b32 v50, v21 offset:84
	s_cmp_lt_i32 s22, 23
	v_mov_b32_e32 v48, 21
	s_cbranch_scc1 .LBB80_355
; %bb.353:
	v_add_u32_e32 v53, 0x58, v21
	v_mov_b32_e32 v48, 21
	s_mov_b32 s0, 22
.LBB80_354:                             ; =>This Inner Loop Header: Depth=1
	ds_read_b32 v54, v53
	v_mov_b32_e32 v55, s0
	s_add_i32 s0, s0, 1
	v_add_u32_e32 v53, 4, v53
	s_cmp_lg_u32 s22, s0
	s_waitcnt lgkmcnt(0)
	v_cmp_lt_f32_e64 vcc, |v50|, |v54|
	s_nop 1
	v_cndmask_b32_e32 v50, v50, v54, vcc
	v_cndmask_b32_e32 v48, v48, v55, vcc
	s_cbranch_scc1 .LBB80_354
.LBB80_355:
	s_waitcnt lgkmcnt(0)
	v_cmp_eq_f32_e32 vcc, 0, v50
	s_and_saveexec_b64 s[0:1], vcc
	s_xor_b64 s[0:1], exec, s[0:1]
; %bb.356:
	v_cmp_ne_u32_e32 vcc, 0, v52
	s_nop 1
	v_cndmask_b32_e32 v52, 22, v52, vcc
; %bb.357:
	s_andn2_saveexec_b64 s[0:1], s[0:1]
	s_cbranch_execz .LBB80_359
; %bb.358:
	v_div_scale_f32 v53, s[2:3], v50, v50, 1.0
	v_rcp_f32_e32 v54, v53
	v_div_scale_f32 v55, vcc, 1.0, v50, 1.0
	v_fma_f32 v56, -v53, v54, 1.0
	v_fmac_f32_e32 v54, v56, v54
	v_mul_f32_e32 v56, v55, v54
	v_fma_f32 v57, -v53, v56, v55
	v_fmac_f32_e32 v56, v57, v54
	v_fma_f32 v53, -v53, v56, v55
	v_div_fmas_f32 v53, v53, v54, v56
	v_div_fixup_f32 v50, v53, v50, 1.0
.LBB80_359:
	s_or_b64 exec, exec, s[0:1]
	v_cmp_ne_u32_e32 vcc, v51, v48
	s_and_saveexec_b64 s[0:1], vcc
	s_xor_b64 s[0:1], exec, s[0:1]
	s_cbranch_execz .LBB80_365
; %bb.360:
	v_cmp_eq_u32_e32 vcc, 21, v51
	s_and_saveexec_b64 s[2:3], vcc
	s_cbranch_execz .LBB80_364
; %bb.361:
	v_cmp_ne_u32_e32 vcc, 21, v48
	s_xor_b64 s[18:19], s[16:17], -1
	s_and_b64 s[20:21], s[18:19], vcc
	s_and_saveexec_b64 s[18:19], s[20:21]
	s_cbranch_execz .LBB80_363
; %bb.362:
	v_ashrrev_i32_e32 v49, 31, v48
	v_lshl_add_u64 v[54:55], v[48:49], 2, v[22:23]
	global_load_dword v49, v[54:55], off
	global_load_dword v51, v[22:23], off offset:84
	s_waitcnt vmcnt(1)
	global_store_dword v[22:23], v49, off offset:84
	s_waitcnt vmcnt(1)
	global_store_dword v[54:55], v51, off
.LBB80_363:
	s_or_b64 exec, exec, s[18:19]
	v_mov_b32_e32 v49, v48
	v_mov_b32_e32 v51, v48
.LBB80_364:
	s_or_b64 exec, exec, s[2:3]
.LBB80_365:
	s_andn2_saveexec_b64 s[0:1], s[0:1]
	s_cbranch_execz .LBB80_367
; %bb.366:
	s_waitcnt vmcnt(16)
	v_pk_mov_b32 v[54:55], v[24:25], v[16:17] op_sel:[1,0]
	ds_write2_b32 v21, v54, v55 offset0:22 offset1:23
	s_waitcnt vmcnt(14)
	v_pk_mov_b32 v[54:55], v[16:17], v[42:43] op_sel:[1,0]
	ds_write2_b32 v21, v54, v55 offset0:24 offset1:25
	;; [unrolled: 3-line block ×8, first 2 shown]
	s_waitcnt vmcnt(0)
	v_pk_mov_b32 v[54:55], v[40:41], v[38:39] op_sel:[1,0]
	v_mov_b32_e32 v51, 21
	ds_write2_b32 v21, v54, v55 offset0:38 offset1:39
	ds_write_b32 v21, v39 offset:160
.LBB80_367:
	s_or_b64 exec, exec, s[0:1]
	v_cmp_lt_i32_e32 vcc, 21, v51
	s_waitcnt lgkmcnt(0)
	s_barrier
	s_and_saveexec_b64 s[0:1], vcc
	s_cbranch_execz .LBB80_369
; %bb.368:
	ds_read_b32 v48, v21 offset:88
	ds_read2_b32 v[54:55], v21 offset0:23 offset1:24
	ds_read2_b32 v[56:57], v21 offset0:25 offset1:26
	v_mul_f32_e32 v24, v50, v24
	ds_read2_b32 v[58:59], v21 offset0:27 offset1:28
	s_waitcnt vmcnt(18) lgkmcnt(3)
	v_fma_f32 v25, -v24, v48, v25
	s_waitcnt vmcnt(16) lgkmcnt(2)
	v_pk_fma_f32 v[16:17], v[24:25], v[54:55], v[16:17] op_sel_hi:[0,1,1] neg_lo:[1,0,0] neg_hi:[1,0,0]
	ds_read2_b32 v[54:55], v21 offset0:29 offset1:30
	s_waitcnt vmcnt(14) lgkmcnt(2)
	v_pk_fma_f32 v[42:43], v[24:25], v[56:57], v[42:43] op_sel_hi:[0,1,1] neg_lo:[1,0,0] neg_hi:[1,0,0]
	s_waitcnt vmcnt(12) lgkmcnt(1)
	v_pk_fma_f32 v[36:37], v[24:25], v[58:59], v[36:37] op_sel_hi:[0,1,1] neg_lo:[1,0,0] neg_hi:[1,0,0]
	ds_read2_b32 v[56:57], v21 offset0:31 offset1:32
	ds_read2_b32 v[58:59], v21 offset0:33 offset1:34
	;; [unrolled: 1-line block ×3, first 2 shown]
	s_waitcnt vmcnt(10) lgkmcnt(3)
	v_pk_fma_f32 v[32:33], v[24:25], v[54:55], v[32:33] op_sel_hi:[0,1,1] neg_lo:[1,0,0] neg_hi:[1,0,0]
	ds_read2_b32 v[54:55], v21 offset0:37 offset1:38
	ds_read2_b32 v[62:63], v21 offset0:39 offset1:40
	s_waitcnt vmcnt(8) lgkmcnt(4)
	v_pk_fma_f32 v[26:27], v[24:25], v[56:57], v[26:27] op_sel_hi:[0,1,1] neg_lo:[1,0,0] neg_hi:[1,0,0]
	s_waitcnt vmcnt(6) lgkmcnt(3)
	v_pk_fma_f32 v[46:47], v[24:25], v[58:59], v[46:47] op_sel_hi:[0,1,1] neg_lo:[1,0,0] neg_hi:[1,0,0]
	;; [unrolled: 2-line block ×5, first 2 shown]
.LBB80_369:
	s_or_b64 exec, exec, s[0:1]
	v_lshl_add_u32 v48, v51, 2, v21
	s_barrier
	s_waitcnt vmcnt(18)
	ds_write_b32 v48, v25
	s_waitcnt lgkmcnt(0)
	s_barrier
	ds_read_b32 v50, v21 offset:88
	s_cmp_lt_i32 s22, 24
	v_mov_b32_e32 v48, 22
	s_cbranch_scc1 .LBB80_372
; %bb.370:
	v_add_u32_e32 v53, 0x5c, v21
	v_mov_b32_e32 v48, 22
	s_mov_b32 s0, 23
.LBB80_371:                             ; =>This Inner Loop Header: Depth=1
	ds_read_b32 v54, v53
	v_mov_b32_e32 v55, s0
	s_add_i32 s0, s0, 1
	v_add_u32_e32 v53, 4, v53
	s_cmp_lg_u32 s22, s0
	s_waitcnt lgkmcnt(0)
	v_cmp_lt_f32_e64 vcc, |v50|, |v54|
	s_nop 1
	v_cndmask_b32_e32 v50, v50, v54, vcc
	v_cndmask_b32_e32 v48, v48, v55, vcc
	s_cbranch_scc1 .LBB80_371
.LBB80_372:
	s_waitcnt lgkmcnt(0)
	v_cmp_eq_f32_e32 vcc, 0, v50
	s_and_saveexec_b64 s[0:1], vcc
	s_xor_b64 s[0:1], exec, s[0:1]
; %bb.373:
	v_cmp_ne_u32_e32 vcc, 0, v52
	s_nop 1
	v_cndmask_b32_e32 v52, 23, v52, vcc
; %bb.374:
	s_andn2_saveexec_b64 s[0:1], s[0:1]
	s_cbranch_execz .LBB80_376
; %bb.375:
	v_div_scale_f32 v53, s[2:3], v50, v50, 1.0
	v_rcp_f32_e32 v54, v53
	v_div_scale_f32 v55, vcc, 1.0, v50, 1.0
	v_fma_f32 v56, -v53, v54, 1.0
	v_fmac_f32_e32 v54, v56, v54
	v_mul_f32_e32 v56, v55, v54
	v_fma_f32 v57, -v53, v56, v55
	v_fmac_f32_e32 v56, v57, v54
	v_fma_f32 v53, -v53, v56, v55
	v_div_fmas_f32 v53, v53, v54, v56
	v_div_fixup_f32 v50, v53, v50, 1.0
.LBB80_376:
	s_or_b64 exec, exec, s[0:1]
	v_cmp_ne_u32_e32 vcc, v51, v48
	s_and_saveexec_b64 s[0:1], vcc
	s_xor_b64 s[0:1], exec, s[0:1]
	s_cbranch_execz .LBB80_382
; %bb.377:
	v_cmp_eq_u32_e32 vcc, 22, v51
	s_and_saveexec_b64 s[2:3], vcc
	s_cbranch_execz .LBB80_381
; %bb.378:
	v_cmp_ne_u32_e32 vcc, 22, v48
	s_xor_b64 s[18:19], s[16:17], -1
	s_and_b64 s[20:21], s[18:19], vcc
	s_and_saveexec_b64 s[18:19], s[20:21]
	s_cbranch_execz .LBB80_380
; %bb.379:
	v_ashrrev_i32_e32 v49, 31, v48
	v_lshl_add_u64 v[54:55], v[48:49], 2, v[22:23]
	global_load_dword v49, v[54:55], off
	global_load_dword v51, v[22:23], off offset:88
	s_waitcnt vmcnt(1)
	global_store_dword v[22:23], v49, off offset:88
	s_waitcnt vmcnt(1)
	global_store_dword v[54:55], v51, off
.LBB80_380:
	s_or_b64 exec, exec, s[18:19]
	v_mov_b32_e32 v49, v48
	v_mov_b32_e32 v51, v48
.LBB80_381:
	s_or_b64 exec, exec, s[2:3]
.LBB80_382:
	s_andn2_saveexec_b64 s[0:1], s[0:1]
	s_cbranch_execz .LBB80_384
; %bb.383:
	v_mov_b32_e32 v51, 22
	s_waitcnt vmcnt(16)
	ds_write2_b32 v21, v16, v17 offset0:23 offset1:24
	s_waitcnt vmcnt(14)
	ds_write2_b32 v21, v42, v43 offset0:25 offset1:26
	;; [unrolled: 2-line block ×9, first 2 shown]
.LBB80_384:
	s_or_b64 exec, exec, s[0:1]
	v_cmp_lt_i32_e32 vcc, 22, v51
	s_waitcnt lgkmcnt(0)
	s_barrier
	s_and_saveexec_b64 s[0:1], vcc
	s_cbranch_execz .LBB80_386
; %bb.385:
	ds_read2_b32 v[54:55], v21 offset0:23 offset1:24
	ds_read2_b32 v[56:57], v21 offset0:25 offset1:26
	;; [unrolled: 1-line block ×4, first 2 shown]
	v_mul_f32_e32 v48, v50, v25
	s_waitcnt vmcnt(16) lgkmcnt(3)
	v_pk_fma_f32 v[16:17], v[48:49], v[54:55], v[16:17] op_sel_hi:[0,1,1] neg_lo:[1,0,0] neg_hi:[1,0,0]
	s_waitcnt vmcnt(14) lgkmcnt(2)
	v_pk_fma_f32 v[42:43], v[48:49], v[56:57], v[42:43] op_sel_hi:[0,1,1] neg_lo:[1,0,0] neg_hi:[1,0,0]
	;; [unrolled: 2-line block ×4, first 2 shown]
	ds_read2_b32 v[54:55], v21 offset0:31 offset1:32
	ds_read2_b32 v[56:57], v21 offset0:33 offset1:34
	;; [unrolled: 1-line block ×5, first 2 shown]
	s_waitcnt vmcnt(8) lgkmcnt(4)
	v_pk_fma_f32 v[26:27], v[48:49], v[54:55], v[26:27] op_sel_hi:[0,1,1] neg_lo:[1,0,0] neg_hi:[1,0,0]
	s_waitcnt vmcnt(6) lgkmcnt(3)
	v_pk_fma_f32 v[46:47], v[48:49], v[56:57], v[46:47] op_sel_hi:[0,1,1] neg_lo:[1,0,0] neg_hi:[1,0,0]
	;; [unrolled: 2-line block ×5, first 2 shown]
	v_mov_b32_e32 v25, v48
.LBB80_386:
	s_or_b64 exec, exec, s[0:1]
	v_lshl_add_u32 v48, v51, 2, v21
	s_barrier
	s_waitcnt vmcnt(17)
	ds_write_b32 v48, v16
	s_waitcnt lgkmcnt(0)
	s_barrier
	ds_read_b32 v50, v21 offset:92
	s_cmp_lt_i32 s22, 25
	v_mov_b32_e32 v48, 23
	s_cbranch_scc1 .LBB80_389
; %bb.387:
	v_add_u32_e32 v53, 0x60, v21
	v_mov_b32_e32 v48, 23
	s_mov_b32 s0, 24
.LBB80_388:                             ; =>This Inner Loop Header: Depth=1
	ds_read_b32 v54, v53
	v_mov_b32_e32 v55, s0
	s_add_i32 s0, s0, 1
	v_add_u32_e32 v53, 4, v53
	s_cmp_lg_u32 s22, s0
	s_waitcnt lgkmcnt(0)
	v_cmp_lt_f32_e64 vcc, |v50|, |v54|
	s_nop 1
	v_cndmask_b32_e32 v50, v50, v54, vcc
	v_cndmask_b32_e32 v48, v48, v55, vcc
	s_cbranch_scc1 .LBB80_388
.LBB80_389:
	s_waitcnt lgkmcnt(0)
	v_cmp_eq_f32_e32 vcc, 0, v50
	s_and_saveexec_b64 s[0:1], vcc
	s_xor_b64 s[0:1], exec, s[0:1]
; %bb.390:
	v_cmp_ne_u32_e32 vcc, 0, v52
	s_nop 1
	v_cndmask_b32_e32 v52, 24, v52, vcc
; %bb.391:
	s_andn2_saveexec_b64 s[0:1], s[0:1]
	s_cbranch_execz .LBB80_393
; %bb.392:
	v_div_scale_f32 v53, s[2:3], v50, v50, 1.0
	v_rcp_f32_e32 v54, v53
	v_div_scale_f32 v55, vcc, 1.0, v50, 1.0
	v_fma_f32 v56, -v53, v54, 1.0
	v_fmac_f32_e32 v54, v56, v54
	v_mul_f32_e32 v56, v55, v54
	v_fma_f32 v57, -v53, v56, v55
	v_fmac_f32_e32 v56, v57, v54
	v_fma_f32 v53, -v53, v56, v55
	v_div_fmas_f32 v53, v53, v54, v56
	v_div_fixup_f32 v50, v53, v50, 1.0
.LBB80_393:
	s_or_b64 exec, exec, s[0:1]
	v_cmp_ne_u32_e32 vcc, v51, v48
	s_and_saveexec_b64 s[0:1], vcc
	s_xor_b64 s[0:1], exec, s[0:1]
	s_cbranch_execz .LBB80_399
; %bb.394:
	v_cmp_eq_u32_e32 vcc, 23, v51
	s_and_saveexec_b64 s[2:3], vcc
	s_cbranch_execz .LBB80_398
; %bb.395:
	v_cmp_ne_u32_e32 vcc, 23, v48
	s_xor_b64 s[18:19], s[16:17], -1
	s_and_b64 s[20:21], s[18:19], vcc
	s_and_saveexec_b64 s[18:19], s[20:21]
	s_cbranch_execz .LBB80_397
; %bb.396:
	v_ashrrev_i32_e32 v49, 31, v48
	v_lshl_add_u64 v[54:55], v[48:49], 2, v[22:23]
	global_load_dword v49, v[54:55], off
	global_load_dword v51, v[22:23], off offset:92
	s_waitcnt vmcnt(1)
	global_store_dword v[22:23], v49, off offset:92
	s_waitcnt vmcnt(1)
	global_store_dword v[54:55], v51, off
.LBB80_397:
	s_or_b64 exec, exec, s[18:19]
	v_mov_b32_e32 v49, v48
	v_mov_b32_e32 v51, v48
.LBB80_398:
	s_or_b64 exec, exec, s[2:3]
.LBB80_399:
	s_andn2_saveexec_b64 s[0:1], s[0:1]
	s_cbranch_execz .LBB80_401
; %bb.400:
	s_waitcnt vmcnt(14)
	v_pk_mov_b32 v[54:55], v[16:17], v[42:43] op_sel:[1,0]
	ds_write2_b32 v21, v54, v55 offset0:24 offset1:25
	s_waitcnt vmcnt(12)
	v_pk_mov_b32 v[54:55], v[42:43], v[36:37] op_sel:[1,0]
	ds_write2_b32 v21, v54, v55 offset0:26 offset1:27
	;; [unrolled: 3-line block ×7, first 2 shown]
	s_waitcnt vmcnt(0)
	v_pk_mov_b32 v[54:55], v[40:41], v[38:39] op_sel:[1,0]
	v_mov_b32_e32 v51, 23
	ds_write2_b32 v21, v54, v55 offset0:38 offset1:39
	ds_write_b32 v21, v39 offset:160
.LBB80_401:
	s_or_b64 exec, exec, s[0:1]
	v_cmp_lt_i32_e32 vcc, 23, v51
	s_waitcnt lgkmcnt(0)
	s_barrier
	s_and_saveexec_b64 s[0:1], vcc
	s_cbranch_execz .LBB80_403
; %bb.402:
	ds_read_b32 v48, v21 offset:96
	ds_read2_b32 v[54:55], v21 offset0:25 offset1:26
	ds_read2_b32 v[56:57], v21 offset0:27 offset1:28
	;; [unrolled: 1-line block ×3, first 2 shown]
	v_mul_f32_e32 v16, v50, v16
	s_waitcnt vmcnt(16) lgkmcnt(3)
	v_fma_f32 v17, -v16, v48, v17
	s_waitcnt vmcnt(14) lgkmcnt(2)
	v_pk_fma_f32 v[42:43], v[16:17], v[54:55], v[42:43] op_sel_hi:[0,1,1] neg_lo:[1,0,0] neg_hi:[1,0,0]
	s_waitcnt vmcnt(12) lgkmcnt(1)
	v_pk_fma_f32 v[36:37], v[16:17], v[56:57], v[36:37] op_sel_hi:[0,1,1] neg_lo:[1,0,0] neg_hi:[1,0,0]
	;; [unrolled: 2-line block ×3, first 2 shown]
	ds_read2_b32 v[54:55], v21 offset0:31 offset1:32
	ds_read2_b32 v[56:57], v21 offset0:33 offset1:34
	;; [unrolled: 1-line block ×5, first 2 shown]
	s_waitcnt vmcnt(8) lgkmcnt(4)
	v_pk_fma_f32 v[26:27], v[16:17], v[54:55], v[26:27] op_sel_hi:[0,1,1] neg_lo:[1,0,0] neg_hi:[1,0,0]
	s_waitcnt vmcnt(6) lgkmcnt(3)
	v_pk_fma_f32 v[46:47], v[16:17], v[56:57], v[46:47] op_sel_hi:[0,1,1] neg_lo:[1,0,0] neg_hi:[1,0,0]
	;; [unrolled: 2-line block ×5, first 2 shown]
.LBB80_403:
	s_or_b64 exec, exec, s[0:1]
	v_lshl_add_u32 v48, v51, 2, v21
	s_barrier
	s_waitcnt vmcnt(16)
	ds_write_b32 v48, v17
	s_waitcnt lgkmcnt(0)
	s_barrier
	ds_read_b32 v50, v21 offset:96
	s_cmp_lt_i32 s22, 26
	v_mov_b32_e32 v48, 24
	s_cbranch_scc1 .LBB80_406
; %bb.404:
	v_add_u32_e32 v53, 0x64, v21
	v_mov_b32_e32 v48, 24
	s_mov_b32 s0, 25
.LBB80_405:                             ; =>This Inner Loop Header: Depth=1
	ds_read_b32 v54, v53
	v_mov_b32_e32 v55, s0
	s_add_i32 s0, s0, 1
	v_add_u32_e32 v53, 4, v53
	s_cmp_lg_u32 s22, s0
	s_waitcnt lgkmcnt(0)
	v_cmp_lt_f32_e64 vcc, |v50|, |v54|
	s_nop 1
	v_cndmask_b32_e32 v50, v50, v54, vcc
	v_cndmask_b32_e32 v48, v48, v55, vcc
	s_cbranch_scc1 .LBB80_405
.LBB80_406:
	s_waitcnt lgkmcnt(0)
	v_cmp_eq_f32_e32 vcc, 0, v50
	s_and_saveexec_b64 s[0:1], vcc
	s_xor_b64 s[0:1], exec, s[0:1]
; %bb.407:
	v_cmp_ne_u32_e32 vcc, 0, v52
	s_nop 1
	v_cndmask_b32_e32 v52, 25, v52, vcc
; %bb.408:
	s_andn2_saveexec_b64 s[0:1], s[0:1]
	s_cbranch_execz .LBB80_410
; %bb.409:
	v_div_scale_f32 v53, s[2:3], v50, v50, 1.0
	v_rcp_f32_e32 v54, v53
	v_div_scale_f32 v55, vcc, 1.0, v50, 1.0
	v_fma_f32 v56, -v53, v54, 1.0
	v_fmac_f32_e32 v54, v56, v54
	v_mul_f32_e32 v56, v55, v54
	v_fma_f32 v57, -v53, v56, v55
	v_fmac_f32_e32 v56, v57, v54
	v_fma_f32 v53, -v53, v56, v55
	v_div_fmas_f32 v53, v53, v54, v56
	v_div_fixup_f32 v50, v53, v50, 1.0
.LBB80_410:
	s_or_b64 exec, exec, s[0:1]
	v_cmp_ne_u32_e32 vcc, v51, v48
	s_and_saveexec_b64 s[0:1], vcc
	s_xor_b64 s[0:1], exec, s[0:1]
	s_cbranch_execz .LBB80_416
; %bb.411:
	v_cmp_eq_u32_e32 vcc, 24, v51
	s_and_saveexec_b64 s[2:3], vcc
	s_cbranch_execz .LBB80_415
; %bb.412:
	v_cmp_ne_u32_e32 vcc, 24, v48
	s_xor_b64 s[18:19], s[16:17], -1
	s_and_b64 s[20:21], s[18:19], vcc
	s_and_saveexec_b64 s[18:19], s[20:21]
	s_cbranch_execz .LBB80_414
; %bb.413:
	v_ashrrev_i32_e32 v49, 31, v48
	v_lshl_add_u64 v[54:55], v[48:49], 2, v[22:23]
	global_load_dword v49, v[54:55], off
	global_load_dword v51, v[22:23], off offset:96
	s_waitcnt vmcnt(1)
	global_store_dword v[22:23], v49, off offset:96
	s_waitcnt vmcnt(1)
	global_store_dword v[54:55], v51, off
.LBB80_414:
	s_or_b64 exec, exec, s[18:19]
	v_mov_b32_e32 v49, v48
	v_mov_b32_e32 v51, v48
.LBB80_415:
	s_or_b64 exec, exec, s[2:3]
.LBB80_416:
	s_andn2_saveexec_b64 s[0:1], s[0:1]
	s_cbranch_execz .LBB80_418
; %bb.417:
	v_mov_b32_e32 v51, 24
	s_waitcnt vmcnt(14)
	ds_write2_b32 v21, v42, v43 offset0:25 offset1:26
	s_waitcnt vmcnt(12)
	ds_write2_b32 v21, v36, v37 offset0:27 offset1:28
	;; [unrolled: 2-line block ×8, first 2 shown]
.LBB80_418:
	s_or_b64 exec, exec, s[0:1]
	v_cmp_lt_i32_e32 vcc, 24, v51
	s_waitcnt lgkmcnt(0)
	s_barrier
	s_and_saveexec_b64 s[0:1], vcc
	s_cbranch_execz .LBB80_420
; %bb.419:
	ds_read2_b32 v[54:55], v21 offset0:25 offset1:26
	ds_read2_b32 v[56:57], v21 offset0:27 offset1:28
	;; [unrolled: 1-line block ×3, first 2 shown]
	v_mul_f32_e32 v48, v50, v17
	ds_read2_b32 v[60:61], v21 offset0:31 offset1:32
	s_waitcnt vmcnt(14) lgkmcnt(3)
	v_pk_fma_f32 v[42:43], v[48:49], v[54:55], v[42:43] op_sel_hi:[0,1,1] neg_lo:[1,0,0] neg_hi:[1,0,0]
	s_waitcnt vmcnt(12) lgkmcnt(2)
	v_pk_fma_f32 v[36:37], v[48:49], v[56:57], v[36:37] op_sel_hi:[0,1,1] neg_lo:[1,0,0] neg_hi:[1,0,0]
	;; [unrolled: 2-line block ×3, first 2 shown]
	ds_read2_b32 v[54:55], v21 offset0:33 offset1:34
	ds_read2_b32 v[56:57], v21 offset0:35 offset1:36
	;; [unrolled: 1-line block ×4, first 2 shown]
	s_waitcnt vmcnt(8) lgkmcnt(4)
	v_pk_fma_f32 v[26:27], v[48:49], v[60:61], v[26:27] op_sel_hi:[0,1,1] neg_lo:[1,0,0] neg_hi:[1,0,0]
	s_waitcnt vmcnt(6) lgkmcnt(3)
	v_pk_fma_f32 v[46:47], v[48:49], v[54:55], v[46:47] op_sel_hi:[0,1,1] neg_lo:[1,0,0] neg_hi:[1,0,0]
	;; [unrolled: 2-line block ×5, first 2 shown]
	v_mov_b32_e32 v17, v48
.LBB80_420:
	s_or_b64 exec, exec, s[0:1]
	v_lshl_add_u32 v48, v51, 2, v21
	s_barrier
	s_waitcnt vmcnt(15)
	ds_write_b32 v48, v42
	s_waitcnt lgkmcnt(0)
	s_barrier
	ds_read_b32 v50, v21 offset:100
	s_cmp_lt_i32 s22, 27
	v_mov_b32_e32 v48, 25
	s_cbranch_scc1 .LBB80_423
; %bb.421:
	v_add_u32_e32 v53, 0x68, v21
	v_mov_b32_e32 v48, 25
	s_mov_b32 s0, 26
.LBB80_422:                             ; =>This Inner Loop Header: Depth=1
	ds_read_b32 v54, v53
	v_mov_b32_e32 v55, s0
	s_add_i32 s0, s0, 1
	v_add_u32_e32 v53, 4, v53
	s_cmp_lg_u32 s22, s0
	s_waitcnt lgkmcnt(0)
	v_cmp_lt_f32_e64 vcc, |v50|, |v54|
	s_nop 1
	v_cndmask_b32_e32 v50, v50, v54, vcc
	v_cndmask_b32_e32 v48, v48, v55, vcc
	s_cbranch_scc1 .LBB80_422
.LBB80_423:
	s_waitcnt lgkmcnt(0)
	v_cmp_eq_f32_e32 vcc, 0, v50
	s_and_saveexec_b64 s[0:1], vcc
	s_xor_b64 s[0:1], exec, s[0:1]
; %bb.424:
	v_cmp_ne_u32_e32 vcc, 0, v52
	s_nop 1
	v_cndmask_b32_e32 v52, 26, v52, vcc
; %bb.425:
	s_andn2_saveexec_b64 s[0:1], s[0:1]
	s_cbranch_execz .LBB80_427
; %bb.426:
	v_div_scale_f32 v53, s[2:3], v50, v50, 1.0
	v_rcp_f32_e32 v54, v53
	v_div_scale_f32 v55, vcc, 1.0, v50, 1.0
	v_fma_f32 v56, -v53, v54, 1.0
	v_fmac_f32_e32 v54, v56, v54
	v_mul_f32_e32 v56, v55, v54
	v_fma_f32 v57, -v53, v56, v55
	v_fmac_f32_e32 v56, v57, v54
	v_fma_f32 v53, -v53, v56, v55
	v_div_fmas_f32 v53, v53, v54, v56
	v_div_fixup_f32 v50, v53, v50, 1.0
.LBB80_427:
	s_or_b64 exec, exec, s[0:1]
	v_cmp_ne_u32_e32 vcc, v51, v48
	s_and_saveexec_b64 s[0:1], vcc
	s_xor_b64 s[0:1], exec, s[0:1]
	s_cbranch_execz .LBB80_433
; %bb.428:
	v_cmp_eq_u32_e32 vcc, 25, v51
	s_and_saveexec_b64 s[2:3], vcc
	s_cbranch_execz .LBB80_432
; %bb.429:
	v_cmp_ne_u32_e32 vcc, 25, v48
	s_xor_b64 s[18:19], s[16:17], -1
	s_and_b64 s[20:21], s[18:19], vcc
	s_and_saveexec_b64 s[18:19], s[20:21]
	s_cbranch_execz .LBB80_431
; %bb.430:
	v_ashrrev_i32_e32 v49, 31, v48
	v_lshl_add_u64 v[54:55], v[48:49], 2, v[22:23]
	global_load_dword v49, v[54:55], off
	global_load_dword v51, v[22:23], off offset:100
	s_waitcnt vmcnt(1)
	global_store_dword v[22:23], v49, off offset:100
	s_waitcnt vmcnt(1)
	global_store_dword v[54:55], v51, off
.LBB80_431:
	s_or_b64 exec, exec, s[18:19]
	v_mov_b32_e32 v49, v48
	v_mov_b32_e32 v51, v48
.LBB80_432:
	s_or_b64 exec, exec, s[2:3]
.LBB80_433:
	s_andn2_saveexec_b64 s[0:1], s[0:1]
	s_cbranch_execz .LBB80_435
; %bb.434:
	s_waitcnt vmcnt(12)
	v_pk_mov_b32 v[54:55], v[42:43], v[36:37] op_sel:[1,0]
	ds_write2_b32 v21, v54, v55 offset0:26 offset1:27
	s_waitcnt vmcnt(10)
	v_pk_mov_b32 v[54:55], v[36:37], v[32:33] op_sel:[1,0]
	ds_write2_b32 v21, v54, v55 offset0:28 offset1:29
	;; [unrolled: 3-line block ×6, first 2 shown]
	s_waitcnt vmcnt(0)
	v_pk_mov_b32 v[54:55], v[40:41], v[38:39] op_sel:[1,0]
	v_mov_b32_e32 v51, 25
	ds_write2_b32 v21, v54, v55 offset0:38 offset1:39
	ds_write_b32 v21, v39 offset:160
.LBB80_435:
	s_or_b64 exec, exec, s[0:1]
	v_cmp_lt_i32_e32 vcc, 25, v51
	s_waitcnt lgkmcnt(0)
	s_barrier
	s_and_saveexec_b64 s[0:1], vcc
	s_cbranch_execz .LBB80_437
; %bb.436:
	ds_read_b32 v48, v21 offset:104
	ds_read2_b32 v[54:55], v21 offset0:27 offset1:28
	ds_read2_b32 v[56:57], v21 offset0:29 offset1:30
	v_mul_f32_e32 v42, v50, v42
	ds_read2_b32 v[58:59], v21 offset0:31 offset1:32
	s_waitcnt vmcnt(14) lgkmcnt(3)
	v_fma_f32 v43, -v42, v48, v43
	s_waitcnt vmcnt(12) lgkmcnt(2)
	v_pk_fma_f32 v[36:37], v[42:43], v[54:55], v[36:37] op_sel_hi:[0,1,1] neg_lo:[1,0,0] neg_hi:[1,0,0]
	s_waitcnt vmcnt(10) lgkmcnt(1)
	v_pk_fma_f32 v[32:33], v[42:43], v[56:57], v[32:33] op_sel_hi:[0,1,1] neg_lo:[1,0,0] neg_hi:[1,0,0]
	ds_read2_b32 v[54:55], v21 offset0:33 offset1:34
	ds_read2_b32 v[56:57], v21 offset0:35 offset1:36
	;; [unrolled: 1-line block ×4, first 2 shown]
	s_waitcnt vmcnt(8) lgkmcnt(4)
	v_pk_fma_f32 v[26:27], v[42:43], v[58:59], v[26:27] op_sel_hi:[0,1,1] neg_lo:[1,0,0] neg_hi:[1,0,0]
	s_waitcnt vmcnt(6) lgkmcnt(3)
	v_pk_fma_f32 v[46:47], v[42:43], v[54:55], v[46:47] op_sel_hi:[0,1,1] neg_lo:[1,0,0] neg_hi:[1,0,0]
	;; [unrolled: 2-line block ×5, first 2 shown]
.LBB80_437:
	s_or_b64 exec, exec, s[0:1]
	v_lshl_add_u32 v48, v51, 2, v21
	s_barrier
	s_waitcnt vmcnt(14)
	ds_write_b32 v48, v43
	s_waitcnt lgkmcnt(0)
	s_barrier
	ds_read_b32 v50, v21 offset:104
	s_cmp_lt_i32 s22, 28
	v_mov_b32_e32 v48, 26
	s_cbranch_scc1 .LBB80_440
; %bb.438:
	v_add_u32_e32 v53, 0x6c, v21
	v_mov_b32_e32 v48, 26
	s_mov_b32 s0, 27
.LBB80_439:                             ; =>This Inner Loop Header: Depth=1
	ds_read_b32 v54, v53
	v_mov_b32_e32 v55, s0
	s_add_i32 s0, s0, 1
	v_add_u32_e32 v53, 4, v53
	s_cmp_lg_u32 s22, s0
	s_waitcnt lgkmcnt(0)
	v_cmp_lt_f32_e64 vcc, |v50|, |v54|
	s_nop 1
	v_cndmask_b32_e32 v50, v50, v54, vcc
	v_cndmask_b32_e32 v48, v48, v55, vcc
	s_cbranch_scc1 .LBB80_439
.LBB80_440:
	s_waitcnt lgkmcnt(0)
	v_cmp_eq_f32_e32 vcc, 0, v50
	s_and_saveexec_b64 s[0:1], vcc
	s_xor_b64 s[0:1], exec, s[0:1]
; %bb.441:
	v_cmp_ne_u32_e32 vcc, 0, v52
	s_nop 1
	v_cndmask_b32_e32 v52, 27, v52, vcc
; %bb.442:
	s_andn2_saveexec_b64 s[0:1], s[0:1]
	s_cbranch_execz .LBB80_444
; %bb.443:
	v_div_scale_f32 v53, s[2:3], v50, v50, 1.0
	v_rcp_f32_e32 v54, v53
	v_div_scale_f32 v55, vcc, 1.0, v50, 1.0
	v_fma_f32 v56, -v53, v54, 1.0
	v_fmac_f32_e32 v54, v56, v54
	v_mul_f32_e32 v56, v55, v54
	v_fma_f32 v57, -v53, v56, v55
	v_fmac_f32_e32 v56, v57, v54
	v_fma_f32 v53, -v53, v56, v55
	v_div_fmas_f32 v53, v53, v54, v56
	v_div_fixup_f32 v50, v53, v50, 1.0
.LBB80_444:
	s_or_b64 exec, exec, s[0:1]
	v_cmp_ne_u32_e32 vcc, v51, v48
	s_and_saveexec_b64 s[0:1], vcc
	s_xor_b64 s[0:1], exec, s[0:1]
	s_cbranch_execz .LBB80_450
; %bb.445:
	v_cmp_eq_u32_e32 vcc, 26, v51
	s_and_saveexec_b64 s[2:3], vcc
	s_cbranch_execz .LBB80_449
; %bb.446:
	v_cmp_ne_u32_e32 vcc, 26, v48
	s_xor_b64 s[18:19], s[16:17], -1
	s_and_b64 s[20:21], s[18:19], vcc
	s_and_saveexec_b64 s[18:19], s[20:21]
	s_cbranch_execz .LBB80_448
; %bb.447:
	v_ashrrev_i32_e32 v49, 31, v48
	v_lshl_add_u64 v[54:55], v[48:49], 2, v[22:23]
	global_load_dword v49, v[54:55], off
	global_load_dword v51, v[22:23], off offset:104
	s_waitcnt vmcnt(1)
	global_store_dword v[22:23], v49, off offset:104
	s_waitcnt vmcnt(1)
	global_store_dword v[54:55], v51, off
.LBB80_448:
	s_or_b64 exec, exec, s[18:19]
	v_mov_b32_e32 v49, v48
	v_mov_b32_e32 v51, v48
.LBB80_449:
	s_or_b64 exec, exec, s[2:3]
.LBB80_450:
	s_andn2_saveexec_b64 s[0:1], s[0:1]
	s_cbranch_execz .LBB80_452
; %bb.451:
	v_mov_b32_e32 v51, 26
	s_waitcnt vmcnt(12)
	ds_write2_b32 v21, v36, v37 offset0:27 offset1:28
	s_waitcnt vmcnt(10)
	ds_write2_b32 v21, v32, v33 offset0:29 offset1:30
	;; [unrolled: 2-line block ×7, first 2 shown]
.LBB80_452:
	s_or_b64 exec, exec, s[0:1]
	v_cmp_lt_i32_e32 vcc, 26, v51
	s_waitcnt lgkmcnt(0)
	s_barrier
	s_and_saveexec_b64 s[0:1], vcc
	s_cbranch_execz .LBB80_454
; %bb.453:
	ds_read2_b32 v[54:55], v21 offset0:27 offset1:28
	ds_read2_b32 v[56:57], v21 offset0:29 offset1:30
	v_mul_f32_e32 v48, v50, v43
	ds_read2_b32 v[58:59], v21 offset0:31 offset1:32
	ds_read2_b32 v[60:61], v21 offset0:33 offset1:34
	v_mov_b32_e32 v43, v48
	s_waitcnt vmcnt(12) lgkmcnt(3)
	v_pk_fma_f32 v[36:37], v[48:49], v[54:55], v[36:37] op_sel_hi:[0,1,1] neg_lo:[1,0,0] neg_hi:[1,0,0]
	s_waitcnt vmcnt(10) lgkmcnt(2)
	v_pk_fma_f32 v[32:33], v[48:49], v[56:57], v[32:33] op_sel_hi:[0,1,1] neg_lo:[1,0,0] neg_hi:[1,0,0]
	ds_read2_b32 v[54:55], v21 offset0:35 offset1:36
	ds_read2_b32 v[56:57], v21 offset0:37 offset1:38
	;; [unrolled: 1-line block ×3, first 2 shown]
	s_waitcnt vmcnt(8) lgkmcnt(4)
	v_pk_fma_f32 v[26:27], v[48:49], v[58:59], v[26:27] op_sel_hi:[0,1,1] neg_lo:[1,0,0] neg_hi:[1,0,0]
	s_waitcnt vmcnt(6) lgkmcnt(3)
	v_pk_fma_f32 v[46:47], v[48:49], v[60:61], v[46:47] op_sel_hi:[0,1,1] neg_lo:[1,0,0] neg_hi:[1,0,0]
	;; [unrolled: 2-line block ×5, first 2 shown]
.LBB80_454:
	s_or_b64 exec, exec, s[0:1]
	v_lshl_add_u32 v48, v51, 2, v21
	s_barrier
	s_waitcnt vmcnt(13)
	ds_write_b32 v48, v36
	s_waitcnt lgkmcnt(0)
	s_barrier
	ds_read_b32 v50, v21 offset:108
	s_cmp_lt_i32 s22, 29
	v_mov_b32_e32 v48, 27
	s_cbranch_scc1 .LBB80_457
; %bb.455:
	v_add_u32_e32 v53, 0x70, v21
	v_mov_b32_e32 v48, 27
	s_mov_b32 s0, 28
.LBB80_456:                             ; =>This Inner Loop Header: Depth=1
	ds_read_b32 v54, v53
	v_mov_b32_e32 v55, s0
	s_add_i32 s0, s0, 1
	v_add_u32_e32 v53, 4, v53
	s_cmp_lg_u32 s22, s0
	s_waitcnt lgkmcnt(0)
	v_cmp_lt_f32_e64 vcc, |v50|, |v54|
	s_nop 1
	v_cndmask_b32_e32 v50, v50, v54, vcc
	v_cndmask_b32_e32 v48, v48, v55, vcc
	s_cbranch_scc1 .LBB80_456
.LBB80_457:
	s_waitcnt lgkmcnt(0)
	v_cmp_eq_f32_e32 vcc, 0, v50
	s_and_saveexec_b64 s[0:1], vcc
	s_xor_b64 s[0:1], exec, s[0:1]
; %bb.458:
	v_cmp_ne_u32_e32 vcc, 0, v52
	s_nop 1
	v_cndmask_b32_e32 v52, 28, v52, vcc
; %bb.459:
	s_andn2_saveexec_b64 s[0:1], s[0:1]
	s_cbranch_execz .LBB80_461
; %bb.460:
	v_div_scale_f32 v53, s[2:3], v50, v50, 1.0
	v_rcp_f32_e32 v54, v53
	v_div_scale_f32 v55, vcc, 1.0, v50, 1.0
	v_fma_f32 v56, -v53, v54, 1.0
	v_fmac_f32_e32 v54, v56, v54
	v_mul_f32_e32 v56, v55, v54
	v_fma_f32 v57, -v53, v56, v55
	v_fmac_f32_e32 v56, v57, v54
	v_fma_f32 v53, -v53, v56, v55
	v_div_fmas_f32 v53, v53, v54, v56
	v_div_fixup_f32 v50, v53, v50, 1.0
.LBB80_461:
	s_or_b64 exec, exec, s[0:1]
	v_cmp_ne_u32_e32 vcc, v51, v48
	s_and_saveexec_b64 s[0:1], vcc
	s_xor_b64 s[0:1], exec, s[0:1]
	s_cbranch_execz .LBB80_467
; %bb.462:
	v_cmp_eq_u32_e32 vcc, 27, v51
	s_and_saveexec_b64 s[2:3], vcc
	s_cbranch_execz .LBB80_466
; %bb.463:
	v_cmp_ne_u32_e32 vcc, 27, v48
	s_xor_b64 s[18:19], s[16:17], -1
	s_and_b64 s[20:21], s[18:19], vcc
	s_and_saveexec_b64 s[18:19], s[20:21]
	s_cbranch_execz .LBB80_465
; %bb.464:
	v_ashrrev_i32_e32 v49, 31, v48
	v_lshl_add_u64 v[54:55], v[48:49], 2, v[22:23]
	global_load_dword v49, v[54:55], off
	global_load_dword v51, v[22:23], off offset:108
	s_waitcnt vmcnt(1)
	global_store_dword v[22:23], v49, off offset:108
	s_waitcnt vmcnt(1)
	global_store_dword v[54:55], v51, off
.LBB80_465:
	s_or_b64 exec, exec, s[18:19]
	v_mov_b32_e32 v49, v48
	v_mov_b32_e32 v51, v48
.LBB80_466:
	s_or_b64 exec, exec, s[2:3]
.LBB80_467:
	s_andn2_saveexec_b64 s[0:1], s[0:1]
	s_cbranch_execz .LBB80_469
; %bb.468:
	s_waitcnt vmcnt(10)
	v_pk_mov_b32 v[54:55], v[36:37], v[32:33] op_sel:[1,0]
	ds_write2_b32 v21, v54, v55 offset0:28 offset1:29
	s_waitcnt vmcnt(8)
	v_pk_mov_b32 v[54:55], v[32:33], v[26:27] op_sel:[1,0]
	ds_write2_b32 v21, v54, v55 offset0:30 offset1:31
	;; [unrolled: 3-line block ×5, first 2 shown]
	s_waitcnt vmcnt(0)
	v_pk_mov_b32 v[54:55], v[40:41], v[38:39] op_sel:[1,0]
	v_mov_b32_e32 v51, 27
	ds_write2_b32 v21, v54, v55 offset0:38 offset1:39
	ds_write_b32 v21, v39 offset:160
.LBB80_469:
	s_or_b64 exec, exec, s[0:1]
	v_cmp_lt_i32_e32 vcc, 27, v51
	s_waitcnt lgkmcnt(0)
	s_barrier
	s_and_saveexec_b64 s[0:1], vcc
	s_cbranch_execz .LBB80_471
; %bb.470:
	ds_read_b32 v48, v21 offset:112
	ds_read2_b32 v[54:55], v21 offset0:29 offset1:30
	v_mul_f32_e32 v36, v50, v36
	ds_read2_b32 v[56:57], v21 offset0:31 offset1:32
	ds_read2_b32 v[58:59], v21 offset0:33 offset1:34
	s_waitcnt vmcnt(12) lgkmcnt(3)
	v_fma_f32 v37, -v36, v48, v37
	s_waitcnt vmcnt(10) lgkmcnt(2)
	v_pk_fma_f32 v[32:33], v[36:37], v[54:55], v[32:33] op_sel_hi:[0,1,1] neg_lo:[1,0,0] neg_hi:[1,0,0]
	ds_read2_b32 v[54:55], v21 offset0:35 offset1:36
	ds_read2_b32 v[60:61], v21 offset0:37 offset1:38
	;; [unrolled: 1-line block ×3, first 2 shown]
	s_waitcnt vmcnt(8) lgkmcnt(4)
	v_pk_fma_f32 v[26:27], v[36:37], v[56:57], v[26:27] op_sel_hi:[0,1,1] neg_lo:[1,0,0] neg_hi:[1,0,0]
	s_waitcnt vmcnt(6) lgkmcnt(3)
	v_pk_fma_f32 v[46:47], v[36:37], v[58:59], v[46:47] op_sel_hi:[0,1,1] neg_lo:[1,0,0] neg_hi:[1,0,0]
	;; [unrolled: 2-line block ×5, first 2 shown]
.LBB80_471:
	s_or_b64 exec, exec, s[0:1]
	v_lshl_add_u32 v48, v51, 2, v21
	s_barrier
	s_waitcnt vmcnt(12)
	ds_write_b32 v48, v37
	s_waitcnt lgkmcnt(0)
	s_barrier
	ds_read_b32 v50, v21 offset:112
	s_cmp_lt_i32 s22, 30
	v_mov_b32_e32 v48, 28
	s_cbranch_scc1 .LBB80_474
; %bb.472:
	v_add_u32_e32 v53, 0x74, v21
	v_mov_b32_e32 v48, 28
	s_mov_b32 s0, 29
.LBB80_473:                             ; =>This Inner Loop Header: Depth=1
	ds_read_b32 v54, v53
	v_mov_b32_e32 v55, s0
	s_add_i32 s0, s0, 1
	v_add_u32_e32 v53, 4, v53
	s_cmp_lg_u32 s22, s0
	s_waitcnt lgkmcnt(0)
	v_cmp_lt_f32_e64 vcc, |v50|, |v54|
	s_nop 1
	v_cndmask_b32_e32 v50, v50, v54, vcc
	v_cndmask_b32_e32 v48, v48, v55, vcc
	s_cbranch_scc1 .LBB80_473
.LBB80_474:
	s_waitcnt lgkmcnt(0)
	v_cmp_eq_f32_e32 vcc, 0, v50
	s_and_saveexec_b64 s[0:1], vcc
	s_xor_b64 s[0:1], exec, s[0:1]
; %bb.475:
	v_cmp_ne_u32_e32 vcc, 0, v52
	s_nop 1
	v_cndmask_b32_e32 v52, 29, v52, vcc
; %bb.476:
	s_andn2_saveexec_b64 s[0:1], s[0:1]
	s_cbranch_execz .LBB80_478
; %bb.477:
	v_div_scale_f32 v53, s[2:3], v50, v50, 1.0
	v_rcp_f32_e32 v54, v53
	v_div_scale_f32 v55, vcc, 1.0, v50, 1.0
	v_fma_f32 v56, -v53, v54, 1.0
	v_fmac_f32_e32 v54, v56, v54
	v_mul_f32_e32 v56, v55, v54
	v_fma_f32 v57, -v53, v56, v55
	v_fmac_f32_e32 v56, v57, v54
	v_fma_f32 v53, -v53, v56, v55
	v_div_fmas_f32 v53, v53, v54, v56
	v_div_fixup_f32 v50, v53, v50, 1.0
.LBB80_478:
	s_or_b64 exec, exec, s[0:1]
	v_cmp_ne_u32_e32 vcc, v51, v48
	s_and_saveexec_b64 s[0:1], vcc
	s_xor_b64 s[0:1], exec, s[0:1]
	s_cbranch_execz .LBB80_484
; %bb.479:
	v_cmp_eq_u32_e32 vcc, 28, v51
	s_and_saveexec_b64 s[2:3], vcc
	s_cbranch_execz .LBB80_483
; %bb.480:
	v_cmp_ne_u32_e32 vcc, 28, v48
	s_xor_b64 s[18:19], s[16:17], -1
	s_and_b64 s[20:21], s[18:19], vcc
	s_and_saveexec_b64 s[18:19], s[20:21]
	s_cbranch_execz .LBB80_482
; %bb.481:
	v_ashrrev_i32_e32 v49, 31, v48
	v_lshl_add_u64 v[54:55], v[48:49], 2, v[22:23]
	global_load_dword v49, v[54:55], off
	global_load_dword v51, v[22:23], off offset:112
	s_waitcnt vmcnt(1)
	global_store_dword v[22:23], v49, off offset:112
	s_waitcnt vmcnt(1)
	global_store_dword v[54:55], v51, off
.LBB80_482:
	s_or_b64 exec, exec, s[18:19]
	v_mov_b32_e32 v49, v48
	v_mov_b32_e32 v51, v48
.LBB80_483:
	s_or_b64 exec, exec, s[2:3]
.LBB80_484:
	s_andn2_saveexec_b64 s[0:1], s[0:1]
	s_cbranch_execz .LBB80_486
; %bb.485:
	v_mov_b32_e32 v51, 28
	s_waitcnt vmcnt(10)
	ds_write2_b32 v21, v32, v33 offset0:29 offset1:30
	s_waitcnt vmcnt(8)
	ds_write2_b32 v21, v26, v27 offset0:31 offset1:32
	;; [unrolled: 2-line block ×6, first 2 shown]
.LBB80_486:
	s_or_b64 exec, exec, s[0:1]
	v_cmp_lt_i32_e32 vcc, 28, v51
	s_waitcnt lgkmcnt(0)
	s_barrier
	s_and_saveexec_b64 s[0:1], vcc
	s_cbranch_execz .LBB80_488
; %bb.487:
	ds_read2_b32 v[54:55], v21 offset0:29 offset1:30
	v_mul_f32_e32 v48, v50, v37
	ds_read2_b32 v[56:57], v21 offset0:31 offset1:32
	ds_read2_b32 v[58:59], v21 offset0:33 offset1:34
	;; [unrolled: 1-line block ×3, first 2 shown]
	v_mov_b32_e32 v37, v48
	s_waitcnt vmcnt(8) lgkmcnt(2)
	v_pk_fma_f32 v[26:27], v[48:49], v[56:57], v[26:27] op_sel_hi:[0,1,1] neg_lo:[1,0,0] neg_hi:[1,0,0]
	v_pk_fma_f32 v[32:33], v[48:49], v[54:55], v[32:33] op_sel_hi:[0,1,1] neg_lo:[1,0,0] neg_hi:[1,0,0]
	ds_read2_b32 v[54:55], v21 offset0:37 offset1:38
	ds_read2_b32 v[62:63], v21 offset0:39 offset1:40
	s_waitcnt vmcnt(6) lgkmcnt(3)
	v_pk_fma_f32 v[46:47], v[48:49], v[58:59], v[46:47] op_sel_hi:[0,1,1] neg_lo:[1,0,0] neg_hi:[1,0,0]
	s_waitcnt vmcnt(4) lgkmcnt(2)
	v_pk_fma_f32 v[44:45], v[48:49], v[60:61], v[44:45] op_sel_hi:[0,1,1] neg_lo:[1,0,0] neg_hi:[1,0,0]
	;; [unrolled: 2-line block ×4, first 2 shown]
.LBB80_488:
	s_or_b64 exec, exec, s[0:1]
	v_lshl_add_u32 v48, v51, 2, v21
	s_barrier
	s_waitcnt vmcnt(11)
	ds_write_b32 v48, v32
	s_waitcnt lgkmcnt(0)
	s_barrier
	ds_read_b32 v50, v21 offset:116
	s_cmp_lt_i32 s22, 31
	v_mov_b32_e32 v48, 29
	s_cbranch_scc1 .LBB80_491
; %bb.489:
	v_add_u32_e32 v53, 0x78, v21
	v_mov_b32_e32 v48, 29
	s_mov_b32 s0, 30
.LBB80_490:                             ; =>This Inner Loop Header: Depth=1
	ds_read_b32 v54, v53
	v_mov_b32_e32 v55, s0
	s_add_i32 s0, s0, 1
	v_add_u32_e32 v53, 4, v53
	s_cmp_lg_u32 s22, s0
	s_waitcnt lgkmcnt(0)
	v_cmp_lt_f32_e64 vcc, |v50|, |v54|
	s_nop 1
	v_cndmask_b32_e32 v50, v50, v54, vcc
	v_cndmask_b32_e32 v48, v48, v55, vcc
	s_cbranch_scc1 .LBB80_490
.LBB80_491:
	s_waitcnt lgkmcnt(0)
	v_cmp_eq_f32_e32 vcc, 0, v50
	s_and_saveexec_b64 s[0:1], vcc
	s_xor_b64 s[0:1], exec, s[0:1]
; %bb.492:
	v_cmp_ne_u32_e32 vcc, 0, v52
	s_nop 1
	v_cndmask_b32_e32 v52, 30, v52, vcc
; %bb.493:
	s_andn2_saveexec_b64 s[0:1], s[0:1]
	s_cbranch_execz .LBB80_495
; %bb.494:
	v_div_scale_f32 v53, s[2:3], v50, v50, 1.0
	v_rcp_f32_e32 v54, v53
	v_div_scale_f32 v55, vcc, 1.0, v50, 1.0
	v_fma_f32 v56, -v53, v54, 1.0
	v_fmac_f32_e32 v54, v56, v54
	v_mul_f32_e32 v56, v55, v54
	v_fma_f32 v57, -v53, v56, v55
	v_fmac_f32_e32 v56, v57, v54
	v_fma_f32 v53, -v53, v56, v55
	v_div_fmas_f32 v53, v53, v54, v56
	v_div_fixup_f32 v50, v53, v50, 1.0
.LBB80_495:
	s_or_b64 exec, exec, s[0:1]
	v_cmp_ne_u32_e32 vcc, v51, v48
	s_and_saveexec_b64 s[0:1], vcc
	s_xor_b64 s[0:1], exec, s[0:1]
	s_cbranch_execz .LBB80_501
; %bb.496:
	v_cmp_eq_u32_e32 vcc, 29, v51
	s_and_saveexec_b64 s[2:3], vcc
	s_cbranch_execz .LBB80_500
; %bb.497:
	v_cmp_ne_u32_e32 vcc, 29, v48
	s_xor_b64 s[18:19], s[16:17], -1
	s_and_b64 s[20:21], s[18:19], vcc
	s_and_saveexec_b64 s[18:19], s[20:21]
	s_cbranch_execz .LBB80_499
; %bb.498:
	v_ashrrev_i32_e32 v49, 31, v48
	v_lshl_add_u64 v[54:55], v[48:49], 2, v[22:23]
	global_load_dword v49, v[54:55], off
	global_load_dword v51, v[22:23], off offset:116
	s_waitcnt vmcnt(1)
	global_store_dword v[22:23], v49, off offset:116
	s_waitcnt vmcnt(1)
	global_store_dword v[54:55], v51, off
.LBB80_499:
	s_or_b64 exec, exec, s[18:19]
	v_mov_b32_e32 v49, v48
	v_mov_b32_e32 v51, v48
.LBB80_500:
	s_or_b64 exec, exec, s[2:3]
.LBB80_501:
	s_andn2_saveexec_b64 s[0:1], s[0:1]
	s_cbranch_execz .LBB80_503
; %bb.502:
	s_waitcnt vmcnt(8)
	v_pk_mov_b32 v[54:55], v[32:33], v[26:27] op_sel:[1,0]
	ds_write2_b32 v21, v54, v55 offset0:30 offset1:31
	s_waitcnt vmcnt(6)
	v_pk_mov_b32 v[54:55], v[26:27], v[46:47] op_sel:[1,0]
	ds_write2_b32 v21, v54, v55 offset0:32 offset1:33
	;; [unrolled: 3-line block ×4, first 2 shown]
	s_waitcnt vmcnt(0)
	v_pk_mov_b32 v[54:55], v[40:41], v[38:39] op_sel:[1,0]
	v_mov_b32_e32 v51, 29
	ds_write2_b32 v21, v54, v55 offset0:38 offset1:39
	ds_write_b32 v21, v39 offset:160
.LBB80_503:
	s_or_b64 exec, exec, s[0:1]
	v_cmp_lt_i32_e32 vcc, 29, v51
	s_waitcnt lgkmcnt(0)
	s_barrier
	s_and_saveexec_b64 s[0:1], vcc
	s_cbranch_execz .LBB80_505
; %bb.504:
	ds_read_b32 v48, v21 offset:120
	ds_read2_b32 v[54:55], v21 offset0:31 offset1:32
	ds_read2_b32 v[56:57], v21 offset0:33 offset1:34
	;; [unrolled: 1-line block ×5, first 2 shown]
	v_mul_f32_e32 v32, v50, v32
	s_waitcnt vmcnt(10) lgkmcnt(5)
	v_fma_f32 v33, -v32, v48, v33
	s_waitcnt vmcnt(8) lgkmcnt(4)
	v_pk_fma_f32 v[26:27], v[32:33], v[54:55], v[26:27] op_sel_hi:[0,1,1] neg_lo:[1,0,0] neg_hi:[1,0,0]
	s_waitcnt vmcnt(6) lgkmcnt(3)
	v_pk_fma_f32 v[46:47], v[32:33], v[56:57], v[46:47] op_sel_hi:[0,1,1] neg_lo:[1,0,0] neg_hi:[1,0,0]
	;; [unrolled: 2-line block ×5, first 2 shown]
.LBB80_505:
	s_or_b64 exec, exec, s[0:1]
	v_lshl_add_u32 v48, v51, 2, v21
	s_barrier
	s_waitcnt vmcnt(10)
	ds_write_b32 v48, v33
	s_waitcnt lgkmcnt(0)
	s_barrier
	ds_read_b32 v50, v21 offset:120
	s_cmp_lt_i32 s22, 32
	v_mov_b32_e32 v48, 30
	s_cbranch_scc1 .LBB80_508
; %bb.506:
	v_add_u32_e32 v53, 0x7c, v21
	v_mov_b32_e32 v48, 30
	s_mov_b32 s0, 31
.LBB80_507:                             ; =>This Inner Loop Header: Depth=1
	ds_read_b32 v54, v53
	v_mov_b32_e32 v55, s0
	s_add_i32 s0, s0, 1
	v_add_u32_e32 v53, 4, v53
	s_cmp_lg_u32 s22, s0
	s_waitcnt lgkmcnt(0)
	v_cmp_lt_f32_e64 vcc, |v50|, |v54|
	s_nop 1
	v_cndmask_b32_e32 v50, v50, v54, vcc
	v_cndmask_b32_e32 v48, v48, v55, vcc
	s_cbranch_scc1 .LBB80_507
.LBB80_508:
	s_waitcnt lgkmcnt(0)
	v_cmp_eq_f32_e32 vcc, 0, v50
	s_and_saveexec_b64 s[0:1], vcc
	s_xor_b64 s[0:1], exec, s[0:1]
; %bb.509:
	v_cmp_ne_u32_e32 vcc, 0, v52
	s_nop 1
	v_cndmask_b32_e32 v52, 31, v52, vcc
; %bb.510:
	s_andn2_saveexec_b64 s[0:1], s[0:1]
	s_cbranch_execz .LBB80_512
; %bb.511:
	v_div_scale_f32 v53, s[2:3], v50, v50, 1.0
	v_rcp_f32_e32 v54, v53
	v_div_scale_f32 v55, vcc, 1.0, v50, 1.0
	v_fma_f32 v56, -v53, v54, 1.0
	v_fmac_f32_e32 v54, v56, v54
	v_mul_f32_e32 v56, v55, v54
	v_fma_f32 v57, -v53, v56, v55
	v_fmac_f32_e32 v56, v57, v54
	v_fma_f32 v53, -v53, v56, v55
	v_div_fmas_f32 v53, v53, v54, v56
	v_div_fixup_f32 v50, v53, v50, 1.0
.LBB80_512:
	s_or_b64 exec, exec, s[0:1]
	v_cmp_ne_u32_e32 vcc, v51, v48
	s_and_saveexec_b64 s[0:1], vcc
	s_xor_b64 s[0:1], exec, s[0:1]
	s_cbranch_execz .LBB80_518
; %bb.513:
	v_cmp_eq_u32_e32 vcc, 30, v51
	s_and_saveexec_b64 s[2:3], vcc
	s_cbranch_execz .LBB80_517
; %bb.514:
	v_cmp_ne_u32_e32 vcc, 30, v48
	s_xor_b64 s[18:19], s[16:17], -1
	s_and_b64 s[20:21], s[18:19], vcc
	s_and_saveexec_b64 s[18:19], s[20:21]
	s_cbranch_execz .LBB80_516
; %bb.515:
	v_ashrrev_i32_e32 v49, 31, v48
	v_lshl_add_u64 v[54:55], v[48:49], 2, v[22:23]
	global_load_dword v49, v[54:55], off
	global_load_dword v51, v[22:23], off offset:120
	s_waitcnt vmcnt(1)
	global_store_dword v[22:23], v49, off offset:120
	s_waitcnt vmcnt(1)
	global_store_dword v[54:55], v51, off
.LBB80_516:
	s_or_b64 exec, exec, s[18:19]
	v_mov_b32_e32 v49, v48
	v_mov_b32_e32 v51, v48
.LBB80_517:
	s_or_b64 exec, exec, s[2:3]
.LBB80_518:
	s_andn2_saveexec_b64 s[0:1], s[0:1]
	s_cbranch_execz .LBB80_520
; %bb.519:
	v_mov_b32_e32 v51, 30
	s_waitcnt vmcnt(8)
	ds_write2_b32 v21, v26, v27 offset0:31 offset1:32
	s_waitcnt vmcnt(6)
	ds_write2_b32 v21, v46, v47 offset0:33 offset1:34
	;; [unrolled: 2-line block ×5, first 2 shown]
.LBB80_520:
	s_or_b64 exec, exec, s[0:1]
	v_cmp_lt_i32_e32 vcc, 30, v51
	s_waitcnt lgkmcnt(0)
	s_barrier
	s_and_saveexec_b64 s[0:1], vcc
	s_cbranch_execz .LBB80_522
; %bb.521:
	ds_read2_b32 v[54:55], v21 offset0:31 offset1:32
	ds_read2_b32 v[56:57], v21 offset0:33 offset1:34
	;; [unrolled: 1-line block ×5, first 2 shown]
	v_mul_f32_e32 v48, v50, v33
	s_waitcnt vmcnt(8) lgkmcnt(4)
	v_pk_fma_f32 v[26:27], v[48:49], v[54:55], v[26:27] op_sel_hi:[0,1,1] neg_lo:[1,0,0] neg_hi:[1,0,0]
	s_waitcnt vmcnt(6) lgkmcnt(3)
	v_pk_fma_f32 v[46:47], v[48:49], v[56:57], v[46:47] op_sel_hi:[0,1,1] neg_lo:[1,0,0] neg_hi:[1,0,0]
	s_waitcnt vmcnt(4) lgkmcnt(2)
	v_pk_fma_f32 v[44:45], v[48:49], v[58:59], v[44:45] op_sel_hi:[0,1,1] neg_lo:[1,0,0] neg_hi:[1,0,0]
	s_waitcnt vmcnt(2) lgkmcnt(1)
	v_pk_fma_f32 v[40:41], v[48:49], v[60:61], v[40:41] op_sel_hi:[0,1,1] neg_lo:[1,0,0] neg_hi:[1,0,0]
	s_waitcnt vmcnt(0) lgkmcnt(0)
	v_pk_fma_f32 v[38:39], v[48:49], v[62:63], v[38:39] op_sel_hi:[0,1,1] neg_lo:[1,0,0] neg_hi:[1,0,0]
	v_mov_b32_e32 v33, v48
.LBB80_522:
	s_or_b64 exec, exec, s[0:1]
	v_lshl_add_u32 v48, v51, 2, v21
	s_barrier
	s_waitcnt vmcnt(9)
	ds_write_b32 v48, v26
	s_waitcnt lgkmcnt(0)
	s_barrier
	ds_read_b32 v50, v21 offset:124
	s_cmp_lt_i32 s22, 33
	v_mov_b32_e32 v48, 31
	s_cbranch_scc1 .LBB80_525
; %bb.523:
	v_add_u32_e32 v53, 0x80, v21
	v_mov_b32_e32 v48, 31
	s_mov_b32 s0, 32
.LBB80_524:                             ; =>This Inner Loop Header: Depth=1
	ds_read_b32 v54, v53
	v_mov_b32_e32 v55, s0
	s_add_i32 s0, s0, 1
	v_add_u32_e32 v53, 4, v53
	s_cmp_lg_u32 s22, s0
	s_waitcnt lgkmcnt(0)
	v_cmp_lt_f32_e64 vcc, |v50|, |v54|
	s_nop 1
	v_cndmask_b32_e32 v50, v50, v54, vcc
	v_cndmask_b32_e32 v48, v48, v55, vcc
	s_cbranch_scc1 .LBB80_524
.LBB80_525:
	s_waitcnt lgkmcnt(0)
	v_cmp_eq_f32_e32 vcc, 0, v50
	s_and_saveexec_b64 s[0:1], vcc
	s_xor_b64 s[0:1], exec, s[0:1]
; %bb.526:
	v_cmp_ne_u32_e32 vcc, 0, v52
	s_nop 1
	v_cndmask_b32_e32 v52, 32, v52, vcc
; %bb.527:
	s_andn2_saveexec_b64 s[0:1], s[0:1]
	s_cbranch_execz .LBB80_529
; %bb.528:
	v_div_scale_f32 v53, s[2:3], v50, v50, 1.0
	v_rcp_f32_e32 v54, v53
	v_div_scale_f32 v55, vcc, 1.0, v50, 1.0
	v_fma_f32 v56, -v53, v54, 1.0
	v_fmac_f32_e32 v54, v56, v54
	v_mul_f32_e32 v56, v55, v54
	v_fma_f32 v57, -v53, v56, v55
	v_fmac_f32_e32 v56, v57, v54
	v_fma_f32 v53, -v53, v56, v55
	v_div_fmas_f32 v53, v53, v54, v56
	v_div_fixup_f32 v50, v53, v50, 1.0
.LBB80_529:
	s_or_b64 exec, exec, s[0:1]
	v_cmp_ne_u32_e32 vcc, v51, v48
	s_and_saveexec_b64 s[0:1], vcc
	s_xor_b64 s[0:1], exec, s[0:1]
	s_cbranch_execz .LBB80_535
; %bb.530:
	v_cmp_eq_u32_e32 vcc, 31, v51
	s_and_saveexec_b64 s[2:3], vcc
	s_cbranch_execz .LBB80_534
; %bb.531:
	v_cmp_ne_u32_e32 vcc, 31, v48
	s_xor_b64 s[18:19], s[16:17], -1
	s_and_b64 s[20:21], s[18:19], vcc
	s_and_saveexec_b64 s[18:19], s[20:21]
	s_cbranch_execz .LBB80_533
; %bb.532:
	v_ashrrev_i32_e32 v49, 31, v48
	v_lshl_add_u64 v[54:55], v[48:49], 2, v[22:23]
	global_load_dword v49, v[54:55], off
	global_load_dword v51, v[22:23], off offset:124
	s_waitcnt vmcnt(1)
	global_store_dword v[22:23], v49, off offset:124
	s_waitcnt vmcnt(1)
	global_store_dword v[54:55], v51, off
.LBB80_533:
	s_or_b64 exec, exec, s[18:19]
	v_mov_b32_e32 v49, v48
	v_mov_b32_e32 v51, v48
.LBB80_534:
	s_or_b64 exec, exec, s[2:3]
.LBB80_535:
	s_andn2_saveexec_b64 s[0:1], s[0:1]
	s_cbranch_execz .LBB80_537
; %bb.536:
	s_waitcnt vmcnt(6)
	v_pk_mov_b32 v[54:55], v[26:27], v[46:47] op_sel:[1,0]
	ds_write2_b32 v21, v54, v55 offset0:32 offset1:33
	s_waitcnt vmcnt(4)
	v_pk_mov_b32 v[54:55], v[46:47], v[44:45] op_sel:[1,0]
	ds_write2_b32 v21, v54, v55 offset0:34 offset1:35
	;; [unrolled: 3-line block ×3, first 2 shown]
	s_waitcnt vmcnt(0)
	v_pk_mov_b32 v[54:55], v[40:41], v[38:39] op_sel:[1,0]
	v_mov_b32_e32 v51, 31
	ds_write2_b32 v21, v54, v55 offset0:38 offset1:39
	ds_write_b32 v21, v39 offset:160
.LBB80_537:
	s_or_b64 exec, exec, s[0:1]
	v_cmp_lt_i32_e32 vcc, 31, v51
	s_waitcnt lgkmcnt(0)
	s_barrier
	s_and_saveexec_b64 s[0:1], vcc
	s_cbranch_execz .LBB80_539
; %bb.538:
	ds_read_b32 v48, v21 offset:128
	ds_read2_b32 v[54:55], v21 offset0:33 offset1:34
	ds_read2_b32 v[56:57], v21 offset0:35 offset1:36
	;; [unrolled: 1-line block ×4, first 2 shown]
	v_mul_f32_e32 v26, v50, v26
	s_waitcnt vmcnt(8) lgkmcnt(4)
	v_fma_f32 v27, -v26, v48, v27
	s_waitcnt vmcnt(6) lgkmcnt(3)
	v_pk_fma_f32 v[46:47], v[26:27], v[54:55], v[46:47] op_sel_hi:[0,1,1] neg_lo:[1,0,0] neg_hi:[1,0,0]
	s_waitcnt vmcnt(4) lgkmcnt(2)
	v_pk_fma_f32 v[44:45], v[26:27], v[56:57], v[44:45] op_sel_hi:[0,1,1] neg_lo:[1,0,0] neg_hi:[1,0,0]
	;; [unrolled: 2-line block ×4, first 2 shown]
.LBB80_539:
	s_or_b64 exec, exec, s[0:1]
	v_lshl_add_u32 v48, v51, 2, v21
	s_barrier
	s_waitcnt vmcnt(8)
	ds_write_b32 v48, v27
	s_waitcnt lgkmcnt(0)
	s_barrier
	ds_read_b32 v50, v21 offset:128
	s_cmp_lt_i32 s22, 34
	v_mov_b32_e32 v48, 32
	s_cbranch_scc1 .LBB80_542
; %bb.540:
	v_add_u32_e32 v53, 0x84, v21
	v_mov_b32_e32 v48, 32
	s_mov_b32 s0, 33
.LBB80_541:                             ; =>This Inner Loop Header: Depth=1
	ds_read_b32 v54, v53
	v_mov_b32_e32 v55, s0
	s_add_i32 s0, s0, 1
	v_add_u32_e32 v53, 4, v53
	s_cmp_lg_u32 s22, s0
	s_waitcnt lgkmcnt(0)
	v_cmp_lt_f32_e64 vcc, |v50|, |v54|
	s_nop 1
	v_cndmask_b32_e32 v50, v50, v54, vcc
	v_cndmask_b32_e32 v48, v48, v55, vcc
	s_cbranch_scc1 .LBB80_541
.LBB80_542:
	s_waitcnt lgkmcnt(0)
	v_cmp_eq_f32_e32 vcc, 0, v50
	s_and_saveexec_b64 s[0:1], vcc
	s_xor_b64 s[0:1], exec, s[0:1]
; %bb.543:
	v_cmp_ne_u32_e32 vcc, 0, v52
	s_nop 1
	v_cndmask_b32_e32 v52, 33, v52, vcc
; %bb.544:
	s_andn2_saveexec_b64 s[0:1], s[0:1]
	s_cbranch_execz .LBB80_546
; %bb.545:
	v_div_scale_f32 v53, s[2:3], v50, v50, 1.0
	v_rcp_f32_e32 v54, v53
	v_div_scale_f32 v55, vcc, 1.0, v50, 1.0
	v_fma_f32 v56, -v53, v54, 1.0
	v_fmac_f32_e32 v54, v56, v54
	v_mul_f32_e32 v56, v55, v54
	v_fma_f32 v57, -v53, v56, v55
	v_fmac_f32_e32 v56, v57, v54
	v_fma_f32 v53, -v53, v56, v55
	v_div_fmas_f32 v53, v53, v54, v56
	v_div_fixup_f32 v50, v53, v50, 1.0
.LBB80_546:
	s_or_b64 exec, exec, s[0:1]
	v_cmp_ne_u32_e32 vcc, v51, v48
	s_and_saveexec_b64 s[0:1], vcc
	s_xor_b64 s[0:1], exec, s[0:1]
	s_cbranch_execz .LBB80_552
; %bb.547:
	v_cmp_eq_u32_e32 vcc, 32, v51
	s_and_saveexec_b64 s[2:3], vcc
	s_cbranch_execz .LBB80_551
; %bb.548:
	v_cmp_ne_u32_e32 vcc, 32, v48
	s_xor_b64 s[18:19], s[16:17], -1
	s_and_b64 s[20:21], s[18:19], vcc
	s_and_saveexec_b64 s[18:19], s[20:21]
	s_cbranch_execz .LBB80_550
; %bb.549:
	v_ashrrev_i32_e32 v49, 31, v48
	v_lshl_add_u64 v[54:55], v[48:49], 2, v[22:23]
	global_load_dword v49, v[54:55], off
	global_load_dword v51, v[22:23], off offset:128
	s_waitcnt vmcnt(1)
	global_store_dword v[22:23], v49, off offset:128
	s_waitcnt vmcnt(1)
	global_store_dword v[54:55], v51, off
.LBB80_550:
	s_or_b64 exec, exec, s[18:19]
	v_mov_b32_e32 v49, v48
	v_mov_b32_e32 v51, v48
.LBB80_551:
	s_or_b64 exec, exec, s[2:3]
.LBB80_552:
	s_andn2_saveexec_b64 s[0:1], s[0:1]
	s_cbranch_execz .LBB80_554
; %bb.553:
	v_mov_b32_e32 v51, 32
	s_waitcnt vmcnt(6)
	ds_write2_b32 v21, v46, v47 offset0:33 offset1:34
	s_waitcnt vmcnt(4)
	ds_write2_b32 v21, v44, v45 offset0:35 offset1:36
	;; [unrolled: 2-line block ×4, first 2 shown]
.LBB80_554:
	s_or_b64 exec, exec, s[0:1]
	v_cmp_lt_i32_e32 vcc, 32, v51
	s_waitcnt lgkmcnt(0)
	s_barrier
	s_and_saveexec_b64 s[0:1], vcc
	s_cbranch_execz .LBB80_556
; %bb.555:
	ds_read2_b32 v[54:55], v21 offset0:33 offset1:34
	ds_read2_b32 v[56:57], v21 offset0:35 offset1:36
	;; [unrolled: 1-line block ×4, first 2 shown]
	v_mul_f32_e32 v48, v50, v27
	s_waitcnt vmcnt(6) lgkmcnt(3)
	v_pk_fma_f32 v[46:47], v[48:49], v[54:55], v[46:47] op_sel_hi:[0,1,1] neg_lo:[1,0,0] neg_hi:[1,0,0]
	s_waitcnt vmcnt(4) lgkmcnt(2)
	v_pk_fma_f32 v[44:45], v[48:49], v[56:57], v[44:45] op_sel_hi:[0,1,1] neg_lo:[1,0,0] neg_hi:[1,0,0]
	;; [unrolled: 2-line block ×4, first 2 shown]
	v_mov_b32_e32 v27, v48
.LBB80_556:
	s_or_b64 exec, exec, s[0:1]
	v_lshl_add_u32 v48, v51, 2, v21
	s_barrier
	s_waitcnt vmcnt(7)
	ds_write_b32 v48, v46
	s_waitcnt lgkmcnt(0)
	s_barrier
	ds_read_b32 v50, v21 offset:132
	s_cmp_lt_i32 s22, 35
	v_mov_b32_e32 v48, 33
	s_cbranch_scc1 .LBB80_559
; %bb.557:
	v_add_u32_e32 v53, 0x88, v21
	v_mov_b32_e32 v48, 33
	s_mov_b32 s0, 34
.LBB80_558:                             ; =>This Inner Loop Header: Depth=1
	ds_read_b32 v54, v53
	v_mov_b32_e32 v55, s0
	s_add_i32 s0, s0, 1
	v_add_u32_e32 v53, 4, v53
	s_cmp_lg_u32 s22, s0
	s_waitcnt lgkmcnt(0)
	v_cmp_lt_f32_e64 vcc, |v50|, |v54|
	s_nop 1
	v_cndmask_b32_e32 v50, v50, v54, vcc
	v_cndmask_b32_e32 v48, v48, v55, vcc
	s_cbranch_scc1 .LBB80_558
.LBB80_559:
	s_waitcnt lgkmcnt(0)
	v_cmp_eq_f32_e32 vcc, 0, v50
	s_and_saveexec_b64 s[0:1], vcc
	s_xor_b64 s[0:1], exec, s[0:1]
; %bb.560:
	v_cmp_ne_u32_e32 vcc, 0, v52
	s_nop 1
	v_cndmask_b32_e32 v52, 34, v52, vcc
; %bb.561:
	s_andn2_saveexec_b64 s[0:1], s[0:1]
	s_cbranch_execz .LBB80_563
; %bb.562:
	v_div_scale_f32 v53, s[2:3], v50, v50, 1.0
	v_rcp_f32_e32 v54, v53
	v_div_scale_f32 v55, vcc, 1.0, v50, 1.0
	v_fma_f32 v56, -v53, v54, 1.0
	v_fmac_f32_e32 v54, v56, v54
	v_mul_f32_e32 v56, v55, v54
	v_fma_f32 v57, -v53, v56, v55
	v_fmac_f32_e32 v56, v57, v54
	v_fma_f32 v53, -v53, v56, v55
	v_div_fmas_f32 v53, v53, v54, v56
	v_div_fixup_f32 v50, v53, v50, 1.0
.LBB80_563:
	s_or_b64 exec, exec, s[0:1]
	v_cmp_ne_u32_e32 vcc, v51, v48
	s_and_saveexec_b64 s[0:1], vcc
	s_xor_b64 s[0:1], exec, s[0:1]
	s_cbranch_execz .LBB80_569
; %bb.564:
	v_cmp_eq_u32_e32 vcc, 33, v51
	s_and_saveexec_b64 s[2:3], vcc
	s_cbranch_execz .LBB80_568
; %bb.565:
	v_cmp_ne_u32_e32 vcc, 33, v48
	s_xor_b64 s[18:19], s[16:17], -1
	s_and_b64 s[20:21], s[18:19], vcc
	s_and_saveexec_b64 s[18:19], s[20:21]
	s_cbranch_execz .LBB80_567
; %bb.566:
	v_ashrrev_i32_e32 v49, 31, v48
	v_lshl_add_u64 v[54:55], v[48:49], 2, v[22:23]
	global_load_dword v49, v[54:55], off
	global_load_dword v51, v[22:23], off offset:132
	s_waitcnt vmcnt(1)
	global_store_dword v[22:23], v49, off offset:132
	s_waitcnt vmcnt(1)
	global_store_dword v[54:55], v51, off
.LBB80_567:
	s_or_b64 exec, exec, s[18:19]
	v_mov_b32_e32 v49, v48
	v_mov_b32_e32 v51, v48
.LBB80_568:
	s_or_b64 exec, exec, s[2:3]
.LBB80_569:
	s_andn2_saveexec_b64 s[0:1], s[0:1]
	s_cbranch_execz .LBB80_571
; %bb.570:
	s_waitcnt vmcnt(4)
	v_pk_mov_b32 v[54:55], v[46:47], v[44:45] op_sel:[1,0]
	ds_write2_b32 v21, v54, v55 offset0:34 offset1:35
	s_waitcnt vmcnt(2)
	v_pk_mov_b32 v[54:55], v[44:45], v[40:41] op_sel:[1,0]
	ds_write2_b32 v21, v54, v55 offset0:36 offset1:37
	s_waitcnt vmcnt(0)
	v_pk_mov_b32 v[54:55], v[40:41], v[38:39] op_sel:[1,0]
	v_mov_b32_e32 v51, 33
	ds_write2_b32 v21, v54, v55 offset0:38 offset1:39
	ds_write_b32 v21, v39 offset:160
.LBB80_571:
	s_or_b64 exec, exec, s[0:1]
	v_cmp_lt_i32_e32 vcc, 33, v51
	s_waitcnt lgkmcnt(0)
	s_barrier
	s_and_saveexec_b64 s[0:1], vcc
	s_cbranch_execz .LBB80_573
; %bb.572:
	ds_read_b32 v48, v21 offset:136
	ds_read2_b32 v[54:55], v21 offset0:35 offset1:36
	ds_read2_b32 v[56:57], v21 offset0:37 offset1:38
	;; [unrolled: 1-line block ×3, first 2 shown]
	v_mul_f32_e32 v46, v50, v46
	s_waitcnt vmcnt(6) lgkmcnt(3)
	v_fma_f32 v47, -v46, v48, v47
	s_waitcnt vmcnt(4) lgkmcnt(2)
	v_pk_fma_f32 v[44:45], v[46:47], v[54:55], v[44:45] op_sel_hi:[0,1,1] neg_lo:[1,0,0] neg_hi:[1,0,0]
	s_waitcnt vmcnt(2) lgkmcnt(1)
	v_pk_fma_f32 v[40:41], v[46:47], v[56:57], v[40:41] op_sel_hi:[0,1,1] neg_lo:[1,0,0] neg_hi:[1,0,0]
	;; [unrolled: 2-line block ×3, first 2 shown]
.LBB80_573:
	s_or_b64 exec, exec, s[0:1]
	v_lshl_add_u32 v48, v51, 2, v21
	s_barrier
	s_waitcnt vmcnt(6)
	ds_write_b32 v48, v47
	s_waitcnt lgkmcnt(0)
	s_barrier
	ds_read_b32 v50, v21 offset:136
	s_cmp_lt_i32 s22, 36
	v_mov_b32_e32 v48, 34
	s_cbranch_scc1 .LBB80_576
; %bb.574:
	v_add_u32_e32 v53, 0x8c, v21
	v_mov_b32_e32 v48, 34
	s_mov_b32 s0, 35
.LBB80_575:                             ; =>This Inner Loop Header: Depth=1
	ds_read_b32 v54, v53
	v_mov_b32_e32 v55, s0
	s_add_i32 s0, s0, 1
	v_add_u32_e32 v53, 4, v53
	s_cmp_lg_u32 s22, s0
	s_waitcnt lgkmcnt(0)
	v_cmp_lt_f32_e64 vcc, |v50|, |v54|
	s_nop 1
	v_cndmask_b32_e32 v50, v50, v54, vcc
	v_cndmask_b32_e32 v48, v48, v55, vcc
	s_cbranch_scc1 .LBB80_575
.LBB80_576:
	s_waitcnt lgkmcnt(0)
	v_cmp_eq_f32_e32 vcc, 0, v50
	s_and_saveexec_b64 s[0:1], vcc
	s_xor_b64 s[0:1], exec, s[0:1]
; %bb.577:
	v_cmp_ne_u32_e32 vcc, 0, v52
	s_nop 1
	v_cndmask_b32_e32 v52, 35, v52, vcc
; %bb.578:
	s_andn2_saveexec_b64 s[0:1], s[0:1]
	s_cbranch_execz .LBB80_580
; %bb.579:
	v_div_scale_f32 v53, s[2:3], v50, v50, 1.0
	v_rcp_f32_e32 v54, v53
	v_div_scale_f32 v55, vcc, 1.0, v50, 1.0
	v_fma_f32 v56, -v53, v54, 1.0
	v_fmac_f32_e32 v54, v56, v54
	v_mul_f32_e32 v56, v55, v54
	v_fma_f32 v57, -v53, v56, v55
	v_fmac_f32_e32 v56, v57, v54
	v_fma_f32 v53, -v53, v56, v55
	v_div_fmas_f32 v53, v53, v54, v56
	v_div_fixup_f32 v50, v53, v50, 1.0
.LBB80_580:
	s_or_b64 exec, exec, s[0:1]
	v_cmp_ne_u32_e32 vcc, v51, v48
	s_and_saveexec_b64 s[0:1], vcc
	s_xor_b64 s[0:1], exec, s[0:1]
	s_cbranch_execz .LBB80_586
; %bb.581:
	v_cmp_eq_u32_e32 vcc, 34, v51
	s_and_saveexec_b64 s[2:3], vcc
	s_cbranch_execz .LBB80_585
; %bb.582:
	v_cmp_ne_u32_e32 vcc, 34, v48
	s_xor_b64 s[18:19], s[16:17], -1
	s_and_b64 s[20:21], s[18:19], vcc
	s_and_saveexec_b64 s[18:19], s[20:21]
	s_cbranch_execz .LBB80_584
; %bb.583:
	v_ashrrev_i32_e32 v49, 31, v48
	v_lshl_add_u64 v[54:55], v[48:49], 2, v[22:23]
	global_load_dword v49, v[54:55], off
	global_load_dword v51, v[22:23], off offset:136
	s_waitcnt vmcnt(1)
	global_store_dword v[22:23], v49, off offset:136
	s_waitcnt vmcnt(1)
	global_store_dword v[54:55], v51, off
.LBB80_584:
	s_or_b64 exec, exec, s[18:19]
	v_mov_b32_e32 v49, v48
	v_mov_b32_e32 v51, v48
.LBB80_585:
	s_or_b64 exec, exec, s[2:3]
.LBB80_586:
	s_andn2_saveexec_b64 s[0:1], s[0:1]
	s_cbranch_execz .LBB80_588
; %bb.587:
	v_mov_b32_e32 v51, 34
	s_waitcnt vmcnt(4)
	ds_write2_b32 v21, v44, v45 offset0:35 offset1:36
	s_waitcnt vmcnt(2)
	ds_write2_b32 v21, v40, v41 offset0:37 offset1:38
	;; [unrolled: 2-line block ×3, first 2 shown]
.LBB80_588:
	s_or_b64 exec, exec, s[0:1]
	v_cmp_lt_i32_e32 vcc, 34, v51
	s_waitcnt lgkmcnt(0)
	s_barrier
	s_and_saveexec_b64 s[0:1], vcc
	s_cbranch_execz .LBB80_590
; %bb.589:
	ds_read2_b32 v[54:55], v21 offset0:35 offset1:36
	ds_read2_b32 v[56:57], v21 offset0:37 offset1:38
	;; [unrolled: 1-line block ×3, first 2 shown]
	v_mul_f32_e32 v48, v50, v47
	v_mov_b32_e32 v47, v48
	s_waitcnt vmcnt(4) lgkmcnt(2)
	v_pk_fma_f32 v[44:45], v[48:49], v[54:55], v[44:45] op_sel_hi:[0,1,1] neg_lo:[1,0,0] neg_hi:[1,0,0]
	s_waitcnt vmcnt(2) lgkmcnt(1)
	v_pk_fma_f32 v[40:41], v[48:49], v[56:57], v[40:41] op_sel_hi:[0,1,1] neg_lo:[1,0,0] neg_hi:[1,0,0]
	;; [unrolled: 2-line block ×3, first 2 shown]
.LBB80_590:
	s_or_b64 exec, exec, s[0:1]
	v_lshl_add_u32 v48, v51, 2, v21
	s_barrier
	s_waitcnt vmcnt(5)
	ds_write_b32 v48, v44
	s_waitcnt lgkmcnt(0)
	s_barrier
	ds_read_b32 v50, v21 offset:140
	s_cmp_lt_i32 s22, 37
	v_mov_b32_e32 v48, 35
	s_cbranch_scc1 .LBB80_593
; %bb.591:
	v_add_u32_e32 v53, 0x90, v21
	v_mov_b32_e32 v48, 35
	s_mov_b32 s0, 36
.LBB80_592:                             ; =>This Inner Loop Header: Depth=1
	ds_read_b32 v54, v53
	v_mov_b32_e32 v55, s0
	s_add_i32 s0, s0, 1
	v_add_u32_e32 v53, 4, v53
	s_cmp_lg_u32 s22, s0
	s_waitcnt lgkmcnt(0)
	v_cmp_lt_f32_e64 vcc, |v50|, |v54|
	s_nop 1
	v_cndmask_b32_e32 v50, v50, v54, vcc
	v_cndmask_b32_e32 v48, v48, v55, vcc
	s_cbranch_scc1 .LBB80_592
.LBB80_593:
	s_waitcnt lgkmcnt(0)
	v_cmp_eq_f32_e32 vcc, 0, v50
	s_and_saveexec_b64 s[0:1], vcc
	s_xor_b64 s[0:1], exec, s[0:1]
; %bb.594:
	v_cmp_ne_u32_e32 vcc, 0, v52
	s_nop 1
	v_cndmask_b32_e32 v52, 36, v52, vcc
; %bb.595:
	s_andn2_saveexec_b64 s[0:1], s[0:1]
	s_cbranch_execz .LBB80_597
; %bb.596:
	v_div_scale_f32 v53, s[2:3], v50, v50, 1.0
	v_rcp_f32_e32 v54, v53
	v_div_scale_f32 v55, vcc, 1.0, v50, 1.0
	v_fma_f32 v56, -v53, v54, 1.0
	v_fmac_f32_e32 v54, v56, v54
	v_mul_f32_e32 v56, v55, v54
	v_fma_f32 v57, -v53, v56, v55
	v_fmac_f32_e32 v56, v57, v54
	v_fma_f32 v53, -v53, v56, v55
	v_div_fmas_f32 v53, v53, v54, v56
	v_div_fixup_f32 v50, v53, v50, 1.0
.LBB80_597:
	s_or_b64 exec, exec, s[0:1]
	v_cmp_ne_u32_e32 vcc, v51, v48
	s_and_saveexec_b64 s[0:1], vcc
	s_xor_b64 s[0:1], exec, s[0:1]
	s_cbranch_execz .LBB80_603
; %bb.598:
	v_cmp_eq_u32_e32 vcc, 35, v51
	s_and_saveexec_b64 s[2:3], vcc
	s_cbranch_execz .LBB80_602
; %bb.599:
	v_cmp_ne_u32_e32 vcc, 35, v48
	s_xor_b64 s[18:19], s[16:17], -1
	s_and_b64 s[20:21], s[18:19], vcc
	s_and_saveexec_b64 s[18:19], s[20:21]
	s_cbranch_execz .LBB80_601
; %bb.600:
	v_ashrrev_i32_e32 v49, 31, v48
	v_lshl_add_u64 v[54:55], v[48:49], 2, v[22:23]
	global_load_dword v49, v[54:55], off
	global_load_dword v51, v[22:23], off offset:140
	s_waitcnt vmcnt(1)
	global_store_dword v[22:23], v49, off offset:140
	s_waitcnt vmcnt(1)
	global_store_dword v[54:55], v51, off
.LBB80_601:
	s_or_b64 exec, exec, s[18:19]
	v_mov_b32_e32 v49, v48
	v_mov_b32_e32 v51, v48
.LBB80_602:
	s_or_b64 exec, exec, s[2:3]
.LBB80_603:
	s_andn2_saveexec_b64 s[0:1], s[0:1]
	s_cbranch_execz .LBB80_605
; %bb.604:
	s_waitcnt vmcnt(2)
	v_pk_mov_b32 v[54:55], v[44:45], v[40:41] op_sel:[1,0]
	ds_write2_b32 v21, v54, v55 offset0:36 offset1:37
	s_waitcnt vmcnt(0)
	v_pk_mov_b32 v[54:55], v[40:41], v[38:39] op_sel:[1,0]
	v_mov_b32_e32 v51, 35
	ds_write2_b32 v21, v54, v55 offset0:38 offset1:39
	ds_write_b32 v21, v39 offset:160
.LBB80_605:
	s_or_b64 exec, exec, s[0:1]
	v_cmp_lt_i32_e32 vcc, 35, v51
	s_waitcnt lgkmcnt(0)
	s_barrier
	s_and_saveexec_b64 s[0:1], vcc
	s_cbranch_execz .LBB80_607
; %bb.606:
	ds_read_b32 v48, v21 offset:144
	ds_read2_b32 v[54:55], v21 offset0:37 offset1:38
	ds_read2_b32 v[56:57], v21 offset0:39 offset1:40
	v_mul_f32_e32 v44, v50, v44
	s_waitcnt vmcnt(4) lgkmcnt(2)
	v_fma_f32 v45, -v44, v48, v45
	s_waitcnt vmcnt(2) lgkmcnt(1)
	v_pk_fma_f32 v[40:41], v[44:45], v[54:55], v[40:41] op_sel_hi:[0,1,1] neg_lo:[1,0,0] neg_hi:[1,0,0]
	s_waitcnt vmcnt(0) lgkmcnt(0)
	v_pk_fma_f32 v[38:39], v[44:45], v[56:57], v[38:39] op_sel_hi:[0,1,1] neg_lo:[1,0,0] neg_hi:[1,0,0]
.LBB80_607:
	s_or_b64 exec, exec, s[0:1]
	v_lshl_add_u32 v48, v51, 2, v21
	s_barrier
	s_waitcnt vmcnt(4)
	ds_write_b32 v48, v45
	s_waitcnt lgkmcnt(0)
	s_barrier
	ds_read_b32 v50, v21 offset:144
	s_cmp_lt_i32 s22, 38
	v_mov_b32_e32 v48, 36
	s_cbranch_scc1 .LBB80_610
; %bb.608:
	v_add_u32_e32 v53, 0x94, v21
	v_mov_b32_e32 v48, 36
	s_mov_b32 s0, 37
.LBB80_609:                             ; =>This Inner Loop Header: Depth=1
	ds_read_b32 v54, v53
	v_mov_b32_e32 v55, s0
	s_add_i32 s0, s0, 1
	v_add_u32_e32 v53, 4, v53
	s_cmp_lg_u32 s22, s0
	s_waitcnt lgkmcnt(0)
	v_cmp_lt_f32_e64 vcc, |v50|, |v54|
	s_nop 1
	v_cndmask_b32_e32 v50, v50, v54, vcc
	v_cndmask_b32_e32 v48, v48, v55, vcc
	s_cbranch_scc1 .LBB80_609
.LBB80_610:
	s_waitcnt lgkmcnt(0)
	v_cmp_eq_f32_e32 vcc, 0, v50
	s_and_saveexec_b64 s[0:1], vcc
	s_xor_b64 s[0:1], exec, s[0:1]
; %bb.611:
	v_cmp_ne_u32_e32 vcc, 0, v52
	s_nop 1
	v_cndmask_b32_e32 v52, 37, v52, vcc
; %bb.612:
	s_andn2_saveexec_b64 s[0:1], s[0:1]
	s_cbranch_execz .LBB80_614
; %bb.613:
	v_div_scale_f32 v53, s[2:3], v50, v50, 1.0
	v_rcp_f32_e32 v54, v53
	v_div_scale_f32 v55, vcc, 1.0, v50, 1.0
	v_fma_f32 v56, -v53, v54, 1.0
	v_fmac_f32_e32 v54, v56, v54
	v_mul_f32_e32 v56, v55, v54
	v_fma_f32 v57, -v53, v56, v55
	v_fmac_f32_e32 v56, v57, v54
	v_fma_f32 v53, -v53, v56, v55
	v_div_fmas_f32 v53, v53, v54, v56
	v_div_fixup_f32 v50, v53, v50, 1.0
.LBB80_614:
	s_or_b64 exec, exec, s[0:1]
	v_cmp_ne_u32_e32 vcc, v51, v48
	s_and_saveexec_b64 s[0:1], vcc
	s_xor_b64 s[0:1], exec, s[0:1]
	s_cbranch_execz .LBB80_620
; %bb.615:
	v_cmp_eq_u32_e32 vcc, 36, v51
	s_and_saveexec_b64 s[2:3], vcc
	s_cbranch_execz .LBB80_619
; %bb.616:
	v_cmp_ne_u32_e32 vcc, 36, v48
	s_xor_b64 s[18:19], s[16:17], -1
	s_and_b64 s[20:21], s[18:19], vcc
	s_and_saveexec_b64 s[18:19], s[20:21]
	s_cbranch_execz .LBB80_618
; %bb.617:
	v_ashrrev_i32_e32 v49, 31, v48
	v_lshl_add_u64 v[54:55], v[48:49], 2, v[22:23]
	global_load_dword v49, v[54:55], off
	global_load_dword v51, v[22:23], off offset:144
	s_waitcnt vmcnt(1)
	global_store_dword v[22:23], v49, off offset:144
	s_waitcnt vmcnt(1)
	global_store_dword v[54:55], v51, off
.LBB80_618:
	s_or_b64 exec, exec, s[18:19]
	v_mov_b32_e32 v49, v48
	v_mov_b32_e32 v51, v48
.LBB80_619:
	s_or_b64 exec, exec, s[2:3]
.LBB80_620:
	s_andn2_saveexec_b64 s[0:1], s[0:1]
	s_cbranch_execz .LBB80_622
; %bb.621:
	v_mov_b32_e32 v51, 36
	s_waitcnt vmcnt(2)
	ds_write2_b32 v21, v40, v41 offset0:37 offset1:38
	s_waitcnt vmcnt(0)
	ds_write2_b32 v21, v38, v39 offset0:39 offset1:40
.LBB80_622:
	s_or_b64 exec, exec, s[0:1]
	v_cmp_lt_i32_e32 vcc, 36, v51
	s_waitcnt lgkmcnt(0)
	s_barrier
	s_and_saveexec_b64 s[0:1], vcc
	s_cbranch_execz .LBB80_624
; %bb.623:
	ds_read2_b32 v[54:55], v21 offset0:37 offset1:38
	ds_read2_b32 v[56:57], v21 offset0:39 offset1:40
	v_mul_f32_e32 v48, v50, v45
	v_mov_b32_e32 v45, v48
	s_waitcnt vmcnt(2) lgkmcnt(1)
	v_pk_fma_f32 v[40:41], v[48:49], v[54:55], v[40:41] op_sel_hi:[0,1,1] neg_lo:[1,0,0] neg_hi:[1,0,0]
	s_waitcnt vmcnt(0) lgkmcnt(0)
	v_pk_fma_f32 v[38:39], v[48:49], v[56:57], v[38:39] op_sel_hi:[0,1,1] neg_lo:[1,0,0] neg_hi:[1,0,0]
.LBB80_624:
	s_or_b64 exec, exec, s[0:1]
	v_lshl_add_u32 v48, v51, 2, v21
	s_barrier
	s_waitcnt vmcnt(3)
	ds_write_b32 v48, v40
	s_waitcnt lgkmcnt(0)
	s_barrier
	ds_read_b32 v50, v21 offset:148
	s_cmp_lt_i32 s22, 39
	v_mov_b32_e32 v48, 37
	s_cbranch_scc1 .LBB80_627
; %bb.625:
	v_add_u32_e32 v53, 0x98, v21
	v_mov_b32_e32 v48, 37
	s_mov_b32 s0, 38
.LBB80_626:                             ; =>This Inner Loop Header: Depth=1
	ds_read_b32 v54, v53
	v_mov_b32_e32 v55, s0
	s_add_i32 s0, s0, 1
	v_add_u32_e32 v53, 4, v53
	s_cmp_lg_u32 s22, s0
	s_waitcnt lgkmcnt(0)
	v_cmp_lt_f32_e64 vcc, |v50|, |v54|
	s_nop 1
	v_cndmask_b32_e32 v50, v50, v54, vcc
	v_cndmask_b32_e32 v48, v48, v55, vcc
	s_cbranch_scc1 .LBB80_626
.LBB80_627:
	s_waitcnt lgkmcnt(0)
	v_cmp_eq_f32_e32 vcc, 0, v50
	s_and_saveexec_b64 s[0:1], vcc
	s_xor_b64 s[0:1], exec, s[0:1]
; %bb.628:
	v_cmp_ne_u32_e32 vcc, 0, v52
	s_nop 1
	v_cndmask_b32_e32 v52, 38, v52, vcc
; %bb.629:
	s_andn2_saveexec_b64 s[0:1], s[0:1]
	s_cbranch_execz .LBB80_631
; %bb.630:
	v_div_scale_f32 v53, s[2:3], v50, v50, 1.0
	v_rcp_f32_e32 v54, v53
	v_div_scale_f32 v55, vcc, 1.0, v50, 1.0
	v_fma_f32 v56, -v53, v54, 1.0
	v_fmac_f32_e32 v54, v56, v54
	v_mul_f32_e32 v56, v55, v54
	v_fma_f32 v57, -v53, v56, v55
	v_fmac_f32_e32 v56, v57, v54
	v_fma_f32 v53, -v53, v56, v55
	v_div_fmas_f32 v53, v53, v54, v56
	v_div_fixup_f32 v50, v53, v50, 1.0
.LBB80_631:
	s_or_b64 exec, exec, s[0:1]
	v_cmp_ne_u32_e32 vcc, v51, v48
	s_and_saveexec_b64 s[0:1], vcc
	s_xor_b64 s[0:1], exec, s[0:1]
	s_cbranch_execz .LBB80_637
; %bb.632:
	v_cmp_eq_u32_e32 vcc, 37, v51
	s_and_saveexec_b64 s[2:3], vcc
	s_cbranch_execz .LBB80_636
; %bb.633:
	v_cmp_ne_u32_e32 vcc, 37, v48
	s_xor_b64 s[18:19], s[16:17], -1
	s_and_b64 s[20:21], s[18:19], vcc
	s_and_saveexec_b64 s[18:19], s[20:21]
	s_cbranch_execz .LBB80_635
; %bb.634:
	v_ashrrev_i32_e32 v49, 31, v48
	v_lshl_add_u64 v[54:55], v[48:49], 2, v[22:23]
	global_load_dword v49, v[54:55], off
	global_load_dword v51, v[22:23], off offset:148
	s_waitcnt vmcnt(1)
	global_store_dword v[22:23], v49, off offset:148
	s_waitcnt vmcnt(1)
	global_store_dword v[54:55], v51, off
.LBB80_635:
	s_or_b64 exec, exec, s[18:19]
	v_mov_b32_e32 v49, v48
	v_mov_b32_e32 v51, v48
.LBB80_636:
	s_or_b64 exec, exec, s[2:3]
.LBB80_637:
	s_andn2_saveexec_b64 s[0:1], s[0:1]
	s_cbranch_execz .LBB80_639
; %bb.638:
	s_waitcnt vmcnt(0)
	v_pk_mov_b32 v[54:55], v[40:41], v[38:39] op_sel:[1,0]
	v_mov_b32_e32 v51, 37
	ds_write2_b32 v21, v54, v55 offset0:38 offset1:39
	ds_write_b32 v21, v39 offset:160
.LBB80_639:
	s_or_b64 exec, exec, s[0:1]
	v_cmp_lt_i32_e32 vcc, 37, v51
	s_waitcnt lgkmcnt(0)
	s_barrier
	s_and_saveexec_b64 s[0:1], vcc
	s_cbranch_execz .LBB80_641
; %bb.640:
	ds_read_b32 v48, v21 offset:152
	ds_read2_b32 v[54:55], v21 offset0:39 offset1:40
	v_mul_f32_e32 v40, v50, v40
	s_waitcnt vmcnt(2) lgkmcnt(1)
	v_fma_f32 v41, -v40, v48, v41
	s_waitcnt vmcnt(0) lgkmcnt(0)
	v_pk_fma_f32 v[38:39], v[40:41], v[54:55], v[38:39] op_sel_hi:[0,1,1] neg_lo:[1,0,0] neg_hi:[1,0,0]
.LBB80_641:
	s_or_b64 exec, exec, s[0:1]
	v_lshl_add_u32 v48, v51, 2, v21
	s_barrier
	s_waitcnt vmcnt(2)
	ds_write_b32 v48, v41
	s_waitcnt lgkmcnt(0)
	s_barrier
	ds_read_b32 v50, v21 offset:152
	s_cmp_lt_i32 s22, 40
	v_mov_b32_e32 v48, 38
	s_cbranch_scc1 .LBB80_644
; %bb.642:
	v_add_u32_e32 v53, 0x9c, v21
	v_mov_b32_e32 v48, 38
	s_mov_b32 s0, 39
.LBB80_643:                             ; =>This Inner Loop Header: Depth=1
	ds_read_b32 v54, v53
	v_mov_b32_e32 v55, s0
	s_add_i32 s0, s0, 1
	v_add_u32_e32 v53, 4, v53
	s_cmp_lg_u32 s22, s0
	s_waitcnt lgkmcnt(0)
	v_cmp_lt_f32_e64 vcc, |v50|, |v54|
	s_nop 1
	v_cndmask_b32_e32 v50, v50, v54, vcc
	v_cndmask_b32_e32 v48, v48, v55, vcc
	s_cbranch_scc1 .LBB80_643
.LBB80_644:
	s_waitcnt lgkmcnt(0)
	v_cmp_eq_f32_e32 vcc, 0, v50
	s_and_saveexec_b64 s[0:1], vcc
	s_xor_b64 s[0:1], exec, s[0:1]
; %bb.645:
	v_cmp_ne_u32_e32 vcc, 0, v52
	s_nop 1
	v_cndmask_b32_e32 v52, 39, v52, vcc
; %bb.646:
	s_andn2_saveexec_b64 s[0:1], s[0:1]
	s_cbranch_execz .LBB80_648
; %bb.647:
	v_div_scale_f32 v53, s[2:3], v50, v50, 1.0
	v_rcp_f32_e32 v54, v53
	v_div_scale_f32 v55, vcc, 1.0, v50, 1.0
	v_fma_f32 v56, -v53, v54, 1.0
	v_fmac_f32_e32 v54, v56, v54
	v_mul_f32_e32 v56, v55, v54
	v_fma_f32 v57, -v53, v56, v55
	v_fmac_f32_e32 v56, v57, v54
	v_fma_f32 v53, -v53, v56, v55
	v_div_fmas_f32 v53, v53, v54, v56
	v_div_fixup_f32 v50, v53, v50, 1.0
.LBB80_648:
	s_or_b64 exec, exec, s[0:1]
	v_cmp_ne_u32_e32 vcc, v51, v48
	s_and_saveexec_b64 s[0:1], vcc
	s_xor_b64 s[0:1], exec, s[0:1]
	s_cbranch_execz .LBB80_654
; %bb.649:
	v_cmp_eq_u32_e32 vcc, 38, v51
	s_and_saveexec_b64 s[2:3], vcc
	s_cbranch_execz .LBB80_653
; %bb.650:
	v_cmp_ne_u32_e32 vcc, 38, v48
	s_xor_b64 s[18:19], s[16:17], -1
	s_and_b64 s[20:21], s[18:19], vcc
	s_and_saveexec_b64 s[18:19], s[20:21]
	s_cbranch_execz .LBB80_652
; %bb.651:
	v_ashrrev_i32_e32 v49, 31, v48
	v_lshl_add_u64 v[54:55], v[48:49], 2, v[22:23]
	global_load_dword v49, v[54:55], off
	global_load_dword v51, v[22:23], off offset:152
	s_waitcnt vmcnt(1)
	global_store_dword v[22:23], v49, off offset:152
	s_waitcnt vmcnt(1)
	global_store_dword v[54:55], v51, off
.LBB80_652:
	s_or_b64 exec, exec, s[18:19]
	v_mov_b32_e32 v49, v48
	v_mov_b32_e32 v51, v48
.LBB80_653:
	s_or_b64 exec, exec, s[2:3]
.LBB80_654:
	s_andn2_saveexec_b64 s[0:1], s[0:1]
	s_cbranch_execz .LBB80_656
; %bb.655:
	v_mov_b32_e32 v51, 38
	s_waitcnt vmcnt(0)
	ds_write2_b32 v21, v38, v39 offset0:39 offset1:40
.LBB80_656:
	s_or_b64 exec, exec, s[0:1]
	v_cmp_lt_i32_e32 vcc, 38, v51
	s_waitcnt lgkmcnt(0)
	s_barrier
	s_and_saveexec_b64 s[0:1], vcc
	s_cbranch_execz .LBB80_658
; %bb.657:
	ds_read2_b32 v[54:55], v21 offset0:39 offset1:40
	v_mul_f32_e32 v48, v50, v41
	v_mov_b32_e32 v41, v48
	s_waitcnt vmcnt(0) lgkmcnt(0)
	v_pk_fma_f32 v[38:39], v[48:49], v[54:55], v[38:39] op_sel_hi:[0,1,1] neg_lo:[1,0,0] neg_hi:[1,0,0]
.LBB80_658:
	s_or_b64 exec, exec, s[0:1]
	v_lshl_add_u32 v48, v51, 2, v21
	s_barrier
	s_waitcnt vmcnt(1)
	ds_write_b32 v48, v38
	s_waitcnt lgkmcnt(0)
	s_barrier
	ds_read_b32 v50, v21 offset:156
	s_cmp_lt_i32 s22, 41
	v_mov_b32_e32 v48, 39
	s_cbranch_scc1 .LBB80_661
; %bb.659:
	v_add_u32_e32 v53, 0xa0, v21
	v_mov_b32_e32 v48, 39
	s_mov_b32 s0, 40
.LBB80_660:                             ; =>This Inner Loop Header: Depth=1
	ds_read_b32 v54, v53
	v_mov_b32_e32 v55, s0
	s_add_i32 s0, s0, 1
	v_add_u32_e32 v53, 4, v53
	s_cmp_lg_u32 s22, s0
	s_waitcnt lgkmcnt(0)
	v_cmp_lt_f32_e64 vcc, |v50|, |v54|
	s_nop 1
	v_cndmask_b32_e32 v50, v50, v54, vcc
	v_cndmask_b32_e32 v48, v48, v55, vcc
	s_cbranch_scc1 .LBB80_660
.LBB80_661:
	s_waitcnt lgkmcnt(0)
	v_cmp_eq_f32_e32 vcc, 0, v50
	s_and_saveexec_b64 s[0:1], vcc
	s_xor_b64 s[0:1], exec, s[0:1]
; %bb.662:
	v_cmp_ne_u32_e32 vcc, 0, v52
	s_nop 1
	v_cndmask_b32_e32 v52, 40, v52, vcc
; %bb.663:
	s_andn2_saveexec_b64 s[0:1], s[0:1]
	s_cbranch_execz .LBB80_665
; %bb.664:
	v_div_scale_f32 v53, s[2:3], v50, v50, 1.0
	v_rcp_f32_e32 v54, v53
	v_div_scale_f32 v55, vcc, 1.0, v50, 1.0
	v_fma_f32 v56, -v53, v54, 1.0
	v_fmac_f32_e32 v54, v56, v54
	v_mul_f32_e32 v56, v55, v54
	v_fma_f32 v57, -v53, v56, v55
	v_fmac_f32_e32 v56, v57, v54
	v_fma_f32 v53, -v53, v56, v55
	v_div_fmas_f32 v53, v53, v54, v56
	v_div_fixup_f32 v50, v53, v50, 1.0
.LBB80_665:
	s_or_b64 exec, exec, s[0:1]
	v_cmp_ne_u32_e32 vcc, v51, v48
	s_and_saveexec_b64 s[0:1], vcc
	s_xor_b64 s[0:1], exec, s[0:1]
	s_cbranch_execz .LBB80_671
; %bb.666:
	v_cmp_eq_u32_e32 vcc, 39, v51
	s_and_saveexec_b64 s[2:3], vcc
	s_cbranch_execz .LBB80_670
; %bb.667:
	v_cmp_ne_u32_e32 vcc, 39, v48
	s_xor_b64 s[18:19], s[16:17], -1
	s_and_b64 s[20:21], s[18:19], vcc
	s_and_saveexec_b64 s[18:19], s[20:21]
	s_cbranch_execz .LBB80_669
; %bb.668:
	v_ashrrev_i32_e32 v49, 31, v48
	v_lshl_add_u64 v[54:55], v[48:49], 2, v[22:23]
	global_load_dword v49, v[54:55], off
	global_load_dword v51, v[22:23], off offset:156
	s_waitcnt vmcnt(1)
	global_store_dword v[22:23], v49, off offset:156
	s_waitcnt vmcnt(1)
	global_store_dword v[54:55], v51, off
.LBB80_669:
	s_or_b64 exec, exec, s[18:19]
	v_mov_b32_e32 v49, v48
	v_mov_b32_e32 v51, v48
.LBB80_670:
	s_or_b64 exec, exec, s[2:3]
.LBB80_671:
	s_andn2_saveexec_b64 s[0:1], s[0:1]
	s_cbranch_execz .LBB80_673
; %bb.672:
	v_mov_b32_e32 v51, 39
	s_waitcnt vmcnt(0)
	ds_write_b32 v21, v39 offset:160
.LBB80_673:
	s_or_b64 exec, exec, s[0:1]
	v_cmp_lt_i32_e32 vcc, 39, v51
	s_waitcnt lgkmcnt(0)
	s_barrier
	s_and_saveexec_b64 s[0:1], vcc
	s_cbranch_execz .LBB80_675
; %bb.674:
	ds_read_b32 v48, v21 offset:160
	v_mul_f32_e32 v38, v50, v38
	s_waitcnt vmcnt(0) lgkmcnt(0)
	v_fma_f32 v39, -v38, v48, v39
.LBB80_675:
	s_or_b64 exec, exec, s[0:1]
	v_lshl_add_u32 v48, v51, 2, v21
	s_barrier
	s_waitcnt vmcnt(0)
	ds_write_b32 v48, v39
	s_waitcnt lgkmcnt(0)
	s_barrier
	ds_read_b32 v53, v21 offset:160
	s_cmp_lt_i32 s22, 42
	v_mov_b32_e32 v48, 40
	s_cbranch_scc1 .LBB80_678
; %bb.676:
	v_add_u32_e32 v21, 0xa4, v21
	v_mov_b32_e32 v48, 40
	s_mov_b32 s0, 41
.LBB80_677:                             ; =>This Inner Loop Header: Depth=1
	ds_read_b32 v50, v21
	v_mov_b32_e32 v54, s0
	s_add_i32 s0, s0, 1
	v_add_u32_e32 v21, 4, v21
	s_cmp_lg_u32 s22, s0
	s_waitcnt lgkmcnt(0)
	v_cmp_lt_f32_e64 vcc, |v53|, |v50|
	s_nop 1
	v_cndmask_b32_e32 v53, v53, v50, vcc
	v_cndmask_b32_e32 v48, v48, v54, vcc
	s_cbranch_scc1 .LBB80_677
.LBB80_678:
	s_waitcnt lgkmcnt(0)
	v_cmp_eq_f32_e32 vcc, 0, v53
	s_and_saveexec_b64 s[0:1], vcc
	s_xor_b64 s[0:1], exec, s[0:1]
; %bb.679:
	v_cmp_ne_u32_e32 vcc, 0, v52
	s_nop 1
	v_cndmask_b32_e32 v52, 41, v52, vcc
; %bb.680:
	s_andn2_saveexec_b64 s[0:1], s[0:1]
	s_cbranch_execz .LBB80_682
; %bb.681:
	v_div_scale_f32 v21, s[2:3], v53, v53, 1.0
	v_rcp_f32_e32 v50, v21
	v_div_scale_f32 v54, vcc, 1.0, v53, 1.0
	v_fma_f32 v55, -v21, v50, 1.0
	v_fmac_f32_e32 v50, v55, v50
	v_mul_f32_e32 v55, v54, v50
	v_fma_f32 v56, -v21, v55, v54
	v_fmac_f32_e32 v55, v56, v50
	v_fma_f32 v21, -v21, v55, v54
	v_div_fmas_f32 v21, v21, v50, v55
	v_div_fixup_f32 v53, v21, v53, 1.0
.LBB80_682:
	s_or_b64 exec, exec, s[0:1]
	v_cmp_ne_u32_e32 vcc, v51, v48
	v_mov_b32_e32 v50, 40
	s_and_saveexec_b64 s[0:1], vcc
	s_cbranch_execz .LBB80_688
; %bb.683:
	v_cmp_eq_u32_e32 vcc, 40, v51
	s_and_saveexec_b64 s[2:3], vcc
	s_cbranch_execz .LBB80_687
; %bb.684:
	v_cmp_ne_u32_e32 vcc, 40, v48
	s_xor_b64 s[16:17], s[16:17], -1
	s_and_b64 s[18:19], s[16:17], vcc
	s_and_saveexec_b64 s[16:17], s[18:19]
	s_cbranch_execz .LBB80_686
; %bb.685:
	v_ashrrev_i32_e32 v49, 31, v48
	v_lshl_add_u64 v[50:51], v[48:49], 2, v[22:23]
	global_load_dword v21, v[50:51], off
	global_load_dword v49, v[22:23], off offset:160
	s_waitcnt vmcnt(1)
	global_store_dword v[22:23], v21, off offset:160
	s_waitcnt vmcnt(1)
	global_store_dword v[50:51], v49, off
.LBB80_686:
	s_or_b64 exec, exec, s[16:17]
	v_mov_b32_e32 v49, v48
	v_mov_b32_e32 v51, v48
.LBB80_687:
	s_or_b64 exec, exec, s[2:3]
	v_mov_b32_e32 v50, v51
.LBB80_688:
	s_or_b64 exec, exec, s[0:1]
	v_cmp_gt_i32_e32 vcc, 41, v50
	v_ashrrev_i32_e32 v51, 31, v50
	s_barrier
	s_barrier
	s_and_saveexec_b64 s[0:1], vcc
	s_cbranch_execz .LBB80_690
; %bb.689:
	v_mul_lo_u32 v21, s11, v4
	v_mul_lo_u32 v48, s10, v5
	v_mad_u64_u32 v[54:55], s[2:3], s10, v4, 0
	v_mov_b32_e32 v22, s6
	v_mov_b32_e32 v23, s7
	v_add3_u32 v55, v55, v48, v21
	v_lshl_add_u64 v[22:23], v[54:55], 2, v[22:23]
	v_lshl_add_u64 v[22:23], s[8:9], 2, v[22:23]
	;; [unrolled: 1-line block ×3, first 2 shown]
	v_add3_u32 v21, v49, s15, 1
	global_store_dword v[22:23], v21, off
.LBB80_690:
	s_or_b64 exec, exec, s[0:1]
	v_cmp_eq_u32_e32 vcc, 0, v50
	s_and_saveexec_b64 s[2:3], vcc
	s_cbranch_execz .LBB80_693
; %bb.691:
	v_mov_b32_e32 v22, s4
	v_mov_b32_e32 v23, s5
	v_lshl_add_u64 v[4:5], v[4:5], 2, v[22:23]
	global_load_dword v21, v[4:5], off
	v_cmp_ne_u32_e64 s[0:1], 0, v52
	s_waitcnt vmcnt(0)
	v_cmp_eq_u32_e32 vcc, 0, v21
	s_and_b64 s[0:1], vcc, s[0:1]
	s_and_b64 exec, exec, s[0:1]
	s_cbranch_execz .LBB80_693
; %bb.692:
	v_add_u32_e32 v21, s15, v52
	global_store_dword v[4:5], v21, off
.LBB80_693:
	s_or_b64 exec, exec, s[2:3]
	v_mul_f32_e32 v4, v53, v39
	v_cmp_lt_i32_e32 vcc, 40, v50
	s_nop 1
	v_cndmask_b32_e32 v22, v39, v4, vcc
	v_lshl_add_u64 v[4:5], v[50:51], 2, v[2:3]
	global_store_dword v[4:5], v20, off
	v_lshl_add_u64 v[4:5], s[12:13], 2, v[4:5]
	global_store_dword v[4:5], v14, off
	v_add_u32_e32 v4, s14, v50
	v_ashrrev_i32_e32 v5, 31, v4
	v_lshl_add_u64 v[20:21], v[4:5], 2, v[2:3]
	v_add_u32_e32 v4, s12, v4
	v_ashrrev_i32_e32 v5, 31, v4
	global_store_dword v[20:21], v15, off
	v_lshl_add_u64 v[14:15], v[4:5], 2, v[2:3]
	v_add_u32_e32 v4, s12, v4
	v_ashrrev_i32_e32 v5, 31, v4
	global_store_dword v[14:15], v10, off
	;; [unrolled: 4-line block ×6, first 2 shown]
	v_lshl_add_u64 v[6:7], v[4:5], 2, v[2:3]
	v_add_u32_e32 v0, s12, v4
	global_store_dword v[6:7], v1, off
	v_ashrrev_i32_e32 v1, 31, v0
	v_lshl_add_u64 v[4:5], v[0:1], 2, v[2:3]
	v_add_u32_e32 v0, s12, v0
	v_ashrrev_i32_e32 v1, 31, v0
	global_store_dword v[4:5], v28, off
	v_lshl_add_u64 v[4:5], v[0:1], 2, v[2:3]
	v_add_u32_e32 v0, s12, v0
	v_ashrrev_i32_e32 v1, 31, v0
	global_store_dword v[4:5], v29, off
	;; [unrolled: 4-line block ×30, first 2 shown]
	v_lshl_add_u64 v[4:5], v[0:1], 2, v[2:3]
	v_add_u32_e32 v0, s12, v0
	v_ashrrev_i32_e32 v1, 31, v0
	v_lshl_add_u64 v[0:1], v[0:1], 2, v[2:3]
	global_store_dword v[4:5], v38, off
	global_store_dword v[0:1], v22, off
.LBB80_694:
	s_endpgm
	.section	.rodata,"a",@progbits
	.p2align	6, 0x0
	.amdhsa_kernel _ZN9rocsolver6v33100L18getf2_small_kernelILi41EfiiPfEEvT1_T3_lS3_lPS3_llPT2_S3_S3_S5_l
		.amdhsa_group_segment_fixed_size 0
		.amdhsa_private_segment_fixed_size 0
		.amdhsa_kernarg_size 352
		.amdhsa_user_sgpr_count 2
		.amdhsa_user_sgpr_dispatch_ptr 0
		.amdhsa_user_sgpr_queue_ptr 0
		.amdhsa_user_sgpr_kernarg_segment_ptr 1
		.amdhsa_user_sgpr_dispatch_id 0
		.amdhsa_user_sgpr_kernarg_preload_length 0
		.amdhsa_user_sgpr_kernarg_preload_offset 0
		.amdhsa_user_sgpr_private_segment_size 0
		.amdhsa_uses_dynamic_stack 0
		.amdhsa_enable_private_segment 0
		.amdhsa_system_sgpr_workgroup_id_x 1
		.amdhsa_system_sgpr_workgroup_id_y 1
		.amdhsa_system_sgpr_workgroup_id_z 0
		.amdhsa_system_sgpr_workgroup_info 0
		.amdhsa_system_vgpr_workitem_id 1
		.amdhsa_next_free_vgpr 68
		.amdhsa_next_free_sgpr 26
		.amdhsa_accum_offset 68
		.amdhsa_reserve_vcc 1
		.amdhsa_float_round_mode_32 0
		.amdhsa_float_round_mode_16_64 0
		.amdhsa_float_denorm_mode_32 3
		.amdhsa_float_denorm_mode_16_64 3
		.amdhsa_dx10_clamp 1
		.amdhsa_ieee_mode 1
		.amdhsa_fp16_overflow 0
		.amdhsa_tg_split 0
		.amdhsa_exception_fp_ieee_invalid_op 0
		.amdhsa_exception_fp_denorm_src 0
		.amdhsa_exception_fp_ieee_div_zero 0
		.amdhsa_exception_fp_ieee_overflow 0
		.amdhsa_exception_fp_ieee_underflow 0
		.amdhsa_exception_fp_ieee_inexact 0
		.amdhsa_exception_int_div_zero 0
	.end_amdhsa_kernel
	.section	.text._ZN9rocsolver6v33100L18getf2_small_kernelILi41EfiiPfEEvT1_T3_lS3_lPS3_llPT2_S3_S3_S5_l,"axG",@progbits,_ZN9rocsolver6v33100L18getf2_small_kernelILi41EfiiPfEEvT1_T3_lS3_lPS3_llPT2_S3_S3_S5_l,comdat
.Lfunc_end80:
	.size	_ZN9rocsolver6v33100L18getf2_small_kernelILi41EfiiPfEEvT1_T3_lS3_lPS3_llPT2_S3_S3_S5_l, .Lfunc_end80-_ZN9rocsolver6v33100L18getf2_small_kernelILi41EfiiPfEEvT1_T3_lS3_lPS3_llPT2_S3_S3_S5_l
                                        ; -- End function
	.set _ZN9rocsolver6v33100L18getf2_small_kernelILi41EfiiPfEEvT1_T3_lS3_lPS3_llPT2_S3_S3_S5_l.num_vgpr, 68
	.set _ZN9rocsolver6v33100L18getf2_small_kernelILi41EfiiPfEEvT1_T3_lS3_lPS3_llPT2_S3_S3_S5_l.num_agpr, 0
	.set _ZN9rocsolver6v33100L18getf2_small_kernelILi41EfiiPfEEvT1_T3_lS3_lPS3_llPT2_S3_S3_S5_l.numbered_sgpr, 26
	.set _ZN9rocsolver6v33100L18getf2_small_kernelILi41EfiiPfEEvT1_T3_lS3_lPS3_llPT2_S3_S3_S5_l.num_named_barrier, 0
	.set _ZN9rocsolver6v33100L18getf2_small_kernelILi41EfiiPfEEvT1_T3_lS3_lPS3_llPT2_S3_S3_S5_l.private_seg_size, 0
	.set _ZN9rocsolver6v33100L18getf2_small_kernelILi41EfiiPfEEvT1_T3_lS3_lPS3_llPT2_S3_S3_S5_l.uses_vcc, 1
	.set _ZN9rocsolver6v33100L18getf2_small_kernelILi41EfiiPfEEvT1_T3_lS3_lPS3_llPT2_S3_S3_S5_l.uses_flat_scratch, 0
	.set _ZN9rocsolver6v33100L18getf2_small_kernelILi41EfiiPfEEvT1_T3_lS3_lPS3_llPT2_S3_S3_S5_l.has_dyn_sized_stack, 0
	.set _ZN9rocsolver6v33100L18getf2_small_kernelILi41EfiiPfEEvT1_T3_lS3_lPS3_llPT2_S3_S3_S5_l.has_recursion, 0
	.set _ZN9rocsolver6v33100L18getf2_small_kernelILi41EfiiPfEEvT1_T3_lS3_lPS3_llPT2_S3_S3_S5_l.has_indirect_call, 0
	.section	.AMDGPU.csdata,"",@progbits
; Kernel info:
; codeLenInByte = 33400
; TotalNumSgprs: 32
; NumVgprs: 68
; NumAgprs: 0
; TotalNumVgprs: 68
; ScratchSize: 0
; MemoryBound: 0
; FloatMode: 240
; IeeeMode: 1
; LDSByteSize: 0 bytes/workgroup (compile time only)
; SGPRBlocks: 3
; VGPRBlocks: 8
; NumSGPRsForWavesPerEU: 32
; NumVGPRsForWavesPerEU: 68
; AccumOffset: 68
; Occupancy: 7
; WaveLimiterHint : 0
; COMPUTE_PGM_RSRC2:SCRATCH_EN: 0
; COMPUTE_PGM_RSRC2:USER_SGPR: 2
; COMPUTE_PGM_RSRC2:TRAP_HANDLER: 0
; COMPUTE_PGM_RSRC2:TGID_X_EN: 1
; COMPUTE_PGM_RSRC2:TGID_Y_EN: 1
; COMPUTE_PGM_RSRC2:TGID_Z_EN: 0
; COMPUTE_PGM_RSRC2:TIDIG_COMP_CNT: 1
; COMPUTE_PGM_RSRC3_GFX90A:ACCUM_OFFSET: 16
; COMPUTE_PGM_RSRC3_GFX90A:TG_SPLIT: 0
	.section	.text._ZN9rocsolver6v33100L23getf2_npvt_small_kernelILi41EfiiPfEEvT1_T3_lS3_lPT2_S3_S3_,"axG",@progbits,_ZN9rocsolver6v33100L23getf2_npvt_small_kernelILi41EfiiPfEEvT1_T3_lS3_lPT2_S3_S3_,comdat
	.globl	_ZN9rocsolver6v33100L23getf2_npvt_small_kernelILi41EfiiPfEEvT1_T3_lS3_lPT2_S3_S3_ ; -- Begin function _ZN9rocsolver6v33100L23getf2_npvt_small_kernelILi41EfiiPfEEvT1_T3_lS3_lPT2_S3_S3_
	.p2align	8
	.type	_ZN9rocsolver6v33100L23getf2_npvt_small_kernelILi41EfiiPfEEvT1_T3_lS3_lPT2_S3_S3_,@function
_ZN9rocsolver6v33100L23getf2_npvt_small_kernelILi41EfiiPfEEvT1_T3_lS3_lPT2_S3_S3_: ; @_ZN9rocsolver6v33100L23getf2_npvt_small_kernelILi41EfiiPfEEvT1_T3_lS3_lPT2_S3_S3_
; %bb.0:
	s_load_dword s2, s[0:1], 0x44
	s_load_dwordx2 s[8:9], s[0:1], 0x30
	v_bfe_u32 v126, v0, 10, 10
	s_waitcnt lgkmcnt(0)
	s_lshr_b32 s10, s2, 16
	s_mul_i32 s3, s3, s10
	v_add_u32_e32 v24, s3, v126
	v_cmp_gt_i32_e32 vcc, s8, v24
	s_and_saveexec_b64 s[2:3], vcc
	s_cbranch_execz .LBB81_228
; %bb.1:
	s_load_dwordx4 s[12:15], s[0:1], 0x8
	s_load_dword s2, s[0:1], 0x18
	s_load_dwordx4 s[4:7], s[0:1], 0x20
	v_and_b32_e32 v125, 0x3ff, v0
	v_ashrrev_i32_e32 v25, 31, v24
	s_waitcnt lgkmcnt(0)
	v_mov_b32_e32 v2, s12
	v_mov_b32_e32 v3, s13
	v_mad_u64_u32 v[0:1], s[0:1], s4, v24, 0
	s_add_i32 s0, s2, s2
	s_nop 0
	v_add_u32_e32 v6, s0, v125
	v_add_u32_e32 v8, s2, v6
	;; [unrolled: 1-line block ×35, first 2 shown]
	v_mul_lo_u32 v4, s5, v24
	v_mul_lo_u32 v5, s4, v25
	v_add_u32_e32 v96, s2, v94
	v_add3_u32 v1, v1, v5, v4
	v_add_u32_e32 v98, s2, v96
	v_lshl_add_u64 v[0:1], v[0:1], 2, v[2:3]
	v_add_u32_e32 v110, s2, v98
	v_lshl_add_u64 v[108:109], s[14:15], 2, v[0:1]
	v_ashrrev_i32_e32 v63, 31, v62
	v_ashrrev_i32_e32 v65, 31, v64
	;; [unrolled: 1-line block ×16, first 2 shown]
	v_lshl_add_u64 v[60:61], v[62:63], 2, v[108:109]
	v_lshl_add_u64 v[62:63], v[64:65], 2, v[108:109]
	;; [unrolled: 1-line block ×16, first 2 shown]
	v_add_u32_e32 v110, s2, v110
	v_lshlrev_b32_e32 v0, 2, v125
	v_mov_b32_e32 v1, 0
	v_ashrrev_i32_e32 v7, 31, v6
	v_ashrrev_i32_e32 v9, 31, v8
	;; [unrolled: 1-line block ×23, first 2 shown]
	s_ashr_i32 s3, s2, 31
	v_lshl_add_u64 v[0:1], v[108:109], 0, v[0:1]
	v_lshl_add_u64 v[4:5], v[6:7], 2, v[108:109]
	;; [unrolled: 1-line block ×25, first 2 shown]
	global_load_dword v59, v[34:35], off
	global_load_dword v56, v[36:37], off
	;; [unrolled: 1-line block ×41, first 2 shown]
	s_mulk_i32 s10, 0xa4
	v_cmp_eq_u32_e64 s[0:1], 0, v125
	v_cmp_ne_u32_e64 s[2:3], 0, v125
	s_movk_i32 s11, 0xa4
	s_add_i32 s8, s10, 0
	s_and_saveexec_b64 s[4:5], s[2:3]
	s_xor_b64 s[4:5], exec, s[4:5]
	s_or_saveexec_b64 s[4:5], s[4:5]
	v_mad_u32_u24 v127, v126, s11, 0
	v_lshl_add_u32 v126, v126, 2, s8
	s_xor_b64 exec, exec, s[4:5]
	s_cbranch_execz .LBB81_5
; %bb.2:
	s_waitcnt vmcnt(0)
	ds_write_b32 v126, v124
	ds_write2_b32 v127, v118, v119 offset0:1 offset1:2
	ds_write2_b32 v127, v120, v121 offset0:3 offset1:4
	;; [unrolled: 1-line block ×20, first 2 shown]
	ds_read_b32 v128, v126
	s_waitcnt lgkmcnt(0)
	v_cmp_neq_f32_e32 vcc, 0, v128
	s_and_saveexec_b64 s[10:11], vcc
	s_cbranch_execz .LBB81_4
; %bb.3:
	v_div_scale_f32 v129, s[12:13], v128, v128, 1.0
	v_rcp_f32_e32 v130, v129
	v_div_scale_f32 v131, vcc, 1.0, v128, 1.0
	v_fma_f32 v132, -v129, v130, 1.0
	v_fmac_f32_e32 v130, v132, v130
	v_mul_f32_e32 v132, v131, v130
	v_fma_f32 v133, -v129, v132, v131
	v_fmac_f32_e32 v132, v133, v130
	v_fma_f32 v129, -v129, v132, v131
	v_div_fmas_f32 v129, v129, v130, v132
	v_div_fixup_f32 v128, v129, v128, 1.0
	ds_write_b32 v126, v128
.LBB81_4:
	s_or_b64 exec, exec, s[10:11]
.LBB81_5:
	s_or_b64 exec, exec, s[4:5]
	s_waitcnt lgkmcnt(0)
	s_barrier
	ds_read_b32 v128, v126
	s_and_saveexec_b64 s[4:5], s[2:3]
	s_cbranch_execz .LBB81_7
; %bb.6:
	ds_read2_b32 v[130:131], v127 offset0:1 offset1:2
	ds_read2_b32 v[132:133], v127 offset0:3 offset1:4
	;; [unrolled: 1-line block ×3, first 2 shown]
	s_waitcnt vmcnt(0) lgkmcnt(3)
	v_mul_f32_e32 v124, v128, v124
	ds_read2_b32 v[136:137], v127 offset0:7 offset1:8
	s_waitcnt lgkmcnt(3)
	v_pk_fma_f32 v[118:119], v[124:125], v[130:131], v[118:119] op_sel_hi:[0,1,1] neg_lo:[1,0,0] neg_hi:[1,0,0]
	s_waitcnt lgkmcnt(2)
	v_pk_fma_f32 v[120:121], v[124:125], v[132:133], v[120:121] op_sel_hi:[0,1,1] neg_lo:[1,0,0] neg_hi:[1,0,0]
	s_waitcnt lgkmcnt(1)
	v_pk_fma_f32 v[122:123], v[124:125], v[134:135], v[122:123] op_sel_hi:[0,1,1] neg_lo:[1,0,0] neg_hi:[1,0,0]
	ds_read2_b32 v[130:131], v127 offset0:9 offset1:10
	ds_read2_b32 v[132:133], v127 offset0:11 offset1:12
	ds_read2_b32 v[134:135], v127 offset0:13 offset1:14
	s_waitcnt lgkmcnt(3)
	v_pk_fma_f32 v[116:117], v[124:125], v[136:137], v[116:117] op_sel_hi:[0,1,1] neg_lo:[1,0,0] neg_hi:[1,0,0]
	ds_read2_b32 v[136:137], v127 offset0:15 offset1:16
	s_waitcnt lgkmcnt(3)
	v_pk_fma_f32 v[112:113], v[124:125], v[130:131], v[112:113] op_sel_hi:[0,1,1] neg_lo:[1,0,0] neg_hi:[1,0,0]
	s_waitcnt lgkmcnt(2)
	v_pk_fma_f32 v[114:115], v[124:125], v[132:133], v[114:115] op_sel_hi:[0,1,1] neg_lo:[1,0,0] neg_hi:[1,0,0]
	s_waitcnt lgkmcnt(1)
	v_pk_fma_f32 v[110:111], v[124:125], v[134:135], v[110:111] op_sel_hi:[0,1,1] neg_lo:[1,0,0] neg_hi:[1,0,0]
	ds_read2_b32 v[130:131], v127 offset0:17 offset1:18
	ds_read2_b32 v[132:133], v127 offset0:19 offset1:20
	ds_read2_b32 v[134:135], v127 offset0:21 offset1:22
	s_waitcnt lgkmcnt(3)
	v_pk_fma_f32 v[58:59], v[124:125], v[136:137], v[58:59] op_sel_hi:[0,1,1] neg_lo:[1,0,0] neg_hi:[1,0,0]
	ds_read2_b32 v[136:137], v127 offset0:23 offset1:24
	s_waitcnt lgkmcnt(3)
	v_pk_fma_f32 v[56:57], v[124:125], v[130:131], v[56:57] op_sel_hi:[0,1,1] neg_lo:[1,0,0] neg_hi:[1,0,0]
	s_waitcnt lgkmcnt(2)
	v_pk_fma_f32 v[50:51], v[124:125], v[132:133], v[50:51] op_sel_hi:[0,1,1] neg_lo:[1,0,0] neg_hi:[1,0,0]
	s_waitcnt lgkmcnt(1)
	v_pk_fma_f32 v[52:53], v[124:125], v[134:135], v[52:53] op_sel_hi:[0,1,1] neg_lo:[1,0,0] neg_hi:[1,0,0]
	ds_read2_b32 v[130:131], v127 offset0:25 offset1:26
	ds_read2_b32 v[132:133], v127 offset0:27 offset1:28
	ds_read2_b32 v[134:135], v127 offset0:29 offset1:30
	s_waitcnt lgkmcnt(3)
	v_pk_fma_f32 v[54:55], v[124:125], v[136:137], v[54:55] op_sel_hi:[0,1,1] neg_lo:[1,0,0] neg_hi:[1,0,0]
	ds_read2_b32 v[136:137], v127 offset0:31 offset1:32
	s_waitcnt lgkmcnt(3)
	v_pk_fma_f32 v[78:79], v[124:125], v[130:131], v[78:79] op_sel_hi:[0,1,1] neg_lo:[1,0,0] neg_hi:[1,0,0]
	s_waitcnt lgkmcnt(2)
	v_pk_fma_f32 v[80:81], v[124:125], v[132:133], v[80:81] op_sel_hi:[0,1,1] neg_lo:[1,0,0] neg_hi:[1,0,0]
	s_waitcnt lgkmcnt(1)
	v_pk_fma_f32 v[82:83], v[124:125], v[134:135], v[82:83] op_sel_hi:[0,1,1] neg_lo:[1,0,0] neg_hi:[1,0,0]
	ds_read2_b32 v[130:131], v127 offset0:33 offset1:34
	ds_read2_b32 v[132:133], v127 offset0:35 offset1:36
	ds_read2_b32 v[134:135], v127 offset0:37 offset1:38
	ds_read2_b32 v[138:139], v127 offset0:39 offset1:40
	s_waitcnt lgkmcnt(4)
	v_pk_fma_f32 v[76:77], v[124:125], v[136:137], v[76:77] op_sel_hi:[0,1,1] neg_lo:[1,0,0] neg_hi:[1,0,0]
	s_waitcnt lgkmcnt(3)
	v_pk_fma_f32 v[102:103], v[124:125], v[130:131], v[102:103] op_sel_hi:[0,1,1] neg_lo:[1,0,0] neg_hi:[1,0,0]
	;; [unrolled: 2-line block ×5, first 2 shown]
.LBB81_7:
	s_or_b64 exec, exec, s[4:5]
	v_cmp_eq_u32_e32 vcc, 1, v125
	s_waitcnt lgkmcnt(0)
	s_barrier
	s_and_saveexec_b64 s[2:3], vcc
	s_cbranch_execz .LBB81_10
; %bb.8:
	s_waitcnt vmcnt(4)
	v_pk_mov_b32 v[130:131], v[118:119], v[120:121] op_sel:[1,0]
	ds_write_b32 v126, v118
	ds_write2_b32 v127, v130, v131 offset0:2 offset1:3
	s_waitcnt vmcnt(2)
	v_pk_mov_b32 v[130:131], v[120:121], v[122:123] op_sel:[1,0]
	ds_write2_b32 v127, v130, v131 offset0:4 offset1:5
	s_waitcnt vmcnt(1)
	v_pk_mov_b32 v[130:131], v[122:123], v[116:117] op_sel:[1,0]
	ds_write2_b32 v127, v130, v131 offset0:6 offset1:7
	v_pk_mov_b32 v[130:131], v[116:117], v[112:113] op_sel:[1,0]
	ds_write2_b32 v127, v130, v131 offset0:8 offset1:9
	;; [unrolled: 2-line block ×17, first 2 shown]
	ds_write_b32 v127, v107 offset:160
	ds_read_b32 v129, v126
	s_waitcnt lgkmcnt(0)
	v_cmp_neq_f32_e32 vcc, 0, v129
	s_and_b64 exec, exec, vcc
	s_cbranch_execz .LBB81_10
; %bb.9:
	v_div_scale_f32 v130, s[4:5], v129, v129, 1.0
	v_rcp_f32_e32 v131, v130
	v_div_scale_f32 v132, vcc, 1.0, v129, 1.0
	v_fma_f32 v133, -v130, v131, 1.0
	v_fmac_f32_e32 v131, v133, v131
	v_mul_f32_e32 v133, v132, v131
	v_fma_f32 v134, -v130, v133, v132
	v_fmac_f32_e32 v133, v134, v131
	v_fma_f32 v130, -v130, v133, v132
	v_div_fmas_f32 v130, v130, v131, v133
	v_div_fixup_f32 v129, v130, v129, 1.0
	ds_write_b32 v126, v129
.LBB81_10:
	s_or_b64 exec, exec, s[2:3]
	s_waitcnt lgkmcnt(0)
	s_barrier
	ds_read_b32 v129, v126
	v_cmp_lt_u32_e32 vcc, 1, v125
	s_and_saveexec_b64 s[2:3], vcc
	s_cbranch_execz .LBB81_12
; %bb.11:
	ds_read_b32 v136, v127 offset:8
	ds_read2_b32 v[130:131], v127 offset0:3 offset1:4
	ds_read2_b32 v[132:133], v127 offset0:5 offset1:6
	s_waitcnt vmcnt(7) lgkmcnt(3)
	v_mul_f32_e32 v118, v129, v118
	ds_read2_b32 v[134:135], v127 offset0:7 offset1:8
	s_waitcnt vmcnt(6) lgkmcnt(3)
	v_fma_f32 v119, -v118, v136, v119
	s_waitcnt vmcnt(4) lgkmcnt(2)
	v_pk_fma_f32 v[120:121], v[118:119], v[130:131], v[120:121] op_sel_hi:[0,1,1] neg_lo:[1,0,0] neg_hi:[1,0,0]
	s_waitcnt vmcnt(2) lgkmcnt(1)
	v_pk_fma_f32 v[122:123], v[118:119], v[132:133], v[122:123] op_sel_hi:[0,1,1] neg_lo:[1,0,0] neg_hi:[1,0,0]
	ds_read2_b32 v[130:131], v127 offset0:9 offset1:10
	ds_read2_b32 v[132:133], v127 offset0:11 offset1:12
	;; [unrolled: 1-line block ×3, first 2 shown]
	s_waitcnt vmcnt(1) lgkmcnt(3)
	v_pk_fma_f32 v[116:117], v[118:119], v[134:135], v[116:117] op_sel_hi:[0,1,1] neg_lo:[1,0,0] neg_hi:[1,0,0]
	ds_read2_b32 v[134:135], v127 offset0:15 offset1:16
	s_waitcnt lgkmcnt(3)
	v_pk_fma_f32 v[112:113], v[118:119], v[130:131], v[112:113] op_sel_hi:[0,1,1] neg_lo:[1,0,0] neg_hi:[1,0,0]
	s_waitcnt lgkmcnt(2)
	v_pk_fma_f32 v[114:115], v[118:119], v[132:133], v[114:115] op_sel_hi:[0,1,1] neg_lo:[1,0,0] neg_hi:[1,0,0]
	;; [unrolled: 2-line block ×3, first 2 shown]
	ds_read2_b32 v[130:131], v127 offset0:17 offset1:18
	ds_read2_b32 v[132:133], v127 offset0:19 offset1:20
	;; [unrolled: 1-line block ×3, first 2 shown]
	s_waitcnt lgkmcnt(3)
	v_pk_fma_f32 v[58:59], v[118:119], v[134:135], v[58:59] op_sel_hi:[0,1,1] neg_lo:[1,0,0] neg_hi:[1,0,0]
	ds_read2_b32 v[134:135], v127 offset0:23 offset1:24
	s_waitcnt lgkmcnt(3)
	v_pk_fma_f32 v[56:57], v[118:119], v[130:131], v[56:57] op_sel_hi:[0,1,1] neg_lo:[1,0,0] neg_hi:[1,0,0]
	s_waitcnt lgkmcnt(2)
	v_pk_fma_f32 v[50:51], v[118:119], v[132:133], v[50:51] op_sel_hi:[0,1,1] neg_lo:[1,0,0] neg_hi:[1,0,0]
	;; [unrolled: 2-line block ×3, first 2 shown]
	ds_read2_b32 v[130:131], v127 offset0:25 offset1:26
	ds_read2_b32 v[132:133], v127 offset0:27 offset1:28
	;; [unrolled: 1-line block ×3, first 2 shown]
	s_waitcnt lgkmcnt(3)
	v_pk_fma_f32 v[54:55], v[118:119], v[134:135], v[54:55] op_sel_hi:[0,1,1] neg_lo:[1,0,0] neg_hi:[1,0,0]
	ds_read2_b32 v[134:135], v127 offset0:31 offset1:32
	s_waitcnt lgkmcnt(3)
	v_pk_fma_f32 v[78:79], v[118:119], v[130:131], v[78:79] op_sel_hi:[0,1,1] neg_lo:[1,0,0] neg_hi:[1,0,0]
	s_waitcnt lgkmcnt(2)
	v_pk_fma_f32 v[80:81], v[118:119], v[132:133], v[80:81] op_sel_hi:[0,1,1] neg_lo:[1,0,0] neg_hi:[1,0,0]
	;; [unrolled: 2-line block ×3, first 2 shown]
	ds_read2_b32 v[130:131], v127 offset0:33 offset1:34
	ds_read2_b32 v[132:133], v127 offset0:35 offset1:36
	;; [unrolled: 1-line block ×4, first 2 shown]
	s_waitcnt lgkmcnt(4)
	v_pk_fma_f32 v[76:77], v[118:119], v[134:135], v[76:77] op_sel_hi:[0,1,1] neg_lo:[1,0,0] neg_hi:[1,0,0]
	s_waitcnt lgkmcnt(3)
	v_pk_fma_f32 v[102:103], v[118:119], v[130:131], v[102:103] op_sel_hi:[0,1,1] neg_lo:[1,0,0] neg_hi:[1,0,0]
	;; [unrolled: 2-line block ×5, first 2 shown]
.LBB81_12:
	s_or_b64 exec, exec, s[2:3]
	v_cmp_eq_u32_e32 vcc, 2, v125
	s_waitcnt lgkmcnt(0)
	s_barrier
	s_and_saveexec_b64 s[2:3], vcc
	s_cbranch_execz .LBB81_15
; %bb.13:
	s_waitcnt vmcnt(6)
	ds_write_b32 v126, v119
	s_waitcnt vmcnt(4)
	ds_write2_b32 v127, v120, v121 offset0:3 offset1:4
	s_waitcnt vmcnt(2)
	ds_write2_b32 v127, v122, v123 offset0:5 offset1:6
	;; [unrolled: 2-line block ×3, first 2 shown]
	ds_write2_b32 v127, v112, v113 offset0:9 offset1:10
	ds_write2_b32 v127, v114, v115 offset0:11 offset1:12
	;; [unrolled: 1-line block ×16, first 2 shown]
	ds_read_b32 v130, v126
	s_waitcnt lgkmcnt(0)
	v_cmp_neq_f32_e32 vcc, 0, v130
	s_and_b64 exec, exec, vcc
	s_cbranch_execz .LBB81_15
; %bb.14:
	v_div_scale_f32 v131, s[4:5], v130, v130, 1.0
	v_rcp_f32_e32 v132, v131
	v_div_scale_f32 v133, vcc, 1.0, v130, 1.0
	v_fma_f32 v134, -v131, v132, 1.0
	v_fmac_f32_e32 v132, v134, v132
	v_mul_f32_e32 v134, v133, v132
	v_fma_f32 v135, -v131, v134, v133
	v_fmac_f32_e32 v134, v135, v132
	v_fma_f32 v131, -v131, v134, v133
	v_div_fmas_f32 v131, v131, v132, v134
	v_div_fixup_f32 v130, v131, v130, 1.0
	ds_write_b32 v126, v130
.LBB81_15:
	s_or_b64 exec, exec, s[2:3]
	s_waitcnt lgkmcnt(0)
	s_barrier
	ds_read_b32 v130, v126
	v_cmp_lt_u32_e32 vcc, 2, v125
	s_and_saveexec_b64 s[2:3], vcc
	s_cbranch_execz .LBB81_17
; %bb.16:
	ds_read2_b32 v[132:133], v127 offset0:3 offset1:4
	ds_read2_b32 v[134:135], v127 offset0:5 offset1:6
	;; [unrolled: 1-line block ×3, first 2 shown]
	s_waitcnt vmcnt(6) lgkmcnt(3)
	v_mul_f32_e32 v138, v130, v119
	ds_read2_b32 v[140:141], v127 offset0:9 offset1:10
	s_waitcnt vmcnt(4) lgkmcnt(3)
	v_pk_fma_f32 v[120:121], v[138:139], v[132:133], v[120:121] op_sel_hi:[0,1,1] neg_lo:[1,0,0] neg_hi:[1,0,0]
	s_waitcnt vmcnt(2) lgkmcnt(2)
	v_pk_fma_f32 v[122:123], v[138:139], v[134:135], v[122:123] op_sel_hi:[0,1,1] neg_lo:[1,0,0] neg_hi:[1,0,0]
	;; [unrolled: 2-line block ×3, first 2 shown]
	ds_read2_b32 v[132:133], v127 offset0:11 offset1:12
	ds_read2_b32 v[134:135], v127 offset0:13 offset1:14
	ds_read2_b32 v[136:137], v127 offset0:15 offset1:16
	s_waitcnt lgkmcnt(3)
	v_pk_fma_f32 v[112:113], v[138:139], v[140:141], v[112:113] op_sel_hi:[0,1,1] neg_lo:[1,0,0] neg_hi:[1,0,0]
	ds_read2_b32 v[140:141], v127 offset0:17 offset1:18
	s_waitcnt lgkmcnt(3)
	v_pk_fma_f32 v[114:115], v[138:139], v[132:133], v[114:115] op_sel_hi:[0,1,1] neg_lo:[1,0,0] neg_hi:[1,0,0]
	s_waitcnt lgkmcnt(2)
	v_pk_fma_f32 v[110:111], v[138:139], v[134:135], v[110:111] op_sel_hi:[0,1,1] neg_lo:[1,0,0] neg_hi:[1,0,0]
	;; [unrolled: 2-line block ×3, first 2 shown]
	ds_read2_b32 v[132:133], v127 offset0:19 offset1:20
	ds_read2_b32 v[134:135], v127 offset0:21 offset1:22
	;; [unrolled: 1-line block ×3, first 2 shown]
	s_waitcnt lgkmcnt(3)
	v_pk_fma_f32 v[56:57], v[138:139], v[140:141], v[56:57] op_sel_hi:[0,1,1] neg_lo:[1,0,0] neg_hi:[1,0,0]
	ds_read2_b32 v[140:141], v127 offset0:25 offset1:26
	s_waitcnt lgkmcnt(3)
	v_pk_fma_f32 v[50:51], v[138:139], v[132:133], v[50:51] op_sel_hi:[0,1,1] neg_lo:[1,0,0] neg_hi:[1,0,0]
	s_waitcnt lgkmcnt(2)
	v_pk_fma_f32 v[52:53], v[138:139], v[134:135], v[52:53] op_sel_hi:[0,1,1] neg_lo:[1,0,0] neg_hi:[1,0,0]
	ds_read2_b32 v[132:133], v127 offset0:27 offset1:28
	ds_read2_b32 v[134:135], v127 offset0:29 offset1:30
	s_waitcnt lgkmcnt(3)
	v_pk_fma_f32 v[54:55], v[138:139], v[136:137], v[54:55] op_sel_hi:[0,1,1] neg_lo:[1,0,0] neg_hi:[1,0,0]
	s_waitcnt lgkmcnt(2)
	v_pk_fma_f32 v[78:79], v[138:139], v[140:141], v[78:79] op_sel_hi:[0,1,1] neg_lo:[1,0,0] neg_hi:[1,0,0]
	ds_read2_b32 v[136:137], v127 offset0:31 offset1:32
	;; [unrolled: 6-line block ×3, first 2 shown]
	ds_read2_b32 v[134:135], v127 offset0:37 offset1:38
	ds_read2_b32 v[142:143], v127 offset0:39 offset1:40
	s_waitcnt lgkmcnt(4)
	v_pk_fma_f32 v[76:77], v[138:139], v[136:137], v[76:77] op_sel_hi:[0,1,1] neg_lo:[1,0,0] neg_hi:[1,0,0]
	s_waitcnt lgkmcnt(3)
	v_pk_fma_f32 v[102:103], v[138:139], v[140:141], v[102:103] op_sel_hi:[0,1,1] neg_lo:[1,0,0] neg_hi:[1,0,0]
	;; [unrolled: 2-line block ×5, first 2 shown]
	v_mov_b32_e32 v119, v138
.LBB81_17:
	s_or_b64 exec, exec, s[2:3]
	v_cmp_eq_u32_e32 vcc, 3, v125
	s_waitcnt lgkmcnt(0)
	s_barrier
	s_and_saveexec_b64 s[2:3], vcc
	s_cbranch_execz .LBB81_20
; %bb.18:
	s_waitcnt vmcnt(2)
	v_pk_mov_b32 v[132:133], v[120:121], v[122:123] op_sel:[1,0]
	ds_write_b32 v126, v120
	ds_write2_b32 v127, v132, v133 offset0:4 offset1:5
	s_waitcnt vmcnt(1)
	v_pk_mov_b32 v[132:133], v[122:123], v[116:117] op_sel:[1,0]
	ds_write2_b32 v127, v132, v133 offset0:6 offset1:7
	v_pk_mov_b32 v[132:133], v[116:117], v[112:113] op_sel:[1,0]
	ds_write2_b32 v127, v132, v133 offset0:8 offset1:9
	;; [unrolled: 2-line block ×17, first 2 shown]
	ds_write_b32 v127, v107 offset:160
	ds_read_b32 v131, v126
	s_waitcnt lgkmcnt(0)
	v_cmp_neq_f32_e32 vcc, 0, v131
	s_and_b64 exec, exec, vcc
	s_cbranch_execz .LBB81_20
; %bb.19:
	v_div_scale_f32 v132, s[4:5], v131, v131, 1.0
	v_rcp_f32_e32 v133, v132
	v_div_scale_f32 v134, vcc, 1.0, v131, 1.0
	v_fma_f32 v135, -v132, v133, 1.0
	v_fmac_f32_e32 v133, v135, v133
	v_mul_f32_e32 v135, v134, v133
	v_fma_f32 v136, -v132, v135, v134
	v_fmac_f32_e32 v135, v136, v133
	v_fma_f32 v132, -v132, v135, v134
	v_div_fmas_f32 v132, v132, v133, v135
	v_div_fixup_f32 v131, v132, v131, 1.0
	ds_write_b32 v126, v131
.LBB81_20:
	s_or_b64 exec, exec, s[2:3]
	s_waitcnt lgkmcnt(0)
	s_barrier
	ds_read_b32 v131, v126
	v_cmp_lt_u32_e32 vcc, 3, v125
	s_and_saveexec_b64 s[2:3], vcc
	s_cbranch_execz .LBB81_22
; %bb.21:
	ds_read_b32 v138, v127 offset:16
	ds_read2_b32 v[132:133], v127 offset0:5 offset1:6
	ds_read2_b32 v[134:135], v127 offset0:7 offset1:8
	s_waitcnt vmcnt(5) lgkmcnt(3)
	v_mul_f32_e32 v120, v131, v120
	ds_read2_b32 v[136:137], v127 offset0:9 offset1:10
	s_waitcnt vmcnt(4) lgkmcnt(3)
	v_fma_f32 v121, -v120, v138, v121
	s_waitcnt vmcnt(2) lgkmcnt(2)
	v_pk_fma_f32 v[122:123], v[120:121], v[132:133], v[122:123] op_sel_hi:[0,1,1] neg_lo:[1,0,0] neg_hi:[1,0,0]
	s_waitcnt vmcnt(1) lgkmcnt(1)
	v_pk_fma_f32 v[116:117], v[120:121], v[134:135], v[116:117] op_sel_hi:[0,1,1] neg_lo:[1,0,0] neg_hi:[1,0,0]
	ds_read2_b32 v[132:133], v127 offset0:11 offset1:12
	ds_read2_b32 v[134:135], v127 offset0:13 offset1:14
	;; [unrolled: 1-line block ×3, first 2 shown]
	s_waitcnt lgkmcnt(3)
	v_pk_fma_f32 v[112:113], v[120:121], v[136:137], v[112:113] op_sel_hi:[0,1,1] neg_lo:[1,0,0] neg_hi:[1,0,0]
	ds_read2_b32 v[136:137], v127 offset0:17 offset1:18
	s_waitcnt lgkmcnt(3)
	v_pk_fma_f32 v[114:115], v[120:121], v[132:133], v[114:115] op_sel_hi:[0,1,1] neg_lo:[1,0,0] neg_hi:[1,0,0]
	s_waitcnt lgkmcnt(2)
	v_pk_fma_f32 v[110:111], v[120:121], v[134:135], v[110:111] op_sel_hi:[0,1,1] neg_lo:[1,0,0] neg_hi:[1,0,0]
	;; [unrolled: 2-line block ×3, first 2 shown]
	ds_read2_b32 v[132:133], v127 offset0:19 offset1:20
	ds_read2_b32 v[134:135], v127 offset0:21 offset1:22
	;; [unrolled: 1-line block ×3, first 2 shown]
	s_waitcnt lgkmcnt(3)
	v_pk_fma_f32 v[56:57], v[120:121], v[136:137], v[56:57] op_sel_hi:[0,1,1] neg_lo:[1,0,0] neg_hi:[1,0,0]
	ds_read2_b32 v[136:137], v127 offset0:25 offset1:26
	s_waitcnt lgkmcnt(3)
	v_pk_fma_f32 v[50:51], v[120:121], v[132:133], v[50:51] op_sel_hi:[0,1,1] neg_lo:[1,0,0] neg_hi:[1,0,0]
	s_waitcnt lgkmcnt(2)
	v_pk_fma_f32 v[52:53], v[120:121], v[134:135], v[52:53] op_sel_hi:[0,1,1] neg_lo:[1,0,0] neg_hi:[1,0,0]
	ds_read2_b32 v[132:133], v127 offset0:27 offset1:28
	ds_read2_b32 v[134:135], v127 offset0:29 offset1:30
	s_waitcnt lgkmcnt(3)
	v_pk_fma_f32 v[54:55], v[120:121], v[138:139], v[54:55] op_sel_hi:[0,1,1] neg_lo:[1,0,0] neg_hi:[1,0,0]
	s_waitcnt lgkmcnt(2)
	v_pk_fma_f32 v[78:79], v[120:121], v[136:137], v[78:79] op_sel_hi:[0,1,1] neg_lo:[1,0,0] neg_hi:[1,0,0]
	ds_read2_b32 v[136:137], v127 offset0:31 offset1:32
	;; [unrolled: 6-line block ×3, first 2 shown]
	ds_read2_b32 v[134:135], v127 offset0:37 offset1:38
	ds_read2_b32 v[140:141], v127 offset0:39 offset1:40
	s_waitcnt lgkmcnt(4)
	v_pk_fma_f32 v[76:77], v[120:121], v[136:137], v[76:77] op_sel_hi:[0,1,1] neg_lo:[1,0,0] neg_hi:[1,0,0]
	s_waitcnt lgkmcnt(3)
	v_pk_fma_f32 v[102:103], v[120:121], v[138:139], v[102:103] op_sel_hi:[0,1,1] neg_lo:[1,0,0] neg_hi:[1,0,0]
	;; [unrolled: 2-line block ×5, first 2 shown]
.LBB81_22:
	s_or_b64 exec, exec, s[2:3]
	v_cmp_ne_u32_e32 vcc, 4, v125
	s_waitcnt lgkmcnt(0)
	s_barrier
	s_and_saveexec_b64 s[2:3], vcc
	s_xor_b64 s[2:3], exec, s[2:3]
	s_andn2_saveexec_b64 s[2:3], s[2:3]
	s_cbranch_execz .LBB81_26
; %bb.23:
	s_waitcnt vmcnt(4)
	ds_write_b32 v126, v121
	s_waitcnt vmcnt(2)
	ds_write2_b32 v127, v122, v123 offset0:5 offset1:6
	s_waitcnt vmcnt(1)
	ds_write2_b32 v127, v116, v117 offset0:7 offset1:8
	ds_write2_b32 v127, v112, v113 offset0:9 offset1:10
	ds_write2_b32 v127, v114, v115 offset0:11 offset1:12
	ds_write2_b32 v127, v110, v111 offset0:13 offset1:14
	ds_write2_b32 v127, v58, v59 offset0:15 offset1:16
	ds_write2_b32 v127, v56, v57 offset0:17 offset1:18
	ds_write2_b32 v127, v50, v51 offset0:19 offset1:20
	ds_write2_b32 v127, v52, v53 offset0:21 offset1:22
	ds_write2_b32 v127, v54, v55 offset0:23 offset1:24
	ds_write2_b32 v127, v78, v79 offset0:25 offset1:26
	ds_write2_b32 v127, v80, v81 offset0:27 offset1:28
	ds_write2_b32 v127, v82, v83 offset0:29 offset1:30
	ds_write2_b32 v127, v76, v77 offset0:31 offset1:32
	ds_write2_b32 v127, v102, v103 offset0:33 offset1:34
	ds_write2_b32 v127, v104, v105 offset0:35 offset1:36
	ds_write2_b32 v127, v100, v101 offset0:37 offset1:38
	ds_write2_b32 v127, v106, v107 offset0:39 offset1:40
	ds_read_b32 v132, v126
	s_waitcnt lgkmcnt(0)
	v_cmp_neq_f32_e32 vcc, 0, v132
	s_and_saveexec_b64 s[4:5], vcc
	s_cbranch_execz .LBB81_25
; %bb.24:
	v_div_scale_f32 v133, s[10:11], v132, v132, 1.0
	v_rcp_f32_e32 v134, v133
	v_div_scale_f32 v135, vcc, 1.0, v132, 1.0
	v_fma_f32 v136, -v133, v134, 1.0
	v_fmac_f32_e32 v134, v136, v134
	v_mul_f32_e32 v136, v135, v134
	v_fma_f32 v137, -v133, v136, v135
	v_fmac_f32_e32 v136, v137, v134
	v_fma_f32 v133, -v133, v136, v135
	v_div_fmas_f32 v133, v133, v134, v136
	v_div_fixup_f32 v132, v133, v132, 1.0
	ds_write_b32 v126, v132
.LBB81_25:
	s_or_b64 exec, exec, s[4:5]
.LBB81_26:
	s_or_b64 exec, exec, s[2:3]
	s_waitcnt lgkmcnt(0)
	s_barrier
	ds_read_b32 v132, v126
	v_cmp_lt_u32_e32 vcc, 4, v125
	s_and_saveexec_b64 s[2:3], vcc
	s_cbranch_execz .LBB81_28
; %bb.27:
	ds_read2_b32 v[134:135], v127 offset0:5 offset1:6
	ds_read2_b32 v[136:137], v127 offset0:7 offset1:8
	;; [unrolled: 1-line block ×4, first 2 shown]
	s_waitcnt vmcnt(4) lgkmcnt(4)
	v_mul_f32_e32 v140, v132, v121
	s_waitcnt vmcnt(2) lgkmcnt(3)
	v_pk_fma_f32 v[122:123], v[140:141], v[134:135], v[122:123] op_sel_hi:[0,1,1] neg_lo:[1,0,0] neg_hi:[1,0,0]
	s_waitcnt vmcnt(1) lgkmcnt(2)
	v_pk_fma_f32 v[116:117], v[140:141], v[136:137], v[116:117] op_sel_hi:[0,1,1] neg_lo:[1,0,0] neg_hi:[1,0,0]
	s_waitcnt lgkmcnt(1)
	v_pk_fma_f32 v[112:113], v[140:141], v[138:139], v[112:113] op_sel_hi:[0,1,1] neg_lo:[1,0,0] neg_hi:[1,0,0]
	ds_read2_b32 v[134:135], v127 offset0:13 offset1:14
	ds_read2_b32 v[136:137], v127 offset0:15 offset1:16
	;; [unrolled: 1-line block ×3, first 2 shown]
	s_waitcnt lgkmcnt(3)
	v_pk_fma_f32 v[114:115], v[140:141], v[142:143], v[114:115] op_sel_hi:[0,1,1] neg_lo:[1,0,0] neg_hi:[1,0,0]
	ds_read2_b32 v[142:143], v127 offset0:19 offset1:20
	s_waitcnt lgkmcnt(3)
	v_pk_fma_f32 v[110:111], v[140:141], v[134:135], v[110:111] op_sel_hi:[0,1,1] neg_lo:[1,0,0] neg_hi:[1,0,0]
	s_waitcnt lgkmcnt(2)
	v_pk_fma_f32 v[58:59], v[140:141], v[136:137], v[58:59] op_sel_hi:[0,1,1] neg_lo:[1,0,0] neg_hi:[1,0,0]
	;; [unrolled: 2-line block ×3, first 2 shown]
	ds_read2_b32 v[134:135], v127 offset0:21 offset1:22
	ds_read2_b32 v[136:137], v127 offset0:23 offset1:24
	;; [unrolled: 1-line block ×3, first 2 shown]
	s_waitcnt lgkmcnt(3)
	v_pk_fma_f32 v[50:51], v[140:141], v[142:143], v[50:51] op_sel_hi:[0,1,1] neg_lo:[1,0,0] neg_hi:[1,0,0]
	ds_read2_b32 v[142:143], v127 offset0:27 offset1:28
	s_waitcnt lgkmcnt(3)
	v_pk_fma_f32 v[52:53], v[140:141], v[134:135], v[52:53] op_sel_hi:[0,1,1] neg_lo:[1,0,0] neg_hi:[1,0,0]
	ds_read2_b32 v[134:135], v127 offset0:29 offset1:30
	s_waitcnt lgkmcnt(3)
	v_pk_fma_f32 v[54:55], v[140:141], v[136:137], v[54:55] op_sel_hi:[0,1,1] neg_lo:[1,0,0] neg_hi:[1,0,0]
	s_waitcnt lgkmcnt(2)
	v_pk_fma_f32 v[78:79], v[140:141], v[138:139], v[78:79] op_sel_hi:[0,1,1] neg_lo:[1,0,0] neg_hi:[1,0,0]
	;; [unrolled: 2-line block ×3, first 2 shown]
	ds_read2_b32 v[136:137], v127 offset0:31 offset1:32
	ds_read2_b32 v[138:139], v127 offset0:33 offset1:34
	ds_read2_b32 v[142:143], v127 offset0:35 offset1:36
	s_waitcnt lgkmcnt(3)
	v_pk_fma_f32 v[82:83], v[140:141], v[134:135], v[82:83] op_sel_hi:[0,1,1] neg_lo:[1,0,0] neg_hi:[1,0,0]
	ds_read2_b32 v[134:135], v127 offset0:37 offset1:38
	ds_read2_b32 v[144:145], v127 offset0:39 offset1:40
	s_waitcnt lgkmcnt(4)
	v_pk_fma_f32 v[76:77], v[140:141], v[136:137], v[76:77] op_sel_hi:[0,1,1] neg_lo:[1,0,0] neg_hi:[1,0,0]
	s_waitcnt lgkmcnt(3)
	v_pk_fma_f32 v[102:103], v[140:141], v[138:139], v[102:103] op_sel_hi:[0,1,1] neg_lo:[1,0,0] neg_hi:[1,0,0]
	;; [unrolled: 2-line block ×5, first 2 shown]
	v_mov_b32_e32 v121, v140
.LBB81_28:
	s_or_b64 exec, exec, s[2:3]
	v_cmp_eq_u32_e32 vcc, 5, v125
	s_waitcnt lgkmcnt(0)
	s_barrier
	s_and_saveexec_b64 s[2:3], vcc
	s_cbranch_execz .LBB81_31
; %bb.29:
	s_waitcnt vmcnt(1)
	v_pk_mov_b32 v[134:135], v[122:123], v[116:117] op_sel:[1,0]
	ds_write_b32 v126, v122
	ds_write2_b32 v127, v134, v135 offset0:6 offset1:7
	v_pk_mov_b32 v[134:135], v[116:117], v[112:113] op_sel:[1,0]
	ds_write2_b32 v127, v134, v135 offset0:8 offset1:9
	v_pk_mov_b32 v[134:135], v[112:113], v[114:115] op_sel:[1,0]
	;; [unrolled: 2-line block ×16, first 2 shown]
	ds_write2_b32 v127, v134, v135 offset0:38 offset1:39
	ds_write_b32 v127, v107 offset:160
	ds_read_b32 v133, v126
	s_waitcnt lgkmcnt(0)
	v_cmp_neq_f32_e32 vcc, 0, v133
	s_and_b64 exec, exec, vcc
	s_cbranch_execz .LBB81_31
; %bb.30:
	v_div_scale_f32 v134, s[4:5], v133, v133, 1.0
	v_rcp_f32_e32 v135, v134
	v_div_scale_f32 v136, vcc, 1.0, v133, 1.0
	v_fma_f32 v137, -v134, v135, 1.0
	v_fmac_f32_e32 v135, v137, v135
	v_mul_f32_e32 v137, v136, v135
	v_fma_f32 v138, -v134, v137, v136
	v_fmac_f32_e32 v137, v138, v135
	v_fma_f32 v134, -v134, v137, v136
	v_div_fmas_f32 v134, v134, v135, v137
	v_div_fixup_f32 v133, v134, v133, 1.0
	ds_write_b32 v126, v133
.LBB81_31:
	s_or_b64 exec, exec, s[2:3]
	s_waitcnt lgkmcnt(0)
	s_barrier
	ds_read_b32 v133, v126
	v_cmp_lt_u32_e32 vcc, 5, v125
	s_and_saveexec_b64 s[2:3], vcc
	s_cbranch_execz .LBB81_33
; %bb.32:
	ds_read_b32 v140, v127 offset:24
	ds_read2_b32 v[134:135], v127 offset0:7 offset1:8
	ds_read2_b32 v[136:137], v127 offset0:9 offset1:10
	s_waitcnt vmcnt(3) lgkmcnt(3)
	v_mul_f32_e32 v122, v133, v122
	ds_read2_b32 v[138:139], v127 offset0:11 offset1:12
	s_waitcnt vmcnt(2) lgkmcnt(3)
	v_fma_f32 v123, -v122, v140, v123
	s_waitcnt vmcnt(1) lgkmcnt(2)
	v_pk_fma_f32 v[116:117], v[122:123], v[134:135], v[116:117] op_sel_hi:[0,1,1] neg_lo:[1,0,0] neg_hi:[1,0,0]
	s_waitcnt lgkmcnt(1)
	v_pk_fma_f32 v[112:113], v[122:123], v[136:137], v[112:113] op_sel_hi:[0,1,1] neg_lo:[1,0,0] neg_hi:[1,0,0]
	ds_read2_b32 v[134:135], v127 offset0:13 offset1:14
	ds_read2_b32 v[136:137], v127 offset0:15 offset1:16
	;; [unrolled: 1-line block ×3, first 2 shown]
	s_waitcnt lgkmcnt(3)
	v_pk_fma_f32 v[114:115], v[122:123], v[138:139], v[114:115] op_sel_hi:[0,1,1] neg_lo:[1,0,0] neg_hi:[1,0,0]
	ds_read2_b32 v[138:139], v127 offset0:19 offset1:20
	s_waitcnt lgkmcnt(3)
	v_pk_fma_f32 v[110:111], v[122:123], v[134:135], v[110:111] op_sel_hi:[0,1,1] neg_lo:[1,0,0] neg_hi:[1,0,0]
	s_waitcnt lgkmcnt(2)
	v_pk_fma_f32 v[58:59], v[122:123], v[136:137], v[58:59] op_sel_hi:[0,1,1] neg_lo:[1,0,0] neg_hi:[1,0,0]
	;; [unrolled: 2-line block ×3, first 2 shown]
	ds_read2_b32 v[134:135], v127 offset0:21 offset1:22
	ds_read2_b32 v[136:137], v127 offset0:23 offset1:24
	ds_read2_b32 v[140:141], v127 offset0:25 offset1:26
	s_waitcnt lgkmcnt(3)
	v_pk_fma_f32 v[50:51], v[122:123], v[138:139], v[50:51] op_sel_hi:[0,1,1] neg_lo:[1,0,0] neg_hi:[1,0,0]
	ds_read2_b32 v[138:139], v127 offset0:27 offset1:28
	s_waitcnt lgkmcnt(3)
	v_pk_fma_f32 v[52:53], v[122:123], v[134:135], v[52:53] op_sel_hi:[0,1,1] neg_lo:[1,0,0] neg_hi:[1,0,0]
	ds_read2_b32 v[134:135], v127 offset0:29 offset1:30
	s_waitcnt lgkmcnt(3)
	v_pk_fma_f32 v[54:55], v[122:123], v[136:137], v[54:55] op_sel_hi:[0,1,1] neg_lo:[1,0,0] neg_hi:[1,0,0]
	s_waitcnt lgkmcnt(2)
	v_pk_fma_f32 v[78:79], v[122:123], v[140:141], v[78:79] op_sel_hi:[0,1,1] neg_lo:[1,0,0] neg_hi:[1,0,0]
	;; [unrolled: 2-line block ×3, first 2 shown]
	ds_read2_b32 v[136:137], v127 offset0:31 offset1:32
	ds_read2_b32 v[138:139], v127 offset0:33 offset1:34
	ds_read2_b32 v[140:141], v127 offset0:35 offset1:36
	s_waitcnt lgkmcnt(3)
	v_pk_fma_f32 v[82:83], v[122:123], v[134:135], v[82:83] op_sel_hi:[0,1,1] neg_lo:[1,0,0] neg_hi:[1,0,0]
	ds_read2_b32 v[134:135], v127 offset0:37 offset1:38
	ds_read2_b32 v[142:143], v127 offset0:39 offset1:40
	s_waitcnt lgkmcnt(4)
	v_pk_fma_f32 v[76:77], v[122:123], v[136:137], v[76:77] op_sel_hi:[0,1,1] neg_lo:[1,0,0] neg_hi:[1,0,0]
	s_waitcnt lgkmcnt(3)
	v_pk_fma_f32 v[102:103], v[122:123], v[138:139], v[102:103] op_sel_hi:[0,1,1] neg_lo:[1,0,0] neg_hi:[1,0,0]
	;; [unrolled: 2-line block ×5, first 2 shown]
.LBB81_33:
	s_or_b64 exec, exec, s[2:3]
	v_cmp_ne_u32_e32 vcc, 6, v125
	s_waitcnt lgkmcnt(0)
	s_barrier
	s_and_saveexec_b64 s[2:3], vcc
	s_xor_b64 s[2:3], exec, s[2:3]
	s_andn2_saveexec_b64 s[2:3], s[2:3]
	s_cbranch_execz .LBB81_37
; %bb.34:
	s_waitcnt vmcnt(2)
	ds_write_b32 v126, v123
	s_waitcnt vmcnt(1)
	ds_write2_b32 v127, v116, v117 offset0:7 offset1:8
	ds_write2_b32 v127, v112, v113 offset0:9 offset1:10
	;; [unrolled: 1-line block ×17, first 2 shown]
	ds_read_b32 v134, v126
	s_waitcnt lgkmcnt(0)
	v_cmp_neq_f32_e32 vcc, 0, v134
	s_and_saveexec_b64 s[4:5], vcc
	s_cbranch_execz .LBB81_36
; %bb.35:
	v_div_scale_f32 v135, s[10:11], v134, v134, 1.0
	v_rcp_f32_e32 v136, v135
	v_div_scale_f32 v137, vcc, 1.0, v134, 1.0
	v_fma_f32 v138, -v135, v136, 1.0
	v_fmac_f32_e32 v136, v138, v136
	v_mul_f32_e32 v138, v137, v136
	v_fma_f32 v139, -v135, v138, v137
	v_fmac_f32_e32 v138, v139, v136
	v_fma_f32 v135, -v135, v138, v137
	v_div_fmas_f32 v135, v135, v136, v138
	v_div_fixup_f32 v134, v135, v134, 1.0
	ds_write_b32 v126, v134
.LBB81_36:
	s_or_b64 exec, exec, s[4:5]
.LBB81_37:
	s_or_b64 exec, exec, s[2:3]
	s_waitcnt lgkmcnt(0)
	s_barrier
	ds_read_b32 v134, v126
	v_cmp_lt_u32_e32 vcc, 6, v125
	s_and_saveexec_b64 s[2:3], vcc
	s_cbranch_execz .LBB81_39
; %bb.38:
	ds_read2_b32 v[136:137], v127 offset0:7 offset1:8
	ds_read2_b32 v[138:139], v127 offset0:9 offset1:10
	;; [unrolled: 1-line block ×3, first 2 shown]
	s_waitcnt vmcnt(2) lgkmcnt(3)
	v_mul_f32_e32 v142, v134, v123
	ds_read2_b32 v[144:145], v127 offset0:13 offset1:14
	s_waitcnt vmcnt(1) lgkmcnt(3)
	v_pk_fma_f32 v[116:117], v[142:143], v[136:137], v[116:117] op_sel_hi:[0,1,1] neg_lo:[1,0,0] neg_hi:[1,0,0]
	s_waitcnt lgkmcnt(2)
	v_pk_fma_f32 v[112:113], v[142:143], v[138:139], v[112:113] op_sel_hi:[0,1,1] neg_lo:[1,0,0] neg_hi:[1,0,0]
	s_waitcnt lgkmcnt(1)
	v_pk_fma_f32 v[114:115], v[142:143], v[140:141], v[114:115] op_sel_hi:[0,1,1] neg_lo:[1,0,0] neg_hi:[1,0,0]
	ds_read2_b32 v[136:137], v127 offset0:15 offset1:16
	ds_read2_b32 v[138:139], v127 offset0:17 offset1:18
	;; [unrolled: 1-line block ×3, first 2 shown]
	s_waitcnt lgkmcnt(3)
	v_pk_fma_f32 v[110:111], v[142:143], v[144:145], v[110:111] op_sel_hi:[0,1,1] neg_lo:[1,0,0] neg_hi:[1,0,0]
	ds_read2_b32 v[144:145], v127 offset0:21 offset1:22
	s_waitcnt lgkmcnt(3)
	v_pk_fma_f32 v[58:59], v[142:143], v[136:137], v[58:59] op_sel_hi:[0,1,1] neg_lo:[1,0,0] neg_hi:[1,0,0]
	s_waitcnt lgkmcnt(2)
	v_pk_fma_f32 v[56:57], v[142:143], v[138:139], v[56:57] op_sel_hi:[0,1,1] neg_lo:[1,0,0] neg_hi:[1,0,0]
	;; [unrolled: 2-line block ×3, first 2 shown]
	ds_read2_b32 v[136:137], v127 offset0:23 offset1:24
	ds_read2_b32 v[138:139], v127 offset0:25 offset1:26
	;; [unrolled: 1-line block ×4, first 2 shown]
	s_waitcnt lgkmcnt(4)
	v_pk_fma_f32 v[52:53], v[142:143], v[144:145], v[52:53] op_sel_hi:[0,1,1] neg_lo:[1,0,0] neg_hi:[1,0,0]
	s_waitcnt lgkmcnt(3)
	v_pk_fma_f32 v[54:55], v[142:143], v[136:137], v[54:55] op_sel_hi:[0,1,1] neg_lo:[1,0,0] neg_hi:[1,0,0]
	s_waitcnt lgkmcnt(2)
	v_pk_fma_f32 v[78:79], v[142:143], v[138:139], v[78:79] op_sel_hi:[0,1,1] neg_lo:[1,0,0] neg_hi:[1,0,0]
	s_waitcnt lgkmcnt(1)
	v_pk_fma_f32 v[80:81], v[142:143], v[140:141], v[80:81] op_sel_hi:[0,1,1] neg_lo:[1,0,0] neg_hi:[1,0,0]
	s_waitcnt lgkmcnt(0)
	v_pk_fma_f32 v[82:83], v[142:143], v[146:147], v[82:83] op_sel_hi:[0,1,1] neg_lo:[1,0,0] neg_hi:[1,0,0]
	ds_read2_b32 v[136:137], v127 offset0:31 offset1:32
	ds_read2_b32 v[138:139], v127 offset0:33 offset1:34
	;; [unrolled: 1-line block ×5, first 2 shown]
	s_waitcnt lgkmcnt(4)
	v_pk_fma_f32 v[76:77], v[142:143], v[136:137], v[76:77] op_sel_hi:[0,1,1] neg_lo:[1,0,0] neg_hi:[1,0,0]
	s_waitcnt lgkmcnt(3)
	v_pk_fma_f32 v[102:103], v[142:143], v[138:139], v[102:103] op_sel_hi:[0,1,1] neg_lo:[1,0,0] neg_hi:[1,0,0]
	;; [unrolled: 2-line block ×5, first 2 shown]
	v_mov_b32_e32 v123, v142
.LBB81_39:
	s_or_b64 exec, exec, s[2:3]
	v_cmp_eq_u32_e32 vcc, 7, v125
	s_waitcnt lgkmcnt(0)
	s_barrier
	s_and_saveexec_b64 s[2:3], vcc
	s_cbranch_execz .LBB81_42
; %bb.40:
	s_waitcnt vmcnt(1)
	v_pk_mov_b32 v[136:137], v[116:117], v[112:113] op_sel:[1,0]
	ds_write_b32 v126, v116
	ds_write2_b32 v127, v136, v137 offset0:8 offset1:9
	v_pk_mov_b32 v[136:137], v[112:113], v[114:115] op_sel:[1,0]
	ds_write2_b32 v127, v136, v137 offset0:10 offset1:11
	v_pk_mov_b32 v[136:137], v[114:115], v[110:111] op_sel:[1,0]
	;; [unrolled: 2-line block ×15, first 2 shown]
	ds_write2_b32 v127, v136, v137 offset0:38 offset1:39
	ds_write_b32 v127, v107 offset:160
	ds_read_b32 v135, v126
	s_waitcnt lgkmcnt(0)
	v_cmp_neq_f32_e32 vcc, 0, v135
	s_and_b64 exec, exec, vcc
	s_cbranch_execz .LBB81_42
; %bb.41:
	v_div_scale_f32 v136, s[4:5], v135, v135, 1.0
	v_rcp_f32_e32 v137, v136
	v_div_scale_f32 v138, vcc, 1.0, v135, 1.0
	v_fma_f32 v139, -v136, v137, 1.0
	v_fmac_f32_e32 v137, v139, v137
	v_mul_f32_e32 v139, v138, v137
	v_fma_f32 v140, -v136, v139, v138
	v_fmac_f32_e32 v139, v140, v137
	v_fma_f32 v136, -v136, v139, v138
	v_div_fmas_f32 v136, v136, v137, v139
	v_div_fixup_f32 v135, v136, v135, 1.0
	ds_write_b32 v126, v135
.LBB81_42:
	s_or_b64 exec, exec, s[2:3]
	s_waitcnt lgkmcnt(0)
	s_barrier
	ds_read_b32 v135, v126
	v_cmp_lt_u32_e32 vcc, 7, v125
	s_and_saveexec_b64 s[2:3], vcc
	s_cbranch_execz .LBB81_44
; %bb.43:
	ds_read_b32 v142, v127 offset:32
	ds_read2_b32 v[136:137], v127 offset0:9 offset1:10
	ds_read2_b32 v[138:139], v127 offset0:11 offset1:12
	s_waitcnt vmcnt(1) lgkmcnt(3)
	v_mul_f32_e32 v116, v135, v116
	ds_read2_b32 v[140:141], v127 offset0:13 offset1:14
	s_waitcnt lgkmcnt(3)
	v_fma_f32 v117, -v116, v142, v117
	s_waitcnt lgkmcnt(2)
	v_pk_fma_f32 v[112:113], v[116:117], v[136:137], v[112:113] op_sel_hi:[0,1,1] neg_lo:[1,0,0] neg_hi:[1,0,0]
	s_waitcnt lgkmcnt(1)
	v_pk_fma_f32 v[114:115], v[116:117], v[138:139], v[114:115] op_sel_hi:[0,1,1] neg_lo:[1,0,0] neg_hi:[1,0,0]
	ds_read2_b32 v[136:137], v127 offset0:15 offset1:16
	ds_read2_b32 v[138:139], v127 offset0:17 offset1:18
	;; [unrolled: 1-line block ×3, first 2 shown]
	s_waitcnt lgkmcnt(3)
	v_pk_fma_f32 v[110:111], v[116:117], v[140:141], v[110:111] op_sel_hi:[0,1,1] neg_lo:[1,0,0] neg_hi:[1,0,0]
	ds_read2_b32 v[140:141], v127 offset0:21 offset1:22
	s_waitcnt lgkmcnt(3)
	v_pk_fma_f32 v[58:59], v[116:117], v[136:137], v[58:59] op_sel_hi:[0,1,1] neg_lo:[1,0,0] neg_hi:[1,0,0]
	s_waitcnt lgkmcnt(2)
	v_pk_fma_f32 v[56:57], v[116:117], v[138:139], v[56:57] op_sel_hi:[0,1,1] neg_lo:[1,0,0] neg_hi:[1,0,0]
	;; [unrolled: 2-line block ×3, first 2 shown]
	ds_read2_b32 v[136:137], v127 offset0:23 offset1:24
	ds_read2_b32 v[138:139], v127 offset0:25 offset1:26
	;; [unrolled: 1-line block ×4, first 2 shown]
	s_waitcnt lgkmcnt(4)
	v_pk_fma_f32 v[52:53], v[116:117], v[140:141], v[52:53] op_sel_hi:[0,1,1] neg_lo:[1,0,0] neg_hi:[1,0,0]
	s_waitcnt lgkmcnt(3)
	v_pk_fma_f32 v[54:55], v[116:117], v[136:137], v[54:55] op_sel_hi:[0,1,1] neg_lo:[1,0,0] neg_hi:[1,0,0]
	;; [unrolled: 2-line block ×5, first 2 shown]
	ds_read2_b32 v[136:137], v127 offset0:31 offset1:32
	ds_read2_b32 v[138:139], v127 offset0:33 offset1:34
	ds_read2_b32 v[140:141], v127 offset0:35 offset1:36
	ds_read2_b32 v[142:143], v127 offset0:37 offset1:38
	ds_read2_b32 v[144:145], v127 offset0:39 offset1:40
	s_waitcnt lgkmcnt(4)
	v_pk_fma_f32 v[76:77], v[116:117], v[136:137], v[76:77] op_sel_hi:[0,1,1] neg_lo:[1,0,0] neg_hi:[1,0,0]
	s_waitcnt lgkmcnt(3)
	v_pk_fma_f32 v[102:103], v[116:117], v[138:139], v[102:103] op_sel_hi:[0,1,1] neg_lo:[1,0,0] neg_hi:[1,0,0]
	;; [unrolled: 2-line block ×5, first 2 shown]
.LBB81_44:
	s_or_b64 exec, exec, s[2:3]
	v_cmp_ne_u32_e32 vcc, 8, v125
	s_waitcnt lgkmcnt(0)
	s_barrier
	s_and_saveexec_b64 s[2:3], vcc
	s_xor_b64 s[2:3], exec, s[2:3]
	s_andn2_saveexec_b64 s[2:3], s[2:3]
	s_cbranch_execz .LBB81_48
; %bb.45:
	s_waitcnt vmcnt(8)
	ds_write_b32 v126, v117
	ds_write2_b32 v127, v112, v113 offset0:9 offset1:10
	ds_write2_b32 v127, v114, v115 offset0:11 offset1:12
	;; [unrolled: 1-line block ×16, first 2 shown]
	ds_read_b32 v136, v126
	s_waitcnt lgkmcnt(0)
	v_cmp_neq_f32_e32 vcc, 0, v136
	s_and_saveexec_b64 s[4:5], vcc
	s_cbranch_execz .LBB81_47
; %bb.46:
	v_div_scale_f32 v137, s[10:11], v136, v136, 1.0
	v_rcp_f32_e32 v138, v137
	v_div_scale_f32 v139, vcc, 1.0, v136, 1.0
	v_fma_f32 v140, -v137, v138, 1.0
	v_fmac_f32_e32 v138, v140, v138
	v_mul_f32_e32 v140, v139, v138
	v_fma_f32 v141, -v137, v140, v139
	v_fmac_f32_e32 v140, v141, v138
	v_fma_f32 v137, -v137, v140, v139
	v_div_fmas_f32 v137, v137, v138, v140
	v_div_fixup_f32 v136, v137, v136, 1.0
	ds_write_b32 v126, v136
.LBB81_47:
	s_or_b64 exec, exec, s[4:5]
.LBB81_48:
	s_or_b64 exec, exec, s[2:3]
	s_waitcnt lgkmcnt(0)
	s_barrier
	ds_read_b32 v136, v126
	v_cmp_lt_u32_e32 vcc, 8, v125
	s_and_saveexec_b64 s[2:3], vcc
	s_cbranch_execz .LBB81_50
; %bb.49:
	ds_read2_b32 v[138:139], v127 offset0:9 offset1:10
	ds_read2_b32 v[140:141], v127 offset0:11 offset1:12
	;; [unrolled: 1-line block ×3, first 2 shown]
	s_waitcnt vmcnt(8) lgkmcnt(3)
	v_mul_f32_e32 v144, v136, v117
	ds_read2_b32 v[146:147], v127 offset0:15 offset1:16
	s_waitcnt lgkmcnt(3)
	v_pk_fma_f32 v[112:113], v[144:145], v[138:139], v[112:113] op_sel_hi:[0,1,1] neg_lo:[1,0,0] neg_hi:[1,0,0]
	s_waitcnt lgkmcnt(2)
	v_pk_fma_f32 v[114:115], v[144:145], v[140:141], v[114:115] op_sel_hi:[0,1,1] neg_lo:[1,0,0] neg_hi:[1,0,0]
	;; [unrolled: 2-line block ×3, first 2 shown]
	ds_read2_b32 v[138:139], v127 offset0:17 offset1:18
	ds_read2_b32 v[140:141], v127 offset0:19 offset1:20
	;; [unrolled: 1-line block ×3, first 2 shown]
	s_waitcnt lgkmcnt(3)
	v_pk_fma_f32 v[58:59], v[144:145], v[146:147], v[58:59] op_sel_hi:[0,1,1] neg_lo:[1,0,0] neg_hi:[1,0,0]
	ds_read2_b32 v[146:147], v127 offset0:23 offset1:24
	s_waitcnt lgkmcnt(3)
	v_pk_fma_f32 v[56:57], v[144:145], v[138:139], v[56:57] op_sel_hi:[0,1,1] neg_lo:[1,0,0] neg_hi:[1,0,0]
	s_waitcnt lgkmcnt(2)
	v_pk_fma_f32 v[50:51], v[144:145], v[140:141], v[50:51] op_sel_hi:[0,1,1] neg_lo:[1,0,0] neg_hi:[1,0,0]
	;; [unrolled: 2-line block ×3, first 2 shown]
	ds_read2_b32 v[138:139], v127 offset0:25 offset1:26
	ds_read2_b32 v[140:141], v127 offset0:27 offset1:28
	;; [unrolled: 1-line block ×3, first 2 shown]
	s_waitcnt lgkmcnt(3)
	v_pk_fma_f32 v[54:55], v[144:145], v[146:147], v[54:55] op_sel_hi:[0,1,1] neg_lo:[1,0,0] neg_hi:[1,0,0]
	ds_read2_b32 v[146:147], v127 offset0:31 offset1:32
	s_waitcnt lgkmcnt(3)
	v_pk_fma_f32 v[78:79], v[144:145], v[138:139], v[78:79] op_sel_hi:[0,1,1] neg_lo:[1,0,0] neg_hi:[1,0,0]
	s_waitcnt lgkmcnt(2)
	v_pk_fma_f32 v[80:81], v[144:145], v[140:141], v[80:81] op_sel_hi:[0,1,1] neg_lo:[1,0,0] neg_hi:[1,0,0]
	;; [unrolled: 2-line block ×3, first 2 shown]
	ds_read2_b32 v[138:139], v127 offset0:33 offset1:34
	ds_read2_b32 v[140:141], v127 offset0:35 offset1:36
	ds_read2_b32 v[142:143], v127 offset0:37 offset1:38
	ds_read2_b32 v[148:149], v127 offset0:39 offset1:40
	s_waitcnt lgkmcnt(4)
	v_pk_fma_f32 v[76:77], v[144:145], v[146:147], v[76:77] op_sel_hi:[0,1,1] neg_lo:[1,0,0] neg_hi:[1,0,0]
	s_waitcnt lgkmcnt(3)
	v_pk_fma_f32 v[102:103], v[144:145], v[138:139], v[102:103] op_sel_hi:[0,1,1] neg_lo:[1,0,0] neg_hi:[1,0,0]
	;; [unrolled: 2-line block ×5, first 2 shown]
	v_mov_b32_e32 v117, v144
.LBB81_50:
	s_or_b64 exec, exec, s[2:3]
	v_cmp_eq_u32_e32 vcc, 9, v125
	s_waitcnt lgkmcnt(0)
	s_barrier
	s_and_saveexec_b64 s[2:3], vcc
	s_cbranch_execz .LBB81_53
; %bb.51:
	s_waitcnt vmcnt(12)
	v_pk_mov_b32 v[138:139], v[112:113], v[114:115] op_sel:[1,0]
	ds_write_b32 v126, v112
	ds_write2_b32 v127, v138, v139 offset0:10 offset1:11
	s_waitcnt vmcnt(10)
	v_pk_mov_b32 v[138:139], v[114:115], v[110:111] op_sel:[1,0]
	ds_write2_b32 v127, v138, v139 offset0:12 offset1:13
	s_waitcnt vmcnt(9)
	v_pk_mov_b32 v[138:139], v[110:111], v[58:59] op_sel:[1,0]
	ds_write2_b32 v127, v138, v139 offset0:14 offset1:15
	v_pk_mov_b32 v[138:139], v[58:59], v[56:57] op_sel:[1,0]
	ds_write2_b32 v127, v138, v139 offset0:16 offset1:17
	v_pk_mov_b32 v[138:139], v[56:57], v[50:51] op_sel:[1,0]
	ds_write2_b32 v127, v138, v139 offset0:18 offset1:19
	v_pk_mov_b32 v[138:139], v[50:51], v[52:53] op_sel:[1,0]
	ds_write2_b32 v127, v138, v139 offset0:20 offset1:21
	v_pk_mov_b32 v[138:139], v[52:53], v[54:55] op_sel:[1,0]
	ds_write2_b32 v127, v138, v139 offset0:22 offset1:23
	v_pk_mov_b32 v[138:139], v[54:55], v[78:79] op_sel:[1,0]
	ds_write2_b32 v127, v138, v139 offset0:24 offset1:25
	v_pk_mov_b32 v[138:139], v[78:79], v[80:81] op_sel:[1,0]
	ds_write2_b32 v127, v138, v139 offset0:26 offset1:27
	v_pk_mov_b32 v[138:139], v[80:81], v[82:83] op_sel:[1,0]
	ds_write2_b32 v127, v138, v139 offset0:28 offset1:29
	v_pk_mov_b32 v[138:139], v[82:83], v[76:77] op_sel:[1,0]
	ds_write2_b32 v127, v138, v139 offset0:30 offset1:31
	v_pk_mov_b32 v[138:139], v[76:77], v[102:103] op_sel:[1,0]
	ds_write2_b32 v127, v138, v139 offset0:32 offset1:33
	v_pk_mov_b32 v[138:139], v[102:103], v[104:105] op_sel:[1,0]
	ds_write2_b32 v127, v138, v139 offset0:34 offset1:35
	v_pk_mov_b32 v[138:139], v[104:105], v[100:101] op_sel:[1,0]
	ds_write2_b32 v127, v138, v139 offset0:36 offset1:37
	v_pk_mov_b32 v[138:139], v[100:101], v[106:107] op_sel:[1,0]
	ds_write2_b32 v127, v138, v139 offset0:38 offset1:39
	ds_write_b32 v127, v107 offset:160
	ds_read_b32 v137, v126
	s_waitcnt lgkmcnt(0)
	v_cmp_neq_f32_e32 vcc, 0, v137
	s_and_b64 exec, exec, vcc
	s_cbranch_execz .LBB81_53
; %bb.52:
	v_div_scale_f32 v138, s[4:5], v137, v137, 1.0
	v_rcp_f32_e32 v139, v138
	v_div_scale_f32 v140, vcc, 1.0, v137, 1.0
	v_fma_f32 v141, -v138, v139, 1.0
	v_fmac_f32_e32 v139, v141, v139
	v_mul_f32_e32 v141, v140, v139
	v_fma_f32 v142, -v138, v141, v140
	v_fmac_f32_e32 v141, v142, v139
	v_fma_f32 v138, -v138, v141, v140
	v_div_fmas_f32 v138, v138, v139, v141
	v_div_fixup_f32 v137, v138, v137, 1.0
	ds_write_b32 v126, v137
.LBB81_53:
	s_or_b64 exec, exec, s[2:3]
	s_waitcnt lgkmcnt(0)
	s_barrier
	ds_read_b32 v137, v126
	v_cmp_lt_u32_e32 vcc, 9, v125
	s_and_saveexec_b64 s[2:3], vcc
	s_cbranch_execz .LBB81_55
; %bb.54:
	ds_read_b32 v144, v127 offset:40
	ds_read2_b32 v[138:139], v127 offset0:11 offset1:12
	ds_read2_b32 v[140:141], v127 offset0:13 offset1:14
	s_waitcnt vmcnt(15) lgkmcnt(3)
	v_mul_f32_e32 v112, v137, v112
	ds_read2_b32 v[142:143], v127 offset0:15 offset1:16
	s_waitcnt vmcnt(14) lgkmcnt(3)
	v_fma_f32 v113, -v112, v144, v113
	s_waitcnt vmcnt(12) lgkmcnt(2)
	v_pk_fma_f32 v[114:115], v[112:113], v[138:139], v[114:115] op_sel_hi:[0,1,1] neg_lo:[1,0,0] neg_hi:[1,0,0]
	s_waitcnt vmcnt(10) lgkmcnt(1)
	v_pk_fma_f32 v[110:111], v[112:113], v[140:141], v[110:111] op_sel_hi:[0,1,1] neg_lo:[1,0,0] neg_hi:[1,0,0]
	ds_read2_b32 v[138:139], v127 offset0:17 offset1:18
	ds_read2_b32 v[140:141], v127 offset0:19 offset1:20
	;; [unrolled: 1-line block ×3, first 2 shown]
	s_waitcnt vmcnt(9) lgkmcnt(3)
	v_pk_fma_f32 v[58:59], v[112:113], v[142:143], v[58:59] op_sel_hi:[0,1,1] neg_lo:[1,0,0] neg_hi:[1,0,0]
	ds_read2_b32 v[142:143], v127 offset0:23 offset1:24
	s_waitcnt lgkmcnt(3)
	v_pk_fma_f32 v[56:57], v[112:113], v[138:139], v[56:57] op_sel_hi:[0,1,1] neg_lo:[1,0,0] neg_hi:[1,0,0]
	s_waitcnt lgkmcnt(2)
	v_pk_fma_f32 v[50:51], v[112:113], v[140:141], v[50:51] op_sel_hi:[0,1,1] neg_lo:[1,0,0] neg_hi:[1,0,0]
	;; [unrolled: 2-line block ×3, first 2 shown]
	ds_read2_b32 v[138:139], v127 offset0:25 offset1:26
	ds_read2_b32 v[140:141], v127 offset0:27 offset1:28
	ds_read2_b32 v[144:145], v127 offset0:29 offset1:30
	s_waitcnt lgkmcnt(3)
	v_pk_fma_f32 v[54:55], v[112:113], v[142:143], v[54:55] op_sel_hi:[0,1,1] neg_lo:[1,0,0] neg_hi:[1,0,0]
	ds_read2_b32 v[142:143], v127 offset0:31 offset1:32
	s_waitcnt lgkmcnt(3)
	v_pk_fma_f32 v[78:79], v[112:113], v[138:139], v[78:79] op_sel_hi:[0,1,1] neg_lo:[1,0,0] neg_hi:[1,0,0]
	s_waitcnt lgkmcnt(2)
	v_pk_fma_f32 v[80:81], v[112:113], v[140:141], v[80:81] op_sel_hi:[0,1,1] neg_lo:[1,0,0] neg_hi:[1,0,0]
	;; [unrolled: 2-line block ×3, first 2 shown]
	ds_read2_b32 v[138:139], v127 offset0:33 offset1:34
	ds_read2_b32 v[140:141], v127 offset0:35 offset1:36
	;; [unrolled: 1-line block ×4, first 2 shown]
	s_waitcnt lgkmcnt(4)
	v_pk_fma_f32 v[76:77], v[112:113], v[142:143], v[76:77] op_sel_hi:[0,1,1] neg_lo:[1,0,0] neg_hi:[1,0,0]
	s_waitcnt lgkmcnt(3)
	v_pk_fma_f32 v[102:103], v[112:113], v[138:139], v[102:103] op_sel_hi:[0,1,1] neg_lo:[1,0,0] neg_hi:[1,0,0]
	;; [unrolled: 2-line block ×5, first 2 shown]
.LBB81_55:
	s_or_b64 exec, exec, s[2:3]
	v_cmp_ne_u32_e32 vcc, 10, v125
	s_waitcnt lgkmcnt(0)
	s_barrier
	s_and_saveexec_b64 s[2:3], vcc
	s_xor_b64 s[2:3], exec, s[2:3]
	s_andn2_saveexec_b64 s[2:3], s[2:3]
	s_cbranch_execz .LBB81_59
; %bb.56:
	s_waitcnt vmcnt(14)
	ds_write_b32 v126, v113
	s_waitcnt vmcnt(12)
	ds_write2_b32 v127, v114, v115 offset0:11 offset1:12
	s_waitcnt vmcnt(10)
	ds_write2_b32 v127, v110, v111 offset0:13 offset1:14
	;; [unrolled: 2-line block ×3, first 2 shown]
	ds_write2_b32 v127, v56, v57 offset0:17 offset1:18
	ds_write2_b32 v127, v50, v51 offset0:19 offset1:20
	;; [unrolled: 1-line block ×12, first 2 shown]
	ds_read_b32 v138, v126
	s_waitcnt lgkmcnt(0)
	v_cmp_neq_f32_e32 vcc, 0, v138
	s_and_saveexec_b64 s[4:5], vcc
	s_cbranch_execz .LBB81_58
; %bb.57:
	v_div_scale_f32 v139, s[10:11], v138, v138, 1.0
	v_rcp_f32_e32 v140, v139
	v_div_scale_f32 v141, vcc, 1.0, v138, 1.0
	v_fma_f32 v142, -v139, v140, 1.0
	v_fmac_f32_e32 v140, v142, v140
	v_mul_f32_e32 v142, v141, v140
	v_fma_f32 v143, -v139, v142, v141
	v_fmac_f32_e32 v142, v143, v140
	v_fma_f32 v139, -v139, v142, v141
	v_div_fmas_f32 v139, v139, v140, v142
	v_div_fixup_f32 v138, v139, v138, 1.0
	ds_write_b32 v126, v138
.LBB81_58:
	s_or_b64 exec, exec, s[4:5]
.LBB81_59:
	s_or_b64 exec, exec, s[2:3]
	s_waitcnt lgkmcnt(0)
	s_barrier
	ds_read_b32 v138, v126
	v_cmp_lt_u32_e32 vcc, 10, v125
	s_and_saveexec_b64 s[2:3], vcc
	s_cbranch_execz .LBB81_61
; %bb.60:
	ds_read2_b32 v[140:141], v127 offset0:11 offset1:12
	ds_read2_b32 v[142:143], v127 offset0:13 offset1:14
	;; [unrolled: 1-line block ×3, first 2 shown]
	s_waitcnt vmcnt(14) lgkmcnt(3)
	v_mul_f32_e32 v146, v138, v113
	ds_read2_b32 v[148:149], v127 offset0:17 offset1:18
	s_waitcnt vmcnt(12) lgkmcnt(3)
	v_pk_fma_f32 v[114:115], v[146:147], v[140:141], v[114:115] op_sel_hi:[0,1,1] neg_lo:[1,0,0] neg_hi:[1,0,0]
	s_waitcnt vmcnt(10) lgkmcnt(2)
	v_pk_fma_f32 v[110:111], v[146:147], v[142:143], v[110:111] op_sel_hi:[0,1,1] neg_lo:[1,0,0] neg_hi:[1,0,0]
	;; [unrolled: 2-line block ×3, first 2 shown]
	ds_read2_b32 v[140:141], v127 offset0:19 offset1:20
	ds_read2_b32 v[142:143], v127 offset0:21 offset1:22
	;; [unrolled: 1-line block ×3, first 2 shown]
	s_waitcnt lgkmcnt(3)
	v_pk_fma_f32 v[56:57], v[146:147], v[148:149], v[56:57] op_sel_hi:[0,1,1] neg_lo:[1,0,0] neg_hi:[1,0,0]
	ds_read2_b32 v[148:149], v127 offset0:25 offset1:26
	s_waitcnt lgkmcnt(3)
	v_pk_fma_f32 v[50:51], v[146:147], v[140:141], v[50:51] op_sel_hi:[0,1,1] neg_lo:[1,0,0] neg_hi:[1,0,0]
	s_waitcnt lgkmcnt(2)
	v_pk_fma_f32 v[52:53], v[146:147], v[142:143], v[52:53] op_sel_hi:[0,1,1] neg_lo:[1,0,0] neg_hi:[1,0,0]
	ds_read2_b32 v[140:141], v127 offset0:27 offset1:28
	ds_read2_b32 v[142:143], v127 offset0:29 offset1:30
	s_waitcnt lgkmcnt(3)
	v_pk_fma_f32 v[54:55], v[146:147], v[144:145], v[54:55] op_sel_hi:[0,1,1] neg_lo:[1,0,0] neg_hi:[1,0,0]
	s_waitcnt lgkmcnt(2)
	v_pk_fma_f32 v[78:79], v[146:147], v[148:149], v[78:79] op_sel_hi:[0,1,1] neg_lo:[1,0,0] neg_hi:[1,0,0]
	ds_read2_b32 v[144:145], v127 offset0:31 offset1:32
	ds_read2_b32 v[148:149], v127 offset0:33 offset1:34
	s_waitcnt lgkmcnt(3)
	v_pk_fma_f32 v[80:81], v[146:147], v[140:141], v[80:81] op_sel_hi:[0,1,1] neg_lo:[1,0,0] neg_hi:[1,0,0]
	s_waitcnt lgkmcnt(2)
	v_pk_fma_f32 v[82:83], v[146:147], v[142:143], v[82:83] op_sel_hi:[0,1,1] neg_lo:[1,0,0] neg_hi:[1,0,0]
	ds_read2_b32 v[140:141], v127 offset0:35 offset1:36
	ds_read2_b32 v[142:143], v127 offset0:37 offset1:38
	ds_read2_b32 v[150:151], v127 offset0:39 offset1:40
	s_waitcnt lgkmcnt(4)
	v_pk_fma_f32 v[76:77], v[146:147], v[144:145], v[76:77] op_sel_hi:[0,1,1] neg_lo:[1,0,0] neg_hi:[1,0,0]
	s_waitcnt lgkmcnt(3)
	v_pk_fma_f32 v[102:103], v[146:147], v[148:149], v[102:103] op_sel_hi:[0,1,1] neg_lo:[1,0,0] neg_hi:[1,0,0]
	;; [unrolled: 2-line block ×5, first 2 shown]
	v_mov_b32_e32 v113, v146
.LBB81_61:
	s_or_b64 exec, exec, s[2:3]
	v_cmp_eq_u32_e32 vcc, 11, v125
	s_waitcnt lgkmcnt(0)
	s_barrier
	s_and_saveexec_b64 s[2:3], vcc
	s_cbranch_execz .LBB81_64
; %bb.62:
	s_waitcnt vmcnt(10)
	v_pk_mov_b32 v[140:141], v[114:115], v[110:111] op_sel:[1,0]
	ds_write_b32 v126, v114
	ds_write2_b32 v127, v140, v141 offset0:12 offset1:13
	s_waitcnt vmcnt(9)
	v_pk_mov_b32 v[140:141], v[110:111], v[58:59] op_sel:[1,0]
	ds_write2_b32 v127, v140, v141 offset0:14 offset1:15
	v_pk_mov_b32 v[140:141], v[58:59], v[56:57] op_sel:[1,0]
	ds_write2_b32 v127, v140, v141 offset0:16 offset1:17
	;; [unrolled: 2-line block ×13, first 2 shown]
	ds_write_b32 v127, v107 offset:160
	ds_read_b32 v139, v126
	s_waitcnt lgkmcnt(0)
	v_cmp_neq_f32_e32 vcc, 0, v139
	s_and_b64 exec, exec, vcc
	s_cbranch_execz .LBB81_64
; %bb.63:
	v_div_scale_f32 v140, s[4:5], v139, v139, 1.0
	v_rcp_f32_e32 v141, v140
	v_div_scale_f32 v142, vcc, 1.0, v139, 1.0
	v_fma_f32 v143, -v140, v141, 1.0
	v_fmac_f32_e32 v141, v143, v141
	v_mul_f32_e32 v143, v142, v141
	v_fma_f32 v144, -v140, v143, v142
	v_fmac_f32_e32 v143, v144, v141
	v_fma_f32 v140, -v140, v143, v142
	v_div_fmas_f32 v140, v140, v141, v143
	v_div_fixup_f32 v139, v140, v139, 1.0
	ds_write_b32 v126, v139
.LBB81_64:
	s_or_b64 exec, exec, s[2:3]
	s_waitcnt lgkmcnt(0)
	s_barrier
	ds_read_b32 v139, v126
	v_cmp_lt_u32_e32 vcc, 11, v125
	s_and_saveexec_b64 s[2:3], vcc
	s_cbranch_execz .LBB81_66
; %bb.65:
	ds_read_b32 v146, v127 offset:48
	ds_read2_b32 v[140:141], v127 offset0:13 offset1:14
	ds_read2_b32 v[142:143], v127 offset0:15 offset1:16
	s_waitcnt vmcnt(13) lgkmcnt(3)
	v_mul_f32_e32 v114, v139, v114
	ds_read2_b32 v[144:145], v127 offset0:17 offset1:18
	s_waitcnt vmcnt(12) lgkmcnt(3)
	v_fma_f32 v115, -v114, v146, v115
	s_waitcnt vmcnt(10) lgkmcnt(2)
	v_pk_fma_f32 v[110:111], v[114:115], v[140:141], v[110:111] op_sel_hi:[0,1,1] neg_lo:[1,0,0] neg_hi:[1,0,0]
	s_waitcnt vmcnt(9) lgkmcnt(1)
	v_pk_fma_f32 v[58:59], v[114:115], v[142:143], v[58:59] op_sel_hi:[0,1,1] neg_lo:[1,0,0] neg_hi:[1,0,0]
	ds_read2_b32 v[140:141], v127 offset0:19 offset1:20
	ds_read2_b32 v[142:143], v127 offset0:21 offset1:22
	;; [unrolled: 1-line block ×3, first 2 shown]
	s_waitcnt lgkmcnt(3)
	v_pk_fma_f32 v[56:57], v[114:115], v[144:145], v[56:57] op_sel_hi:[0,1,1] neg_lo:[1,0,0] neg_hi:[1,0,0]
	ds_read2_b32 v[144:145], v127 offset0:25 offset1:26
	s_waitcnt lgkmcnt(3)
	v_pk_fma_f32 v[50:51], v[114:115], v[140:141], v[50:51] op_sel_hi:[0,1,1] neg_lo:[1,0,0] neg_hi:[1,0,0]
	s_waitcnt lgkmcnt(2)
	v_pk_fma_f32 v[52:53], v[114:115], v[142:143], v[52:53] op_sel_hi:[0,1,1] neg_lo:[1,0,0] neg_hi:[1,0,0]
	ds_read2_b32 v[140:141], v127 offset0:27 offset1:28
	ds_read2_b32 v[142:143], v127 offset0:29 offset1:30
	s_waitcnt lgkmcnt(3)
	v_pk_fma_f32 v[54:55], v[114:115], v[146:147], v[54:55] op_sel_hi:[0,1,1] neg_lo:[1,0,0] neg_hi:[1,0,0]
	s_waitcnt lgkmcnt(2)
	v_pk_fma_f32 v[78:79], v[114:115], v[144:145], v[78:79] op_sel_hi:[0,1,1] neg_lo:[1,0,0] neg_hi:[1,0,0]
	ds_read2_b32 v[144:145], v127 offset0:31 offset1:32
	;; [unrolled: 6-line block ×3, first 2 shown]
	ds_read2_b32 v[142:143], v127 offset0:37 offset1:38
	ds_read2_b32 v[148:149], v127 offset0:39 offset1:40
	s_waitcnt lgkmcnt(4)
	v_pk_fma_f32 v[76:77], v[114:115], v[144:145], v[76:77] op_sel_hi:[0,1,1] neg_lo:[1,0,0] neg_hi:[1,0,0]
	s_waitcnt lgkmcnt(3)
	v_pk_fma_f32 v[102:103], v[114:115], v[146:147], v[102:103] op_sel_hi:[0,1,1] neg_lo:[1,0,0] neg_hi:[1,0,0]
	;; [unrolled: 2-line block ×5, first 2 shown]
.LBB81_66:
	s_or_b64 exec, exec, s[2:3]
	v_cmp_ne_u32_e32 vcc, 12, v125
	s_waitcnt lgkmcnt(0)
	s_barrier
	s_and_saveexec_b64 s[2:3], vcc
	s_xor_b64 s[2:3], exec, s[2:3]
	s_andn2_saveexec_b64 s[2:3], s[2:3]
	s_cbranch_execz .LBB81_70
; %bb.67:
	s_waitcnt vmcnt(12)
	ds_write_b32 v126, v115
	s_waitcnt vmcnt(10)
	ds_write2_b32 v127, v110, v111 offset0:13 offset1:14
	s_waitcnt vmcnt(9)
	ds_write2_b32 v127, v58, v59 offset0:15 offset1:16
	ds_write2_b32 v127, v56, v57 offset0:17 offset1:18
	;; [unrolled: 1-line block ×13, first 2 shown]
	ds_read_b32 v140, v126
	s_waitcnt lgkmcnt(0)
	v_cmp_neq_f32_e32 vcc, 0, v140
	s_and_saveexec_b64 s[4:5], vcc
	s_cbranch_execz .LBB81_69
; %bb.68:
	v_div_scale_f32 v141, s[10:11], v140, v140, 1.0
	v_rcp_f32_e32 v142, v141
	v_div_scale_f32 v143, vcc, 1.0, v140, 1.0
	v_fma_f32 v144, -v141, v142, 1.0
	v_fmac_f32_e32 v142, v144, v142
	v_mul_f32_e32 v144, v143, v142
	v_fma_f32 v145, -v141, v144, v143
	v_fmac_f32_e32 v144, v145, v142
	v_fma_f32 v141, -v141, v144, v143
	v_div_fmas_f32 v141, v141, v142, v144
	v_div_fixup_f32 v140, v141, v140, 1.0
	ds_write_b32 v126, v140
.LBB81_69:
	s_or_b64 exec, exec, s[4:5]
.LBB81_70:
	s_or_b64 exec, exec, s[2:3]
	s_waitcnt lgkmcnt(0)
	s_barrier
	ds_read_b32 v140, v126
	v_cmp_lt_u32_e32 vcc, 12, v125
	s_and_saveexec_b64 s[2:3], vcc
	s_cbranch_execz .LBB81_72
; %bb.71:
	ds_read2_b32 v[142:143], v127 offset0:13 offset1:14
	ds_read2_b32 v[144:145], v127 offset0:15 offset1:16
	;; [unrolled: 1-line block ×4, first 2 shown]
	s_waitcnt vmcnt(12) lgkmcnt(4)
	v_mul_f32_e32 v148, v140, v115
	s_waitcnt vmcnt(10) lgkmcnt(3)
	v_pk_fma_f32 v[110:111], v[148:149], v[142:143], v[110:111] op_sel_hi:[0,1,1] neg_lo:[1,0,0] neg_hi:[1,0,0]
	s_waitcnt vmcnt(9) lgkmcnt(2)
	v_pk_fma_f32 v[58:59], v[148:149], v[144:145], v[58:59] op_sel_hi:[0,1,1] neg_lo:[1,0,0] neg_hi:[1,0,0]
	s_waitcnt lgkmcnt(1)
	v_pk_fma_f32 v[56:57], v[148:149], v[146:147], v[56:57] op_sel_hi:[0,1,1] neg_lo:[1,0,0] neg_hi:[1,0,0]
	ds_read2_b32 v[142:143], v127 offset0:21 offset1:22
	ds_read2_b32 v[144:145], v127 offset0:23 offset1:24
	;; [unrolled: 1-line block ×3, first 2 shown]
	s_waitcnt lgkmcnt(3)
	v_pk_fma_f32 v[50:51], v[148:149], v[150:151], v[50:51] op_sel_hi:[0,1,1] neg_lo:[1,0,0] neg_hi:[1,0,0]
	ds_read2_b32 v[150:151], v127 offset0:27 offset1:28
	s_waitcnt lgkmcnt(3)
	v_pk_fma_f32 v[52:53], v[148:149], v[142:143], v[52:53] op_sel_hi:[0,1,1] neg_lo:[1,0,0] neg_hi:[1,0,0]
	ds_read2_b32 v[142:143], v127 offset0:29 offset1:30
	s_waitcnt lgkmcnt(3)
	v_pk_fma_f32 v[54:55], v[148:149], v[144:145], v[54:55] op_sel_hi:[0,1,1] neg_lo:[1,0,0] neg_hi:[1,0,0]
	s_waitcnt lgkmcnt(2)
	v_pk_fma_f32 v[78:79], v[148:149], v[146:147], v[78:79] op_sel_hi:[0,1,1] neg_lo:[1,0,0] neg_hi:[1,0,0]
	;; [unrolled: 2-line block ×3, first 2 shown]
	ds_read2_b32 v[144:145], v127 offset0:31 offset1:32
	ds_read2_b32 v[146:147], v127 offset0:33 offset1:34
	;; [unrolled: 1-line block ×3, first 2 shown]
	s_waitcnt lgkmcnt(3)
	v_pk_fma_f32 v[82:83], v[148:149], v[142:143], v[82:83] op_sel_hi:[0,1,1] neg_lo:[1,0,0] neg_hi:[1,0,0]
	ds_read2_b32 v[142:143], v127 offset0:37 offset1:38
	ds_read2_b32 v[152:153], v127 offset0:39 offset1:40
	s_waitcnt lgkmcnt(4)
	v_pk_fma_f32 v[76:77], v[148:149], v[144:145], v[76:77] op_sel_hi:[0,1,1] neg_lo:[1,0,0] neg_hi:[1,0,0]
	s_waitcnt lgkmcnt(3)
	v_pk_fma_f32 v[102:103], v[148:149], v[146:147], v[102:103] op_sel_hi:[0,1,1] neg_lo:[1,0,0] neg_hi:[1,0,0]
	;; [unrolled: 2-line block ×5, first 2 shown]
	v_mov_b32_e32 v115, v148
.LBB81_72:
	s_or_b64 exec, exec, s[2:3]
	v_cmp_eq_u32_e32 vcc, 13, v125
	s_waitcnt lgkmcnt(0)
	s_barrier
	s_and_saveexec_b64 s[2:3], vcc
	s_cbranch_execz .LBB81_75
; %bb.73:
	s_waitcnt vmcnt(9)
	v_pk_mov_b32 v[142:143], v[110:111], v[58:59] op_sel:[1,0]
	ds_write_b32 v126, v110
	ds_write2_b32 v127, v142, v143 offset0:14 offset1:15
	v_pk_mov_b32 v[142:143], v[58:59], v[56:57] op_sel:[1,0]
	ds_write2_b32 v127, v142, v143 offset0:16 offset1:17
	v_pk_mov_b32 v[142:143], v[56:57], v[50:51] op_sel:[1,0]
	;; [unrolled: 2-line block ×12, first 2 shown]
	ds_write2_b32 v127, v142, v143 offset0:38 offset1:39
	ds_write_b32 v127, v107 offset:160
	ds_read_b32 v141, v126
	s_waitcnt lgkmcnt(0)
	v_cmp_neq_f32_e32 vcc, 0, v141
	s_and_b64 exec, exec, vcc
	s_cbranch_execz .LBB81_75
; %bb.74:
	v_div_scale_f32 v142, s[4:5], v141, v141, 1.0
	v_rcp_f32_e32 v143, v142
	v_div_scale_f32 v144, vcc, 1.0, v141, 1.0
	v_fma_f32 v145, -v142, v143, 1.0
	v_fmac_f32_e32 v143, v145, v143
	v_mul_f32_e32 v145, v144, v143
	v_fma_f32 v146, -v142, v145, v144
	v_fmac_f32_e32 v145, v146, v143
	v_fma_f32 v142, -v142, v145, v144
	v_div_fmas_f32 v142, v142, v143, v145
	v_div_fixup_f32 v141, v142, v141, 1.0
	ds_write_b32 v126, v141
.LBB81_75:
	s_or_b64 exec, exec, s[2:3]
	s_waitcnt lgkmcnt(0)
	s_barrier
	ds_read_b32 v141, v126
	v_cmp_lt_u32_e32 vcc, 13, v125
	s_and_saveexec_b64 s[2:3], vcc
	s_cbranch_execz .LBB81_77
; %bb.76:
	ds_read_b32 v148, v127 offset:56
	ds_read2_b32 v[142:143], v127 offset0:15 offset1:16
	ds_read2_b32 v[144:145], v127 offset0:17 offset1:18
	s_waitcnt vmcnt(11) lgkmcnt(3)
	v_mul_f32_e32 v110, v141, v110
	ds_read2_b32 v[146:147], v127 offset0:19 offset1:20
	s_waitcnt vmcnt(10) lgkmcnt(3)
	v_fma_f32 v111, -v110, v148, v111
	s_waitcnt vmcnt(9) lgkmcnt(2)
	v_pk_fma_f32 v[58:59], v[110:111], v[142:143], v[58:59] op_sel_hi:[0,1,1] neg_lo:[1,0,0] neg_hi:[1,0,0]
	s_waitcnt lgkmcnt(1)
	v_pk_fma_f32 v[56:57], v[110:111], v[144:145], v[56:57] op_sel_hi:[0,1,1] neg_lo:[1,0,0] neg_hi:[1,0,0]
	ds_read2_b32 v[142:143], v127 offset0:21 offset1:22
	ds_read2_b32 v[144:145], v127 offset0:23 offset1:24
	;; [unrolled: 1-line block ×3, first 2 shown]
	s_waitcnt lgkmcnt(3)
	v_pk_fma_f32 v[50:51], v[110:111], v[146:147], v[50:51] op_sel_hi:[0,1,1] neg_lo:[1,0,0] neg_hi:[1,0,0]
	ds_read2_b32 v[146:147], v127 offset0:27 offset1:28
	s_waitcnt lgkmcnt(3)
	v_pk_fma_f32 v[52:53], v[110:111], v[142:143], v[52:53] op_sel_hi:[0,1,1] neg_lo:[1,0,0] neg_hi:[1,0,0]
	ds_read2_b32 v[142:143], v127 offset0:29 offset1:30
	s_waitcnt lgkmcnt(3)
	v_pk_fma_f32 v[54:55], v[110:111], v[144:145], v[54:55] op_sel_hi:[0,1,1] neg_lo:[1,0,0] neg_hi:[1,0,0]
	s_waitcnt lgkmcnt(2)
	v_pk_fma_f32 v[78:79], v[110:111], v[148:149], v[78:79] op_sel_hi:[0,1,1] neg_lo:[1,0,0] neg_hi:[1,0,0]
	;; [unrolled: 2-line block ×3, first 2 shown]
	ds_read2_b32 v[144:145], v127 offset0:31 offset1:32
	ds_read2_b32 v[146:147], v127 offset0:33 offset1:34
	;; [unrolled: 1-line block ×3, first 2 shown]
	s_waitcnt lgkmcnt(3)
	v_pk_fma_f32 v[82:83], v[110:111], v[142:143], v[82:83] op_sel_hi:[0,1,1] neg_lo:[1,0,0] neg_hi:[1,0,0]
	ds_read2_b32 v[142:143], v127 offset0:37 offset1:38
	ds_read2_b32 v[150:151], v127 offset0:39 offset1:40
	s_waitcnt lgkmcnt(4)
	v_pk_fma_f32 v[76:77], v[110:111], v[144:145], v[76:77] op_sel_hi:[0,1,1] neg_lo:[1,0,0] neg_hi:[1,0,0]
	s_waitcnt lgkmcnt(3)
	v_pk_fma_f32 v[102:103], v[110:111], v[146:147], v[102:103] op_sel_hi:[0,1,1] neg_lo:[1,0,0] neg_hi:[1,0,0]
	;; [unrolled: 2-line block ×5, first 2 shown]
.LBB81_77:
	s_or_b64 exec, exec, s[2:3]
	v_cmp_ne_u32_e32 vcc, 14, v125
	s_waitcnt lgkmcnt(0)
	s_barrier
	s_and_saveexec_b64 s[2:3], vcc
	s_xor_b64 s[2:3], exec, s[2:3]
	s_andn2_saveexec_b64 s[2:3], s[2:3]
	s_cbranch_execz .LBB81_81
; %bb.78:
	s_waitcnt vmcnt(10)
	ds_write_b32 v126, v111
	s_waitcnt vmcnt(9)
	ds_write2_b32 v127, v58, v59 offset0:15 offset1:16
	ds_write2_b32 v127, v56, v57 offset0:17 offset1:18
	;; [unrolled: 1-line block ×13, first 2 shown]
	ds_read_b32 v142, v126
	s_waitcnt lgkmcnt(0)
	v_cmp_neq_f32_e32 vcc, 0, v142
	s_and_saveexec_b64 s[4:5], vcc
	s_cbranch_execz .LBB81_80
; %bb.79:
	v_div_scale_f32 v143, s[10:11], v142, v142, 1.0
	v_rcp_f32_e32 v144, v143
	v_div_scale_f32 v145, vcc, 1.0, v142, 1.0
	v_fma_f32 v146, -v143, v144, 1.0
	v_fmac_f32_e32 v144, v146, v144
	v_mul_f32_e32 v146, v145, v144
	v_fma_f32 v147, -v143, v146, v145
	v_fmac_f32_e32 v146, v147, v144
	v_fma_f32 v143, -v143, v146, v145
	v_div_fmas_f32 v143, v143, v144, v146
	v_div_fixup_f32 v142, v143, v142, 1.0
	ds_write_b32 v126, v142
.LBB81_80:
	s_or_b64 exec, exec, s[4:5]
.LBB81_81:
	s_or_b64 exec, exec, s[2:3]
	s_waitcnt lgkmcnt(0)
	s_barrier
	ds_read_b32 v142, v126
	v_cmp_lt_u32_e32 vcc, 14, v125
	s_and_saveexec_b64 s[2:3], vcc
	s_cbranch_execz .LBB81_83
; %bb.82:
	ds_read2_b32 v[144:145], v127 offset0:15 offset1:16
	ds_read2_b32 v[146:147], v127 offset0:17 offset1:18
	;; [unrolled: 1-line block ×3, first 2 shown]
	s_waitcnt vmcnt(10) lgkmcnt(3)
	v_mul_f32_e32 v150, v142, v111
	ds_read2_b32 v[152:153], v127 offset0:21 offset1:22
	s_waitcnt vmcnt(9) lgkmcnt(3)
	v_pk_fma_f32 v[58:59], v[150:151], v[144:145], v[58:59] op_sel_hi:[0,1,1] neg_lo:[1,0,0] neg_hi:[1,0,0]
	s_waitcnt lgkmcnt(2)
	v_pk_fma_f32 v[56:57], v[150:151], v[146:147], v[56:57] op_sel_hi:[0,1,1] neg_lo:[1,0,0] neg_hi:[1,0,0]
	s_waitcnt lgkmcnt(1)
	v_pk_fma_f32 v[50:51], v[150:151], v[148:149], v[50:51] op_sel_hi:[0,1,1] neg_lo:[1,0,0] neg_hi:[1,0,0]
	ds_read2_b32 v[144:145], v127 offset0:23 offset1:24
	ds_read2_b32 v[146:147], v127 offset0:25 offset1:26
	;; [unrolled: 1-line block ×4, first 2 shown]
	s_waitcnt lgkmcnt(4)
	v_pk_fma_f32 v[52:53], v[150:151], v[152:153], v[52:53] op_sel_hi:[0,1,1] neg_lo:[1,0,0] neg_hi:[1,0,0]
	s_waitcnt lgkmcnt(3)
	v_pk_fma_f32 v[54:55], v[150:151], v[144:145], v[54:55] op_sel_hi:[0,1,1] neg_lo:[1,0,0] neg_hi:[1,0,0]
	;; [unrolled: 2-line block ×5, first 2 shown]
	ds_read2_b32 v[144:145], v127 offset0:31 offset1:32
	ds_read2_b32 v[146:147], v127 offset0:33 offset1:34
	;; [unrolled: 1-line block ×5, first 2 shown]
	s_waitcnt lgkmcnt(4)
	v_pk_fma_f32 v[76:77], v[150:151], v[144:145], v[76:77] op_sel_hi:[0,1,1] neg_lo:[1,0,0] neg_hi:[1,0,0]
	s_waitcnt lgkmcnt(3)
	v_pk_fma_f32 v[102:103], v[150:151], v[146:147], v[102:103] op_sel_hi:[0,1,1] neg_lo:[1,0,0] neg_hi:[1,0,0]
	;; [unrolled: 2-line block ×5, first 2 shown]
	v_mov_b32_e32 v111, v150
.LBB81_83:
	s_or_b64 exec, exec, s[2:3]
	v_cmp_eq_u32_e32 vcc, 15, v125
	s_waitcnt lgkmcnt(0)
	s_barrier
	s_and_saveexec_b64 s[2:3], vcc
	s_cbranch_execz .LBB81_86
; %bb.84:
	s_waitcnt vmcnt(9)
	v_pk_mov_b32 v[144:145], v[58:59], v[56:57] op_sel:[1,0]
	ds_write_b32 v126, v58
	ds_write2_b32 v127, v144, v145 offset0:16 offset1:17
	v_pk_mov_b32 v[144:145], v[56:57], v[50:51] op_sel:[1,0]
	ds_write2_b32 v127, v144, v145 offset0:18 offset1:19
	v_pk_mov_b32 v[144:145], v[50:51], v[52:53] op_sel:[1,0]
	;; [unrolled: 2-line block ×11, first 2 shown]
	ds_write2_b32 v127, v144, v145 offset0:38 offset1:39
	ds_write_b32 v127, v107 offset:160
	ds_read_b32 v143, v126
	s_waitcnt lgkmcnt(0)
	v_cmp_neq_f32_e32 vcc, 0, v143
	s_and_b64 exec, exec, vcc
	s_cbranch_execz .LBB81_86
; %bb.85:
	v_div_scale_f32 v144, s[4:5], v143, v143, 1.0
	v_rcp_f32_e32 v145, v144
	v_div_scale_f32 v146, vcc, 1.0, v143, 1.0
	v_fma_f32 v147, -v144, v145, 1.0
	v_fmac_f32_e32 v145, v147, v145
	v_mul_f32_e32 v147, v146, v145
	v_fma_f32 v148, -v144, v147, v146
	v_fmac_f32_e32 v147, v148, v145
	v_fma_f32 v144, -v144, v147, v146
	v_div_fmas_f32 v144, v144, v145, v147
	v_div_fixup_f32 v143, v144, v143, 1.0
	ds_write_b32 v126, v143
.LBB81_86:
	s_or_b64 exec, exec, s[2:3]
	s_waitcnt lgkmcnt(0)
	s_barrier
	ds_read_b32 v143, v126
	v_cmp_lt_u32_e32 vcc, 15, v125
	s_and_saveexec_b64 s[2:3], vcc
	s_cbranch_execz .LBB81_88
; %bb.87:
	ds_read_b32 v150, v127 offset:64
	ds_read2_b32 v[144:145], v127 offset0:17 offset1:18
	ds_read2_b32 v[146:147], v127 offset0:19 offset1:20
	s_waitcnt vmcnt(9) lgkmcnt(3)
	v_mul_f32_e32 v58, v143, v58
	ds_read2_b32 v[148:149], v127 offset0:21 offset1:22
	s_waitcnt lgkmcnt(3)
	v_fma_f32 v59, -v58, v150, v59
	s_waitcnt lgkmcnt(2)
	v_pk_fma_f32 v[56:57], v[58:59], v[144:145], v[56:57] op_sel_hi:[0,1,1] neg_lo:[1,0,0] neg_hi:[1,0,0]
	s_waitcnt lgkmcnt(1)
	v_pk_fma_f32 v[50:51], v[58:59], v[146:147], v[50:51] op_sel_hi:[0,1,1] neg_lo:[1,0,0] neg_hi:[1,0,0]
	ds_read2_b32 v[144:145], v127 offset0:23 offset1:24
	ds_read2_b32 v[146:147], v127 offset0:25 offset1:26
	;; [unrolled: 1-line block ×4, first 2 shown]
	s_waitcnt lgkmcnt(4)
	v_pk_fma_f32 v[52:53], v[58:59], v[148:149], v[52:53] op_sel_hi:[0,1,1] neg_lo:[1,0,0] neg_hi:[1,0,0]
	s_waitcnt lgkmcnt(3)
	v_pk_fma_f32 v[54:55], v[58:59], v[144:145], v[54:55] op_sel_hi:[0,1,1] neg_lo:[1,0,0] neg_hi:[1,0,0]
	;; [unrolled: 2-line block ×5, first 2 shown]
	ds_read2_b32 v[144:145], v127 offset0:31 offset1:32
	ds_read2_b32 v[146:147], v127 offset0:33 offset1:34
	;; [unrolled: 1-line block ×5, first 2 shown]
	s_waitcnt lgkmcnt(4)
	v_pk_fma_f32 v[76:77], v[58:59], v[144:145], v[76:77] op_sel_hi:[0,1,1] neg_lo:[1,0,0] neg_hi:[1,0,0]
	s_waitcnt lgkmcnt(3)
	v_pk_fma_f32 v[102:103], v[58:59], v[146:147], v[102:103] op_sel_hi:[0,1,1] neg_lo:[1,0,0] neg_hi:[1,0,0]
	;; [unrolled: 2-line block ×5, first 2 shown]
.LBB81_88:
	s_or_b64 exec, exec, s[2:3]
	v_cmp_ne_u32_e32 vcc, 16, v125
	s_waitcnt lgkmcnt(0)
	s_barrier
	s_and_saveexec_b64 s[2:3], vcc
	s_xor_b64 s[2:3], exec, s[2:3]
	s_andn2_saveexec_b64 s[2:3], s[2:3]
	s_cbranch_execz .LBB81_92
; %bb.89:
	s_waitcnt vmcnt(40)
	ds_write_b32 v126, v59
	s_waitcnt vmcnt(38)
	ds_write2_b32 v127, v56, v57 offset0:17 offset1:18
	s_waitcnt vmcnt(36)
	ds_write2_b32 v127, v50, v51 offset0:19 offset1:20
	;; [unrolled: 2-line block ×12, first 2 shown]
	ds_read_b32 v144, v126
	s_waitcnt lgkmcnt(0)
	v_cmp_neq_f32_e32 vcc, 0, v144
	s_and_saveexec_b64 s[4:5], vcc
	s_cbranch_execz .LBB81_91
; %bb.90:
	v_div_scale_f32 v145, s[10:11], v144, v144, 1.0
	v_rcp_f32_e32 v146, v145
	v_div_scale_f32 v147, vcc, 1.0, v144, 1.0
	v_fma_f32 v148, -v145, v146, 1.0
	v_fmac_f32_e32 v146, v148, v146
	v_mul_f32_e32 v148, v147, v146
	v_fma_f32 v149, -v145, v148, v147
	v_fmac_f32_e32 v148, v149, v146
	v_fma_f32 v145, -v145, v148, v147
	v_div_fmas_f32 v145, v145, v146, v148
	v_div_fixup_f32 v144, v145, v144, 1.0
	ds_write_b32 v126, v144
.LBB81_91:
	s_or_b64 exec, exec, s[4:5]
.LBB81_92:
	s_or_b64 exec, exec, s[2:3]
	s_waitcnt lgkmcnt(0)
	s_barrier
	ds_read_b32 v144, v126
	v_cmp_lt_u32_e32 vcc, 16, v125
	s_and_saveexec_b64 s[2:3], vcc
	s_cbranch_execz .LBB81_94
; %bb.93:
	ds_read2_b32 v[146:147], v127 offset0:17 offset1:18
	ds_read2_b32 v[148:149], v127 offset0:19 offset1:20
	;; [unrolled: 1-line block ×3, first 2 shown]
	s_waitcnt vmcnt(40) lgkmcnt(3)
	v_mul_f32_e32 v152, v144, v59
	ds_read2_b32 v[154:155], v127 offset0:23 offset1:24
	s_waitcnt vmcnt(38) lgkmcnt(3)
	v_pk_fma_f32 v[56:57], v[152:153], v[146:147], v[56:57] op_sel_hi:[0,1,1] neg_lo:[1,0,0] neg_hi:[1,0,0]
	s_waitcnt vmcnt(36) lgkmcnt(2)
	v_pk_fma_f32 v[50:51], v[152:153], v[148:149], v[50:51] op_sel_hi:[0,1,1] neg_lo:[1,0,0] neg_hi:[1,0,0]
	;; [unrolled: 2-line block ×3, first 2 shown]
	ds_read2_b32 v[146:147], v127 offset0:25 offset1:26
	ds_read2_b32 v[148:149], v127 offset0:27 offset1:28
	;; [unrolled: 1-line block ×3, first 2 shown]
	s_waitcnt vmcnt(32) lgkmcnt(3)
	v_pk_fma_f32 v[54:55], v[152:153], v[154:155], v[54:55] op_sel_hi:[0,1,1] neg_lo:[1,0,0] neg_hi:[1,0,0]
	ds_read2_b32 v[154:155], v127 offset0:31 offset1:32
	s_waitcnt vmcnt(30) lgkmcnt(3)
	v_pk_fma_f32 v[78:79], v[152:153], v[146:147], v[78:79] op_sel_hi:[0,1,1] neg_lo:[1,0,0] neg_hi:[1,0,0]
	s_waitcnt vmcnt(28) lgkmcnt(2)
	v_pk_fma_f32 v[80:81], v[152:153], v[148:149], v[80:81] op_sel_hi:[0,1,1] neg_lo:[1,0,0] neg_hi:[1,0,0]
	;; [unrolled: 2-line block ×3, first 2 shown]
	ds_read2_b32 v[146:147], v127 offset0:33 offset1:34
	ds_read2_b32 v[148:149], v127 offset0:35 offset1:36
	;; [unrolled: 1-line block ×4, first 2 shown]
	s_waitcnt vmcnt(24) lgkmcnt(4)
	v_pk_fma_f32 v[76:77], v[152:153], v[154:155], v[76:77] op_sel_hi:[0,1,1] neg_lo:[1,0,0] neg_hi:[1,0,0]
	s_waitcnt vmcnt(22) lgkmcnt(3)
	v_pk_fma_f32 v[102:103], v[152:153], v[146:147], v[102:103] op_sel_hi:[0,1,1] neg_lo:[1,0,0] neg_hi:[1,0,0]
	;; [unrolled: 2-line block ×5, first 2 shown]
	v_mov_b32_e32 v59, v152
.LBB81_94:
	s_or_b64 exec, exec, s[2:3]
	v_cmp_eq_u32_e32 vcc, 17, v125
	s_waitcnt lgkmcnt(0)
	s_barrier
	s_and_saveexec_b64 s[2:3], vcc
	s_cbranch_execz .LBB81_97
; %bb.95:
	s_waitcnt vmcnt(36)
	v_pk_mov_b32 v[146:147], v[56:57], v[50:51] op_sel:[1,0]
	ds_write_b32 v126, v56
	ds_write2_b32 v127, v146, v147 offset0:18 offset1:19
	s_waitcnt vmcnt(34)
	v_pk_mov_b32 v[146:147], v[50:51], v[52:53] op_sel:[1,0]
	ds_write2_b32 v127, v146, v147 offset0:20 offset1:21
	s_waitcnt vmcnt(32)
	v_pk_mov_b32 v[146:147], v[52:53], v[54:55] op_sel:[1,0]
	;; [unrolled: 3-line block ×10, first 2 shown]
	ds_write2_b32 v127, v146, v147 offset0:38 offset1:39
	ds_write_b32 v127, v107 offset:160
	ds_read_b32 v145, v126
	s_waitcnt lgkmcnt(0)
	v_cmp_neq_f32_e32 vcc, 0, v145
	s_and_b64 exec, exec, vcc
	s_cbranch_execz .LBB81_97
; %bb.96:
	v_div_scale_f32 v146, s[4:5], v145, v145, 1.0
	v_rcp_f32_e32 v147, v146
	v_div_scale_f32 v148, vcc, 1.0, v145, 1.0
	v_fma_f32 v149, -v146, v147, 1.0
	v_fmac_f32_e32 v147, v149, v147
	v_mul_f32_e32 v149, v148, v147
	v_fma_f32 v150, -v146, v149, v148
	v_fmac_f32_e32 v149, v150, v147
	v_fma_f32 v146, -v146, v149, v148
	v_div_fmas_f32 v146, v146, v147, v149
	v_div_fixup_f32 v145, v146, v145, 1.0
	ds_write_b32 v126, v145
.LBB81_97:
	s_or_b64 exec, exec, s[2:3]
	s_waitcnt lgkmcnt(0)
	s_barrier
	ds_read_b32 v145, v126
	v_cmp_lt_u32_e32 vcc, 17, v125
	s_and_saveexec_b64 s[2:3], vcc
	s_cbranch_execz .LBB81_99
; %bb.98:
	ds_read_b32 v152, v127 offset:72
	ds_read2_b32 v[146:147], v127 offset0:19 offset1:20
	ds_read2_b32 v[148:149], v127 offset0:21 offset1:22
	s_waitcnt vmcnt(39) lgkmcnt(3)
	v_mul_f32_e32 v56, v145, v56
	ds_read2_b32 v[150:151], v127 offset0:23 offset1:24
	s_waitcnt vmcnt(38) lgkmcnt(3)
	v_fma_f32 v57, -v56, v152, v57
	s_waitcnt vmcnt(36) lgkmcnt(2)
	v_pk_fma_f32 v[50:51], v[56:57], v[146:147], v[50:51] op_sel_hi:[0,1,1] neg_lo:[1,0,0] neg_hi:[1,0,0]
	s_waitcnt vmcnt(34) lgkmcnt(1)
	v_pk_fma_f32 v[52:53], v[56:57], v[148:149], v[52:53] op_sel_hi:[0,1,1] neg_lo:[1,0,0] neg_hi:[1,0,0]
	ds_read2_b32 v[146:147], v127 offset0:25 offset1:26
	ds_read2_b32 v[148:149], v127 offset0:27 offset1:28
	;; [unrolled: 1-line block ×3, first 2 shown]
	s_waitcnt vmcnt(32) lgkmcnt(3)
	v_pk_fma_f32 v[54:55], v[56:57], v[150:151], v[54:55] op_sel_hi:[0,1,1] neg_lo:[1,0,0] neg_hi:[1,0,0]
	ds_read2_b32 v[150:151], v127 offset0:31 offset1:32
	s_waitcnt vmcnt(30) lgkmcnt(3)
	v_pk_fma_f32 v[78:79], v[56:57], v[146:147], v[78:79] op_sel_hi:[0,1,1] neg_lo:[1,0,0] neg_hi:[1,0,0]
	s_waitcnt vmcnt(28) lgkmcnt(2)
	v_pk_fma_f32 v[80:81], v[56:57], v[148:149], v[80:81] op_sel_hi:[0,1,1] neg_lo:[1,0,0] neg_hi:[1,0,0]
	;; [unrolled: 2-line block ×3, first 2 shown]
	ds_read2_b32 v[146:147], v127 offset0:33 offset1:34
	ds_read2_b32 v[148:149], v127 offset0:35 offset1:36
	;; [unrolled: 1-line block ×4, first 2 shown]
	s_waitcnt vmcnt(24) lgkmcnt(4)
	v_pk_fma_f32 v[76:77], v[56:57], v[150:151], v[76:77] op_sel_hi:[0,1,1] neg_lo:[1,0,0] neg_hi:[1,0,0]
	s_waitcnt vmcnt(22) lgkmcnt(3)
	v_pk_fma_f32 v[102:103], v[56:57], v[146:147], v[102:103] op_sel_hi:[0,1,1] neg_lo:[1,0,0] neg_hi:[1,0,0]
	;; [unrolled: 2-line block ×5, first 2 shown]
.LBB81_99:
	s_or_b64 exec, exec, s[2:3]
	v_cmp_ne_u32_e32 vcc, 18, v125
	s_waitcnt lgkmcnt(0)
	s_barrier
	s_and_saveexec_b64 s[2:3], vcc
	s_xor_b64 s[2:3], exec, s[2:3]
	s_andn2_saveexec_b64 s[2:3], s[2:3]
	s_cbranch_execz .LBB81_103
; %bb.100:
	s_waitcnt vmcnt(38)
	ds_write_b32 v126, v57
	s_waitcnt vmcnt(36)
	ds_write2_b32 v127, v50, v51 offset0:19 offset1:20
	s_waitcnt vmcnt(34)
	ds_write2_b32 v127, v52, v53 offset0:21 offset1:22
	;; [unrolled: 2-line block ×11, first 2 shown]
	ds_read_b32 v146, v126
	s_waitcnt lgkmcnt(0)
	v_cmp_neq_f32_e32 vcc, 0, v146
	s_and_saveexec_b64 s[4:5], vcc
	s_cbranch_execz .LBB81_102
; %bb.101:
	v_div_scale_f32 v147, s[10:11], v146, v146, 1.0
	v_rcp_f32_e32 v148, v147
	v_div_scale_f32 v149, vcc, 1.0, v146, 1.0
	v_fma_f32 v150, -v147, v148, 1.0
	v_fmac_f32_e32 v148, v150, v148
	v_mul_f32_e32 v150, v149, v148
	v_fma_f32 v151, -v147, v150, v149
	v_fmac_f32_e32 v150, v151, v148
	v_fma_f32 v147, -v147, v150, v149
	v_div_fmas_f32 v147, v147, v148, v150
	v_div_fixup_f32 v146, v147, v146, 1.0
	ds_write_b32 v126, v146
.LBB81_102:
	s_or_b64 exec, exec, s[4:5]
.LBB81_103:
	s_or_b64 exec, exec, s[2:3]
	s_waitcnt lgkmcnt(0)
	s_barrier
	ds_read_b32 v146, v126
	v_cmp_lt_u32_e32 vcc, 18, v125
	s_and_saveexec_b64 s[2:3], vcc
	s_cbranch_execz .LBB81_105
; %bb.104:
	ds_read2_b32 v[148:149], v127 offset0:19 offset1:20
	ds_read2_b32 v[150:151], v127 offset0:21 offset1:22
	;; [unrolled: 1-line block ×3, first 2 shown]
	s_waitcnt vmcnt(38) lgkmcnt(3)
	v_mul_f32_e32 v154, v146, v57
	ds_read2_b32 v[156:157], v127 offset0:25 offset1:26
	s_waitcnt vmcnt(36) lgkmcnt(3)
	v_pk_fma_f32 v[50:51], v[154:155], v[148:149], v[50:51] op_sel_hi:[0,1,1] neg_lo:[1,0,0] neg_hi:[1,0,0]
	s_waitcnt vmcnt(34) lgkmcnt(2)
	v_pk_fma_f32 v[52:53], v[154:155], v[150:151], v[52:53] op_sel_hi:[0,1,1] neg_lo:[1,0,0] neg_hi:[1,0,0]
	ds_read2_b32 v[148:149], v127 offset0:27 offset1:28
	ds_read2_b32 v[150:151], v127 offset0:29 offset1:30
	s_waitcnt vmcnt(32) lgkmcnt(3)
	v_pk_fma_f32 v[54:55], v[154:155], v[152:153], v[54:55] op_sel_hi:[0,1,1] neg_lo:[1,0,0] neg_hi:[1,0,0]
	s_waitcnt vmcnt(30) lgkmcnt(2)
	v_pk_fma_f32 v[78:79], v[154:155], v[156:157], v[78:79] op_sel_hi:[0,1,1] neg_lo:[1,0,0] neg_hi:[1,0,0]
	ds_read2_b32 v[152:153], v127 offset0:31 offset1:32
	;; [unrolled: 6-line block ×3, first 2 shown]
	ds_read2_b32 v[150:151], v127 offset0:37 offset1:38
	ds_read2_b32 v[158:159], v127 offset0:39 offset1:40
	s_waitcnt vmcnt(24) lgkmcnt(4)
	v_pk_fma_f32 v[76:77], v[154:155], v[152:153], v[76:77] op_sel_hi:[0,1,1] neg_lo:[1,0,0] neg_hi:[1,0,0]
	s_waitcnt vmcnt(22) lgkmcnt(3)
	v_pk_fma_f32 v[102:103], v[154:155], v[156:157], v[102:103] op_sel_hi:[0,1,1] neg_lo:[1,0,0] neg_hi:[1,0,0]
	;; [unrolled: 2-line block ×5, first 2 shown]
	v_mov_b32_e32 v57, v154
.LBB81_105:
	s_or_b64 exec, exec, s[2:3]
	v_cmp_eq_u32_e32 vcc, 19, v125
	s_waitcnt lgkmcnt(0)
	s_barrier
	s_and_saveexec_b64 s[2:3], vcc
	s_cbranch_execz .LBB81_108
; %bb.106:
	s_waitcnt vmcnt(34)
	v_pk_mov_b32 v[148:149], v[50:51], v[52:53] op_sel:[1,0]
	ds_write_b32 v126, v50
	ds_write2_b32 v127, v148, v149 offset0:20 offset1:21
	s_waitcnt vmcnt(32)
	v_pk_mov_b32 v[148:149], v[52:53], v[54:55] op_sel:[1,0]
	ds_write2_b32 v127, v148, v149 offset0:22 offset1:23
	s_waitcnt vmcnt(30)
	v_pk_mov_b32 v[148:149], v[54:55], v[78:79] op_sel:[1,0]
	;; [unrolled: 3-line block ×9, first 2 shown]
	ds_write2_b32 v127, v148, v149 offset0:38 offset1:39
	ds_write_b32 v127, v107 offset:160
	ds_read_b32 v147, v126
	s_waitcnt lgkmcnt(0)
	v_cmp_neq_f32_e32 vcc, 0, v147
	s_and_b64 exec, exec, vcc
	s_cbranch_execz .LBB81_108
; %bb.107:
	v_div_scale_f32 v148, s[4:5], v147, v147, 1.0
	v_rcp_f32_e32 v149, v148
	v_div_scale_f32 v150, vcc, 1.0, v147, 1.0
	v_fma_f32 v151, -v148, v149, 1.0
	v_fmac_f32_e32 v149, v151, v149
	v_mul_f32_e32 v151, v150, v149
	v_fma_f32 v152, -v148, v151, v150
	v_fmac_f32_e32 v151, v152, v149
	v_fma_f32 v148, -v148, v151, v150
	v_div_fmas_f32 v148, v148, v149, v151
	v_div_fixup_f32 v147, v148, v147, 1.0
	ds_write_b32 v126, v147
.LBB81_108:
	s_or_b64 exec, exec, s[2:3]
	s_waitcnt lgkmcnt(0)
	s_barrier
	ds_read_b32 v147, v126
	v_cmp_lt_u32_e32 vcc, 19, v125
	s_and_saveexec_b64 s[2:3], vcc
	s_cbranch_execz .LBB81_110
; %bb.109:
	ds_read_b32 v154, v127 offset:80
	ds_read2_b32 v[148:149], v127 offset0:21 offset1:22
	ds_read2_b32 v[150:151], v127 offset0:23 offset1:24
	s_waitcnt vmcnt(37) lgkmcnt(3)
	v_mul_f32_e32 v50, v147, v50
	ds_read2_b32 v[152:153], v127 offset0:25 offset1:26
	s_waitcnt vmcnt(36) lgkmcnt(3)
	v_fma_f32 v51, -v50, v154, v51
	s_waitcnt vmcnt(34) lgkmcnt(2)
	v_pk_fma_f32 v[52:53], v[50:51], v[148:149], v[52:53] op_sel_hi:[0,1,1] neg_lo:[1,0,0] neg_hi:[1,0,0]
	s_waitcnt vmcnt(32) lgkmcnt(1)
	v_pk_fma_f32 v[54:55], v[50:51], v[150:151], v[54:55] op_sel_hi:[0,1,1] neg_lo:[1,0,0] neg_hi:[1,0,0]
	ds_read2_b32 v[148:149], v127 offset0:27 offset1:28
	ds_read2_b32 v[150:151], v127 offset0:29 offset1:30
	s_waitcnt vmcnt(30) lgkmcnt(2)
	v_pk_fma_f32 v[78:79], v[50:51], v[152:153], v[78:79] op_sel_hi:[0,1,1] neg_lo:[1,0,0] neg_hi:[1,0,0]
	ds_read2_b32 v[152:153], v127 offset0:31 offset1:32
	ds_read2_b32 v[154:155], v127 offset0:33 offset1:34
	s_waitcnt vmcnt(28) lgkmcnt(3)
	v_pk_fma_f32 v[80:81], v[50:51], v[148:149], v[80:81] op_sel_hi:[0,1,1] neg_lo:[1,0,0] neg_hi:[1,0,0]
	s_waitcnt vmcnt(26) lgkmcnt(2)
	v_pk_fma_f32 v[82:83], v[50:51], v[150:151], v[82:83] op_sel_hi:[0,1,1] neg_lo:[1,0,0] neg_hi:[1,0,0]
	ds_read2_b32 v[148:149], v127 offset0:35 offset1:36
	ds_read2_b32 v[150:151], v127 offset0:37 offset1:38
	;; [unrolled: 1-line block ×3, first 2 shown]
	s_waitcnt vmcnt(24) lgkmcnt(4)
	v_pk_fma_f32 v[76:77], v[50:51], v[152:153], v[76:77] op_sel_hi:[0,1,1] neg_lo:[1,0,0] neg_hi:[1,0,0]
	s_waitcnt vmcnt(22) lgkmcnt(3)
	v_pk_fma_f32 v[102:103], v[50:51], v[154:155], v[102:103] op_sel_hi:[0,1,1] neg_lo:[1,0,0] neg_hi:[1,0,0]
	;; [unrolled: 2-line block ×5, first 2 shown]
.LBB81_110:
	s_or_b64 exec, exec, s[2:3]
	v_cmp_ne_u32_e32 vcc, 20, v125
	s_waitcnt lgkmcnt(0)
	s_barrier
	s_and_saveexec_b64 s[2:3], vcc
	s_xor_b64 s[2:3], exec, s[2:3]
	s_andn2_saveexec_b64 s[2:3], s[2:3]
	s_cbranch_execz .LBB81_114
; %bb.111:
	s_waitcnt vmcnt(36)
	ds_write_b32 v126, v51
	s_waitcnt vmcnt(34)
	ds_write2_b32 v127, v52, v53 offset0:21 offset1:22
	s_waitcnt vmcnt(32)
	ds_write2_b32 v127, v54, v55 offset0:23 offset1:24
	;; [unrolled: 2-line block ×10, first 2 shown]
	ds_read_b32 v148, v126
	s_waitcnt lgkmcnt(0)
	v_cmp_neq_f32_e32 vcc, 0, v148
	s_and_saveexec_b64 s[4:5], vcc
	s_cbranch_execz .LBB81_113
; %bb.112:
	v_div_scale_f32 v149, s[10:11], v148, v148, 1.0
	v_rcp_f32_e32 v150, v149
	v_div_scale_f32 v151, vcc, 1.0, v148, 1.0
	v_fma_f32 v152, -v149, v150, 1.0
	v_fmac_f32_e32 v150, v152, v150
	v_mul_f32_e32 v152, v151, v150
	v_fma_f32 v153, -v149, v152, v151
	v_fmac_f32_e32 v152, v153, v150
	v_fma_f32 v149, -v149, v152, v151
	v_div_fmas_f32 v149, v149, v150, v152
	v_div_fixup_f32 v148, v149, v148, 1.0
	ds_write_b32 v126, v148
.LBB81_113:
	s_or_b64 exec, exec, s[4:5]
.LBB81_114:
	s_or_b64 exec, exec, s[2:3]
	s_waitcnt lgkmcnt(0)
	s_barrier
	ds_read_b32 v148, v126
	v_cmp_lt_u32_e32 vcc, 20, v125
	s_and_saveexec_b64 s[2:3], vcc
	s_cbranch_execz .LBB81_116
; %bb.115:
	ds_read2_b32 v[150:151], v127 offset0:21 offset1:22
	ds_read2_b32 v[152:153], v127 offset0:23 offset1:24
	;; [unrolled: 1-line block ×3, first 2 shown]
	s_waitcnt vmcnt(36) lgkmcnt(3)
	v_mul_f32_e32 v156, v148, v51
	ds_read2_b32 v[158:159], v127 offset0:27 offset1:28
	s_waitcnt vmcnt(34) lgkmcnt(3)
	v_pk_fma_f32 v[52:53], v[156:157], v[150:151], v[52:53] op_sel_hi:[0,1,1] neg_lo:[1,0,0] neg_hi:[1,0,0]
	ds_read2_b32 v[150:151], v127 offset0:29 offset1:30
	s_waitcnt vmcnt(32) lgkmcnt(3)
	v_pk_fma_f32 v[54:55], v[156:157], v[152:153], v[54:55] op_sel_hi:[0,1,1] neg_lo:[1,0,0] neg_hi:[1,0,0]
	s_waitcnt vmcnt(30) lgkmcnt(2)
	v_pk_fma_f32 v[78:79], v[156:157], v[154:155], v[78:79] op_sel_hi:[0,1,1] neg_lo:[1,0,0] neg_hi:[1,0,0]
	;; [unrolled: 2-line block ×3, first 2 shown]
	ds_read2_b32 v[152:153], v127 offset0:31 offset1:32
	ds_read2_b32 v[154:155], v127 offset0:33 offset1:34
	ds_read2_b32 v[158:159], v127 offset0:35 offset1:36
	s_waitcnt vmcnt(26) lgkmcnt(3)
	v_pk_fma_f32 v[82:83], v[156:157], v[150:151], v[82:83] op_sel_hi:[0,1,1] neg_lo:[1,0,0] neg_hi:[1,0,0]
	ds_read2_b32 v[150:151], v127 offset0:37 offset1:38
	ds_read2_b32 v[160:161], v127 offset0:39 offset1:40
	s_waitcnt vmcnt(24) lgkmcnt(4)
	v_pk_fma_f32 v[76:77], v[156:157], v[152:153], v[76:77] op_sel_hi:[0,1,1] neg_lo:[1,0,0] neg_hi:[1,0,0]
	s_waitcnt vmcnt(22) lgkmcnt(3)
	v_pk_fma_f32 v[102:103], v[156:157], v[154:155], v[102:103] op_sel_hi:[0,1,1] neg_lo:[1,0,0] neg_hi:[1,0,0]
	;; [unrolled: 2-line block ×5, first 2 shown]
	v_mov_b32_e32 v51, v156
.LBB81_116:
	s_or_b64 exec, exec, s[2:3]
	v_cmp_eq_u32_e32 vcc, 21, v125
	s_waitcnt lgkmcnt(0)
	s_barrier
	s_and_saveexec_b64 s[2:3], vcc
	s_cbranch_execz .LBB81_119
; %bb.117:
	s_waitcnt vmcnt(32)
	v_pk_mov_b32 v[150:151], v[52:53], v[54:55] op_sel:[1,0]
	ds_write_b32 v126, v52
	ds_write2_b32 v127, v150, v151 offset0:22 offset1:23
	s_waitcnt vmcnt(30)
	v_pk_mov_b32 v[150:151], v[54:55], v[78:79] op_sel:[1,0]
	ds_write2_b32 v127, v150, v151 offset0:24 offset1:25
	s_waitcnt vmcnt(28)
	v_pk_mov_b32 v[150:151], v[78:79], v[80:81] op_sel:[1,0]
	;; [unrolled: 3-line block ×8, first 2 shown]
	ds_write2_b32 v127, v150, v151 offset0:38 offset1:39
	ds_write_b32 v127, v107 offset:160
	ds_read_b32 v149, v126
	s_waitcnt lgkmcnt(0)
	v_cmp_neq_f32_e32 vcc, 0, v149
	s_and_b64 exec, exec, vcc
	s_cbranch_execz .LBB81_119
; %bb.118:
	v_div_scale_f32 v150, s[4:5], v149, v149, 1.0
	v_rcp_f32_e32 v151, v150
	v_div_scale_f32 v152, vcc, 1.0, v149, 1.0
	v_fma_f32 v153, -v150, v151, 1.0
	v_fmac_f32_e32 v151, v153, v151
	v_mul_f32_e32 v153, v152, v151
	v_fma_f32 v154, -v150, v153, v152
	v_fmac_f32_e32 v153, v154, v151
	v_fma_f32 v150, -v150, v153, v152
	v_div_fmas_f32 v150, v150, v151, v153
	v_div_fixup_f32 v149, v150, v149, 1.0
	ds_write_b32 v126, v149
.LBB81_119:
	s_or_b64 exec, exec, s[2:3]
	s_waitcnt lgkmcnt(0)
	s_barrier
	ds_read_b32 v149, v126
	v_cmp_lt_u32_e32 vcc, 21, v125
	s_and_saveexec_b64 s[2:3], vcc
	s_cbranch_execz .LBB81_121
; %bb.120:
	ds_read_b32 v156, v127 offset:88
	ds_read2_b32 v[150:151], v127 offset0:23 offset1:24
	ds_read2_b32 v[152:153], v127 offset0:25 offset1:26
	s_waitcnt vmcnt(35) lgkmcnt(3)
	v_mul_f32_e32 v52, v149, v52
	ds_read2_b32 v[154:155], v127 offset0:27 offset1:28
	s_waitcnt vmcnt(34) lgkmcnt(3)
	v_fma_f32 v53, -v52, v156, v53
	s_waitcnt vmcnt(32) lgkmcnt(2)
	v_pk_fma_f32 v[54:55], v[52:53], v[150:151], v[54:55] op_sel_hi:[0,1,1] neg_lo:[1,0,0] neg_hi:[1,0,0]
	ds_read2_b32 v[150:151], v127 offset0:29 offset1:30
	s_waitcnt vmcnt(30) lgkmcnt(2)
	v_pk_fma_f32 v[78:79], v[52:53], v[152:153], v[78:79] op_sel_hi:[0,1,1] neg_lo:[1,0,0] neg_hi:[1,0,0]
	s_waitcnt vmcnt(28) lgkmcnt(1)
	v_pk_fma_f32 v[80:81], v[52:53], v[154:155], v[80:81] op_sel_hi:[0,1,1] neg_lo:[1,0,0] neg_hi:[1,0,0]
	ds_read2_b32 v[152:153], v127 offset0:31 offset1:32
	ds_read2_b32 v[154:155], v127 offset0:33 offset1:34
	ds_read2_b32 v[156:157], v127 offset0:35 offset1:36
	s_waitcnt vmcnt(26) lgkmcnt(3)
	v_pk_fma_f32 v[82:83], v[52:53], v[150:151], v[82:83] op_sel_hi:[0,1,1] neg_lo:[1,0,0] neg_hi:[1,0,0]
	ds_read2_b32 v[150:151], v127 offset0:37 offset1:38
	ds_read2_b32 v[158:159], v127 offset0:39 offset1:40
	s_waitcnt vmcnt(24) lgkmcnt(4)
	v_pk_fma_f32 v[76:77], v[52:53], v[152:153], v[76:77] op_sel_hi:[0,1,1] neg_lo:[1,0,0] neg_hi:[1,0,0]
	s_waitcnt vmcnt(22) lgkmcnt(3)
	v_pk_fma_f32 v[102:103], v[52:53], v[154:155], v[102:103] op_sel_hi:[0,1,1] neg_lo:[1,0,0] neg_hi:[1,0,0]
	s_waitcnt vmcnt(20) lgkmcnt(2)
	v_pk_fma_f32 v[104:105], v[52:53], v[156:157], v[104:105] op_sel_hi:[0,1,1] neg_lo:[1,0,0] neg_hi:[1,0,0]
	s_waitcnt vmcnt(18) lgkmcnt(1)
	v_pk_fma_f32 v[100:101], v[52:53], v[150:151], v[100:101] op_sel_hi:[0,1,1] neg_lo:[1,0,0] neg_hi:[1,0,0]
	s_waitcnt vmcnt(16) lgkmcnt(0)
	v_pk_fma_f32 v[106:107], v[52:53], v[158:159], v[106:107] op_sel_hi:[0,1,1] neg_lo:[1,0,0] neg_hi:[1,0,0]
.LBB81_121:
	s_or_b64 exec, exec, s[2:3]
	v_cmp_ne_u32_e32 vcc, 22, v125
	s_waitcnt lgkmcnt(0)
	s_barrier
	s_and_saveexec_b64 s[2:3], vcc
	s_xor_b64 s[2:3], exec, s[2:3]
	s_andn2_saveexec_b64 s[2:3], s[2:3]
	s_cbranch_execz .LBB81_125
; %bb.122:
	s_waitcnt vmcnt(34)
	ds_write_b32 v126, v53
	s_waitcnt vmcnt(32)
	ds_write2_b32 v127, v54, v55 offset0:23 offset1:24
	s_waitcnt vmcnt(30)
	ds_write2_b32 v127, v78, v79 offset0:25 offset1:26
	;; [unrolled: 2-line block ×9, first 2 shown]
	ds_read_b32 v150, v126
	s_waitcnt lgkmcnt(0)
	v_cmp_neq_f32_e32 vcc, 0, v150
	s_and_saveexec_b64 s[4:5], vcc
	s_cbranch_execz .LBB81_124
; %bb.123:
	v_div_scale_f32 v151, s[10:11], v150, v150, 1.0
	v_rcp_f32_e32 v152, v151
	v_div_scale_f32 v153, vcc, 1.0, v150, 1.0
	v_fma_f32 v154, -v151, v152, 1.0
	v_fmac_f32_e32 v152, v154, v152
	v_mul_f32_e32 v154, v153, v152
	v_fma_f32 v155, -v151, v154, v153
	v_fmac_f32_e32 v154, v155, v152
	v_fma_f32 v151, -v151, v154, v153
	v_div_fmas_f32 v151, v151, v152, v154
	v_div_fixup_f32 v150, v151, v150, 1.0
	ds_write_b32 v126, v150
.LBB81_124:
	s_or_b64 exec, exec, s[4:5]
.LBB81_125:
	s_or_b64 exec, exec, s[2:3]
	s_waitcnt lgkmcnt(0)
	s_barrier
	ds_read_b32 v150, v126
	v_cmp_lt_u32_e32 vcc, 22, v125
	s_and_saveexec_b64 s[2:3], vcc
	s_cbranch_execz .LBB81_127
; %bb.126:
	ds_read2_b32 v[152:153], v127 offset0:23 offset1:24
	ds_read2_b32 v[154:155], v127 offset0:25 offset1:26
	;; [unrolled: 1-line block ×4, first 2 shown]
	s_waitcnt vmcnt(34) lgkmcnt(4)
	v_mul_f32_e32 v160, v150, v53
	s_waitcnt vmcnt(32) lgkmcnt(3)
	v_pk_fma_f32 v[54:55], v[160:161], v[152:153], v[54:55] op_sel_hi:[0,1,1] neg_lo:[1,0,0] neg_hi:[1,0,0]
	s_waitcnt vmcnt(30) lgkmcnt(2)
	v_pk_fma_f32 v[78:79], v[160:161], v[154:155], v[78:79] op_sel_hi:[0,1,1] neg_lo:[1,0,0] neg_hi:[1,0,0]
	;; [unrolled: 2-line block ×4, first 2 shown]
	ds_read2_b32 v[152:153], v127 offset0:31 offset1:32
	ds_read2_b32 v[154:155], v127 offset0:33 offset1:34
	;; [unrolled: 1-line block ×5, first 2 shown]
	s_waitcnt vmcnt(24) lgkmcnt(4)
	v_pk_fma_f32 v[76:77], v[160:161], v[152:153], v[76:77] op_sel_hi:[0,1,1] neg_lo:[1,0,0] neg_hi:[1,0,0]
	s_waitcnt vmcnt(22) lgkmcnt(3)
	v_pk_fma_f32 v[102:103], v[160:161], v[154:155], v[102:103] op_sel_hi:[0,1,1] neg_lo:[1,0,0] neg_hi:[1,0,0]
	;; [unrolled: 2-line block ×5, first 2 shown]
	v_mov_b32_e32 v53, v160
.LBB81_127:
	s_or_b64 exec, exec, s[2:3]
	v_cmp_eq_u32_e32 vcc, 23, v125
	s_waitcnt lgkmcnt(0)
	s_barrier
	s_and_saveexec_b64 s[2:3], vcc
	s_cbranch_execz .LBB81_130
; %bb.128:
	s_waitcnt vmcnt(30)
	v_pk_mov_b32 v[152:153], v[54:55], v[78:79] op_sel:[1,0]
	ds_write_b32 v126, v54
	ds_write2_b32 v127, v152, v153 offset0:24 offset1:25
	s_waitcnt vmcnt(28)
	v_pk_mov_b32 v[152:153], v[78:79], v[80:81] op_sel:[1,0]
	ds_write2_b32 v127, v152, v153 offset0:26 offset1:27
	s_waitcnt vmcnt(26)
	v_pk_mov_b32 v[152:153], v[80:81], v[82:83] op_sel:[1,0]
	;; [unrolled: 3-line block ×7, first 2 shown]
	ds_write2_b32 v127, v152, v153 offset0:38 offset1:39
	ds_write_b32 v127, v107 offset:160
	ds_read_b32 v151, v126
	s_waitcnt lgkmcnt(0)
	v_cmp_neq_f32_e32 vcc, 0, v151
	s_and_b64 exec, exec, vcc
	s_cbranch_execz .LBB81_130
; %bb.129:
	v_div_scale_f32 v152, s[4:5], v151, v151, 1.0
	v_rcp_f32_e32 v153, v152
	v_div_scale_f32 v154, vcc, 1.0, v151, 1.0
	v_fma_f32 v155, -v152, v153, 1.0
	v_fmac_f32_e32 v153, v155, v153
	v_mul_f32_e32 v155, v154, v153
	v_fma_f32 v156, -v152, v155, v154
	v_fmac_f32_e32 v155, v156, v153
	v_fma_f32 v152, -v152, v155, v154
	v_div_fmas_f32 v152, v152, v153, v155
	v_div_fixup_f32 v151, v152, v151, 1.0
	ds_write_b32 v126, v151
.LBB81_130:
	s_or_b64 exec, exec, s[2:3]
	s_waitcnt lgkmcnt(0)
	s_barrier
	ds_read_b32 v151, v126
	v_cmp_lt_u32_e32 vcc, 23, v125
	s_and_saveexec_b64 s[2:3], vcc
	s_cbranch_execz .LBB81_132
; %bb.131:
	ds_read_b32 v158, v127 offset:96
	ds_read2_b32 v[152:153], v127 offset0:25 offset1:26
	ds_read2_b32 v[154:155], v127 offset0:27 offset1:28
	;; [unrolled: 1-line block ×3, first 2 shown]
	s_waitcnt vmcnt(33) lgkmcnt(4)
	v_mul_f32_e32 v54, v151, v54
	s_waitcnt vmcnt(32) lgkmcnt(3)
	v_fma_f32 v55, -v54, v158, v55
	s_waitcnt vmcnt(30) lgkmcnt(2)
	v_pk_fma_f32 v[78:79], v[54:55], v[152:153], v[78:79] op_sel_hi:[0,1,1] neg_lo:[1,0,0] neg_hi:[1,0,0]
	s_waitcnt vmcnt(28) lgkmcnt(1)
	v_pk_fma_f32 v[80:81], v[54:55], v[154:155], v[80:81] op_sel_hi:[0,1,1] neg_lo:[1,0,0] neg_hi:[1,0,0]
	;; [unrolled: 2-line block ×3, first 2 shown]
	ds_read2_b32 v[152:153], v127 offset0:31 offset1:32
	ds_read2_b32 v[154:155], v127 offset0:33 offset1:34
	;; [unrolled: 1-line block ×5, first 2 shown]
	s_waitcnt vmcnt(24) lgkmcnt(4)
	v_pk_fma_f32 v[76:77], v[54:55], v[152:153], v[76:77] op_sel_hi:[0,1,1] neg_lo:[1,0,0] neg_hi:[1,0,0]
	s_waitcnt vmcnt(22) lgkmcnt(3)
	v_pk_fma_f32 v[102:103], v[54:55], v[154:155], v[102:103] op_sel_hi:[0,1,1] neg_lo:[1,0,0] neg_hi:[1,0,0]
	;; [unrolled: 2-line block ×5, first 2 shown]
.LBB81_132:
	s_or_b64 exec, exec, s[2:3]
	v_cmp_ne_u32_e32 vcc, 24, v125
	s_waitcnt lgkmcnt(0)
	s_barrier
	s_and_saveexec_b64 s[2:3], vcc
	s_xor_b64 s[2:3], exec, s[2:3]
	s_andn2_saveexec_b64 s[2:3], s[2:3]
	s_cbranch_execz .LBB81_136
; %bb.133:
	s_waitcnt vmcnt(32)
	ds_write_b32 v126, v55
	s_waitcnt vmcnt(30)
	ds_write2_b32 v127, v78, v79 offset0:25 offset1:26
	s_waitcnt vmcnt(28)
	ds_write2_b32 v127, v80, v81 offset0:27 offset1:28
	;; [unrolled: 2-line block ×8, first 2 shown]
	ds_read_b32 v152, v126
	s_waitcnt lgkmcnt(0)
	v_cmp_neq_f32_e32 vcc, 0, v152
	s_and_saveexec_b64 s[4:5], vcc
	s_cbranch_execz .LBB81_135
; %bb.134:
	v_div_scale_f32 v153, s[10:11], v152, v152, 1.0
	v_rcp_f32_e32 v154, v153
	v_div_scale_f32 v155, vcc, 1.0, v152, 1.0
	v_fma_f32 v156, -v153, v154, 1.0
	v_fmac_f32_e32 v154, v156, v154
	v_mul_f32_e32 v156, v155, v154
	v_fma_f32 v157, -v153, v156, v155
	v_fmac_f32_e32 v156, v157, v154
	v_fma_f32 v153, -v153, v156, v155
	v_div_fmas_f32 v153, v153, v154, v156
	v_div_fixup_f32 v152, v153, v152, 1.0
	ds_write_b32 v126, v152
.LBB81_135:
	s_or_b64 exec, exec, s[4:5]
.LBB81_136:
	s_or_b64 exec, exec, s[2:3]
	s_waitcnt lgkmcnt(0)
	s_barrier
	ds_read_b32 v152, v126
	v_cmp_lt_u32_e32 vcc, 24, v125
	s_and_saveexec_b64 s[2:3], vcc
	s_cbranch_execz .LBB81_138
; %bb.137:
	ds_read2_b32 v[154:155], v127 offset0:25 offset1:26
	ds_read2_b32 v[156:157], v127 offset0:27 offset1:28
	;; [unrolled: 1-line block ×3, first 2 shown]
	s_waitcnt vmcnt(32) lgkmcnt(3)
	v_mul_f32_e32 v160, v152, v55
	ds_read2_b32 v[162:163], v127 offset0:31 offset1:32
	s_waitcnt vmcnt(30) lgkmcnt(3)
	v_pk_fma_f32 v[78:79], v[160:161], v[154:155], v[78:79] op_sel_hi:[0,1,1] neg_lo:[1,0,0] neg_hi:[1,0,0]
	s_waitcnt vmcnt(28) lgkmcnt(2)
	v_pk_fma_f32 v[80:81], v[160:161], v[156:157], v[80:81] op_sel_hi:[0,1,1] neg_lo:[1,0,0] neg_hi:[1,0,0]
	;; [unrolled: 2-line block ×3, first 2 shown]
	ds_read2_b32 v[154:155], v127 offset0:33 offset1:34
	ds_read2_b32 v[156:157], v127 offset0:35 offset1:36
	;; [unrolled: 1-line block ×4, first 2 shown]
	s_waitcnt vmcnt(24) lgkmcnt(4)
	v_pk_fma_f32 v[76:77], v[160:161], v[162:163], v[76:77] op_sel_hi:[0,1,1] neg_lo:[1,0,0] neg_hi:[1,0,0]
	s_waitcnt vmcnt(22) lgkmcnt(3)
	v_pk_fma_f32 v[102:103], v[160:161], v[154:155], v[102:103] op_sel_hi:[0,1,1] neg_lo:[1,0,0] neg_hi:[1,0,0]
	;; [unrolled: 2-line block ×5, first 2 shown]
	v_mov_b32_e32 v55, v160
.LBB81_138:
	s_or_b64 exec, exec, s[2:3]
	v_cmp_eq_u32_e32 vcc, 25, v125
	s_waitcnt lgkmcnt(0)
	s_barrier
	s_and_saveexec_b64 s[2:3], vcc
	s_cbranch_execz .LBB81_141
; %bb.139:
	s_waitcnt vmcnt(28)
	v_pk_mov_b32 v[154:155], v[78:79], v[80:81] op_sel:[1,0]
	ds_write_b32 v126, v78
	ds_write2_b32 v127, v154, v155 offset0:26 offset1:27
	s_waitcnt vmcnt(26)
	v_pk_mov_b32 v[154:155], v[80:81], v[82:83] op_sel:[1,0]
	ds_write2_b32 v127, v154, v155 offset0:28 offset1:29
	s_waitcnt vmcnt(24)
	v_pk_mov_b32 v[154:155], v[82:83], v[76:77] op_sel:[1,0]
	;; [unrolled: 3-line block ×6, first 2 shown]
	ds_write2_b32 v127, v154, v155 offset0:38 offset1:39
	ds_write_b32 v127, v107 offset:160
	ds_read_b32 v153, v126
	s_waitcnt lgkmcnt(0)
	v_cmp_neq_f32_e32 vcc, 0, v153
	s_and_b64 exec, exec, vcc
	s_cbranch_execz .LBB81_141
; %bb.140:
	v_div_scale_f32 v154, s[4:5], v153, v153, 1.0
	v_rcp_f32_e32 v155, v154
	v_div_scale_f32 v156, vcc, 1.0, v153, 1.0
	v_fma_f32 v157, -v154, v155, 1.0
	v_fmac_f32_e32 v155, v157, v155
	v_mul_f32_e32 v157, v156, v155
	v_fma_f32 v158, -v154, v157, v156
	v_fmac_f32_e32 v157, v158, v155
	v_fma_f32 v154, -v154, v157, v156
	v_div_fmas_f32 v154, v154, v155, v157
	v_div_fixup_f32 v153, v154, v153, 1.0
	ds_write_b32 v126, v153
.LBB81_141:
	s_or_b64 exec, exec, s[2:3]
	s_waitcnt lgkmcnt(0)
	s_barrier
	ds_read_b32 v153, v126
	v_cmp_lt_u32_e32 vcc, 25, v125
	s_and_saveexec_b64 s[2:3], vcc
	s_cbranch_execz .LBB81_143
; %bb.142:
	ds_read_b32 v160, v127 offset:104
	ds_read2_b32 v[154:155], v127 offset0:27 offset1:28
	ds_read2_b32 v[156:157], v127 offset0:29 offset1:30
	s_waitcnt vmcnt(31) lgkmcnt(3)
	v_mul_f32_e32 v78, v153, v78
	ds_read2_b32 v[158:159], v127 offset0:31 offset1:32
	s_waitcnt vmcnt(30) lgkmcnt(3)
	v_fma_f32 v79, -v78, v160, v79
	s_waitcnt vmcnt(28) lgkmcnt(2)
	v_pk_fma_f32 v[80:81], v[78:79], v[154:155], v[80:81] op_sel_hi:[0,1,1] neg_lo:[1,0,0] neg_hi:[1,0,0]
	s_waitcnt vmcnt(26) lgkmcnt(1)
	v_pk_fma_f32 v[82:83], v[78:79], v[156:157], v[82:83] op_sel_hi:[0,1,1] neg_lo:[1,0,0] neg_hi:[1,0,0]
	ds_read2_b32 v[154:155], v127 offset0:33 offset1:34
	ds_read2_b32 v[156:157], v127 offset0:35 offset1:36
	;; [unrolled: 1-line block ×4, first 2 shown]
	s_waitcnt vmcnt(24) lgkmcnt(4)
	v_pk_fma_f32 v[76:77], v[78:79], v[158:159], v[76:77] op_sel_hi:[0,1,1] neg_lo:[1,0,0] neg_hi:[1,0,0]
	s_waitcnt vmcnt(22) lgkmcnt(3)
	v_pk_fma_f32 v[102:103], v[78:79], v[154:155], v[102:103] op_sel_hi:[0,1,1] neg_lo:[1,0,0] neg_hi:[1,0,0]
	;; [unrolled: 2-line block ×5, first 2 shown]
.LBB81_143:
	s_or_b64 exec, exec, s[2:3]
	v_cmp_ne_u32_e32 vcc, 26, v125
	s_waitcnt lgkmcnt(0)
	s_barrier
	s_and_saveexec_b64 s[2:3], vcc
	s_xor_b64 s[2:3], exec, s[2:3]
	s_andn2_saveexec_b64 s[2:3], s[2:3]
	s_cbranch_execz .LBB81_147
; %bb.144:
	s_waitcnt vmcnt(30)
	ds_write_b32 v126, v79
	s_waitcnt vmcnt(28)
	ds_write2_b32 v127, v80, v81 offset0:27 offset1:28
	s_waitcnt vmcnt(26)
	ds_write2_b32 v127, v82, v83 offset0:29 offset1:30
	;; [unrolled: 2-line block ×7, first 2 shown]
	ds_read_b32 v154, v126
	s_waitcnt lgkmcnt(0)
	v_cmp_neq_f32_e32 vcc, 0, v154
	s_and_saveexec_b64 s[4:5], vcc
	s_cbranch_execz .LBB81_146
; %bb.145:
	v_div_scale_f32 v155, s[10:11], v154, v154, 1.0
	v_rcp_f32_e32 v156, v155
	v_div_scale_f32 v157, vcc, 1.0, v154, 1.0
	v_fma_f32 v158, -v155, v156, 1.0
	v_fmac_f32_e32 v156, v158, v156
	v_mul_f32_e32 v158, v157, v156
	v_fma_f32 v159, -v155, v158, v157
	v_fmac_f32_e32 v158, v159, v156
	v_fma_f32 v155, -v155, v158, v157
	v_div_fmas_f32 v155, v155, v156, v158
	v_div_fixup_f32 v154, v155, v154, 1.0
	ds_write_b32 v126, v154
.LBB81_146:
	s_or_b64 exec, exec, s[4:5]
.LBB81_147:
	s_or_b64 exec, exec, s[2:3]
	s_waitcnt lgkmcnt(0)
	s_barrier
	ds_read_b32 v154, v126
	v_cmp_lt_u32_e32 vcc, 26, v125
	s_and_saveexec_b64 s[2:3], vcc
	s_cbranch_execz .LBB81_149
; %bb.148:
	ds_read2_b32 v[156:157], v127 offset0:27 offset1:28
	ds_read2_b32 v[158:159], v127 offset0:29 offset1:30
	s_waitcnt vmcnt(30) lgkmcnt(2)
	v_mul_f32_e32 v160, v154, v79
	ds_read2_b32 v[162:163], v127 offset0:31 offset1:32
	ds_read2_b32 v[164:165], v127 offset0:33 offset1:34
	v_mov_b32_e32 v79, v160
	s_waitcnt vmcnt(28) lgkmcnt(3)
	v_pk_fma_f32 v[80:81], v[160:161], v[156:157], v[80:81] op_sel_hi:[0,1,1] neg_lo:[1,0,0] neg_hi:[1,0,0]
	s_waitcnt vmcnt(26) lgkmcnt(2)
	v_pk_fma_f32 v[82:83], v[160:161], v[158:159], v[82:83] op_sel_hi:[0,1,1] neg_lo:[1,0,0] neg_hi:[1,0,0]
	ds_read2_b32 v[156:157], v127 offset0:35 offset1:36
	ds_read2_b32 v[158:159], v127 offset0:37 offset1:38
	;; [unrolled: 1-line block ×3, first 2 shown]
	s_waitcnt vmcnt(24) lgkmcnt(4)
	v_pk_fma_f32 v[76:77], v[160:161], v[162:163], v[76:77] op_sel_hi:[0,1,1] neg_lo:[1,0,0] neg_hi:[1,0,0]
	s_waitcnt vmcnt(22) lgkmcnt(3)
	v_pk_fma_f32 v[102:103], v[160:161], v[164:165], v[102:103] op_sel_hi:[0,1,1] neg_lo:[1,0,0] neg_hi:[1,0,0]
	;; [unrolled: 2-line block ×5, first 2 shown]
.LBB81_149:
	s_or_b64 exec, exec, s[2:3]
	v_cmp_eq_u32_e32 vcc, 27, v125
	s_waitcnt lgkmcnt(0)
	s_barrier
	s_and_saveexec_b64 s[2:3], vcc
	s_cbranch_execz .LBB81_152
; %bb.150:
	s_waitcnt vmcnt(26)
	v_pk_mov_b32 v[156:157], v[80:81], v[82:83] op_sel:[1,0]
	ds_write_b32 v126, v80
	ds_write2_b32 v127, v156, v157 offset0:28 offset1:29
	s_waitcnt vmcnt(24)
	v_pk_mov_b32 v[156:157], v[82:83], v[76:77] op_sel:[1,0]
	ds_write2_b32 v127, v156, v157 offset0:30 offset1:31
	s_waitcnt vmcnt(22)
	v_pk_mov_b32 v[156:157], v[76:77], v[102:103] op_sel:[1,0]
	;; [unrolled: 3-line block ×5, first 2 shown]
	ds_write2_b32 v127, v156, v157 offset0:38 offset1:39
	ds_write_b32 v127, v107 offset:160
	ds_read_b32 v155, v126
	s_waitcnt lgkmcnt(0)
	v_cmp_neq_f32_e32 vcc, 0, v155
	s_and_b64 exec, exec, vcc
	s_cbranch_execz .LBB81_152
; %bb.151:
	v_div_scale_f32 v156, s[4:5], v155, v155, 1.0
	v_rcp_f32_e32 v157, v156
	v_div_scale_f32 v158, vcc, 1.0, v155, 1.0
	v_fma_f32 v159, -v156, v157, 1.0
	v_fmac_f32_e32 v157, v159, v157
	v_mul_f32_e32 v159, v158, v157
	v_fma_f32 v160, -v156, v159, v158
	v_fmac_f32_e32 v159, v160, v157
	v_fma_f32 v156, -v156, v159, v158
	v_div_fmas_f32 v156, v156, v157, v159
	v_div_fixup_f32 v155, v156, v155, 1.0
	ds_write_b32 v126, v155
.LBB81_152:
	s_or_b64 exec, exec, s[2:3]
	s_waitcnt lgkmcnt(0)
	s_barrier
	ds_read_b32 v155, v126
	v_cmp_lt_u32_e32 vcc, 27, v125
	s_and_saveexec_b64 s[2:3], vcc
	s_cbranch_execz .LBB81_154
; %bb.153:
	ds_read_b32 v162, v127 offset:112
	ds_read2_b32 v[156:157], v127 offset0:29 offset1:30
	s_waitcnt vmcnt(29) lgkmcnt(2)
	v_mul_f32_e32 v80, v155, v80
	ds_read2_b32 v[158:159], v127 offset0:31 offset1:32
	ds_read2_b32 v[160:161], v127 offset0:33 offset1:34
	s_waitcnt vmcnt(28) lgkmcnt(3)
	v_fma_f32 v81, -v80, v162, v81
	s_waitcnt vmcnt(26) lgkmcnt(2)
	v_pk_fma_f32 v[82:83], v[80:81], v[156:157], v[82:83] op_sel_hi:[0,1,1] neg_lo:[1,0,0] neg_hi:[1,0,0]
	ds_read2_b32 v[156:157], v127 offset0:35 offset1:36
	ds_read2_b32 v[162:163], v127 offset0:37 offset1:38
	;; [unrolled: 1-line block ×3, first 2 shown]
	s_waitcnt vmcnt(24) lgkmcnt(4)
	v_pk_fma_f32 v[76:77], v[80:81], v[158:159], v[76:77] op_sel_hi:[0,1,1] neg_lo:[1,0,0] neg_hi:[1,0,0]
	s_waitcnt vmcnt(22) lgkmcnt(3)
	v_pk_fma_f32 v[102:103], v[80:81], v[160:161], v[102:103] op_sel_hi:[0,1,1] neg_lo:[1,0,0] neg_hi:[1,0,0]
	;; [unrolled: 2-line block ×5, first 2 shown]
.LBB81_154:
	s_or_b64 exec, exec, s[2:3]
	v_cmp_ne_u32_e32 vcc, 28, v125
	s_waitcnt lgkmcnt(0)
	s_barrier
	s_and_saveexec_b64 s[2:3], vcc
	s_xor_b64 s[2:3], exec, s[2:3]
	s_andn2_saveexec_b64 s[2:3], s[2:3]
	s_cbranch_execz .LBB81_158
; %bb.155:
	s_waitcnt vmcnt(28)
	ds_write_b32 v126, v81
	s_waitcnt vmcnt(26)
	ds_write2_b32 v127, v82, v83 offset0:29 offset1:30
	s_waitcnt vmcnt(24)
	ds_write2_b32 v127, v76, v77 offset0:31 offset1:32
	;; [unrolled: 2-line block ×6, first 2 shown]
	ds_read_b32 v156, v126
	s_waitcnt lgkmcnt(0)
	v_cmp_neq_f32_e32 vcc, 0, v156
	s_and_saveexec_b64 s[4:5], vcc
	s_cbranch_execz .LBB81_157
; %bb.156:
	v_div_scale_f32 v157, s[10:11], v156, v156, 1.0
	v_rcp_f32_e32 v158, v157
	v_div_scale_f32 v159, vcc, 1.0, v156, 1.0
	v_fma_f32 v160, -v157, v158, 1.0
	v_fmac_f32_e32 v158, v160, v158
	v_mul_f32_e32 v160, v159, v158
	v_fma_f32 v161, -v157, v160, v159
	v_fmac_f32_e32 v160, v161, v158
	v_fma_f32 v157, -v157, v160, v159
	v_div_fmas_f32 v157, v157, v158, v160
	v_div_fixup_f32 v156, v157, v156, 1.0
	ds_write_b32 v126, v156
.LBB81_157:
	s_or_b64 exec, exec, s[4:5]
.LBB81_158:
	s_or_b64 exec, exec, s[2:3]
	s_waitcnt lgkmcnt(0)
	s_barrier
	ds_read_b32 v156, v126
	v_cmp_lt_u32_e32 vcc, 28, v125
	s_and_saveexec_b64 s[2:3], vcc
	s_cbranch_execz .LBB81_160
; %bb.159:
	ds_read2_b32 v[158:159], v127 offset0:29 offset1:30
	s_waitcnt vmcnt(28) lgkmcnt(1)
	v_mul_f32_e32 v160, v156, v81
	ds_read2_b32 v[162:163], v127 offset0:31 offset1:32
	ds_read2_b32 v[164:165], v127 offset0:33 offset1:34
	;; [unrolled: 1-line block ×3, first 2 shown]
	v_mov_b32_e32 v81, v160
	s_waitcnt vmcnt(24) lgkmcnt(2)
	v_pk_fma_f32 v[76:77], v[160:161], v[162:163], v[76:77] op_sel_hi:[0,1,1] neg_lo:[1,0,0] neg_hi:[1,0,0]
	v_pk_fma_f32 v[82:83], v[160:161], v[158:159], v[82:83] op_sel_hi:[0,1,1] neg_lo:[1,0,0] neg_hi:[1,0,0]
	ds_read2_b32 v[158:159], v127 offset0:37 offset1:38
	ds_read2_b32 v[168:169], v127 offset0:39 offset1:40
	s_waitcnt vmcnt(22) lgkmcnt(3)
	v_pk_fma_f32 v[102:103], v[160:161], v[164:165], v[102:103] op_sel_hi:[0,1,1] neg_lo:[1,0,0] neg_hi:[1,0,0]
	s_waitcnt vmcnt(20) lgkmcnt(2)
	v_pk_fma_f32 v[104:105], v[160:161], v[166:167], v[104:105] op_sel_hi:[0,1,1] neg_lo:[1,0,0] neg_hi:[1,0,0]
	;; [unrolled: 2-line block ×4, first 2 shown]
.LBB81_160:
	s_or_b64 exec, exec, s[2:3]
	v_cmp_eq_u32_e32 vcc, 29, v125
	s_waitcnt lgkmcnt(0)
	s_barrier
	s_and_saveexec_b64 s[2:3], vcc
	s_cbranch_execz .LBB81_163
; %bb.161:
	s_waitcnt vmcnt(24)
	v_pk_mov_b32 v[158:159], v[82:83], v[76:77] op_sel:[1,0]
	ds_write_b32 v126, v82
	ds_write2_b32 v127, v158, v159 offset0:30 offset1:31
	s_waitcnt vmcnt(22)
	v_pk_mov_b32 v[158:159], v[76:77], v[102:103] op_sel:[1,0]
	ds_write2_b32 v127, v158, v159 offset0:32 offset1:33
	s_waitcnt vmcnt(20)
	v_pk_mov_b32 v[158:159], v[102:103], v[104:105] op_sel:[1,0]
	;; [unrolled: 3-line block ×4, first 2 shown]
	ds_write2_b32 v127, v158, v159 offset0:38 offset1:39
	ds_write_b32 v127, v107 offset:160
	ds_read_b32 v157, v126
	s_waitcnt lgkmcnt(0)
	v_cmp_neq_f32_e32 vcc, 0, v157
	s_and_b64 exec, exec, vcc
	s_cbranch_execz .LBB81_163
; %bb.162:
	v_div_scale_f32 v158, s[4:5], v157, v157, 1.0
	v_rcp_f32_e32 v159, v158
	v_div_scale_f32 v160, vcc, 1.0, v157, 1.0
	v_fma_f32 v161, -v158, v159, 1.0
	v_fmac_f32_e32 v159, v161, v159
	v_mul_f32_e32 v161, v160, v159
	v_fma_f32 v162, -v158, v161, v160
	v_fmac_f32_e32 v161, v162, v159
	v_fma_f32 v158, -v158, v161, v160
	v_div_fmas_f32 v158, v158, v159, v161
	v_div_fixup_f32 v157, v158, v157, 1.0
	ds_write_b32 v126, v157
.LBB81_163:
	s_or_b64 exec, exec, s[2:3]
	s_waitcnt lgkmcnt(0)
	s_barrier
	ds_read_b32 v157, v126
	v_cmp_lt_u32_e32 vcc, 29, v125
	s_and_saveexec_b64 s[2:3], vcc
	s_cbranch_execz .LBB81_165
; %bb.164:
	ds_read_b32 v164, v127 offset:120
	s_waitcnt vmcnt(27) lgkmcnt(1)
	v_mul_f32_e32 v82, v157, v82
	ds_read2_b32 v[158:159], v127 offset0:31 offset1:32
	ds_read2_b32 v[160:161], v127 offset0:33 offset1:34
	;; [unrolled: 1-line block ×3, first 2 shown]
	s_waitcnt vmcnt(26) lgkmcnt(3)
	v_fma_f32 v83, -v82, v164, v83
	ds_read2_b32 v[164:165], v127 offset0:37 offset1:38
	ds_read2_b32 v[166:167], v127 offset0:39 offset1:40
	s_waitcnt vmcnt(24) lgkmcnt(4)
	v_pk_fma_f32 v[76:77], v[82:83], v[158:159], v[76:77] op_sel_hi:[0,1,1] neg_lo:[1,0,0] neg_hi:[1,0,0]
	s_waitcnt vmcnt(22) lgkmcnt(3)
	v_pk_fma_f32 v[102:103], v[82:83], v[160:161], v[102:103] op_sel_hi:[0,1,1] neg_lo:[1,0,0] neg_hi:[1,0,0]
	;; [unrolled: 2-line block ×5, first 2 shown]
.LBB81_165:
	s_or_b64 exec, exec, s[2:3]
	v_cmp_ne_u32_e32 vcc, 30, v125
	s_waitcnt lgkmcnt(0)
	s_barrier
	s_and_saveexec_b64 s[2:3], vcc
	s_xor_b64 s[2:3], exec, s[2:3]
	s_andn2_saveexec_b64 s[2:3], s[2:3]
	s_cbranch_execz .LBB81_169
; %bb.166:
	s_waitcnt vmcnt(26)
	ds_write_b32 v126, v83
	s_waitcnt vmcnt(24)
	ds_write2_b32 v127, v76, v77 offset0:31 offset1:32
	s_waitcnt vmcnt(22)
	ds_write2_b32 v127, v102, v103 offset0:33 offset1:34
	;; [unrolled: 2-line block ×5, first 2 shown]
	ds_read_b32 v158, v126
	s_waitcnt lgkmcnt(0)
	v_cmp_neq_f32_e32 vcc, 0, v158
	s_and_saveexec_b64 s[4:5], vcc
	s_cbranch_execz .LBB81_168
; %bb.167:
	v_div_scale_f32 v159, s[10:11], v158, v158, 1.0
	v_rcp_f32_e32 v160, v159
	v_div_scale_f32 v161, vcc, 1.0, v158, 1.0
	v_fma_f32 v162, -v159, v160, 1.0
	v_fmac_f32_e32 v160, v162, v160
	v_mul_f32_e32 v162, v161, v160
	v_fma_f32 v163, -v159, v162, v161
	v_fmac_f32_e32 v162, v163, v160
	v_fma_f32 v159, -v159, v162, v161
	v_div_fmas_f32 v159, v159, v160, v162
	v_div_fixup_f32 v158, v159, v158, 1.0
	ds_write_b32 v126, v158
.LBB81_168:
	s_or_b64 exec, exec, s[4:5]
.LBB81_169:
	s_or_b64 exec, exec, s[2:3]
	s_waitcnt lgkmcnt(0)
	s_barrier
	ds_read_b32 v158, v126
	v_cmp_lt_u32_e32 vcc, 30, v125
	s_and_saveexec_b64 s[2:3], vcc
	s_cbranch_execz .LBB81_171
; %bb.170:
	ds_read2_b32 v[162:163], v127 offset0:31 offset1:32
	s_waitcnt vmcnt(26) lgkmcnt(1)
	v_mul_f32_e32 v160, v158, v83
	v_mov_b32_e32 v83, v160
	s_waitcnt vmcnt(24) lgkmcnt(0)
	v_pk_fma_f32 v[76:77], v[160:161], v[162:163], v[76:77] op_sel_hi:[0,1,1] neg_lo:[1,0,0] neg_hi:[1,0,0]
	ds_read2_b32 v[162:163], v127 offset0:33 offset1:34
	s_waitcnt vmcnt(22) lgkmcnt(0)
	v_pk_fma_f32 v[102:103], v[160:161], v[162:163], v[102:103] op_sel_hi:[0,1,1] neg_lo:[1,0,0] neg_hi:[1,0,0]
	ds_read2_b32 v[162:163], v127 offset0:35 offset1:36
	;; [unrolled: 3-line block ×4, first 2 shown]
	s_waitcnt vmcnt(16) lgkmcnt(0)
	v_pk_fma_f32 v[106:107], v[160:161], v[162:163], v[106:107] op_sel_hi:[0,1,1] neg_lo:[1,0,0] neg_hi:[1,0,0]
.LBB81_171:
	s_or_b64 exec, exec, s[2:3]
	v_cmp_eq_u32_e32 vcc, 31, v125
	s_waitcnt lgkmcnt(0)
	s_barrier
	s_and_saveexec_b64 s[2:3], vcc
	s_cbranch_execz .LBB81_174
; %bb.172:
	s_waitcnt vmcnt(22)
	v_pk_mov_b32 v[160:161], v[76:77], v[102:103] op_sel:[1,0]
	ds_write_b32 v126, v76
	ds_write2_b32 v127, v160, v161 offset0:32 offset1:33
	s_waitcnt vmcnt(20)
	v_pk_mov_b32 v[160:161], v[102:103], v[104:105] op_sel:[1,0]
	ds_write2_b32 v127, v160, v161 offset0:34 offset1:35
	s_waitcnt vmcnt(18)
	v_pk_mov_b32 v[160:161], v[104:105], v[100:101] op_sel:[1,0]
	;; [unrolled: 3-line block ×3, first 2 shown]
	ds_write2_b32 v127, v160, v161 offset0:38 offset1:39
	ds_write_b32 v127, v107 offset:160
	ds_read_b32 v159, v126
	s_waitcnt lgkmcnt(0)
	v_cmp_neq_f32_e32 vcc, 0, v159
	s_and_b64 exec, exec, vcc
	s_cbranch_execz .LBB81_174
; %bb.173:
	v_div_scale_f32 v160, s[4:5], v159, v159, 1.0
	v_rcp_f32_e32 v161, v160
	v_div_scale_f32 v162, vcc, 1.0, v159, 1.0
	v_fma_f32 v163, -v160, v161, 1.0
	v_fmac_f32_e32 v161, v163, v161
	v_mul_f32_e32 v163, v162, v161
	v_fma_f32 v164, -v160, v163, v162
	v_fmac_f32_e32 v163, v164, v161
	v_fma_f32 v160, -v160, v163, v162
	v_div_fmas_f32 v160, v160, v161, v163
	v_div_fixup_f32 v159, v160, v159, 1.0
	ds_write_b32 v126, v159
.LBB81_174:
	s_or_b64 exec, exec, s[2:3]
	s_waitcnt lgkmcnt(0)
	s_barrier
	ds_read_b32 v159, v126
	v_cmp_lt_u32_e32 vcc, 31, v125
	s_and_saveexec_b64 s[2:3], vcc
	s_cbranch_execz .LBB81_176
; %bb.175:
	ds_read_b32 v160, v127 offset:128
	s_waitcnt vmcnt(25) lgkmcnt(1)
	v_mul_f32_e32 v76, v159, v76
	s_waitcnt vmcnt(24) lgkmcnt(0)
	v_fma_f32 v77, -v76, v160, v77
	ds_read2_b32 v[160:161], v127 offset0:33 offset1:34
	s_waitcnt vmcnt(22) lgkmcnt(0)
	v_pk_fma_f32 v[102:103], v[76:77], v[160:161], v[102:103] op_sel_hi:[0,1,1] neg_lo:[1,0,0] neg_hi:[1,0,0]
	ds_read2_b32 v[160:161], v127 offset0:35 offset1:36
	s_waitcnt vmcnt(20) lgkmcnt(0)
	v_pk_fma_f32 v[104:105], v[76:77], v[160:161], v[104:105] op_sel_hi:[0,1,1] neg_lo:[1,0,0] neg_hi:[1,0,0]
	;; [unrolled: 3-line block ×4, first 2 shown]
.LBB81_176:
	s_or_b64 exec, exec, s[2:3]
	v_cmp_ne_u32_e32 vcc, 32, v125
	s_waitcnt lgkmcnt(0)
	s_barrier
	s_and_saveexec_b64 s[2:3], vcc
	s_xor_b64 s[2:3], exec, s[2:3]
	s_andn2_saveexec_b64 s[2:3], s[2:3]
	s_cbranch_execz .LBB81_180
; %bb.177:
	s_waitcnt vmcnt(24)
	ds_write_b32 v126, v77
	s_waitcnt vmcnt(22)
	ds_write2_b32 v127, v102, v103 offset0:33 offset1:34
	s_waitcnt vmcnt(20)
	ds_write2_b32 v127, v104, v105 offset0:35 offset1:36
	;; [unrolled: 2-line block ×4, first 2 shown]
	ds_read_b32 v160, v126
	s_waitcnt lgkmcnt(0)
	v_cmp_neq_f32_e32 vcc, 0, v160
	s_and_saveexec_b64 s[4:5], vcc
	s_cbranch_execz .LBB81_179
; %bb.178:
	v_div_scale_f32 v161, s[10:11], v160, v160, 1.0
	v_rcp_f32_e32 v162, v161
	v_div_scale_f32 v163, vcc, 1.0, v160, 1.0
	v_fma_f32 v164, -v161, v162, 1.0
	v_fmac_f32_e32 v162, v164, v162
	v_mul_f32_e32 v164, v163, v162
	v_fma_f32 v165, -v161, v164, v163
	v_fmac_f32_e32 v164, v165, v162
	v_fma_f32 v161, -v161, v164, v163
	v_div_fmas_f32 v161, v161, v162, v164
	v_div_fixup_f32 v160, v161, v160, 1.0
	ds_write_b32 v126, v160
.LBB81_179:
	s_or_b64 exec, exec, s[4:5]
.LBB81_180:
	s_or_b64 exec, exec, s[2:3]
	s_waitcnt lgkmcnt(0)
	s_barrier
	ds_read_b32 v160, v126
	v_cmp_lt_u32_e32 vcc, 32, v125
	s_and_saveexec_b64 s[2:3], vcc
	s_cbranch_execz .LBB81_182
; %bb.181:
	ds_read2_b32 v[164:165], v127 offset0:33 offset1:34
	s_waitcnt vmcnt(24) lgkmcnt(1)
	v_mul_f32_e32 v162, v160, v77
	v_mov_b32_e32 v77, v162
	s_waitcnt vmcnt(22) lgkmcnt(0)
	v_pk_fma_f32 v[102:103], v[162:163], v[164:165], v[102:103] op_sel_hi:[0,1,1] neg_lo:[1,0,0] neg_hi:[1,0,0]
	ds_read2_b32 v[164:165], v127 offset0:35 offset1:36
	s_waitcnt vmcnt(20) lgkmcnt(0)
	v_pk_fma_f32 v[104:105], v[162:163], v[164:165], v[104:105] op_sel_hi:[0,1,1] neg_lo:[1,0,0] neg_hi:[1,0,0]
	ds_read2_b32 v[164:165], v127 offset0:37 offset1:38
	;; [unrolled: 3-line block ×3, first 2 shown]
	s_waitcnt vmcnt(16) lgkmcnt(0)
	v_pk_fma_f32 v[106:107], v[162:163], v[164:165], v[106:107] op_sel_hi:[0,1,1] neg_lo:[1,0,0] neg_hi:[1,0,0]
.LBB81_182:
	s_or_b64 exec, exec, s[2:3]
	v_cmp_eq_u32_e32 vcc, 33, v125
	s_waitcnt lgkmcnt(0)
	s_barrier
	s_and_saveexec_b64 s[2:3], vcc
	s_cbranch_execz .LBB81_185
; %bb.183:
	s_waitcnt vmcnt(20)
	v_pk_mov_b32 v[162:163], v[102:103], v[104:105] op_sel:[1,0]
	ds_write_b32 v126, v102
	ds_write2_b32 v127, v162, v163 offset0:34 offset1:35
	s_waitcnt vmcnt(18)
	v_pk_mov_b32 v[162:163], v[104:105], v[100:101] op_sel:[1,0]
	ds_write2_b32 v127, v162, v163 offset0:36 offset1:37
	s_waitcnt vmcnt(16)
	v_pk_mov_b32 v[162:163], v[100:101], v[106:107] op_sel:[1,0]
	ds_write2_b32 v127, v162, v163 offset0:38 offset1:39
	ds_write_b32 v127, v107 offset:160
	ds_read_b32 v161, v126
	s_waitcnt lgkmcnt(0)
	v_cmp_neq_f32_e32 vcc, 0, v161
	s_and_b64 exec, exec, vcc
	s_cbranch_execz .LBB81_185
; %bb.184:
	v_div_scale_f32 v162, s[4:5], v161, v161, 1.0
	v_rcp_f32_e32 v163, v162
	v_div_scale_f32 v164, vcc, 1.0, v161, 1.0
	v_fma_f32 v165, -v162, v163, 1.0
	v_fmac_f32_e32 v163, v165, v163
	v_mul_f32_e32 v165, v164, v163
	v_fma_f32 v166, -v162, v165, v164
	v_fmac_f32_e32 v165, v166, v163
	v_fma_f32 v162, -v162, v165, v164
	v_div_fmas_f32 v162, v162, v163, v165
	v_div_fixup_f32 v161, v162, v161, 1.0
	ds_write_b32 v126, v161
.LBB81_185:
	s_or_b64 exec, exec, s[2:3]
	s_waitcnt lgkmcnt(0)
	s_barrier
	ds_read_b32 v161, v126
	v_cmp_lt_u32_e32 vcc, 33, v125
	s_and_saveexec_b64 s[2:3], vcc
	s_cbranch_execz .LBB81_187
; %bb.186:
	ds_read_b32 v162, v127 offset:136
	s_waitcnt vmcnt(23) lgkmcnt(1)
	v_mul_f32_e32 v102, v161, v102
	s_waitcnt vmcnt(22) lgkmcnt(0)
	v_fma_f32 v103, -v102, v162, v103
	ds_read2_b32 v[162:163], v127 offset0:35 offset1:36
	s_waitcnt vmcnt(20) lgkmcnt(0)
	v_pk_fma_f32 v[104:105], v[102:103], v[162:163], v[104:105] op_sel_hi:[0,1,1] neg_lo:[1,0,0] neg_hi:[1,0,0]
	ds_read2_b32 v[162:163], v127 offset0:37 offset1:38
	s_waitcnt vmcnt(18) lgkmcnt(0)
	v_pk_fma_f32 v[100:101], v[102:103], v[162:163], v[100:101] op_sel_hi:[0,1,1] neg_lo:[1,0,0] neg_hi:[1,0,0]
	;; [unrolled: 3-line block ×3, first 2 shown]
.LBB81_187:
	s_or_b64 exec, exec, s[2:3]
	v_cmp_ne_u32_e32 vcc, 34, v125
	s_waitcnt lgkmcnt(0)
	s_barrier
	s_and_saveexec_b64 s[2:3], vcc
	s_xor_b64 s[2:3], exec, s[2:3]
	s_andn2_saveexec_b64 s[2:3], s[2:3]
	s_cbranch_execz .LBB81_191
; %bb.188:
	s_waitcnt vmcnt(22)
	ds_write_b32 v126, v103
	s_waitcnt vmcnt(20)
	ds_write2_b32 v127, v104, v105 offset0:35 offset1:36
	s_waitcnt vmcnt(18)
	ds_write2_b32 v127, v100, v101 offset0:37 offset1:38
	;; [unrolled: 2-line block ×3, first 2 shown]
	ds_read_b32 v162, v126
	s_waitcnt lgkmcnt(0)
	v_cmp_neq_f32_e32 vcc, 0, v162
	s_and_saveexec_b64 s[4:5], vcc
	s_cbranch_execz .LBB81_190
; %bb.189:
	v_div_scale_f32 v163, s[10:11], v162, v162, 1.0
	v_rcp_f32_e32 v164, v163
	v_div_scale_f32 v165, vcc, 1.0, v162, 1.0
	v_fma_f32 v166, -v163, v164, 1.0
	v_fmac_f32_e32 v164, v166, v164
	v_mul_f32_e32 v166, v165, v164
	v_fma_f32 v167, -v163, v166, v165
	v_fmac_f32_e32 v166, v167, v164
	v_fma_f32 v163, -v163, v166, v165
	v_div_fmas_f32 v163, v163, v164, v166
	v_div_fixup_f32 v162, v163, v162, 1.0
	ds_write_b32 v126, v162
.LBB81_190:
	s_or_b64 exec, exec, s[4:5]
.LBB81_191:
	s_or_b64 exec, exec, s[2:3]
	s_waitcnt lgkmcnt(0)
	s_barrier
	ds_read_b32 v162, v126
	v_cmp_lt_u32_e32 vcc, 34, v125
	s_and_saveexec_b64 s[2:3], vcc
	s_cbranch_execz .LBB81_193
; %bb.192:
	ds_read2_b32 v[166:167], v127 offset0:35 offset1:36
	s_waitcnt vmcnt(22) lgkmcnt(1)
	v_mul_f32_e32 v164, v162, v103
	v_mov_b32_e32 v103, v164
	s_waitcnt vmcnt(20) lgkmcnt(0)
	v_pk_fma_f32 v[104:105], v[164:165], v[166:167], v[104:105] op_sel_hi:[0,1,1] neg_lo:[1,0,0] neg_hi:[1,0,0]
	ds_read2_b32 v[166:167], v127 offset0:37 offset1:38
	s_waitcnt vmcnt(18) lgkmcnt(0)
	v_pk_fma_f32 v[100:101], v[164:165], v[166:167], v[100:101] op_sel_hi:[0,1,1] neg_lo:[1,0,0] neg_hi:[1,0,0]
	ds_read2_b32 v[166:167], v127 offset0:39 offset1:40
	s_waitcnt vmcnt(16) lgkmcnt(0)
	v_pk_fma_f32 v[106:107], v[164:165], v[166:167], v[106:107] op_sel_hi:[0,1,1] neg_lo:[1,0,0] neg_hi:[1,0,0]
.LBB81_193:
	s_or_b64 exec, exec, s[2:3]
	v_cmp_eq_u32_e32 vcc, 35, v125
	s_waitcnt lgkmcnt(0)
	s_barrier
	s_and_saveexec_b64 s[2:3], vcc
	s_cbranch_execz .LBB81_196
; %bb.194:
	s_waitcnt vmcnt(18)
	v_pk_mov_b32 v[164:165], v[104:105], v[100:101] op_sel:[1,0]
	ds_write_b32 v126, v104
	ds_write2_b32 v127, v164, v165 offset0:36 offset1:37
	s_waitcnt vmcnt(16)
	v_pk_mov_b32 v[164:165], v[100:101], v[106:107] op_sel:[1,0]
	ds_write2_b32 v127, v164, v165 offset0:38 offset1:39
	ds_write_b32 v127, v107 offset:160
	ds_read_b32 v163, v126
	s_waitcnt lgkmcnt(0)
	v_cmp_neq_f32_e32 vcc, 0, v163
	s_and_b64 exec, exec, vcc
	s_cbranch_execz .LBB81_196
; %bb.195:
	v_div_scale_f32 v164, s[4:5], v163, v163, 1.0
	v_rcp_f32_e32 v165, v164
	v_div_scale_f32 v166, vcc, 1.0, v163, 1.0
	v_fma_f32 v167, -v164, v165, 1.0
	v_fmac_f32_e32 v165, v167, v165
	v_mul_f32_e32 v167, v166, v165
	v_fma_f32 v168, -v164, v167, v166
	v_fmac_f32_e32 v167, v168, v165
	v_fma_f32 v164, -v164, v167, v166
	v_div_fmas_f32 v164, v164, v165, v167
	v_div_fixup_f32 v163, v164, v163, 1.0
	ds_write_b32 v126, v163
.LBB81_196:
	s_or_b64 exec, exec, s[2:3]
	s_waitcnt lgkmcnt(0)
	s_barrier
	ds_read_b32 v163, v126
	v_cmp_lt_u32_e32 vcc, 35, v125
	s_and_saveexec_b64 s[2:3], vcc
	s_cbranch_execz .LBB81_198
; %bb.197:
	ds_read_b32 v168, v127 offset:144
	ds_read2_b32 v[164:165], v127 offset0:37 offset1:38
	ds_read2_b32 v[166:167], v127 offset0:39 offset1:40
	s_waitcnt vmcnt(21) lgkmcnt(3)
	v_mul_f32_e32 v104, v163, v104
	s_waitcnt vmcnt(20) lgkmcnt(2)
	v_fma_f32 v105, -v104, v168, v105
	s_waitcnt vmcnt(18) lgkmcnt(1)
	v_pk_fma_f32 v[100:101], v[104:105], v[164:165], v[100:101] op_sel_hi:[0,1,1] neg_lo:[1,0,0] neg_hi:[1,0,0]
	s_waitcnt vmcnt(16) lgkmcnt(0)
	v_pk_fma_f32 v[106:107], v[104:105], v[166:167], v[106:107] op_sel_hi:[0,1,1] neg_lo:[1,0,0] neg_hi:[1,0,0]
.LBB81_198:
	s_or_b64 exec, exec, s[2:3]
	v_cmp_ne_u32_e32 vcc, 36, v125
	s_waitcnt lgkmcnt(0)
	s_barrier
	s_and_saveexec_b64 s[2:3], vcc
	s_xor_b64 s[2:3], exec, s[2:3]
	s_andn2_saveexec_b64 s[2:3], s[2:3]
	s_cbranch_execz .LBB81_202
; %bb.199:
	s_waitcnt vmcnt(20)
	ds_write_b32 v126, v105
	s_waitcnt vmcnt(18)
	ds_write2_b32 v127, v100, v101 offset0:37 offset1:38
	s_waitcnt vmcnt(16)
	ds_write2_b32 v127, v106, v107 offset0:39 offset1:40
	ds_read_b32 v164, v126
	s_waitcnt lgkmcnt(0)
	v_cmp_neq_f32_e32 vcc, 0, v164
	s_and_saveexec_b64 s[4:5], vcc
	s_cbranch_execz .LBB81_201
; %bb.200:
	v_div_scale_f32 v165, s[10:11], v164, v164, 1.0
	v_rcp_f32_e32 v166, v165
	v_div_scale_f32 v167, vcc, 1.0, v164, 1.0
	v_fma_f32 v168, -v165, v166, 1.0
	v_fmac_f32_e32 v166, v168, v166
	v_mul_f32_e32 v168, v167, v166
	v_fma_f32 v169, -v165, v168, v167
	v_fmac_f32_e32 v168, v169, v166
	v_fma_f32 v165, -v165, v168, v167
	v_div_fmas_f32 v165, v165, v166, v168
	v_div_fixup_f32 v164, v165, v164, 1.0
	ds_write_b32 v126, v164
.LBB81_201:
	s_or_b64 exec, exec, s[4:5]
.LBB81_202:
	s_or_b64 exec, exec, s[2:3]
	s_waitcnt lgkmcnt(0)
	s_barrier
	ds_read_b32 v164, v126
	v_cmp_lt_u32_e32 vcc, 36, v125
	s_and_saveexec_b64 s[2:3], vcc
	s_cbranch_execz .LBB81_204
; %bb.203:
	ds_read2_b32 v[166:167], v127 offset0:37 offset1:38
	ds_read2_b32 v[168:169], v127 offset0:39 offset1:40
	s_waitcnt vmcnt(20) lgkmcnt(2)
	v_mul_f32_e32 v170, v164, v105
	v_mov_b32_e32 v105, v170
	s_waitcnt vmcnt(18) lgkmcnt(1)
	v_pk_fma_f32 v[100:101], v[170:171], v[166:167], v[100:101] op_sel_hi:[0,1,1] neg_lo:[1,0,0] neg_hi:[1,0,0]
	s_waitcnt vmcnt(16) lgkmcnt(0)
	v_pk_fma_f32 v[106:107], v[170:171], v[168:169], v[106:107] op_sel_hi:[0,1,1] neg_lo:[1,0,0] neg_hi:[1,0,0]
.LBB81_204:
	s_or_b64 exec, exec, s[2:3]
	v_cmp_eq_u32_e32 vcc, 37, v125
	s_waitcnt lgkmcnt(0)
	s_barrier
	s_and_saveexec_b64 s[2:3], vcc
	s_cbranch_execz .LBB81_207
; %bb.205:
	s_waitcnt vmcnt(16)
	v_pk_mov_b32 v[166:167], v[100:101], v[106:107] op_sel:[1,0]
	ds_write_b32 v126, v100
	ds_write2_b32 v127, v166, v167 offset0:38 offset1:39
	ds_write_b32 v127, v107 offset:160
	ds_read_b32 v165, v126
	s_waitcnt lgkmcnt(0)
	v_cmp_neq_f32_e32 vcc, 0, v165
	s_and_b64 exec, exec, vcc
	s_cbranch_execz .LBB81_207
; %bb.206:
	v_div_scale_f32 v166, s[4:5], v165, v165, 1.0
	v_rcp_f32_e32 v167, v166
	v_div_scale_f32 v168, vcc, 1.0, v165, 1.0
	v_fma_f32 v169, -v166, v167, 1.0
	v_fmac_f32_e32 v167, v169, v167
	v_mul_f32_e32 v169, v168, v167
	v_fma_f32 v170, -v166, v169, v168
	v_fmac_f32_e32 v169, v170, v167
	v_fma_f32 v166, -v166, v169, v168
	v_div_fmas_f32 v166, v166, v167, v169
	v_div_fixup_f32 v165, v166, v165, 1.0
	ds_write_b32 v126, v165
.LBB81_207:
	s_or_b64 exec, exec, s[2:3]
	s_waitcnt lgkmcnt(0)
	s_barrier
	ds_read_b32 v165, v126
	v_cmp_lt_u32_e32 vcc, 37, v125
	s_and_saveexec_b64 s[2:3], vcc
	s_cbranch_execz .LBB81_209
; %bb.208:
	ds_read_b32 v168, v127 offset:152
	ds_read2_b32 v[166:167], v127 offset0:39 offset1:40
	s_waitcnt vmcnt(19) lgkmcnt(2)
	v_mul_f32_e32 v100, v165, v100
	s_waitcnt vmcnt(18) lgkmcnt(1)
	v_fma_f32 v101, -v100, v168, v101
	s_waitcnt vmcnt(16) lgkmcnt(0)
	v_pk_fma_f32 v[106:107], v[100:101], v[166:167], v[106:107] op_sel_hi:[0,1,1] neg_lo:[1,0,0] neg_hi:[1,0,0]
.LBB81_209:
	s_or_b64 exec, exec, s[2:3]
	v_cmp_ne_u32_e32 vcc, 38, v125
	s_waitcnt lgkmcnt(0)
	s_barrier
	s_and_saveexec_b64 s[2:3], vcc
	s_xor_b64 s[2:3], exec, s[2:3]
	s_andn2_saveexec_b64 s[2:3], s[2:3]
	s_cbranch_execz .LBB81_213
; %bb.210:
	s_waitcnt vmcnt(18)
	ds_write_b32 v126, v101
	s_waitcnt vmcnt(16)
	ds_write2_b32 v127, v106, v107 offset0:39 offset1:40
	ds_read_b32 v166, v126
	s_waitcnt lgkmcnt(0)
	v_cmp_neq_f32_e32 vcc, 0, v166
	s_and_saveexec_b64 s[4:5], vcc
	s_cbranch_execz .LBB81_212
; %bb.211:
	v_div_scale_f32 v167, s[10:11], v166, v166, 1.0
	v_rcp_f32_e32 v168, v167
	v_div_scale_f32 v169, vcc, 1.0, v166, 1.0
	v_fma_f32 v170, -v167, v168, 1.0
	v_fmac_f32_e32 v168, v170, v168
	v_mul_f32_e32 v170, v169, v168
	v_fma_f32 v171, -v167, v170, v169
	v_fmac_f32_e32 v170, v171, v168
	v_fma_f32 v167, -v167, v170, v169
	v_div_fmas_f32 v167, v167, v168, v170
	v_div_fixup_f32 v166, v167, v166, 1.0
	ds_write_b32 v126, v166
.LBB81_212:
	s_or_b64 exec, exec, s[4:5]
.LBB81_213:
	s_or_b64 exec, exec, s[2:3]
	s_waitcnt lgkmcnt(0)
	s_barrier
	ds_read_b32 v166, v126
	v_cmp_lt_u32_e32 vcc, 38, v125
	s_and_saveexec_b64 s[2:3], vcc
	s_cbranch_execz .LBB81_215
; %bb.214:
	ds_read2_b32 v[168:169], v127 offset0:39 offset1:40
	s_waitcnt vmcnt(18) lgkmcnt(1)
	v_mul_f32_e32 v170, v166, v101
	v_mov_b32_e32 v101, v170
	s_waitcnt vmcnt(16) lgkmcnt(0)
	v_pk_fma_f32 v[106:107], v[170:171], v[168:169], v[106:107] op_sel_hi:[0,1,1] neg_lo:[1,0,0] neg_hi:[1,0,0]
.LBB81_215:
	s_or_b64 exec, exec, s[2:3]
	v_cmp_eq_u32_e32 vcc, 39, v125
	s_waitcnt lgkmcnt(0)
	s_barrier
	s_and_saveexec_b64 s[2:3], vcc
	s_cbranch_execz .LBB81_218
; %bb.216:
	s_waitcnt vmcnt(17)
	ds_write_b32 v126, v106
	s_waitcnt vmcnt(16)
	ds_write_b32 v127, v107 offset:160
	ds_read_b32 v167, v126
	s_waitcnt lgkmcnt(0)
	v_cmp_neq_f32_e32 vcc, 0, v167
	s_and_b64 exec, exec, vcc
	s_cbranch_execz .LBB81_218
; %bb.217:
	v_div_scale_f32 v168, s[4:5], v167, v167, 1.0
	v_rcp_f32_e32 v169, v168
	v_div_scale_f32 v170, vcc, 1.0, v167, 1.0
	v_fma_f32 v171, -v168, v169, 1.0
	v_fmac_f32_e32 v169, v171, v169
	v_mul_f32_e32 v171, v170, v169
	v_fma_f32 v172, -v168, v171, v170
	v_fmac_f32_e32 v171, v172, v169
	v_fma_f32 v168, -v168, v171, v170
	v_div_fmas_f32 v168, v168, v169, v171
	v_div_fixup_f32 v167, v168, v167, 1.0
	ds_write_b32 v126, v167
.LBB81_218:
	s_or_b64 exec, exec, s[2:3]
	s_waitcnt lgkmcnt(0)
	s_barrier
	ds_read_b32 v167, v126
	v_cmp_lt_u32_e32 vcc, 39, v125
	s_and_saveexec_b64 s[2:3], vcc
	s_cbranch_execz .LBB81_220
; %bb.219:
	ds_read_b32 v127, v127 offset:160
	s_waitcnt vmcnt(17) lgkmcnt(1)
	v_mul_f32_e32 v106, v167, v106
	s_waitcnt vmcnt(16) lgkmcnt(0)
	v_fma_f32 v107, -v106, v127, v107
.LBB81_220:
	s_or_b64 exec, exec, s[2:3]
	v_cmp_ne_u32_e32 vcc, 40, v125
	s_waitcnt lgkmcnt(0)
	s_barrier
	s_and_saveexec_b64 s[2:3], vcc
	s_xor_b64 s[2:3], exec, s[2:3]
	s_andn2_saveexec_b64 s[2:3], s[2:3]
	s_cbranch_execz .LBB81_224
; %bb.221:
	s_waitcnt vmcnt(16)
	v_cmp_neq_f32_e32 vcc, 0, v107
	ds_write_b32 v126, v107
	s_and_saveexec_b64 s[4:5], vcc
	s_cbranch_execz .LBB81_223
; %bb.222:
	v_div_scale_f32 v127, s[10:11], v107, v107, 1.0
	v_rcp_f32_e32 v168, v127
	v_div_scale_f32 v169, vcc, 1.0, v107, 1.0
	v_fma_f32 v170, -v127, v168, 1.0
	v_fmac_f32_e32 v168, v170, v168
	v_mul_f32_e32 v170, v169, v168
	v_fma_f32 v171, -v127, v170, v169
	v_fmac_f32_e32 v170, v171, v168
	v_fma_f32 v127, -v127, v170, v169
	v_div_fmas_f32 v127, v127, v168, v170
	v_div_fixup_f32 v127, v127, v107, 1.0
	ds_write_b32 v126, v127
.LBB81_223:
	s_or_b64 exec, exec, s[4:5]
.LBB81_224:
	s_or_b64 exec, exec, s[2:3]
	s_waitcnt lgkmcnt(0)
	s_barrier
	ds_read_b32 v126, v126
	s_waitcnt lgkmcnt(0)
	s_barrier
	s_and_saveexec_b64 s[2:3], s[0:1]
	s_cbranch_execz .LBB81_227
; %bb.225:
	v_cmp_eq_f32_e32 vcc, 0, v128
	v_cmp_neq_f32_e64 s[0:1], 0, v129
	v_mov_b32_e32 v128, s6
	v_cndmask_b32_e64 v127, 0, 1, vcc
	s_or_b64 vcc, s[0:1], vcc
	v_cndmask_b32_e32 v127, 2, v127, vcc
	v_cmp_eq_f32_e32 vcc, 0, v130
	v_cmp_eq_u32_e64 s[0:1], 0, v127
	s_and_b64 s[0:1], vcc, s[0:1]
	v_cmp_eq_f32_e32 vcc, 0, v131
	v_cndmask_b32_e64 v127, v127, 3, s[0:1]
	v_cmp_eq_u32_e64 s[0:1], 0, v127
	s_and_b64 s[0:1], vcc, s[0:1]
	v_cmp_eq_f32_e32 vcc, 0, v132
	v_cndmask_b32_e64 v127, v127, 4, s[0:1]
	v_cmp_eq_u32_e64 s[0:1], 0, v127
	s_and_b64 s[0:1], vcc, s[0:1]
	v_cmp_eq_f32_e32 vcc, 0, v133
	v_cndmask_b32_e64 v127, v127, 5, s[0:1]
	v_cmp_eq_u32_e64 s[0:1], 0, v127
	s_and_b64 s[0:1], vcc, s[0:1]
	v_cmp_eq_f32_e32 vcc, 0, v134
	v_cndmask_b32_e64 v127, v127, 6, s[0:1]
	v_cmp_eq_u32_e64 s[0:1], 0, v127
	s_and_b64 s[0:1], vcc, s[0:1]
	v_cmp_eq_f32_e32 vcc, 0, v135
	v_cndmask_b32_e64 v127, v127, 7, s[0:1]
	v_cmp_eq_u32_e64 s[0:1], 0, v127
	s_and_b64 s[0:1], vcc, s[0:1]
	v_cmp_eq_f32_e32 vcc, 0, v136
	v_cndmask_b32_e64 v127, v127, 8, s[0:1]
	v_cmp_eq_u32_e64 s[0:1], 0, v127
	s_and_b64 s[0:1], vcc, s[0:1]
	v_cmp_eq_f32_e32 vcc, 0, v137
	v_cndmask_b32_e64 v127, v127, 9, s[0:1]
	v_cmp_eq_u32_e64 s[0:1], 0, v127
	s_and_b64 s[0:1], vcc, s[0:1]
	v_cmp_eq_f32_e32 vcc, 0, v138
	v_cndmask_b32_e64 v127, v127, 10, s[0:1]
	v_cmp_eq_u32_e64 s[0:1], 0, v127
	s_and_b64 s[0:1], vcc, s[0:1]
	v_cmp_eq_f32_e32 vcc, 0, v139
	v_cndmask_b32_e64 v127, v127, 11, s[0:1]
	v_cmp_eq_u32_e64 s[0:1], 0, v127
	s_and_b64 s[0:1], vcc, s[0:1]
	v_cmp_eq_f32_e32 vcc, 0, v140
	v_cndmask_b32_e64 v127, v127, 12, s[0:1]
	v_cmp_eq_u32_e64 s[0:1], 0, v127
	s_and_b64 s[0:1], vcc, s[0:1]
	v_cmp_eq_f32_e32 vcc, 0, v141
	v_cndmask_b32_e64 v127, v127, 13, s[0:1]
	v_cmp_eq_u32_e64 s[0:1], 0, v127
	s_and_b64 s[0:1], vcc, s[0:1]
	v_mov_b32_e32 v129, s7
	v_cndmask_b32_e64 v127, v127, 14, s[0:1]
	v_cmp_eq_f32_e32 vcc, 0, v142
	v_cmp_eq_u32_e64 s[0:1], 0, v127
	v_lshl_add_u64 v[24:25], v[24:25], 2, v[128:129]
	s_and_b64 s[0:1], vcc, s[0:1]
	global_load_dword v128, v[24:25], off
	v_cndmask_b32_e64 v127, v127, 15, s[0:1]
	v_cmp_eq_f32_e32 vcc, 0, v143
	v_cmp_eq_u32_e64 s[0:1], 0, v127
	s_and_b64 s[0:1], vcc, s[0:1]
	v_cmp_eq_f32_e32 vcc, 0, v144
	v_cndmask_b32_e64 v127, v127, 16, s[0:1]
	v_cmp_eq_u32_e64 s[0:1], 0, v127
	s_and_b64 s[0:1], vcc, s[0:1]
	v_cmp_eq_f32_e32 vcc, 0, v145
	v_cndmask_b32_e64 v127, v127, 17, s[0:1]
	;; [unrolled: 4-line block ×25, first 2 shown]
	v_cmp_eq_u32_e64 s[0:1], 0, v127
	s_and_b64 s[0:1], vcc, s[0:1]
	s_waitcnt vmcnt(0)
	v_cmp_eq_u32_e32 vcc, 0, v128
	v_cndmask_b32_e64 v127, v127, 41, s[0:1]
	v_cmp_ne_u32_e64 s[0:1], 0, v127
	s_and_b64 s[0:1], vcc, s[0:1]
	s_and_b64 exec, exec, s[0:1]
	s_cbranch_execz .LBB81_227
; %bb.226:
	v_add_u32_e32 v127, s9, v127
	global_store_dword v[24:25], v127, off
.LBB81_227:
	s_or_b64 exec, exec, s[2:3]
	s_waitcnt vmcnt(16)
	v_mul_f32_e32 v24, v126, v107
	v_cmp_lt_u32_e32 vcc, 40, v125
	s_nop 1
	v_cndmask_b32_e32 v24, v107, v24, vcc
	s_waitcnt vmcnt(0)
	global_store_dword v[0:1], v124, off
	global_store_dword v[2:3], v118, off
	global_store_dword v[4:5], v119, off
	global_store_dword v[6:7], v120, off
	global_store_dword v[8:9], v121, off
	global_store_dword v[10:11], v122, off
	global_store_dword v[12:13], v123, off
	global_store_dword v[14:15], v116, off
	global_store_dword v[16:17], v117, off
	global_store_dword v[18:19], v112, off
	global_store_dword v[20:21], v113, off
	global_store_dword v[22:23], v114, off
	global_store_dword v[26:27], v115, off
	global_store_dword v[28:29], v110, off
	global_store_dword v[30:31], v111, off
	global_store_dword v[32:33], v58, off
	global_store_dword v[34:35], v59, off
	global_store_dword v[36:37], v56, off
	global_store_dword v[38:39], v57, off
	global_store_dword v[40:41], v50, off
	global_store_dword v[42:43], v51, off
	global_store_dword v[44:45], v52, off
	global_store_dword v[46:47], v53, off
	global_store_dword v[48:49], v54, off
	global_store_dword v[60:61], v55, off
	global_store_dword v[62:63], v78, off
	global_store_dword v[64:65], v79, off
	global_store_dword v[66:67], v80, off
	global_store_dword v[68:69], v81, off
	global_store_dword v[70:71], v82, off
	global_store_dword v[72:73], v83, off
	global_store_dword v[74:75], v76, off
	global_store_dword v[84:85], v77, off
	global_store_dword v[86:87], v102, off
	global_store_dword v[88:89], v103, off
	global_store_dword v[90:91], v104, off
	global_store_dword v[92:93], v105, off
	global_store_dword v[94:95], v100, off
	global_store_dword v[96:97], v101, off
	global_store_dword v[98:99], v106, off
	global_store_dword v[108:109], v24, off
.LBB81_228:
	s_endpgm
	.section	.rodata,"a",@progbits
	.p2align	6, 0x0
	.amdhsa_kernel _ZN9rocsolver6v33100L23getf2_npvt_small_kernelILi41EfiiPfEEvT1_T3_lS3_lPT2_S3_S3_
		.amdhsa_group_segment_fixed_size 0
		.amdhsa_private_segment_fixed_size 0
		.amdhsa_kernarg_size 312
		.amdhsa_user_sgpr_count 2
		.amdhsa_user_sgpr_dispatch_ptr 0
		.amdhsa_user_sgpr_queue_ptr 0
		.amdhsa_user_sgpr_kernarg_segment_ptr 1
		.amdhsa_user_sgpr_dispatch_id 0
		.amdhsa_user_sgpr_kernarg_preload_length 0
		.amdhsa_user_sgpr_kernarg_preload_offset 0
		.amdhsa_user_sgpr_private_segment_size 0
		.amdhsa_uses_dynamic_stack 0
		.amdhsa_enable_private_segment 0
		.amdhsa_system_sgpr_workgroup_id_x 1
		.amdhsa_system_sgpr_workgroup_id_y 1
		.amdhsa_system_sgpr_workgroup_id_z 0
		.amdhsa_system_sgpr_workgroup_info 0
		.amdhsa_system_vgpr_workitem_id 1
		.amdhsa_next_free_vgpr 173
		.amdhsa_next_free_sgpr 16
		.amdhsa_accum_offset 176
		.amdhsa_reserve_vcc 1
		.amdhsa_float_round_mode_32 0
		.amdhsa_float_round_mode_16_64 0
		.amdhsa_float_denorm_mode_32 3
		.amdhsa_float_denorm_mode_16_64 3
		.amdhsa_dx10_clamp 1
		.amdhsa_ieee_mode 1
		.amdhsa_fp16_overflow 0
		.amdhsa_tg_split 0
		.amdhsa_exception_fp_ieee_invalid_op 0
		.amdhsa_exception_fp_denorm_src 0
		.amdhsa_exception_fp_ieee_div_zero 0
		.amdhsa_exception_fp_ieee_overflow 0
		.amdhsa_exception_fp_ieee_underflow 0
		.amdhsa_exception_fp_ieee_inexact 0
		.amdhsa_exception_int_div_zero 0
	.end_amdhsa_kernel
	.section	.text._ZN9rocsolver6v33100L23getf2_npvt_small_kernelILi41EfiiPfEEvT1_T3_lS3_lPT2_S3_S3_,"axG",@progbits,_ZN9rocsolver6v33100L23getf2_npvt_small_kernelILi41EfiiPfEEvT1_T3_lS3_lPT2_S3_S3_,comdat
.Lfunc_end81:
	.size	_ZN9rocsolver6v33100L23getf2_npvt_small_kernelILi41EfiiPfEEvT1_T3_lS3_lPT2_S3_S3_, .Lfunc_end81-_ZN9rocsolver6v33100L23getf2_npvt_small_kernelILi41EfiiPfEEvT1_T3_lS3_lPT2_S3_S3_
                                        ; -- End function
	.set _ZN9rocsolver6v33100L23getf2_npvt_small_kernelILi41EfiiPfEEvT1_T3_lS3_lPT2_S3_S3_.num_vgpr, 173
	.set _ZN9rocsolver6v33100L23getf2_npvt_small_kernelILi41EfiiPfEEvT1_T3_lS3_lPT2_S3_S3_.num_agpr, 0
	.set _ZN9rocsolver6v33100L23getf2_npvt_small_kernelILi41EfiiPfEEvT1_T3_lS3_lPT2_S3_S3_.numbered_sgpr, 16
	.set _ZN9rocsolver6v33100L23getf2_npvt_small_kernelILi41EfiiPfEEvT1_T3_lS3_lPT2_S3_S3_.num_named_barrier, 0
	.set _ZN9rocsolver6v33100L23getf2_npvt_small_kernelILi41EfiiPfEEvT1_T3_lS3_lPT2_S3_S3_.private_seg_size, 0
	.set _ZN9rocsolver6v33100L23getf2_npvt_small_kernelILi41EfiiPfEEvT1_T3_lS3_lPT2_S3_S3_.uses_vcc, 1
	.set _ZN9rocsolver6v33100L23getf2_npvt_small_kernelILi41EfiiPfEEvT1_T3_lS3_lPT2_S3_S3_.uses_flat_scratch, 0
	.set _ZN9rocsolver6v33100L23getf2_npvt_small_kernelILi41EfiiPfEEvT1_T3_lS3_lPT2_S3_S3_.has_dyn_sized_stack, 0
	.set _ZN9rocsolver6v33100L23getf2_npvt_small_kernelILi41EfiiPfEEvT1_T3_lS3_lPT2_S3_S3_.has_recursion, 0
	.set _ZN9rocsolver6v33100L23getf2_npvt_small_kernelILi41EfiiPfEEvT1_T3_lS3_lPT2_S3_S3_.has_indirect_call, 0
	.section	.AMDGPU.csdata,"",@progbits
; Kernel info:
; codeLenInByte = 24116
; TotalNumSgprs: 22
; NumVgprs: 173
; NumAgprs: 0
; TotalNumVgprs: 173
; ScratchSize: 0
; MemoryBound: 0
; FloatMode: 240
; IeeeMode: 1
; LDSByteSize: 0 bytes/workgroup (compile time only)
; SGPRBlocks: 2
; VGPRBlocks: 21
; NumSGPRsForWavesPerEU: 22
; NumVGPRsForWavesPerEU: 173
; AccumOffset: 176
; Occupancy: 2
; WaveLimiterHint : 0
; COMPUTE_PGM_RSRC2:SCRATCH_EN: 0
; COMPUTE_PGM_RSRC2:USER_SGPR: 2
; COMPUTE_PGM_RSRC2:TRAP_HANDLER: 0
; COMPUTE_PGM_RSRC2:TGID_X_EN: 1
; COMPUTE_PGM_RSRC2:TGID_Y_EN: 1
; COMPUTE_PGM_RSRC2:TGID_Z_EN: 0
; COMPUTE_PGM_RSRC2:TIDIG_COMP_CNT: 1
; COMPUTE_PGM_RSRC3_GFX90A:ACCUM_OFFSET: 43
; COMPUTE_PGM_RSRC3_GFX90A:TG_SPLIT: 0
	.section	.text._ZN9rocsolver6v33100L18getf2_small_kernelILi42EfiiPfEEvT1_T3_lS3_lPS3_llPT2_S3_S3_S5_l,"axG",@progbits,_ZN9rocsolver6v33100L18getf2_small_kernelILi42EfiiPfEEvT1_T3_lS3_lPS3_llPT2_S3_S3_S5_l,comdat
	.globl	_ZN9rocsolver6v33100L18getf2_small_kernelILi42EfiiPfEEvT1_T3_lS3_lPS3_llPT2_S3_S3_S5_l ; -- Begin function _ZN9rocsolver6v33100L18getf2_small_kernelILi42EfiiPfEEvT1_T3_lS3_lPS3_llPT2_S3_S3_S5_l
	.p2align	8
	.type	_ZN9rocsolver6v33100L18getf2_small_kernelILi42EfiiPfEEvT1_T3_lS3_lPS3_llPT2_S3_S3_S5_l,@function
_ZN9rocsolver6v33100L18getf2_small_kernelILi42EfiiPfEEvT1_T3_lS3_lPS3_llPT2_S3_S3_S5_l: ; @_ZN9rocsolver6v33100L18getf2_small_kernelILi42EfiiPfEEvT1_T3_lS3_lPS3_llPT2_S3_S3_S5_l
; %bb.0:
	s_load_dword s2, s[0:1], 0x6c
	s_load_dwordx2 s[14:15], s[0:1], 0x48
	v_bfe_u32 v17, v0, 10, 10
	s_waitcnt lgkmcnt(0)
	s_lshr_b32 s2, s2, 16
	s_mul_i32 s3, s3, s2
	v_add_u32_e32 v4, s3, v17
	v_cmp_gt_i32_e32 vcc, s14, v4
	s_and_saveexec_b64 s[2:3], vcc
	s_cbranch_execz .LBB82_711
; %bb.1:
	s_load_dwordx4 s[4:7], s[0:1], 0x50
	v_ashrrev_i32_e32 v5, 31, v4
	v_mov_b64_e32 v[20:21], 0
	s_waitcnt lgkmcnt(0)
	s_cmp_eq_u64 s[4:5], 0
	s_cselect_b64 s[16:17], -1, 0
	s_and_b64 vcc, exec, s[16:17]
	s_cbranch_vccnz .LBB82_3
; %bb.2:
	v_mul_lo_u32 v1, s7, v4
	v_mul_lo_u32 v6, s6, v5
	v_mad_u64_u32 v[2:3], s[2:3], s6, v4, 0
	v_add3_u32 v3, v3, v6, v1
	v_lshl_add_u64 v[20:21], v[2:3], 2, s[4:5]
.LBB82_3:
	s_load_dwordx4 s[20:23], s[0:1], 0x8
	s_load_dwordx8 s[4:11], s[0:1], 0x20
	s_load_dword s12, s[0:1], 0x18
	v_and_b32_e32 v19, 0x3ff, v0
	v_lshlrev_b32_e32 v50, 2, v19
	s_waitcnt lgkmcnt(0)
	v_mov_b32_e32 v2, s20
	v_mul_lo_u32 v1, s5, v4
	v_mul_lo_u32 v8, s4, v5
	v_mad_u64_u32 v[6:7], s[2:3], s4, v4, 0
	v_mov_b32_e32 v3, s21
	v_add3_u32 v7, v7, v8, v1
	s_add_i32 s14, s12, s12
	v_lshl_add_u64 v[2:3], v[6:7], 2, v[2:3]
	v_add_u32_e32 v0, s14, v19
	v_lshl_add_u64 v[2:3], s[22:23], 2, v[2:3]
	v_ashrrev_i32_e32 v1, 31, v0
	v_lshl_add_u64 v[14:15], v[0:1], 2, v[2:3]
	v_add_u32_e32 v0, s12, v0
	v_ashrrev_i32_e32 v1, 31, v0
	v_lshl_add_u64 v[22:23], v[0:1], 2, v[2:3]
	v_add_u32_e32 v0, s12, v0
	;; [unrolled: 3-line block ×4, first 2 shown]
	v_mov_b32_e32 v51, 0
	v_add_u32_e32 v30, s12, v0
	v_lshl_add_u64 v[8:9], v[2:3], 0, v[50:51]
	s_ashr_i32 s13, s12, 31
	v_ashrrev_i32_e32 v1, 31, v0
	v_ashrrev_i32_e32 v31, 31, v30
	v_lshl_add_u64 v[12:13], s[12:13], 2, v[8:9]
	v_lshl_add_u64 v[28:29], v[0:1], 2, v[2:3]
	;; [unrolled: 1-line block ×3, first 2 shown]
	global_load_dword v18, v[8:9], off
	global_load_dword v16, v[12:13], off
	global_load_dword v10, v[14:15], off
	global_load_dword v11, v[22:23], off
	global_load_dword v6, v[24:25], off
	global_load_dword v7, v[26:27], off
	global_load_dword v0, v[28:29], off
	global_load_dword v1, v[32:33], off
	v_add_u32_e32 v8, s12, v30
	v_ashrrev_i32_e32 v9, 31, v8
	v_lshl_add_u64 v[14:15], v[8:9], 2, v[2:3]
	v_add_u32_e32 v8, s12, v8
	v_ashrrev_i32_e32 v9, 31, v8
	v_lshl_add_u64 v[24:25], v[8:9], 2, v[2:3]
	v_add_u32_e32 v8, s12, v8
	v_ashrrev_i32_e32 v9, 31, v8
	v_lshl_add_u64 v[26:27], v[8:9], 2, v[2:3]
	v_add_u32_e32 v8, s12, v8
	v_ashrrev_i32_e32 v9, 31, v8
	v_lshl_add_u64 v[30:31], v[8:9], 2, v[2:3]
	v_add_u32_e32 v8, s12, v8
	v_ashrrev_i32_e32 v9, 31, v8
	v_lshl_add_u64 v[32:33], v[8:9], 2, v[2:3]
	v_add_u32_e32 v8, s12, v8
	v_ashrrev_i32_e32 v9, 31, v8
	v_lshl_add_u64 v[34:35], v[8:9], 2, v[2:3]
	v_add_u32_e32 v8, s12, v8
	v_add_u32_e32 v38, s12, v8
	v_ashrrev_i32_e32 v9, 31, v8
	v_ashrrev_i32_e32 v39, 31, v38
	v_lshl_add_u64 v[36:37], v[8:9], 2, v[2:3]
	v_lshl_add_u64 v[40:41], v[38:39], 2, v[2:3]
	global_load_dword v28, v[14:15], off
	global_load_dword v29, v[24:25], off
	global_load_dword v22, v[26:27], off
	global_load_dword v23, v[30:31], off
	global_load_dword v12, v[32:33], off
	global_load_dword v13, v[34:35], off
	global_load_dword v8, v[36:37], off
	global_load_dword v9, v[40:41], off
	v_add_u32_e32 v14, s12, v38
	v_ashrrev_i32_e32 v15, 31, v14
	v_lshl_add_u64 v[26:27], v[14:15], 2, v[2:3]
	v_add_u32_e32 v14, s12, v14
	v_ashrrev_i32_e32 v15, 31, v14
	v_lshl_add_u64 v[32:33], v[14:15], 2, v[2:3]
	v_add_u32_e32 v14, s12, v14
	v_ashrrev_i32_e32 v15, 31, v14
	v_lshl_add_u64 v[36:37], v[14:15], 2, v[2:3]
	v_add_u32_e32 v14, s12, v14
	v_ashrrev_i32_e32 v15, 31, v14
	v_lshl_add_u64 v[38:39], v[14:15], 2, v[2:3]
	v_add_u32_e32 v14, s12, v14
	v_ashrrev_i32_e32 v15, 31, v14
	v_lshl_add_u64 v[40:41], v[14:15], 2, v[2:3]
	v_add_u32_e32 v14, s12, v14
	v_ashrrev_i32_e32 v15, 31, v14
	v_lshl_add_u64 v[42:43], v[14:15], 2, v[2:3]
	v_add_u32_e32 v14, s12, v14
	v_add_u32_e32 v46, s12, v14
	v_ashrrev_i32_e32 v15, 31, v14
	v_ashrrev_i32_e32 v47, 31, v46
	v_lshl_add_u64 v[44:45], v[14:15], 2, v[2:3]
	v_lshl_add_u64 v[48:49], v[46:47], 2, v[2:3]
	;; [unrolled: 32-line block ×4, first 2 shown]
	global_load_dword v48, v[44:45], off
	global_load_dword v49, v[52:53], off
	;; [unrolled: 1-line block ×5, first 2 shown]
                                        ; kill: killed $vgpr56_vgpr57
                                        ; kill: killed $vgpr58_vgpr59
                                        ; kill: killed $vgpr44_vgpr45
                                        ; kill: killed $vgpr52_vgpr53
                                        ; kill: killed $vgpr54_vgpr55
	global_load_dword v41, v[60:61], off
	global_load_dword v38, v[62:63], off
	;; [unrolled: 1-line block ×3, first 2 shown]
	v_add_u32_e32 v44, s12, v64
	v_ashrrev_i32_e32 v45, 31, v44
	v_lshl_add_u64 v[52:53], v[44:45], 2, v[2:3]
	v_add_u32_e32 v44, s12, v44
	v_ashrrev_i32_e32 v45, 31, v44
	v_lshl_add_u64 v[54:55], v[44:45], 2, v[2:3]
	global_load_dword v44, v[52:53], off
	global_load_dword v45, v[54:55], off
	s_load_dword s22, s[0:1], 0x0
	s_load_dwordx2 s[4:5], s[0:1], 0x40
	s_waitcnt lgkmcnt(0)
	s_max_i32 s0, s22, 42
	v_mul_lo_u32 v52, s0, v17
	v_lshl_add_u32 v17, v52, 2, 0
	v_add_u32_e32 v50, v17, v50
	s_waitcnt vmcnt(41)
	ds_write_b32 v50, v18
	s_waitcnt lgkmcnt(0)
	s_barrier
	ds_read_b32 v50, v17
	s_cmp_lt_i32 s22, 2
	v_lshlrev_b32_e32 v52, 2, v52
	s_cbranch_scc1 .LBB82_6
; %bb.4:
	v_add3_u32 v53, v52, 0, 4
	v_mov_b32_e32 v51, 0
	s_mov_b32 s0, 1
.LBB82_5:                               ; =>This Inner Loop Header: Depth=1
	ds_read_b32 v54, v53
	v_mov_b32_e32 v55, s0
	s_add_i32 s0, s0, 1
	v_add_u32_e32 v53, 4, v53
	s_cmp_eq_u32 s22, s0
	s_waitcnt lgkmcnt(0)
	v_cmp_lt_f32_e64 vcc, |v50|, |v54|
	s_nop 1
	v_cndmask_b32_e32 v50, v50, v54, vcc
	v_cndmask_b32_e32 v51, v51, v55, vcc
	s_cbranch_scc0 .LBB82_5
.LBB82_6:
	v_cmp_ne_u32_e32 vcc, v19, v51
                                        ; implicit-def: $vgpr53
	s_and_saveexec_b64 s[0:1], vcc
	s_xor_b64 s[0:1], exec, s[0:1]
	s_cbranch_execz .LBB82_12
; %bb.7:
	v_cmp_eq_u32_e32 vcc, 0, v19
	s_and_saveexec_b64 s[2:3], vcc
	s_cbranch_execz .LBB82_11
; %bb.8:
	v_cmp_ne_u32_e32 vcc, 0, v51
	s_xor_b64 s[18:19], s[16:17], -1
	s_and_b64 s[20:21], s[18:19], vcc
	s_and_saveexec_b64 s[18:19], s[20:21]
	s_cbranch_execz .LBB82_10
; %bb.9:
	v_ashrrev_i32_e32 v55, 31, v51
	v_mov_b32_e32 v54, v51
	v_lshl_add_u64 v[54:55], v[54:55], 2, v[20:21]
	global_load_dword v19, v[54:55], off
	global_load_dword v53, v[20:21], off
	s_waitcnt vmcnt(1)
	global_store_dword v[20:21], v19, off
	s_waitcnt vmcnt(1)
	global_store_dword v[54:55], v53, off
.LBB82_10:
	s_or_b64 exec, exec, s[18:19]
	v_mov_b32_e32 v19, v51
.LBB82_11:
	s_or_b64 exec, exec, s[2:3]
	v_mov_b32_e32 v53, v19
                                        ; implicit-def: $vgpr19
.LBB82_12:
	s_or_saveexec_b64 s[0:1], s[0:1]
	v_mov_b32_e32 v51, v53
	s_xor_b64 exec, exec, s[0:1]
	s_cbranch_execz .LBB82_14
; %bb.13:
	v_mov_b32_e32 v53, 0
	v_mov_b32_e32 v51, v19
	s_waitcnt vmcnt(39)
	ds_write2_b32 v17, v16, v10 offset0:1 offset1:2
	s_waitcnt vmcnt(37)
	ds_write2_b32 v17, v11, v6 offset0:3 offset1:4
	;; [unrolled: 2-line block ×20, first 2 shown]
	s_waitcnt vmcnt(0)
	ds_write_b32 v17, v45 offset:164
.LBB82_14:
	s_or_b64 exec, exec, s[0:1]
	s_waitcnt lgkmcnt(0)
	v_cmp_eq_f32_e64 s[0:1], 0, v50
	v_cmp_lt_i32_e32 vcc, 0, v53
	s_barrier
	s_and_saveexec_b64 s[2:3], vcc
	s_cbranch_execz .LBB82_16
; %bb.15:
	v_div_scale_f32 v19, s[18:19], v50, v50, 1.0
	v_rcp_f32_e32 v54, v19
	v_div_scale_f32 v55, vcc, 1.0, v50, 1.0
	v_fma_f32 v56, -v19, v54, 1.0
	v_fmac_f32_e32 v54, v56, v54
	v_mul_f32_e32 v56, v55, v54
	v_fma_f32 v57, -v19, v56, v55
	v_fmac_f32_e32 v56, v57, v54
	v_fma_f32 v19, -v19, v56, v55
	v_div_fmas_f32 v19, v19, v54, v56
	v_div_fixup_f32 v19, v19, v50, 1.0
	v_cndmask_b32_e64 v19, v19, v50, s[0:1]
	ds_read_b32 v50, v17 offset:4
	ds_read2_b32 v[54:55], v17 offset0:2 offset1:3
	ds_read2_b32 v[56:57], v17 offset0:4 offset1:5
	v_mul_f32_e32 v18, v19, v18
	ds_read2_b32 v[58:59], v17 offset0:6 offset1:7
	s_waitcnt vmcnt(40) lgkmcnt(3)
	v_fma_f32 v16, -v18, v50, v16
	s_waitcnt vmcnt(38) lgkmcnt(2)
	v_pk_fma_f32 v[10:11], v[18:19], v[54:55], v[10:11] op_sel_hi:[0,1,1] neg_lo:[1,0,0] neg_hi:[1,0,0]
	s_waitcnt vmcnt(36) lgkmcnt(1)
	v_pk_fma_f32 v[6:7], v[18:19], v[56:57], v[6:7] op_sel_hi:[0,1,1] neg_lo:[1,0,0] neg_hi:[1,0,0]
	ds_read2_b32 v[54:55], v17 offset0:8 offset1:9
	ds_read2_b32 v[56:57], v17 offset0:10 offset1:11
	;; [unrolled: 1-line block ×3, first 2 shown]
	s_waitcnt vmcnt(34) lgkmcnt(3)
	v_pk_fma_f32 v[0:1], v[18:19], v[58:59], v[0:1] op_sel_hi:[0,1,1] neg_lo:[1,0,0] neg_hi:[1,0,0]
	ds_read2_b32 v[58:59], v17 offset0:14 offset1:15
	s_waitcnt vmcnt(32) lgkmcnt(3)
	v_pk_fma_f32 v[28:29], v[18:19], v[54:55], v[28:29] op_sel_hi:[0,1,1] neg_lo:[1,0,0] neg_hi:[1,0,0]
	s_waitcnt vmcnt(30) lgkmcnt(2)
	v_pk_fma_f32 v[22:23], v[18:19], v[56:57], v[22:23] op_sel_hi:[0,1,1] neg_lo:[1,0,0] neg_hi:[1,0,0]
	;; [unrolled: 2-line block ×3, first 2 shown]
	ds_read2_b32 v[54:55], v17 offset0:16 offset1:17
	ds_read2_b32 v[56:57], v17 offset0:18 offset1:19
	;; [unrolled: 1-line block ×3, first 2 shown]
	s_waitcnt vmcnt(26) lgkmcnt(3)
	v_pk_fma_f32 v[8:9], v[18:19], v[58:59], v[8:9] op_sel_hi:[0,1,1] neg_lo:[1,0,0] neg_hi:[1,0,0]
	ds_read2_b32 v[58:59], v17 offset0:22 offset1:23
	s_waitcnt vmcnt(24) lgkmcnt(3)
	v_pk_fma_f32 v[34:35], v[18:19], v[54:55], v[34:35] op_sel_hi:[0,1,1] neg_lo:[1,0,0] neg_hi:[1,0,0]
	s_waitcnt vmcnt(22) lgkmcnt(2)
	v_pk_fma_f32 v[30:31], v[18:19], v[56:57], v[30:31] op_sel_hi:[0,1,1] neg_lo:[1,0,0] neg_hi:[1,0,0]
	;; [unrolled: 2-line block ×3, first 2 shown]
	ds_read2_b32 v[54:55], v17 offset0:24 offset1:25
	ds_read2_b32 v[56:57], v17 offset0:26 offset1:27
	;; [unrolled: 1-line block ×4, first 2 shown]
	s_waitcnt vmcnt(18) lgkmcnt(4)
	v_pk_fma_f32 v[14:15], v[18:19], v[58:59], v[14:15] op_sel_hi:[0,1,1] neg_lo:[1,0,0] neg_hi:[1,0,0]
	s_waitcnt vmcnt(16) lgkmcnt(3)
	v_pk_fma_f32 v[42:43], v[18:19], v[54:55], v[42:43] op_sel_hi:[0,1,1] neg_lo:[1,0,0] neg_hi:[1,0,0]
	;; [unrolled: 2-line block ×5, first 2 shown]
	ds_read2_b32 v[54:55], v17 offset0:32 offset1:33
	ds_read2_b32 v[56:57], v17 offset0:34 offset1:35
	;; [unrolled: 1-line block ×5, first 2 shown]
	s_waitcnt vmcnt(8) lgkmcnt(4)
	v_pk_fma_f32 v[48:49], v[18:19], v[54:55], v[48:49] op_sel_hi:[0,1,1] neg_lo:[1,0,0] neg_hi:[1,0,0]
	s_waitcnt vmcnt(6) lgkmcnt(3)
	v_pk_fma_f32 v[46:47], v[18:19], v[56:57], v[46:47] op_sel_hi:[0,1,1] neg_lo:[1,0,0] neg_hi:[1,0,0]
	;; [unrolled: 2-line block ×5, first 2 shown]
.LBB82_16:
	s_or_b64 exec, exec, s[2:3]
	v_lshl_add_u32 v19, v53, 2, v17
	s_barrier
	s_waitcnt vmcnt(40)
	ds_write_b32 v19, v16
	s_waitcnt lgkmcnt(0)
	s_barrier
	ds_read_b32 v19, v17 offset:4
	s_mov_b32 s2, 2
	s_cmp_lt_i32 s22, 3
	v_mov_b32_e32 v50, 1
	s_cbranch_scc1 .LBB82_19
; %bb.17:
	v_add3_u32 v54, v52, 0, 8
	v_mov_b32_e32 v50, 1
.LBB82_18:                              ; =>This Inner Loop Header: Depth=1
	ds_read_b32 v55, v54
	v_mov_b32_e32 v56, s2
	s_add_i32 s2, s2, 1
	v_add_u32_e32 v54, 4, v54
	s_cmp_lg_u32 s22, s2
	s_waitcnt lgkmcnt(0)
	v_cmp_lt_f32_e64 vcc, |v19|, |v55|
	s_nop 1
	v_cndmask_b32_e32 v19, v19, v55, vcc
	v_cndmask_b32_e32 v50, v50, v56, vcc
	s_cbranch_scc1 .LBB82_18
.LBB82_19:
	v_cmp_ne_u32_e32 vcc, v53, v50
	s_and_saveexec_b64 s[2:3], vcc
	s_xor_b64 s[2:3], exec, s[2:3]
	s_cbranch_execz .LBB82_25
; %bb.20:
	v_cmp_eq_u32_e32 vcc, 1, v53
	s_and_saveexec_b64 s[18:19], vcc
	s_cbranch_execz .LBB82_24
; %bb.21:
	v_cmp_ne_u32_e32 vcc, 1, v50
	s_xor_b64 s[20:21], s[16:17], -1
	s_and_b64 s[24:25], s[20:21], vcc
	s_and_saveexec_b64 s[20:21], s[24:25]
	s_cbranch_execz .LBB82_23
; %bb.22:
	v_ashrrev_i32_e32 v51, 31, v50
	v_lshl_add_u64 v[54:55], v[50:51], 2, v[20:21]
	global_load_dword v51, v[54:55], off
	global_load_dword v53, v[20:21], off offset:4
	s_waitcnt vmcnt(1)
	global_store_dword v[20:21], v51, off offset:4
	s_waitcnt vmcnt(1)
	global_store_dword v[54:55], v53, off
.LBB82_23:
	s_or_b64 exec, exec, s[20:21]
	v_mov_b32_e32 v51, v50
	v_mov_b32_e32 v53, v50
.LBB82_24:
	s_or_b64 exec, exec, s[18:19]
.LBB82_25:
	s_andn2_saveexec_b64 s[2:3], s[2:3]
	s_cbranch_execz .LBB82_27
; %bb.26:
	v_mov_b32_e32 v53, 1
	s_waitcnt vmcnt(38)
	ds_write2_b32 v17, v10, v11 offset0:2 offset1:3
	s_waitcnt vmcnt(36)
	ds_write2_b32 v17, v6, v7 offset0:4 offset1:5
	;; [unrolled: 2-line block ×20, first 2 shown]
.LBB82_27:
	s_or_b64 exec, exec, s[2:3]
	s_waitcnt lgkmcnt(0)
	v_cmp_neq_f32_e64 s[2:3], 0, v19
	v_cmp_lt_i32_e32 vcc, 1, v53
	s_barrier
	s_and_saveexec_b64 s[18:19], vcc
	s_cbranch_execz .LBB82_29
; %bb.28:
	v_div_scale_f32 v50, s[20:21], v19, v19, 1.0
	v_rcp_f32_e32 v54, v50
	v_div_scale_f32 v55, vcc, 1.0, v19, 1.0
	v_fma_f32 v56, -v50, v54, 1.0
	v_fmac_f32_e32 v54, v56, v54
	v_mul_f32_e32 v56, v55, v54
	v_fma_f32 v57, -v50, v56, v55
	v_fmac_f32_e32 v56, v57, v54
	v_fma_f32 v50, -v50, v56, v55
	v_div_fmas_f32 v50, v50, v54, v56
	ds_read2_b32 v[54:55], v17 offset0:2 offset1:3
	ds_read2_b32 v[56:57], v17 offset0:4 offset1:5
	ds_read2_b32 v[58:59], v17 offset0:6 offset1:7
	v_div_fixup_f32 v50, v50, v19, 1.0
	v_cndmask_b32_e64 v19, v19, v50, s[2:3]
	v_mul_f32_e32 v16, v19, v16
	ds_read2_b32 v[60:61], v17 offset0:8 offset1:9
	s_waitcnt vmcnt(38) lgkmcnt(3)
	v_pk_fma_f32 v[10:11], v[16:17], v[54:55], v[10:11] op_sel_hi:[0,1,1] neg_lo:[1,0,0] neg_hi:[1,0,0]
	s_waitcnt vmcnt(36) lgkmcnt(2)
	v_pk_fma_f32 v[6:7], v[16:17], v[56:57], v[6:7] op_sel_hi:[0,1,1] neg_lo:[1,0,0] neg_hi:[1,0,0]
	s_waitcnt vmcnt(34) lgkmcnt(1)
	v_pk_fma_f32 v[0:1], v[16:17], v[58:59], v[0:1] op_sel_hi:[0,1,1] neg_lo:[1,0,0] neg_hi:[1,0,0]
	ds_read2_b32 v[54:55], v17 offset0:10 offset1:11
	ds_read2_b32 v[56:57], v17 offset0:12 offset1:13
	ds_read2_b32 v[58:59], v17 offset0:14 offset1:15
	s_waitcnt vmcnt(32) lgkmcnt(3)
	v_pk_fma_f32 v[28:29], v[16:17], v[60:61], v[28:29] op_sel_hi:[0,1,1] neg_lo:[1,0,0] neg_hi:[1,0,0]
	ds_read2_b32 v[60:61], v17 offset0:16 offset1:17
	s_waitcnt vmcnt(30) lgkmcnt(3)
	v_pk_fma_f32 v[22:23], v[16:17], v[54:55], v[22:23] op_sel_hi:[0,1,1] neg_lo:[1,0,0] neg_hi:[1,0,0]
	s_waitcnt vmcnt(28) lgkmcnt(2)
	v_pk_fma_f32 v[12:13], v[16:17], v[56:57], v[12:13] op_sel_hi:[0,1,1] neg_lo:[1,0,0] neg_hi:[1,0,0]
	s_waitcnt vmcnt(26) lgkmcnt(1)
	v_pk_fma_f32 v[8:9], v[16:17], v[58:59], v[8:9] op_sel_hi:[0,1,1] neg_lo:[1,0,0] neg_hi:[1,0,0]
	ds_read2_b32 v[54:55], v17 offset0:18 offset1:19
	ds_read2_b32 v[56:57], v17 offset0:20 offset1:21
	ds_read2_b32 v[58:59], v17 offset0:22 offset1:23
	s_waitcnt vmcnt(24) lgkmcnt(3)
	v_pk_fma_f32 v[34:35], v[16:17], v[60:61], v[34:35] op_sel_hi:[0,1,1] neg_lo:[1,0,0] neg_hi:[1,0,0]
	ds_read2_b32 v[60:61], v17 offset0:24 offset1:25
	s_waitcnt vmcnt(22) lgkmcnt(3)
	v_pk_fma_f32 v[30:31], v[16:17], v[54:55], v[30:31] op_sel_hi:[0,1,1] neg_lo:[1,0,0] neg_hi:[1,0,0]
	s_waitcnt vmcnt(20) lgkmcnt(2)
	v_pk_fma_f32 v[24:25], v[16:17], v[56:57], v[24:25] op_sel_hi:[0,1,1] neg_lo:[1,0,0] neg_hi:[1,0,0]
	s_waitcnt vmcnt(18) lgkmcnt(1)
	v_pk_fma_f32 v[14:15], v[16:17], v[58:59], v[14:15] op_sel_hi:[0,1,1] neg_lo:[1,0,0] neg_hi:[1,0,0]
	ds_read2_b32 v[54:55], v17 offset0:26 offset1:27
	ds_read2_b32 v[56:57], v17 offset0:28 offset1:29
	ds_read2_b32 v[58:59], v17 offset0:30 offset1:31
	s_waitcnt vmcnt(16) lgkmcnt(3)
	v_pk_fma_f32 v[42:43], v[16:17], v[60:61], v[42:43] op_sel_hi:[0,1,1] neg_lo:[1,0,0] neg_hi:[1,0,0]
	ds_read2_b32 v[60:61], v17 offset0:32 offset1:33
	s_waitcnt vmcnt(14) lgkmcnt(3)
	v_pk_fma_f32 v[36:37], v[16:17], v[54:55], v[36:37] op_sel_hi:[0,1,1] neg_lo:[1,0,0] neg_hi:[1,0,0]
	s_waitcnt vmcnt(12) lgkmcnt(2)
	v_pk_fma_f32 v[32:33], v[16:17], v[56:57], v[32:33] op_sel_hi:[0,1,1] neg_lo:[1,0,0] neg_hi:[1,0,0]
	;; [unrolled: 2-line block ×3, first 2 shown]
	ds_read2_b32 v[54:55], v17 offset0:34 offset1:35
	ds_read2_b32 v[56:57], v17 offset0:36 offset1:37
	ds_read2_b32 v[58:59], v17 offset0:38 offset1:39
	ds_read2_b32 v[62:63], v17 offset0:40 offset1:41
	s_waitcnt vmcnt(8) lgkmcnt(4)
	v_pk_fma_f32 v[48:49], v[16:17], v[60:61], v[48:49] op_sel_hi:[0,1,1] neg_lo:[1,0,0] neg_hi:[1,0,0]
	s_waitcnt vmcnt(6) lgkmcnt(3)
	v_pk_fma_f32 v[46:47], v[16:17], v[54:55], v[46:47] op_sel_hi:[0,1,1] neg_lo:[1,0,0] neg_hi:[1,0,0]
	;; [unrolled: 2-line block ×5, first 2 shown]
.LBB82_29:
	s_or_b64 exec, exec, s[18:19]
	v_lshl_add_u32 v19, v53, 2, v17
	s_barrier
	s_waitcnt vmcnt(39)
	ds_write_b32 v19, v10
	s_waitcnt lgkmcnt(0)
	s_barrier
	ds_read_b32 v54, v17 offset:8
	s_cmp_lt_i32 s22, 4
	v_mov_b32_e32 v50, 2
	s_cbranch_scc1 .LBB82_32
; %bb.30:
	v_mov_b32_e32 v50, 2
	v_add3_u32 v19, v52, 0, 12
	s_mov_b32 s18, 3
.LBB82_31:                              ; =>This Inner Loop Header: Depth=1
	ds_read_b32 v55, v19
	v_mov_b32_e32 v56, s18
	s_add_i32 s18, s18, 1
	v_add_u32_e32 v19, 4, v19
	s_cmp_lg_u32 s22, s18
	s_waitcnt lgkmcnt(0)
	v_cmp_lt_f32_e64 vcc, |v54|, |v55|
	s_nop 1
	v_cndmask_b32_e32 v54, v54, v55, vcc
	v_cndmask_b32_e32 v50, v50, v56, vcc
	s_cbranch_scc1 .LBB82_31
.LBB82_32:
	v_cndmask_b32_e64 v19, 2, 1, s[0:1]
	v_cndmask_b32_e64 v55, 0, 1, s[0:1]
	;; [unrolled: 1-line block ×3, first 2 shown]
	s_waitcnt lgkmcnt(0)
	v_cmp_eq_f32_e32 vcc, 0, v54
	s_and_saveexec_b64 s[0:1], vcc
	s_xor_b64 s[0:1], exec, s[0:1]
; %bb.33:
	v_cmp_ne_u32_e32 vcc, 0, v19
	s_nop 1
	v_cndmask_b32_e32 v19, 3, v19, vcc
; %bb.34:
	s_andn2_saveexec_b64 s[0:1], s[0:1]
	s_cbranch_execz .LBB82_36
; %bb.35:
	v_div_scale_f32 v55, s[2:3], v54, v54, 1.0
	v_rcp_f32_e32 v56, v55
	v_div_scale_f32 v57, vcc, 1.0, v54, 1.0
	v_fma_f32 v58, -v55, v56, 1.0
	v_fmac_f32_e32 v56, v58, v56
	v_mul_f32_e32 v58, v57, v56
	v_fma_f32 v59, -v55, v58, v57
	v_fmac_f32_e32 v58, v59, v56
	v_fma_f32 v55, -v55, v58, v57
	v_div_fmas_f32 v55, v55, v56, v58
	v_div_fixup_f32 v54, v55, v54, 1.0
.LBB82_36:
	s_or_b64 exec, exec, s[0:1]
	v_cmp_ne_u32_e32 vcc, v53, v50
	s_and_saveexec_b64 s[0:1], vcc
	s_xor_b64 s[0:1], exec, s[0:1]
	s_cbranch_execz .LBB82_42
; %bb.37:
	v_cmp_eq_u32_e32 vcc, 2, v53
	s_and_saveexec_b64 s[2:3], vcc
	s_cbranch_execz .LBB82_41
; %bb.38:
	v_cmp_ne_u32_e32 vcc, 2, v50
	s_xor_b64 s[18:19], s[16:17], -1
	s_and_b64 s[20:21], s[18:19], vcc
	s_and_saveexec_b64 s[18:19], s[20:21]
	s_cbranch_execz .LBB82_40
; %bb.39:
	v_ashrrev_i32_e32 v51, 31, v50
	v_lshl_add_u64 v[56:57], v[50:51], 2, v[20:21]
	global_load_dword v51, v[56:57], off
	global_load_dword v53, v[20:21], off offset:8
	s_waitcnt vmcnt(1)
	global_store_dword v[20:21], v51, off offset:8
	s_waitcnt vmcnt(1)
	global_store_dword v[56:57], v53, off
.LBB82_40:
	s_or_b64 exec, exec, s[18:19]
	v_mov_b32_e32 v51, v50
	v_mov_b32_e32 v53, v50
.LBB82_41:
	s_or_b64 exec, exec, s[2:3]
.LBB82_42:
	s_andn2_saveexec_b64 s[0:1], s[0:1]
	s_cbranch_execz .LBB82_44
; %bb.43:
	s_waitcnt vmcnt(36)
	v_pk_mov_b32 v[56:57], v[10:11], v[6:7] op_sel:[1,0]
	ds_write2_b32 v17, v56, v57 offset0:3 offset1:4
	s_waitcnt vmcnt(34)
	v_pk_mov_b32 v[56:57], v[6:7], v[0:1] op_sel:[1,0]
	ds_write2_b32 v17, v56, v57 offset0:5 offset1:6
	;; [unrolled: 3-line block ×18, first 2 shown]
	s_waitcnt vmcnt(0)
	v_pk_mov_b32 v[56:57], v[38:39], v[44:45] op_sel:[1,0]
	v_mov_b32_e32 v53, 2
	ds_write2_b32 v17, v56, v57 offset0:39 offset1:40
	ds_write_b32 v17, v45 offset:164
.LBB82_44:
	s_or_b64 exec, exec, s[0:1]
	v_cmp_lt_i32_e32 vcc, 2, v53
	s_waitcnt lgkmcnt(0)
	s_barrier
	s_and_saveexec_b64 s[0:1], vcc
	s_cbranch_execz .LBB82_46
; %bb.45:
	ds_read_b32 v50, v17 offset:12
	ds_read2_b32 v[56:57], v17 offset0:4 offset1:5
	ds_read2_b32 v[58:59], v17 offset0:6 offset1:7
	v_mul_f32_e32 v10, v54, v10
	ds_read2_b32 v[54:55], v17 offset0:8 offset1:9
	s_waitcnt vmcnt(38) lgkmcnt(3)
	v_fma_f32 v11, -v10, v50, v11
	s_waitcnt vmcnt(36) lgkmcnt(2)
	v_pk_fma_f32 v[6:7], v[10:11], v[56:57], v[6:7] op_sel_hi:[0,1,1] neg_lo:[1,0,0] neg_hi:[1,0,0]
	s_waitcnt vmcnt(34) lgkmcnt(1)
	v_pk_fma_f32 v[0:1], v[10:11], v[58:59], v[0:1] op_sel_hi:[0,1,1] neg_lo:[1,0,0] neg_hi:[1,0,0]
	ds_read2_b32 v[56:57], v17 offset0:10 offset1:11
	ds_read2_b32 v[58:59], v17 offset0:12 offset1:13
	ds_read2_b32 v[60:61], v17 offset0:14 offset1:15
	s_waitcnt vmcnt(32) lgkmcnt(3)
	v_pk_fma_f32 v[28:29], v[10:11], v[54:55], v[28:29] op_sel_hi:[0,1,1] neg_lo:[1,0,0] neg_hi:[1,0,0]
	ds_read2_b32 v[54:55], v17 offset0:16 offset1:17
	s_waitcnt vmcnt(30) lgkmcnt(3)
	v_pk_fma_f32 v[22:23], v[10:11], v[56:57], v[22:23] op_sel_hi:[0,1,1] neg_lo:[1,0,0] neg_hi:[1,0,0]
	s_waitcnt vmcnt(28) lgkmcnt(2)
	v_pk_fma_f32 v[12:13], v[10:11], v[58:59], v[12:13] op_sel_hi:[0,1,1] neg_lo:[1,0,0] neg_hi:[1,0,0]
	s_waitcnt vmcnt(26) lgkmcnt(1)
	v_pk_fma_f32 v[8:9], v[10:11], v[60:61], v[8:9] op_sel_hi:[0,1,1] neg_lo:[1,0,0] neg_hi:[1,0,0]
	ds_read2_b32 v[56:57], v17 offset0:18 offset1:19
	ds_read2_b32 v[58:59], v17 offset0:20 offset1:21
	ds_read2_b32 v[60:61], v17 offset0:22 offset1:23
	s_waitcnt vmcnt(24) lgkmcnt(3)
	v_pk_fma_f32 v[34:35], v[10:11], v[54:55], v[34:35] op_sel_hi:[0,1,1] neg_lo:[1,0,0] neg_hi:[1,0,0]
	ds_read2_b32 v[54:55], v17 offset0:24 offset1:25
	s_waitcnt vmcnt(22) lgkmcnt(3)
	v_pk_fma_f32 v[30:31], v[10:11], v[56:57], v[30:31] op_sel_hi:[0,1,1] neg_lo:[1,0,0] neg_hi:[1,0,0]
	;; [unrolled: 12-line block ×3, first 2 shown]
	s_waitcnt vmcnt(12) lgkmcnt(2)
	v_pk_fma_f32 v[32:33], v[10:11], v[58:59], v[32:33] op_sel_hi:[0,1,1] neg_lo:[1,0,0] neg_hi:[1,0,0]
	s_waitcnt vmcnt(10) lgkmcnt(1)
	v_pk_fma_f32 v[26:27], v[10:11], v[60:61], v[26:27] op_sel_hi:[0,1,1] neg_lo:[1,0,0] neg_hi:[1,0,0]
	ds_read2_b32 v[56:57], v17 offset0:34 offset1:35
	ds_read2_b32 v[58:59], v17 offset0:36 offset1:37
	;; [unrolled: 1-line block ×4, first 2 shown]
	s_waitcnt vmcnt(8) lgkmcnt(4)
	v_pk_fma_f32 v[48:49], v[10:11], v[54:55], v[48:49] op_sel_hi:[0,1,1] neg_lo:[1,0,0] neg_hi:[1,0,0]
	s_waitcnt vmcnt(6) lgkmcnt(3)
	v_pk_fma_f32 v[46:47], v[10:11], v[56:57], v[46:47] op_sel_hi:[0,1,1] neg_lo:[1,0,0] neg_hi:[1,0,0]
	;; [unrolled: 2-line block ×5, first 2 shown]
.LBB82_46:
	s_or_b64 exec, exec, s[0:1]
	v_lshl_add_u32 v50, v53, 2, v17
	s_barrier
	s_waitcnt vmcnt(38)
	ds_write_b32 v50, v11
	s_waitcnt lgkmcnt(0)
	s_barrier
	ds_read_b32 v54, v17 offset:12
	s_cmp_lt_i32 s22, 5
	v_mov_b32_e32 v50, 3
	s_cbranch_scc1 .LBB82_49
; %bb.47:
	v_add3_u32 v55, v52, 0, 16
	v_mov_b32_e32 v50, 3
	s_mov_b32 s0, 4
.LBB82_48:                              ; =>This Inner Loop Header: Depth=1
	ds_read_b32 v56, v55
	v_mov_b32_e32 v57, s0
	s_add_i32 s0, s0, 1
	v_add_u32_e32 v55, 4, v55
	s_cmp_lg_u32 s22, s0
	s_waitcnt lgkmcnt(0)
	v_cmp_lt_f32_e64 vcc, |v54|, |v56|
	s_nop 1
	v_cndmask_b32_e32 v54, v54, v56, vcc
	v_cndmask_b32_e32 v50, v50, v57, vcc
	s_cbranch_scc1 .LBB82_48
.LBB82_49:
	s_waitcnt lgkmcnt(0)
	v_cmp_eq_f32_e32 vcc, 0, v54
	s_and_saveexec_b64 s[0:1], vcc
	s_xor_b64 s[0:1], exec, s[0:1]
; %bb.50:
	v_cmp_ne_u32_e32 vcc, 0, v19
	s_nop 1
	v_cndmask_b32_e32 v19, 4, v19, vcc
; %bb.51:
	s_andn2_saveexec_b64 s[0:1], s[0:1]
	s_cbranch_execz .LBB82_53
; %bb.52:
	v_div_scale_f32 v55, s[2:3], v54, v54, 1.0
	v_rcp_f32_e32 v56, v55
	v_div_scale_f32 v57, vcc, 1.0, v54, 1.0
	v_fma_f32 v58, -v55, v56, 1.0
	v_fmac_f32_e32 v56, v58, v56
	v_mul_f32_e32 v58, v57, v56
	v_fma_f32 v59, -v55, v58, v57
	v_fmac_f32_e32 v58, v59, v56
	v_fma_f32 v55, -v55, v58, v57
	v_div_fmas_f32 v55, v55, v56, v58
	v_div_fixup_f32 v54, v55, v54, 1.0
.LBB82_53:
	s_or_b64 exec, exec, s[0:1]
	v_cmp_ne_u32_e32 vcc, v53, v50
	s_and_saveexec_b64 s[0:1], vcc
	s_xor_b64 s[0:1], exec, s[0:1]
	s_cbranch_execz .LBB82_59
; %bb.54:
	v_cmp_eq_u32_e32 vcc, 3, v53
	s_and_saveexec_b64 s[2:3], vcc
	s_cbranch_execz .LBB82_58
; %bb.55:
	v_cmp_ne_u32_e32 vcc, 3, v50
	s_xor_b64 s[18:19], s[16:17], -1
	s_and_b64 s[20:21], s[18:19], vcc
	s_and_saveexec_b64 s[18:19], s[20:21]
	s_cbranch_execz .LBB82_57
; %bb.56:
	v_ashrrev_i32_e32 v51, 31, v50
	v_lshl_add_u64 v[56:57], v[50:51], 2, v[20:21]
	global_load_dword v51, v[56:57], off
	global_load_dword v53, v[20:21], off offset:12
	s_waitcnt vmcnt(1)
	global_store_dword v[20:21], v51, off offset:12
	s_waitcnt vmcnt(1)
	global_store_dword v[56:57], v53, off
.LBB82_57:
	s_or_b64 exec, exec, s[18:19]
	v_mov_b32_e32 v51, v50
	v_mov_b32_e32 v53, v50
.LBB82_58:
	s_or_b64 exec, exec, s[2:3]
.LBB82_59:
	s_andn2_saveexec_b64 s[0:1], s[0:1]
	s_cbranch_execz .LBB82_61
; %bb.60:
	v_mov_b32_e32 v53, 3
	s_waitcnt vmcnt(36)
	ds_write2_b32 v17, v6, v7 offset0:4 offset1:5
	s_waitcnt vmcnt(34)
	ds_write2_b32 v17, v0, v1 offset0:6 offset1:7
	;; [unrolled: 2-line block ×19, first 2 shown]
.LBB82_61:
	s_or_b64 exec, exec, s[0:1]
	v_cmp_lt_i32_e32 vcc, 3, v53
	s_waitcnt lgkmcnt(0)
	s_barrier
	s_and_saveexec_b64 s[0:1], vcc
	s_cbranch_execz .LBB82_63
; %bb.62:
	ds_read2_b32 v[56:57], v17 offset0:4 offset1:5
	ds_read2_b32 v[58:59], v17 offset0:6 offset1:7
	;; [unrolled: 1-line block ×3, first 2 shown]
	v_mul_f32_e32 v50, v54, v11
	ds_read2_b32 v[54:55], v17 offset0:10 offset1:11
	s_waitcnt vmcnt(36) lgkmcnt(3)
	v_pk_fma_f32 v[6:7], v[50:51], v[56:57], v[6:7] op_sel_hi:[0,1,1] neg_lo:[1,0,0] neg_hi:[1,0,0]
	s_waitcnt vmcnt(34) lgkmcnt(2)
	v_pk_fma_f32 v[0:1], v[50:51], v[58:59], v[0:1] op_sel_hi:[0,1,1] neg_lo:[1,0,0] neg_hi:[1,0,0]
	;; [unrolled: 2-line block ×3, first 2 shown]
	ds_read2_b32 v[56:57], v17 offset0:12 offset1:13
	ds_read2_b32 v[58:59], v17 offset0:14 offset1:15
	;; [unrolled: 1-line block ×3, first 2 shown]
	s_waitcnt vmcnt(30) lgkmcnt(3)
	v_pk_fma_f32 v[22:23], v[50:51], v[54:55], v[22:23] op_sel_hi:[0,1,1] neg_lo:[1,0,0] neg_hi:[1,0,0]
	ds_read2_b32 v[54:55], v17 offset0:18 offset1:19
	s_waitcnt vmcnt(28) lgkmcnt(3)
	v_pk_fma_f32 v[12:13], v[50:51], v[56:57], v[12:13] op_sel_hi:[0,1,1] neg_lo:[1,0,0] neg_hi:[1,0,0]
	s_waitcnt vmcnt(26) lgkmcnt(2)
	v_pk_fma_f32 v[8:9], v[50:51], v[58:59], v[8:9] op_sel_hi:[0,1,1] neg_lo:[1,0,0] neg_hi:[1,0,0]
	;; [unrolled: 2-line block ×3, first 2 shown]
	ds_read2_b32 v[56:57], v17 offset0:20 offset1:21
	ds_read2_b32 v[58:59], v17 offset0:22 offset1:23
	;; [unrolled: 1-line block ×3, first 2 shown]
	s_waitcnt vmcnt(22) lgkmcnt(3)
	v_pk_fma_f32 v[30:31], v[50:51], v[54:55], v[30:31] op_sel_hi:[0,1,1] neg_lo:[1,0,0] neg_hi:[1,0,0]
	ds_read2_b32 v[54:55], v17 offset0:26 offset1:27
	s_waitcnt vmcnt(20) lgkmcnt(3)
	v_pk_fma_f32 v[24:25], v[50:51], v[56:57], v[24:25] op_sel_hi:[0,1,1] neg_lo:[1,0,0] neg_hi:[1,0,0]
	s_waitcnt vmcnt(18) lgkmcnt(2)
	v_pk_fma_f32 v[14:15], v[50:51], v[58:59], v[14:15] op_sel_hi:[0,1,1] neg_lo:[1,0,0] neg_hi:[1,0,0]
	ds_read2_b32 v[56:57], v17 offset0:28 offset1:29
	ds_read2_b32 v[58:59], v17 offset0:30 offset1:31
	s_waitcnt vmcnt(16) lgkmcnt(3)
	v_pk_fma_f32 v[42:43], v[50:51], v[60:61], v[42:43] op_sel_hi:[0,1,1] neg_lo:[1,0,0] neg_hi:[1,0,0]
	s_waitcnt vmcnt(14) lgkmcnt(2)
	v_pk_fma_f32 v[36:37], v[50:51], v[54:55], v[36:37] op_sel_hi:[0,1,1] neg_lo:[1,0,0] neg_hi:[1,0,0]
	ds_read2_b32 v[54:55], v17 offset0:32 offset1:33
	;; [unrolled: 6-line block ×3, first 2 shown]
	ds_read2_b32 v[58:59], v17 offset0:38 offset1:39
	ds_read2_b32 v[62:63], v17 offset0:40 offset1:41
	s_waitcnt vmcnt(8) lgkmcnt(4)
	v_pk_fma_f32 v[48:49], v[50:51], v[54:55], v[48:49] op_sel_hi:[0,1,1] neg_lo:[1,0,0] neg_hi:[1,0,0]
	s_waitcnt vmcnt(6) lgkmcnt(3)
	v_pk_fma_f32 v[46:47], v[50:51], v[60:61], v[46:47] op_sel_hi:[0,1,1] neg_lo:[1,0,0] neg_hi:[1,0,0]
	;; [unrolled: 2-line block ×5, first 2 shown]
	v_mov_b32_e32 v11, v50
.LBB82_63:
	s_or_b64 exec, exec, s[0:1]
	v_lshl_add_u32 v50, v53, 2, v17
	s_barrier
	s_waitcnt vmcnt(37)
	ds_write_b32 v50, v6
	s_waitcnt lgkmcnt(0)
	s_barrier
	ds_read_b32 v54, v17 offset:16
	s_cmp_lt_i32 s22, 6
	v_mov_b32_e32 v50, 4
	s_cbranch_scc1 .LBB82_66
; %bb.64:
	v_add3_u32 v55, v52, 0, 20
	v_mov_b32_e32 v50, 4
	s_mov_b32 s0, 5
.LBB82_65:                              ; =>This Inner Loop Header: Depth=1
	ds_read_b32 v56, v55
	v_mov_b32_e32 v57, s0
	s_add_i32 s0, s0, 1
	v_add_u32_e32 v55, 4, v55
	s_cmp_lg_u32 s22, s0
	s_waitcnt lgkmcnt(0)
	v_cmp_lt_f32_e64 vcc, |v54|, |v56|
	s_nop 1
	v_cndmask_b32_e32 v54, v54, v56, vcc
	v_cndmask_b32_e32 v50, v50, v57, vcc
	s_cbranch_scc1 .LBB82_65
.LBB82_66:
	s_waitcnt lgkmcnt(0)
	v_cmp_eq_f32_e32 vcc, 0, v54
	s_and_saveexec_b64 s[0:1], vcc
	s_xor_b64 s[0:1], exec, s[0:1]
; %bb.67:
	v_cmp_ne_u32_e32 vcc, 0, v19
	s_nop 1
	v_cndmask_b32_e32 v19, 5, v19, vcc
; %bb.68:
	s_andn2_saveexec_b64 s[0:1], s[0:1]
	s_cbranch_execz .LBB82_70
; %bb.69:
	v_div_scale_f32 v55, s[2:3], v54, v54, 1.0
	v_rcp_f32_e32 v56, v55
	v_div_scale_f32 v57, vcc, 1.0, v54, 1.0
	v_fma_f32 v58, -v55, v56, 1.0
	v_fmac_f32_e32 v56, v58, v56
	v_mul_f32_e32 v58, v57, v56
	v_fma_f32 v59, -v55, v58, v57
	v_fmac_f32_e32 v58, v59, v56
	v_fma_f32 v55, -v55, v58, v57
	v_div_fmas_f32 v55, v55, v56, v58
	v_div_fixup_f32 v54, v55, v54, 1.0
.LBB82_70:
	s_or_b64 exec, exec, s[0:1]
	v_cmp_ne_u32_e32 vcc, v53, v50
	s_and_saveexec_b64 s[0:1], vcc
	s_xor_b64 s[0:1], exec, s[0:1]
	s_cbranch_execz .LBB82_76
; %bb.71:
	v_cmp_eq_u32_e32 vcc, 4, v53
	s_and_saveexec_b64 s[2:3], vcc
	s_cbranch_execz .LBB82_75
; %bb.72:
	v_cmp_ne_u32_e32 vcc, 4, v50
	s_xor_b64 s[18:19], s[16:17], -1
	s_and_b64 s[20:21], s[18:19], vcc
	s_and_saveexec_b64 s[18:19], s[20:21]
	s_cbranch_execz .LBB82_74
; %bb.73:
	v_ashrrev_i32_e32 v51, 31, v50
	v_lshl_add_u64 v[56:57], v[50:51], 2, v[20:21]
	global_load_dword v51, v[56:57], off
	global_load_dword v53, v[20:21], off offset:16
	s_waitcnt vmcnt(1)
	global_store_dword v[20:21], v51, off offset:16
	s_waitcnt vmcnt(1)
	global_store_dword v[56:57], v53, off
.LBB82_74:
	s_or_b64 exec, exec, s[18:19]
	v_mov_b32_e32 v51, v50
	v_mov_b32_e32 v53, v50
.LBB82_75:
	s_or_b64 exec, exec, s[2:3]
.LBB82_76:
	s_andn2_saveexec_b64 s[0:1], s[0:1]
	s_cbranch_execz .LBB82_78
; %bb.77:
	s_waitcnt vmcnt(34)
	v_pk_mov_b32 v[56:57], v[6:7], v[0:1] op_sel:[1,0]
	ds_write2_b32 v17, v56, v57 offset0:5 offset1:6
	s_waitcnt vmcnt(32)
	v_pk_mov_b32 v[56:57], v[0:1], v[28:29] op_sel:[1,0]
	ds_write2_b32 v17, v56, v57 offset0:7 offset1:8
	;; [unrolled: 3-line block ×17, first 2 shown]
	s_waitcnt vmcnt(0)
	v_pk_mov_b32 v[56:57], v[38:39], v[44:45] op_sel:[1,0]
	v_mov_b32_e32 v53, 4
	ds_write2_b32 v17, v56, v57 offset0:39 offset1:40
	ds_write_b32 v17, v45 offset:164
.LBB82_78:
	s_or_b64 exec, exec, s[0:1]
	v_cmp_lt_i32_e32 vcc, 4, v53
	s_waitcnt lgkmcnt(0)
	s_barrier
	s_and_saveexec_b64 s[0:1], vcc
	s_cbranch_execz .LBB82_80
; %bb.79:
	ds_read_b32 v50, v17 offset:20
	ds_read2_b32 v[56:57], v17 offset0:6 offset1:7
	ds_read2_b32 v[58:59], v17 offset0:8 offset1:9
	v_mul_f32_e32 v6, v54, v6
	ds_read2_b32 v[54:55], v17 offset0:10 offset1:11
	s_waitcnt vmcnt(36) lgkmcnt(3)
	v_fma_f32 v7, -v6, v50, v7
	s_waitcnt vmcnt(34) lgkmcnt(2)
	v_pk_fma_f32 v[0:1], v[6:7], v[56:57], v[0:1] op_sel_hi:[0,1,1] neg_lo:[1,0,0] neg_hi:[1,0,0]
	s_waitcnt vmcnt(32) lgkmcnt(1)
	v_pk_fma_f32 v[28:29], v[6:7], v[58:59], v[28:29] op_sel_hi:[0,1,1] neg_lo:[1,0,0] neg_hi:[1,0,0]
	ds_read2_b32 v[56:57], v17 offset0:12 offset1:13
	ds_read2_b32 v[58:59], v17 offset0:14 offset1:15
	;; [unrolled: 1-line block ×3, first 2 shown]
	s_waitcnt vmcnt(30) lgkmcnt(3)
	v_pk_fma_f32 v[22:23], v[6:7], v[54:55], v[22:23] op_sel_hi:[0,1,1] neg_lo:[1,0,0] neg_hi:[1,0,0]
	ds_read2_b32 v[54:55], v17 offset0:18 offset1:19
	s_waitcnt vmcnt(28) lgkmcnt(3)
	v_pk_fma_f32 v[12:13], v[6:7], v[56:57], v[12:13] op_sel_hi:[0,1,1] neg_lo:[1,0,0] neg_hi:[1,0,0]
	s_waitcnt vmcnt(26) lgkmcnt(2)
	v_pk_fma_f32 v[8:9], v[6:7], v[58:59], v[8:9] op_sel_hi:[0,1,1] neg_lo:[1,0,0] neg_hi:[1,0,0]
	;; [unrolled: 2-line block ×3, first 2 shown]
	ds_read2_b32 v[56:57], v17 offset0:20 offset1:21
	ds_read2_b32 v[58:59], v17 offset0:22 offset1:23
	;; [unrolled: 1-line block ×3, first 2 shown]
	s_waitcnt vmcnt(22) lgkmcnt(3)
	v_pk_fma_f32 v[30:31], v[6:7], v[54:55], v[30:31] op_sel_hi:[0,1,1] neg_lo:[1,0,0] neg_hi:[1,0,0]
	ds_read2_b32 v[54:55], v17 offset0:26 offset1:27
	s_waitcnt vmcnt(20) lgkmcnt(3)
	v_pk_fma_f32 v[24:25], v[6:7], v[56:57], v[24:25] op_sel_hi:[0,1,1] neg_lo:[1,0,0] neg_hi:[1,0,0]
	s_waitcnt vmcnt(18) lgkmcnt(2)
	v_pk_fma_f32 v[14:15], v[6:7], v[58:59], v[14:15] op_sel_hi:[0,1,1] neg_lo:[1,0,0] neg_hi:[1,0,0]
	ds_read2_b32 v[56:57], v17 offset0:28 offset1:29
	ds_read2_b32 v[58:59], v17 offset0:30 offset1:31
	s_waitcnt vmcnt(16) lgkmcnt(3)
	v_pk_fma_f32 v[42:43], v[6:7], v[60:61], v[42:43] op_sel_hi:[0,1,1] neg_lo:[1,0,0] neg_hi:[1,0,0]
	s_waitcnt vmcnt(14) lgkmcnt(2)
	v_pk_fma_f32 v[36:37], v[6:7], v[54:55], v[36:37] op_sel_hi:[0,1,1] neg_lo:[1,0,0] neg_hi:[1,0,0]
	ds_read2_b32 v[54:55], v17 offset0:32 offset1:33
	;; [unrolled: 6-line block ×3, first 2 shown]
	ds_read2_b32 v[58:59], v17 offset0:38 offset1:39
	ds_read2_b32 v[62:63], v17 offset0:40 offset1:41
	s_waitcnt vmcnt(8) lgkmcnt(4)
	v_pk_fma_f32 v[48:49], v[6:7], v[54:55], v[48:49] op_sel_hi:[0,1,1] neg_lo:[1,0,0] neg_hi:[1,0,0]
	s_waitcnt vmcnt(6) lgkmcnt(3)
	v_pk_fma_f32 v[46:47], v[6:7], v[60:61], v[46:47] op_sel_hi:[0,1,1] neg_lo:[1,0,0] neg_hi:[1,0,0]
	;; [unrolled: 2-line block ×5, first 2 shown]
.LBB82_80:
	s_or_b64 exec, exec, s[0:1]
	v_lshl_add_u32 v50, v53, 2, v17
	s_barrier
	s_waitcnt vmcnt(36)
	ds_write_b32 v50, v7
	s_waitcnt lgkmcnt(0)
	s_barrier
	ds_read_b32 v54, v17 offset:20
	s_cmp_lt_i32 s22, 7
	v_mov_b32_e32 v50, 5
	s_cbranch_scc1 .LBB82_83
; %bb.81:
	v_add3_u32 v55, v52, 0, 24
	v_mov_b32_e32 v50, 5
	s_mov_b32 s0, 6
.LBB82_82:                              ; =>This Inner Loop Header: Depth=1
	ds_read_b32 v56, v55
	v_mov_b32_e32 v57, s0
	s_add_i32 s0, s0, 1
	v_add_u32_e32 v55, 4, v55
	s_cmp_lg_u32 s22, s0
	s_waitcnt lgkmcnt(0)
	v_cmp_lt_f32_e64 vcc, |v54|, |v56|
	s_nop 1
	v_cndmask_b32_e32 v54, v54, v56, vcc
	v_cndmask_b32_e32 v50, v50, v57, vcc
	s_cbranch_scc1 .LBB82_82
.LBB82_83:
	s_waitcnt lgkmcnt(0)
	v_cmp_eq_f32_e32 vcc, 0, v54
	s_and_saveexec_b64 s[0:1], vcc
	s_xor_b64 s[0:1], exec, s[0:1]
; %bb.84:
	v_cmp_ne_u32_e32 vcc, 0, v19
	s_nop 1
	v_cndmask_b32_e32 v19, 6, v19, vcc
; %bb.85:
	s_andn2_saveexec_b64 s[0:1], s[0:1]
	s_cbranch_execz .LBB82_87
; %bb.86:
	v_div_scale_f32 v55, s[2:3], v54, v54, 1.0
	v_rcp_f32_e32 v56, v55
	v_div_scale_f32 v57, vcc, 1.0, v54, 1.0
	v_fma_f32 v58, -v55, v56, 1.0
	v_fmac_f32_e32 v56, v58, v56
	v_mul_f32_e32 v58, v57, v56
	v_fma_f32 v59, -v55, v58, v57
	v_fmac_f32_e32 v58, v59, v56
	v_fma_f32 v55, -v55, v58, v57
	v_div_fmas_f32 v55, v55, v56, v58
	v_div_fixup_f32 v54, v55, v54, 1.0
.LBB82_87:
	s_or_b64 exec, exec, s[0:1]
	v_cmp_ne_u32_e32 vcc, v53, v50
	s_and_saveexec_b64 s[0:1], vcc
	s_xor_b64 s[0:1], exec, s[0:1]
	s_cbranch_execz .LBB82_93
; %bb.88:
	v_cmp_eq_u32_e32 vcc, 5, v53
	s_and_saveexec_b64 s[2:3], vcc
	s_cbranch_execz .LBB82_92
; %bb.89:
	v_cmp_ne_u32_e32 vcc, 5, v50
	s_xor_b64 s[18:19], s[16:17], -1
	s_and_b64 s[20:21], s[18:19], vcc
	s_and_saveexec_b64 s[18:19], s[20:21]
	s_cbranch_execz .LBB82_91
; %bb.90:
	v_ashrrev_i32_e32 v51, 31, v50
	v_lshl_add_u64 v[56:57], v[50:51], 2, v[20:21]
	global_load_dword v51, v[56:57], off
	global_load_dword v53, v[20:21], off offset:20
	s_waitcnt vmcnt(1)
	global_store_dword v[20:21], v51, off offset:20
	s_waitcnt vmcnt(1)
	global_store_dword v[56:57], v53, off
.LBB82_91:
	s_or_b64 exec, exec, s[18:19]
	v_mov_b32_e32 v51, v50
	v_mov_b32_e32 v53, v50
.LBB82_92:
	s_or_b64 exec, exec, s[2:3]
.LBB82_93:
	s_andn2_saveexec_b64 s[0:1], s[0:1]
	s_cbranch_execz .LBB82_95
; %bb.94:
	v_mov_b32_e32 v53, 5
	s_waitcnt vmcnt(34)
	ds_write2_b32 v17, v0, v1 offset0:6 offset1:7
	s_waitcnt vmcnt(32)
	ds_write2_b32 v17, v28, v29 offset0:8 offset1:9
	;; [unrolled: 2-line block ×18, first 2 shown]
.LBB82_95:
	s_or_b64 exec, exec, s[0:1]
	v_cmp_lt_i32_e32 vcc, 5, v53
	s_waitcnt lgkmcnt(0)
	s_barrier
	s_and_saveexec_b64 s[0:1], vcc
	s_cbranch_execz .LBB82_97
; %bb.96:
	ds_read2_b32 v[56:57], v17 offset0:6 offset1:7
	ds_read2_b32 v[58:59], v17 offset0:8 offset1:9
	;; [unrolled: 1-line block ×3, first 2 shown]
	v_mul_f32_e32 v50, v54, v7
	ds_read2_b32 v[54:55], v17 offset0:12 offset1:13
	s_waitcnt vmcnt(34) lgkmcnt(3)
	v_pk_fma_f32 v[0:1], v[50:51], v[56:57], v[0:1] op_sel_hi:[0,1,1] neg_lo:[1,0,0] neg_hi:[1,0,0]
	s_waitcnt vmcnt(32) lgkmcnt(2)
	v_pk_fma_f32 v[28:29], v[50:51], v[58:59], v[28:29] op_sel_hi:[0,1,1] neg_lo:[1,0,0] neg_hi:[1,0,0]
	;; [unrolled: 2-line block ×3, first 2 shown]
	ds_read2_b32 v[56:57], v17 offset0:14 offset1:15
	ds_read2_b32 v[58:59], v17 offset0:16 offset1:17
	;; [unrolled: 1-line block ×3, first 2 shown]
	s_waitcnt vmcnt(28) lgkmcnt(3)
	v_pk_fma_f32 v[12:13], v[50:51], v[54:55], v[12:13] op_sel_hi:[0,1,1] neg_lo:[1,0,0] neg_hi:[1,0,0]
	ds_read2_b32 v[54:55], v17 offset0:20 offset1:21
	s_waitcnt vmcnt(26) lgkmcnt(3)
	v_pk_fma_f32 v[8:9], v[50:51], v[56:57], v[8:9] op_sel_hi:[0,1,1] neg_lo:[1,0,0] neg_hi:[1,0,0]
	s_waitcnt vmcnt(24) lgkmcnt(2)
	v_pk_fma_f32 v[34:35], v[50:51], v[58:59], v[34:35] op_sel_hi:[0,1,1] neg_lo:[1,0,0] neg_hi:[1,0,0]
	;; [unrolled: 2-line block ×3, first 2 shown]
	ds_read2_b32 v[56:57], v17 offset0:22 offset1:23
	ds_read2_b32 v[58:59], v17 offset0:24 offset1:25
	;; [unrolled: 1-line block ×3, first 2 shown]
	s_waitcnt vmcnt(20) lgkmcnt(3)
	v_pk_fma_f32 v[24:25], v[50:51], v[54:55], v[24:25] op_sel_hi:[0,1,1] neg_lo:[1,0,0] neg_hi:[1,0,0]
	ds_read2_b32 v[54:55], v17 offset0:28 offset1:29
	s_waitcnt vmcnt(18) lgkmcnt(3)
	v_pk_fma_f32 v[14:15], v[50:51], v[56:57], v[14:15] op_sel_hi:[0,1,1] neg_lo:[1,0,0] neg_hi:[1,0,0]
	ds_read2_b32 v[56:57], v17 offset0:30 offset1:31
	s_waitcnt vmcnt(16) lgkmcnt(3)
	v_pk_fma_f32 v[42:43], v[50:51], v[58:59], v[42:43] op_sel_hi:[0,1,1] neg_lo:[1,0,0] neg_hi:[1,0,0]
	s_waitcnt vmcnt(14) lgkmcnt(2)
	v_pk_fma_f32 v[36:37], v[50:51], v[60:61], v[36:37] op_sel_hi:[0,1,1] neg_lo:[1,0,0] neg_hi:[1,0,0]
	;; [unrolled: 2-line block ×3, first 2 shown]
	ds_read2_b32 v[54:55], v17 offset0:32 offset1:33
	ds_read2_b32 v[58:59], v17 offset0:34 offset1:35
	ds_read2_b32 v[60:61], v17 offset0:36 offset1:37
	s_waitcnt vmcnt(10) lgkmcnt(3)
	v_pk_fma_f32 v[26:27], v[50:51], v[56:57], v[26:27] op_sel_hi:[0,1,1] neg_lo:[1,0,0] neg_hi:[1,0,0]
	ds_read2_b32 v[56:57], v17 offset0:38 offset1:39
	ds_read2_b32 v[62:63], v17 offset0:40 offset1:41
	s_waitcnt vmcnt(8) lgkmcnt(4)
	v_pk_fma_f32 v[48:49], v[50:51], v[54:55], v[48:49] op_sel_hi:[0,1,1] neg_lo:[1,0,0] neg_hi:[1,0,0]
	s_waitcnt vmcnt(6) lgkmcnt(3)
	v_pk_fma_f32 v[46:47], v[50:51], v[58:59], v[46:47] op_sel_hi:[0,1,1] neg_lo:[1,0,0] neg_hi:[1,0,0]
	;; [unrolled: 2-line block ×5, first 2 shown]
	v_mov_b32_e32 v7, v50
.LBB82_97:
	s_or_b64 exec, exec, s[0:1]
	v_lshl_add_u32 v50, v53, 2, v17
	s_barrier
	s_waitcnt vmcnt(35)
	ds_write_b32 v50, v0
	s_waitcnt lgkmcnt(0)
	s_barrier
	ds_read_b32 v54, v17 offset:24
	s_cmp_lt_i32 s22, 8
	v_mov_b32_e32 v50, 6
	s_cbranch_scc1 .LBB82_100
; %bb.98:
	v_add3_u32 v55, v52, 0, 28
	v_mov_b32_e32 v50, 6
	s_mov_b32 s0, 7
.LBB82_99:                              ; =>This Inner Loop Header: Depth=1
	ds_read_b32 v56, v55
	v_mov_b32_e32 v57, s0
	s_add_i32 s0, s0, 1
	v_add_u32_e32 v55, 4, v55
	s_cmp_lg_u32 s22, s0
	s_waitcnt lgkmcnt(0)
	v_cmp_lt_f32_e64 vcc, |v54|, |v56|
	s_nop 1
	v_cndmask_b32_e32 v54, v54, v56, vcc
	v_cndmask_b32_e32 v50, v50, v57, vcc
	s_cbranch_scc1 .LBB82_99
.LBB82_100:
	s_waitcnt lgkmcnt(0)
	v_cmp_eq_f32_e32 vcc, 0, v54
	s_and_saveexec_b64 s[0:1], vcc
	s_xor_b64 s[0:1], exec, s[0:1]
; %bb.101:
	v_cmp_ne_u32_e32 vcc, 0, v19
	s_nop 1
	v_cndmask_b32_e32 v19, 7, v19, vcc
; %bb.102:
	s_andn2_saveexec_b64 s[0:1], s[0:1]
	s_cbranch_execz .LBB82_104
; %bb.103:
	v_div_scale_f32 v55, s[2:3], v54, v54, 1.0
	v_rcp_f32_e32 v56, v55
	v_div_scale_f32 v57, vcc, 1.0, v54, 1.0
	v_fma_f32 v58, -v55, v56, 1.0
	v_fmac_f32_e32 v56, v58, v56
	v_mul_f32_e32 v58, v57, v56
	v_fma_f32 v59, -v55, v58, v57
	v_fmac_f32_e32 v58, v59, v56
	v_fma_f32 v55, -v55, v58, v57
	v_div_fmas_f32 v55, v55, v56, v58
	v_div_fixup_f32 v54, v55, v54, 1.0
.LBB82_104:
	s_or_b64 exec, exec, s[0:1]
	v_cmp_ne_u32_e32 vcc, v53, v50
	s_and_saveexec_b64 s[0:1], vcc
	s_xor_b64 s[0:1], exec, s[0:1]
	s_cbranch_execz .LBB82_110
; %bb.105:
	v_cmp_eq_u32_e32 vcc, 6, v53
	s_and_saveexec_b64 s[2:3], vcc
	s_cbranch_execz .LBB82_109
; %bb.106:
	v_cmp_ne_u32_e32 vcc, 6, v50
	s_xor_b64 s[18:19], s[16:17], -1
	s_and_b64 s[20:21], s[18:19], vcc
	s_and_saveexec_b64 s[18:19], s[20:21]
	s_cbranch_execz .LBB82_108
; %bb.107:
	v_ashrrev_i32_e32 v51, 31, v50
	v_lshl_add_u64 v[56:57], v[50:51], 2, v[20:21]
	global_load_dword v51, v[56:57], off
	global_load_dword v53, v[20:21], off offset:24
	s_waitcnt vmcnt(1)
	global_store_dword v[20:21], v51, off offset:24
	s_waitcnt vmcnt(1)
	global_store_dword v[56:57], v53, off
.LBB82_108:
	s_or_b64 exec, exec, s[18:19]
	v_mov_b32_e32 v51, v50
	v_mov_b32_e32 v53, v50
.LBB82_109:
	s_or_b64 exec, exec, s[2:3]
.LBB82_110:
	s_andn2_saveexec_b64 s[0:1], s[0:1]
	s_cbranch_execz .LBB82_112
; %bb.111:
	s_waitcnt vmcnt(32)
	v_pk_mov_b32 v[56:57], v[0:1], v[28:29] op_sel:[1,0]
	ds_write2_b32 v17, v56, v57 offset0:7 offset1:8
	s_waitcnt vmcnt(30)
	v_pk_mov_b32 v[56:57], v[28:29], v[22:23] op_sel:[1,0]
	ds_write2_b32 v17, v56, v57 offset0:9 offset1:10
	;; [unrolled: 3-line block ×16, first 2 shown]
	s_waitcnt vmcnt(0)
	v_pk_mov_b32 v[56:57], v[38:39], v[44:45] op_sel:[1,0]
	v_mov_b32_e32 v53, 6
	ds_write2_b32 v17, v56, v57 offset0:39 offset1:40
	ds_write_b32 v17, v45 offset:164
.LBB82_112:
	s_or_b64 exec, exec, s[0:1]
	v_cmp_lt_i32_e32 vcc, 6, v53
	s_waitcnt lgkmcnt(0)
	s_barrier
	s_and_saveexec_b64 s[0:1], vcc
	s_cbranch_execz .LBB82_114
; %bb.113:
	ds_read_b32 v50, v17 offset:28
	ds_read2_b32 v[56:57], v17 offset0:8 offset1:9
	ds_read2_b32 v[58:59], v17 offset0:10 offset1:11
	v_mul_f32_e32 v0, v54, v0
	ds_read2_b32 v[54:55], v17 offset0:12 offset1:13
	s_waitcnt vmcnt(34) lgkmcnt(3)
	v_fma_f32 v1, -v0, v50, v1
	s_waitcnt vmcnt(32) lgkmcnt(2)
	v_pk_fma_f32 v[28:29], v[0:1], v[56:57], v[28:29] op_sel_hi:[0,1,1] neg_lo:[1,0,0] neg_hi:[1,0,0]
	s_waitcnt vmcnt(30) lgkmcnt(1)
	v_pk_fma_f32 v[22:23], v[0:1], v[58:59], v[22:23] op_sel_hi:[0,1,1] neg_lo:[1,0,0] neg_hi:[1,0,0]
	ds_read2_b32 v[56:57], v17 offset0:14 offset1:15
	ds_read2_b32 v[58:59], v17 offset0:16 offset1:17
	;; [unrolled: 1-line block ×3, first 2 shown]
	s_waitcnt vmcnt(28) lgkmcnt(3)
	v_pk_fma_f32 v[12:13], v[0:1], v[54:55], v[12:13] op_sel_hi:[0,1,1] neg_lo:[1,0,0] neg_hi:[1,0,0]
	ds_read2_b32 v[54:55], v17 offset0:20 offset1:21
	s_waitcnt vmcnt(26) lgkmcnt(3)
	v_pk_fma_f32 v[8:9], v[0:1], v[56:57], v[8:9] op_sel_hi:[0,1,1] neg_lo:[1,0,0] neg_hi:[1,0,0]
	s_waitcnt vmcnt(24) lgkmcnt(2)
	v_pk_fma_f32 v[34:35], v[0:1], v[58:59], v[34:35] op_sel_hi:[0,1,1] neg_lo:[1,0,0] neg_hi:[1,0,0]
	;; [unrolled: 2-line block ×3, first 2 shown]
	ds_read2_b32 v[56:57], v17 offset0:22 offset1:23
	ds_read2_b32 v[58:59], v17 offset0:24 offset1:25
	;; [unrolled: 1-line block ×3, first 2 shown]
	s_waitcnt vmcnt(20) lgkmcnt(3)
	v_pk_fma_f32 v[24:25], v[0:1], v[54:55], v[24:25] op_sel_hi:[0,1,1] neg_lo:[1,0,0] neg_hi:[1,0,0]
	ds_read2_b32 v[54:55], v17 offset0:28 offset1:29
	s_waitcnt vmcnt(18) lgkmcnt(3)
	v_pk_fma_f32 v[14:15], v[0:1], v[56:57], v[14:15] op_sel_hi:[0,1,1] neg_lo:[1,0,0] neg_hi:[1,0,0]
	ds_read2_b32 v[56:57], v17 offset0:30 offset1:31
	s_waitcnt vmcnt(16) lgkmcnt(3)
	v_pk_fma_f32 v[42:43], v[0:1], v[58:59], v[42:43] op_sel_hi:[0,1,1] neg_lo:[1,0,0] neg_hi:[1,0,0]
	s_waitcnt vmcnt(14) lgkmcnt(2)
	v_pk_fma_f32 v[36:37], v[0:1], v[60:61], v[36:37] op_sel_hi:[0,1,1] neg_lo:[1,0,0] neg_hi:[1,0,0]
	;; [unrolled: 2-line block ×3, first 2 shown]
	ds_read2_b32 v[54:55], v17 offset0:32 offset1:33
	ds_read2_b32 v[58:59], v17 offset0:34 offset1:35
	;; [unrolled: 1-line block ×3, first 2 shown]
	s_waitcnt vmcnt(10) lgkmcnt(3)
	v_pk_fma_f32 v[26:27], v[0:1], v[56:57], v[26:27] op_sel_hi:[0,1,1] neg_lo:[1,0,0] neg_hi:[1,0,0]
	ds_read2_b32 v[56:57], v17 offset0:38 offset1:39
	ds_read2_b32 v[62:63], v17 offset0:40 offset1:41
	s_waitcnt vmcnt(8) lgkmcnt(4)
	v_pk_fma_f32 v[48:49], v[0:1], v[54:55], v[48:49] op_sel_hi:[0,1,1] neg_lo:[1,0,0] neg_hi:[1,0,0]
	s_waitcnt vmcnt(6) lgkmcnt(3)
	v_pk_fma_f32 v[46:47], v[0:1], v[58:59], v[46:47] op_sel_hi:[0,1,1] neg_lo:[1,0,0] neg_hi:[1,0,0]
	s_waitcnt vmcnt(4) lgkmcnt(2)
	v_pk_fma_f32 v[40:41], v[0:1], v[60:61], v[40:41] op_sel_hi:[0,1,1] neg_lo:[1,0,0] neg_hi:[1,0,0]
	s_waitcnt vmcnt(2) lgkmcnt(1)
	v_pk_fma_f32 v[38:39], v[0:1], v[56:57], v[38:39] op_sel_hi:[0,1,1] neg_lo:[1,0,0] neg_hi:[1,0,0]
	s_waitcnt vmcnt(0) lgkmcnt(0)
	v_pk_fma_f32 v[44:45], v[0:1], v[62:63], v[44:45] op_sel_hi:[0,1,1] neg_lo:[1,0,0] neg_hi:[1,0,0]
.LBB82_114:
	s_or_b64 exec, exec, s[0:1]
	v_lshl_add_u32 v50, v53, 2, v17
	s_barrier
	s_waitcnt vmcnt(34)
	ds_write_b32 v50, v1
	s_waitcnt lgkmcnt(0)
	s_barrier
	ds_read_b32 v54, v17 offset:28
	s_cmp_lt_i32 s22, 9
	v_mov_b32_e32 v50, 7
	s_cbranch_scc1 .LBB82_117
; %bb.115:
	v_add3_u32 v55, v52, 0, 32
	v_mov_b32_e32 v50, 7
	s_mov_b32 s0, 8
.LBB82_116:                             ; =>This Inner Loop Header: Depth=1
	ds_read_b32 v56, v55
	v_mov_b32_e32 v57, s0
	s_add_i32 s0, s0, 1
	v_add_u32_e32 v55, 4, v55
	s_cmp_lg_u32 s22, s0
	s_waitcnt lgkmcnt(0)
	v_cmp_lt_f32_e64 vcc, |v54|, |v56|
	s_nop 1
	v_cndmask_b32_e32 v54, v54, v56, vcc
	v_cndmask_b32_e32 v50, v50, v57, vcc
	s_cbranch_scc1 .LBB82_116
.LBB82_117:
	s_waitcnt lgkmcnt(0)
	v_cmp_eq_f32_e32 vcc, 0, v54
	s_and_saveexec_b64 s[0:1], vcc
	s_xor_b64 s[0:1], exec, s[0:1]
; %bb.118:
	v_cmp_ne_u32_e32 vcc, 0, v19
	s_nop 1
	v_cndmask_b32_e32 v19, 8, v19, vcc
; %bb.119:
	s_andn2_saveexec_b64 s[0:1], s[0:1]
	s_cbranch_execz .LBB82_121
; %bb.120:
	v_div_scale_f32 v55, s[2:3], v54, v54, 1.0
	v_rcp_f32_e32 v56, v55
	v_div_scale_f32 v57, vcc, 1.0, v54, 1.0
	v_fma_f32 v58, -v55, v56, 1.0
	v_fmac_f32_e32 v56, v58, v56
	v_mul_f32_e32 v58, v57, v56
	v_fma_f32 v59, -v55, v58, v57
	v_fmac_f32_e32 v58, v59, v56
	v_fma_f32 v55, -v55, v58, v57
	v_div_fmas_f32 v55, v55, v56, v58
	v_div_fixup_f32 v54, v55, v54, 1.0
.LBB82_121:
	s_or_b64 exec, exec, s[0:1]
	v_cmp_ne_u32_e32 vcc, v53, v50
	s_and_saveexec_b64 s[0:1], vcc
	s_xor_b64 s[0:1], exec, s[0:1]
	s_cbranch_execz .LBB82_127
; %bb.122:
	v_cmp_eq_u32_e32 vcc, 7, v53
	s_and_saveexec_b64 s[2:3], vcc
	s_cbranch_execz .LBB82_126
; %bb.123:
	v_cmp_ne_u32_e32 vcc, 7, v50
	s_xor_b64 s[18:19], s[16:17], -1
	s_and_b64 s[20:21], s[18:19], vcc
	s_and_saveexec_b64 s[18:19], s[20:21]
	s_cbranch_execz .LBB82_125
; %bb.124:
	v_ashrrev_i32_e32 v51, 31, v50
	v_lshl_add_u64 v[56:57], v[50:51], 2, v[20:21]
	global_load_dword v51, v[56:57], off
	global_load_dword v53, v[20:21], off offset:28
	s_waitcnt vmcnt(1)
	global_store_dword v[20:21], v51, off offset:28
	s_waitcnt vmcnt(1)
	global_store_dword v[56:57], v53, off
.LBB82_125:
	s_or_b64 exec, exec, s[18:19]
	v_mov_b32_e32 v51, v50
	v_mov_b32_e32 v53, v50
.LBB82_126:
	s_or_b64 exec, exec, s[2:3]
.LBB82_127:
	s_andn2_saveexec_b64 s[0:1], s[0:1]
	s_cbranch_execz .LBB82_129
; %bb.128:
	v_mov_b32_e32 v53, 7
	s_waitcnt vmcnt(32)
	ds_write2_b32 v17, v28, v29 offset0:8 offset1:9
	s_waitcnt vmcnt(30)
	ds_write2_b32 v17, v22, v23 offset0:10 offset1:11
	;; [unrolled: 2-line block ×17, first 2 shown]
.LBB82_129:
	s_or_b64 exec, exec, s[0:1]
	v_cmp_lt_i32_e32 vcc, 7, v53
	s_waitcnt lgkmcnt(0)
	s_barrier
	s_and_saveexec_b64 s[0:1], vcc
	s_cbranch_execz .LBB82_131
; %bb.130:
	ds_read2_b32 v[56:57], v17 offset0:8 offset1:9
	ds_read2_b32 v[58:59], v17 offset0:10 offset1:11
	;; [unrolled: 1-line block ×3, first 2 shown]
	v_mul_f32_e32 v50, v54, v1
	ds_read2_b32 v[54:55], v17 offset0:14 offset1:15
	s_waitcnt vmcnt(32) lgkmcnt(3)
	v_pk_fma_f32 v[28:29], v[50:51], v[56:57], v[28:29] op_sel_hi:[0,1,1] neg_lo:[1,0,0] neg_hi:[1,0,0]
	s_waitcnt vmcnt(30) lgkmcnt(2)
	v_pk_fma_f32 v[22:23], v[50:51], v[58:59], v[22:23] op_sel_hi:[0,1,1] neg_lo:[1,0,0] neg_hi:[1,0,0]
	;; [unrolled: 2-line block ×3, first 2 shown]
	ds_read2_b32 v[56:57], v17 offset0:16 offset1:17
	ds_read2_b32 v[58:59], v17 offset0:18 offset1:19
	;; [unrolled: 1-line block ×3, first 2 shown]
	s_waitcnt vmcnt(26) lgkmcnt(3)
	v_pk_fma_f32 v[8:9], v[50:51], v[54:55], v[8:9] op_sel_hi:[0,1,1] neg_lo:[1,0,0] neg_hi:[1,0,0]
	ds_read2_b32 v[54:55], v17 offset0:22 offset1:23
	s_waitcnt vmcnt(24) lgkmcnt(3)
	v_pk_fma_f32 v[34:35], v[50:51], v[56:57], v[34:35] op_sel_hi:[0,1,1] neg_lo:[1,0,0] neg_hi:[1,0,0]
	s_waitcnt vmcnt(22) lgkmcnt(2)
	v_pk_fma_f32 v[30:31], v[50:51], v[58:59], v[30:31] op_sel_hi:[0,1,1] neg_lo:[1,0,0] neg_hi:[1,0,0]
	;; [unrolled: 2-line block ×3, first 2 shown]
	ds_read2_b32 v[56:57], v17 offset0:24 offset1:25
	ds_read2_b32 v[58:59], v17 offset0:26 offset1:27
	;; [unrolled: 1-line block ×4, first 2 shown]
	s_waitcnt vmcnt(18) lgkmcnt(4)
	v_pk_fma_f32 v[14:15], v[50:51], v[54:55], v[14:15] op_sel_hi:[0,1,1] neg_lo:[1,0,0] neg_hi:[1,0,0]
	s_waitcnt vmcnt(16) lgkmcnt(3)
	v_pk_fma_f32 v[42:43], v[50:51], v[56:57], v[42:43] op_sel_hi:[0,1,1] neg_lo:[1,0,0] neg_hi:[1,0,0]
	;; [unrolled: 2-line block ×5, first 2 shown]
	ds_read2_b32 v[54:55], v17 offset0:32 offset1:33
	ds_read2_b32 v[56:57], v17 offset0:34 offset1:35
	;; [unrolled: 1-line block ×5, first 2 shown]
	s_waitcnt vmcnt(8) lgkmcnt(4)
	v_pk_fma_f32 v[48:49], v[50:51], v[54:55], v[48:49] op_sel_hi:[0,1,1] neg_lo:[1,0,0] neg_hi:[1,0,0]
	s_waitcnt vmcnt(6) lgkmcnt(3)
	v_pk_fma_f32 v[46:47], v[50:51], v[56:57], v[46:47] op_sel_hi:[0,1,1] neg_lo:[1,0,0] neg_hi:[1,0,0]
	s_waitcnt vmcnt(4) lgkmcnt(2)
	v_pk_fma_f32 v[40:41], v[50:51], v[58:59], v[40:41] op_sel_hi:[0,1,1] neg_lo:[1,0,0] neg_hi:[1,0,0]
	s_waitcnt vmcnt(2) lgkmcnt(1)
	v_pk_fma_f32 v[38:39], v[50:51], v[60:61], v[38:39] op_sel_hi:[0,1,1] neg_lo:[1,0,0] neg_hi:[1,0,0]
	s_waitcnt vmcnt(0) lgkmcnt(0)
	v_pk_fma_f32 v[44:45], v[50:51], v[62:63], v[44:45] op_sel_hi:[0,1,1] neg_lo:[1,0,0] neg_hi:[1,0,0]
	v_mov_b32_e32 v1, v50
.LBB82_131:
	s_or_b64 exec, exec, s[0:1]
	v_lshl_add_u32 v50, v53, 2, v17
	s_barrier
	s_waitcnt vmcnt(33)
	ds_write_b32 v50, v28
	s_waitcnt lgkmcnt(0)
	s_barrier
	ds_read_b32 v54, v17 offset:32
	s_cmp_lt_i32 s22, 10
	v_mov_b32_e32 v50, 8
	s_cbranch_scc1 .LBB82_134
; %bb.132:
	v_add3_u32 v55, v52, 0, 36
	v_mov_b32_e32 v50, 8
	s_mov_b32 s0, 9
.LBB82_133:                             ; =>This Inner Loop Header: Depth=1
	ds_read_b32 v56, v55
	v_mov_b32_e32 v57, s0
	s_add_i32 s0, s0, 1
	v_add_u32_e32 v55, 4, v55
	s_cmp_lg_u32 s22, s0
	s_waitcnt lgkmcnt(0)
	v_cmp_lt_f32_e64 vcc, |v54|, |v56|
	s_nop 1
	v_cndmask_b32_e32 v54, v54, v56, vcc
	v_cndmask_b32_e32 v50, v50, v57, vcc
	s_cbranch_scc1 .LBB82_133
.LBB82_134:
	s_waitcnt lgkmcnt(0)
	v_cmp_eq_f32_e32 vcc, 0, v54
	s_and_saveexec_b64 s[0:1], vcc
	s_xor_b64 s[0:1], exec, s[0:1]
; %bb.135:
	v_cmp_ne_u32_e32 vcc, 0, v19
	s_nop 1
	v_cndmask_b32_e32 v19, 9, v19, vcc
; %bb.136:
	s_andn2_saveexec_b64 s[0:1], s[0:1]
	s_cbranch_execz .LBB82_138
; %bb.137:
	v_div_scale_f32 v55, s[2:3], v54, v54, 1.0
	v_rcp_f32_e32 v56, v55
	v_div_scale_f32 v57, vcc, 1.0, v54, 1.0
	v_fma_f32 v58, -v55, v56, 1.0
	v_fmac_f32_e32 v56, v58, v56
	v_mul_f32_e32 v58, v57, v56
	v_fma_f32 v59, -v55, v58, v57
	v_fmac_f32_e32 v58, v59, v56
	v_fma_f32 v55, -v55, v58, v57
	v_div_fmas_f32 v55, v55, v56, v58
	v_div_fixup_f32 v54, v55, v54, 1.0
.LBB82_138:
	s_or_b64 exec, exec, s[0:1]
	v_cmp_ne_u32_e32 vcc, v53, v50
	s_and_saveexec_b64 s[0:1], vcc
	s_xor_b64 s[0:1], exec, s[0:1]
	s_cbranch_execz .LBB82_144
; %bb.139:
	v_cmp_eq_u32_e32 vcc, 8, v53
	s_and_saveexec_b64 s[2:3], vcc
	s_cbranch_execz .LBB82_143
; %bb.140:
	v_cmp_ne_u32_e32 vcc, 8, v50
	s_xor_b64 s[18:19], s[16:17], -1
	s_and_b64 s[20:21], s[18:19], vcc
	s_and_saveexec_b64 s[18:19], s[20:21]
	s_cbranch_execz .LBB82_142
; %bb.141:
	v_ashrrev_i32_e32 v51, 31, v50
	v_lshl_add_u64 v[56:57], v[50:51], 2, v[20:21]
	global_load_dword v51, v[56:57], off
	global_load_dword v53, v[20:21], off offset:32
	s_waitcnt vmcnt(1)
	global_store_dword v[20:21], v51, off offset:32
	s_waitcnt vmcnt(1)
	global_store_dword v[56:57], v53, off
.LBB82_142:
	s_or_b64 exec, exec, s[18:19]
	v_mov_b32_e32 v51, v50
	v_mov_b32_e32 v53, v50
.LBB82_143:
	s_or_b64 exec, exec, s[2:3]
.LBB82_144:
	s_andn2_saveexec_b64 s[0:1], s[0:1]
	s_cbranch_execz .LBB82_146
; %bb.145:
	s_waitcnt vmcnt(30)
	v_pk_mov_b32 v[56:57], v[28:29], v[22:23] op_sel:[1,0]
	ds_write2_b32 v17, v56, v57 offset0:9 offset1:10
	s_waitcnt vmcnt(28)
	v_pk_mov_b32 v[56:57], v[22:23], v[12:13] op_sel:[1,0]
	ds_write2_b32 v17, v56, v57 offset0:11 offset1:12
	;; [unrolled: 3-line block ×15, first 2 shown]
	s_waitcnt vmcnt(0)
	v_pk_mov_b32 v[56:57], v[38:39], v[44:45] op_sel:[1,0]
	v_mov_b32_e32 v53, 8
	ds_write2_b32 v17, v56, v57 offset0:39 offset1:40
	ds_write_b32 v17, v45 offset:164
.LBB82_146:
	s_or_b64 exec, exec, s[0:1]
	v_cmp_lt_i32_e32 vcc, 8, v53
	s_waitcnt lgkmcnt(0)
	s_barrier
	s_and_saveexec_b64 s[0:1], vcc
	s_cbranch_execz .LBB82_148
; %bb.147:
	ds_read_b32 v50, v17 offset:36
	ds_read2_b32 v[56:57], v17 offset0:10 offset1:11
	ds_read2_b32 v[58:59], v17 offset0:12 offset1:13
	v_mul_f32_e32 v28, v54, v28
	ds_read2_b32 v[54:55], v17 offset0:14 offset1:15
	s_waitcnt vmcnt(32) lgkmcnt(3)
	v_fma_f32 v29, -v28, v50, v29
	s_waitcnt vmcnt(30) lgkmcnt(2)
	v_pk_fma_f32 v[22:23], v[28:29], v[56:57], v[22:23] op_sel_hi:[0,1,1] neg_lo:[1,0,0] neg_hi:[1,0,0]
	s_waitcnt vmcnt(28) lgkmcnt(1)
	v_pk_fma_f32 v[12:13], v[28:29], v[58:59], v[12:13] op_sel_hi:[0,1,1] neg_lo:[1,0,0] neg_hi:[1,0,0]
	ds_read2_b32 v[56:57], v17 offset0:16 offset1:17
	ds_read2_b32 v[58:59], v17 offset0:18 offset1:19
	;; [unrolled: 1-line block ×3, first 2 shown]
	s_waitcnt vmcnt(26) lgkmcnt(3)
	v_pk_fma_f32 v[8:9], v[28:29], v[54:55], v[8:9] op_sel_hi:[0,1,1] neg_lo:[1,0,0] neg_hi:[1,0,0]
	ds_read2_b32 v[54:55], v17 offset0:22 offset1:23
	s_waitcnt vmcnt(24) lgkmcnt(3)
	v_pk_fma_f32 v[34:35], v[28:29], v[56:57], v[34:35] op_sel_hi:[0,1,1] neg_lo:[1,0,0] neg_hi:[1,0,0]
	s_waitcnt vmcnt(22) lgkmcnt(2)
	v_pk_fma_f32 v[30:31], v[28:29], v[58:59], v[30:31] op_sel_hi:[0,1,1] neg_lo:[1,0,0] neg_hi:[1,0,0]
	;; [unrolled: 2-line block ×3, first 2 shown]
	ds_read2_b32 v[56:57], v17 offset0:24 offset1:25
	ds_read2_b32 v[58:59], v17 offset0:26 offset1:27
	;; [unrolled: 1-line block ×4, first 2 shown]
	s_waitcnt vmcnt(18) lgkmcnt(4)
	v_pk_fma_f32 v[14:15], v[28:29], v[54:55], v[14:15] op_sel_hi:[0,1,1] neg_lo:[1,0,0] neg_hi:[1,0,0]
	s_waitcnt vmcnt(16) lgkmcnt(3)
	v_pk_fma_f32 v[42:43], v[28:29], v[56:57], v[42:43] op_sel_hi:[0,1,1] neg_lo:[1,0,0] neg_hi:[1,0,0]
	;; [unrolled: 2-line block ×5, first 2 shown]
	ds_read2_b32 v[54:55], v17 offset0:32 offset1:33
	ds_read2_b32 v[56:57], v17 offset0:34 offset1:35
	;; [unrolled: 1-line block ×5, first 2 shown]
	s_waitcnt vmcnt(8) lgkmcnt(4)
	v_pk_fma_f32 v[48:49], v[28:29], v[54:55], v[48:49] op_sel_hi:[0,1,1] neg_lo:[1,0,0] neg_hi:[1,0,0]
	s_waitcnt vmcnt(6) lgkmcnt(3)
	v_pk_fma_f32 v[46:47], v[28:29], v[56:57], v[46:47] op_sel_hi:[0,1,1] neg_lo:[1,0,0] neg_hi:[1,0,0]
	;; [unrolled: 2-line block ×5, first 2 shown]
.LBB82_148:
	s_or_b64 exec, exec, s[0:1]
	v_lshl_add_u32 v50, v53, 2, v17
	s_barrier
	s_waitcnt vmcnt(32)
	ds_write_b32 v50, v29
	s_waitcnt lgkmcnt(0)
	s_barrier
	ds_read_b32 v54, v17 offset:36
	s_cmp_lt_i32 s22, 11
	v_mov_b32_e32 v50, 9
	s_cbranch_scc1 .LBB82_151
; %bb.149:
	v_add3_u32 v55, v52, 0, 40
	v_mov_b32_e32 v50, 9
	s_mov_b32 s0, 10
.LBB82_150:                             ; =>This Inner Loop Header: Depth=1
	ds_read_b32 v56, v55
	v_mov_b32_e32 v57, s0
	s_add_i32 s0, s0, 1
	v_add_u32_e32 v55, 4, v55
	s_cmp_lg_u32 s22, s0
	s_waitcnt lgkmcnt(0)
	v_cmp_lt_f32_e64 vcc, |v54|, |v56|
	s_nop 1
	v_cndmask_b32_e32 v54, v54, v56, vcc
	v_cndmask_b32_e32 v50, v50, v57, vcc
	s_cbranch_scc1 .LBB82_150
.LBB82_151:
	s_waitcnt lgkmcnt(0)
	v_cmp_eq_f32_e32 vcc, 0, v54
	s_and_saveexec_b64 s[0:1], vcc
	s_xor_b64 s[0:1], exec, s[0:1]
; %bb.152:
	v_cmp_ne_u32_e32 vcc, 0, v19
	s_nop 1
	v_cndmask_b32_e32 v19, 10, v19, vcc
; %bb.153:
	s_andn2_saveexec_b64 s[0:1], s[0:1]
	s_cbranch_execz .LBB82_155
; %bb.154:
	v_div_scale_f32 v55, s[2:3], v54, v54, 1.0
	v_rcp_f32_e32 v56, v55
	v_div_scale_f32 v57, vcc, 1.0, v54, 1.0
	v_fma_f32 v58, -v55, v56, 1.0
	v_fmac_f32_e32 v56, v58, v56
	v_mul_f32_e32 v58, v57, v56
	v_fma_f32 v59, -v55, v58, v57
	v_fmac_f32_e32 v58, v59, v56
	v_fma_f32 v55, -v55, v58, v57
	v_div_fmas_f32 v55, v55, v56, v58
	v_div_fixup_f32 v54, v55, v54, 1.0
.LBB82_155:
	s_or_b64 exec, exec, s[0:1]
	v_cmp_ne_u32_e32 vcc, v53, v50
	s_and_saveexec_b64 s[0:1], vcc
	s_xor_b64 s[0:1], exec, s[0:1]
	s_cbranch_execz .LBB82_161
; %bb.156:
	v_cmp_eq_u32_e32 vcc, 9, v53
	s_and_saveexec_b64 s[2:3], vcc
	s_cbranch_execz .LBB82_160
; %bb.157:
	v_cmp_ne_u32_e32 vcc, 9, v50
	s_xor_b64 s[18:19], s[16:17], -1
	s_and_b64 s[20:21], s[18:19], vcc
	s_and_saveexec_b64 s[18:19], s[20:21]
	s_cbranch_execz .LBB82_159
; %bb.158:
	v_ashrrev_i32_e32 v51, 31, v50
	v_lshl_add_u64 v[56:57], v[50:51], 2, v[20:21]
	global_load_dword v51, v[56:57], off
	global_load_dword v53, v[20:21], off offset:36
	s_waitcnt vmcnt(1)
	global_store_dword v[20:21], v51, off offset:36
	s_waitcnt vmcnt(1)
	global_store_dword v[56:57], v53, off
.LBB82_159:
	s_or_b64 exec, exec, s[18:19]
	v_mov_b32_e32 v51, v50
	v_mov_b32_e32 v53, v50
.LBB82_160:
	s_or_b64 exec, exec, s[2:3]
.LBB82_161:
	s_andn2_saveexec_b64 s[0:1], s[0:1]
	s_cbranch_execz .LBB82_163
; %bb.162:
	v_mov_b32_e32 v53, 9
	s_waitcnt vmcnt(30)
	ds_write2_b32 v17, v22, v23 offset0:10 offset1:11
	s_waitcnt vmcnt(28)
	ds_write2_b32 v17, v12, v13 offset0:12 offset1:13
	;; [unrolled: 2-line block ×16, first 2 shown]
.LBB82_163:
	s_or_b64 exec, exec, s[0:1]
	v_cmp_lt_i32_e32 vcc, 9, v53
	s_waitcnt lgkmcnt(0)
	s_barrier
	s_and_saveexec_b64 s[0:1], vcc
	s_cbranch_execz .LBB82_165
; %bb.164:
	ds_read2_b32 v[56:57], v17 offset0:10 offset1:11
	ds_read2_b32 v[58:59], v17 offset0:12 offset1:13
	;; [unrolled: 1-line block ×3, first 2 shown]
	v_mul_f32_e32 v50, v54, v29
	ds_read2_b32 v[54:55], v17 offset0:16 offset1:17
	s_waitcnt vmcnt(30) lgkmcnt(3)
	v_pk_fma_f32 v[22:23], v[50:51], v[56:57], v[22:23] op_sel_hi:[0,1,1] neg_lo:[1,0,0] neg_hi:[1,0,0]
	s_waitcnt vmcnt(28) lgkmcnt(2)
	v_pk_fma_f32 v[12:13], v[50:51], v[58:59], v[12:13] op_sel_hi:[0,1,1] neg_lo:[1,0,0] neg_hi:[1,0,0]
	;; [unrolled: 2-line block ×3, first 2 shown]
	ds_read2_b32 v[56:57], v17 offset0:18 offset1:19
	ds_read2_b32 v[58:59], v17 offset0:20 offset1:21
	;; [unrolled: 1-line block ×3, first 2 shown]
	s_waitcnt vmcnt(24) lgkmcnt(3)
	v_pk_fma_f32 v[34:35], v[50:51], v[54:55], v[34:35] op_sel_hi:[0,1,1] neg_lo:[1,0,0] neg_hi:[1,0,0]
	ds_read2_b32 v[54:55], v17 offset0:24 offset1:25
	s_waitcnt vmcnt(22) lgkmcnt(3)
	v_pk_fma_f32 v[30:31], v[50:51], v[56:57], v[30:31] op_sel_hi:[0,1,1] neg_lo:[1,0,0] neg_hi:[1,0,0]
	s_waitcnt vmcnt(20) lgkmcnt(2)
	v_pk_fma_f32 v[24:25], v[50:51], v[58:59], v[24:25] op_sel_hi:[0,1,1] neg_lo:[1,0,0] neg_hi:[1,0,0]
	;; [unrolled: 2-line block ×3, first 2 shown]
	ds_read2_b32 v[56:57], v17 offset0:26 offset1:27
	ds_read2_b32 v[58:59], v17 offset0:28 offset1:29
	;; [unrolled: 1-line block ×3, first 2 shown]
	s_waitcnt vmcnt(16) lgkmcnt(3)
	v_pk_fma_f32 v[42:43], v[50:51], v[54:55], v[42:43] op_sel_hi:[0,1,1] neg_lo:[1,0,0] neg_hi:[1,0,0]
	ds_read2_b32 v[54:55], v17 offset0:32 offset1:33
	s_waitcnt vmcnt(14) lgkmcnt(3)
	v_pk_fma_f32 v[36:37], v[50:51], v[56:57], v[36:37] op_sel_hi:[0,1,1] neg_lo:[1,0,0] neg_hi:[1,0,0]
	s_waitcnt vmcnt(12) lgkmcnt(2)
	v_pk_fma_f32 v[32:33], v[50:51], v[58:59], v[32:33] op_sel_hi:[0,1,1] neg_lo:[1,0,0] neg_hi:[1,0,0]
	s_waitcnt vmcnt(10) lgkmcnt(1)
	v_pk_fma_f32 v[26:27], v[50:51], v[60:61], v[26:27] op_sel_hi:[0,1,1] neg_lo:[1,0,0] neg_hi:[1,0,0]
	ds_read2_b32 v[56:57], v17 offset0:34 offset1:35
	ds_read2_b32 v[58:59], v17 offset0:36 offset1:37
	;; [unrolled: 1-line block ×4, first 2 shown]
	s_waitcnt vmcnt(8) lgkmcnt(4)
	v_pk_fma_f32 v[48:49], v[50:51], v[54:55], v[48:49] op_sel_hi:[0,1,1] neg_lo:[1,0,0] neg_hi:[1,0,0]
	s_waitcnt vmcnt(6) lgkmcnt(3)
	v_pk_fma_f32 v[46:47], v[50:51], v[56:57], v[46:47] op_sel_hi:[0,1,1] neg_lo:[1,0,0] neg_hi:[1,0,0]
	;; [unrolled: 2-line block ×5, first 2 shown]
	v_mov_b32_e32 v29, v50
.LBB82_165:
	s_or_b64 exec, exec, s[0:1]
	v_lshl_add_u32 v50, v53, 2, v17
	s_barrier
	s_waitcnt vmcnt(31)
	ds_write_b32 v50, v22
	s_waitcnt lgkmcnt(0)
	s_barrier
	ds_read_b32 v54, v17 offset:40
	s_cmp_lt_i32 s22, 12
	v_mov_b32_e32 v50, 10
	s_cbranch_scc1 .LBB82_168
; %bb.166:
	v_add3_u32 v55, v52, 0, 44
	v_mov_b32_e32 v50, 10
	s_mov_b32 s0, 11
.LBB82_167:                             ; =>This Inner Loop Header: Depth=1
	ds_read_b32 v56, v55
	v_mov_b32_e32 v57, s0
	s_add_i32 s0, s0, 1
	v_add_u32_e32 v55, 4, v55
	s_cmp_lg_u32 s22, s0
	s_waitcnt lgkmcnt(0)
	v_cmp_lt_f32_e64 vcc, |v54|, |v56|
	s_nop 1
	v_cndmask_b32_e32 v54, v54, v56, vcc
	v_cndmask_b32_e32 v50, v50, v57, vcc
	s_cbranch_scc1 .LBB82_167
.LBB82_168:
	s_waitcnt lgkmcnt(0)
	v_cmp_eq_f32_e32 vcc, 0, v54
	s_and_saveexec_b64 s[0:1], vcc
	s_xor_b64 s[0:1], exec, s[0:1]
; %bb.169:
	v_cmp_ne_u32_e32 vcc, 0, v19
	s_nop 1
	v_cndmask_b32_e32 v19, 11, v19, vcc
; %bb.170:
	s_andn2_saveexec_b64 s[0:1], s[0:1]
	s_cbranch_execz .LBB82_172
; %bb.171:
	v_div_scale_f32 v55, s[2:3], v54, v54, 1.0
	v_rcp_f32_e32 v56, v55
	v_div_scale_f32 v57, vcc, 1.0, v54, 1.0
	v_fma_f32 v58, -v55, v56, 1.0
	v_fmac_f32_e32 v56, v58, v56
	v_mul_f32_e32 v58, v57, v56
	v_fma_f32 v59, -v55, v58, v57
	v_fmac_f32_e32 v58, v59, v56
	v_fma_f32 v55, -v55, v58, v57
	v_div_fmas_f32 v55, v55, v56, v58
	v_div_fixup_f32 v54, v55, v54, 1.0
.LBB82_172:
	s_or_b64 exec, exec, s[0:1]
	v_cmp_ne_u32_e32 vcc, v53, v50
	s_and_saveexec_b64 s[0:1], vcc
	s_xor_b64 s[0:1], exec, s[0:1]
	s_cbranch_execz .LBB82_178
; %bb.173:
	v_cmp_eq_u32_e32 vcc, 10, v53
	s_and_saveexec_b64 s[2:3], vcc
	s_cbranch_execz .LBB82_177
; %bb.174:
	v_cmp_ne_u32_e32 vcc, 10, v50
	s_xor_b64 s[18:19], s[16:17], -1
	s_and_b64 s[20:21], s[18:19], vcc
	s_and_saveexec_b64 s[18:19], s[20:21]
	s_cbranch_execz .LBB82_176
; %bb.175:
	v_ashrrev_i32_e32 v51, 31, v50
	v_lshl_add_u64 v[56:57], v[50:51], 2, v[20:21]
	global_load_dword v51, v[56:57], off
	global_load_dword v53, v[20:21], off offset:40
	s_waitcnt vmcnt(1)
	global_store_dword v[20:21], v51, off offset:40
	s_waitcnt vmcnt(1)
	global_store_dword v[56:57], v53, off
.LBB82_176:
	s_or_b64 exec, exec, s[18:19]
	v_mov_b32_e32 v51, v50
	v_mov_b32_e32 v53, v50
.LBB82_177:
	s_or_b64 exec, exec, s[2:3]
.LBB82_178:
	s_andn2_saveexec_b64 s[0:1], s[0:1]
	s_cbranch_execz .LBB82_180
; %bb.179:
	s_waitcnt vmcnt(28)
	v_pk_mov_b32 v[56:57], v[22:23], v[12:13] op_sel:[1,0]
	ds_write2_b32 v17, v56, v57 offset0:11 offset1:12
	s_waitcnt vmcnt(26)
	v_pk_mov_b32 v[56:57], v[12:13], v[8:9] op_sel:[1,0]
	ds_write2_b32 v17, v56, v57 offset0:13 offset1:14
	;; [unrolled: 3-line block ×14, first 2 shown]
	s_waitcnt vmcnt(0)
	v_pk_mov_b32 v[56:57], v[38:39], v[44:45] op_sel:[1,0]
	v_mov_b32_e32 v53, 10
	ds_write2_b32 v17, v56, v57 offset0:39 offset1:40
	ds_write_b32 v17, v45 offset:164
.LBB82_180:
	s_or_b64 exec, exec, s[0:1]
	v_cmp_lt_i32_e32 vcc, 10, v53
	s_waitcnt lgkmcnt(0)
	s_barrier
	s_and_saveexec_b64 s[0:1], vcc
	s_cbranch_execz .LBB82_182
; %bb.181:
	ds_read_b32 v50, v17 offset:44
	ds_read2_b32 v[56:57], v17 offset0:12 offset1:13
	ds_read2_b32 v[58:59], v17 offset0:14 offset1:15
	v_mul_f32_e32 v22, v54, v22
	ds_read2_b32 v[54:55], v17 offset0:16 offset1:17
	s_waitcnt vmcnt(30) lgkmcnt(3)
	v_fma_f32 v23, -v22, v50, v23
	s_waitcnt vmcnt(28) lgkmcnt(2)
	v_pk_fma_f32 v[12:13], v[22:23], v[56:57], v[12:13] op_sel_hi:[0,1,1] neg_lo:[1,0,0] neg_hi:[1,0,0]
	s_waitcnt vmcnt(26) lgkmcnt(1)
	v_pk_fma_f32 v[8:9], v[22:23], v[58:59], v[8:9] op_sel_hi:[0,1,1] neg_lo:[1,0,0] neg_hi:[1,0,0]
	ds_read2_b32 v[56:57], v17 offset0:18 offset1:19
	ds_read2_b32 v[58:59], v17 offset0:20 offset1:21
	ds_read2_b32 v[60:61], v17 offset0:22 offset1:23
	s_waitcnt vmcnt(24) lgkmcnt(3)
	v_pk_fma_f32 v[34:35], v[22:23], v[54:55], v[34:35] op_sel_hi:[0,1,1] neg_lo:[1,0,0] neg_hi:[1,0,0]
	ds_read2_b32 v[54:55], v17 offset0:24 offset1:25
	s_waitcnt vmcnt(22) lgkmcnt(3)
	v_pk_fma_f32 v[30:31], v[22:23], v[56:57], v[30:31] op_sel_hi:[0,1,1] neg_lo:[1,0,0] neg_hi:[1,0,0]
	s_waitcnt vmcnt(20) lgkmcnt(2)
	v_pk_fma_f32 v[24:25], v[22:23], v[58:59], v[24:25] op_sel_hi:[0,1,1] neg_lo:[1,0,0] neg_hi:[1,0,0]
	s_waitcnt vmcnt(18) lgkmcnt(1)
	v_pk_fma_f32 v[14:15], v[22:23], v[60:61], v[14:15] op_sel_hi:[0,1,1] neg_lo:[1,0,0] neg_hi:[1,0,0]
	ds_read2_b32 v[56:57], v17 offset0:26 offset1:27
	ds_read2_b32 v[58:59], v17 offset0:28 offset1:29
	;; [unrolled: 1-line block ×3, first 2 shown]
	s_waitcnt vmcnt(16) lgkmcnt(3)
	v_pk_fma_f32 v[42:43], v[22:23], v[54:55], v[42:43] op_sel_hi:[0,1,1] neg_lo:[1,0,0] neg_hi:[1,0,0]
	ds_read2_b32 v[54:55], v17 offset0:32 offset1:33
	s_waitcnt vmcnt(14) lgkmcnt(3)
	v_pk_fma_f32 v[36:37], v[22:23], v[56:57], v[36:37] op_sel_hi:[0,1,1] neg_lo:[1,0,0] neg_hi:[1,0,0]
	s_waitcnt vmcnt(12) lgkmcnt(2)
	v_pk_fma_f32 v[32:33], v[22:23], v[58:59], v[32:33] op_sel_hi:[0,1,1] neg_lo:[1,0,0] neg_hi:[1,0,0]
	;; [unrolled: 2-line block ×3, first 2 shown]
	ds_read2_b32 v[56:57], v17 offset0:34 offset1:35
	ds_read2_b32 v[58:59], v17 offset0:36 offset1:37
	;; [unrolled: 1-line block ×4, first 2 shown]
	s_waitcnt vmcnt(8) lgkmcnt(4)
	v_pk_fma_f32 v[48:49], v[22:23], v[54:55], v[48:49] op_sel_hi:[0,1,1] neg_lo:[1,0,0] neg_hi:[1,0,0]
	s_waitcnt vmcnt(6) lgkmcnt(3)
	v_pk_fma_f32 v[46:47], v[22:23], v[56:57], v[46:47] op_sel_hi:[0,1,1] neg_lo:[1,0,0] neg_hi:[1,0,0]
	;; [unrolled: 2-line block ×5, first 2 shown]
.LBB82_182:
	s_or_b64 exec, exec, s[0:1]
	v_lshl_add_u32 v50, v53, 2, v17
	s_barrier
	s_waitcnt vmcnt(30)
	ds_write_b32 v50, v23
	s_waitcnt lgkmcnt(0)
	s_barrier
	ds_read_b32 v54, v17 offset:44
	s_cmp_lt_i32 s22, 13
	v_mov_b32_e32 v50, 11
	s_cbranch_scc1 .LBB82_185
; %bb.183:
	v_add3_u32 v55, v52, 0, 48
	v_mov_b32_e32 v50, 11
	s_mov_b32 s0, 12
.LBB82_184:                             ; =>This Inner Loop Header: Depth=1
	ds_read_b32 v56, v55
	v_mov_b32_e32 v57, s0
	s_add_i32 s0, s0, 1
	v_add_u32_e32 v55, 4, v55
	s_cmp_lg_u32 s22, s0
	s_waitcnt lgkmcnt(0)
	v_cmp_lt_f32_e64 vcc, |v54|, |v56|
	s_nop 1
	v_cndmask_b32_e32 v54, v54, v56, vcc
	v_cndmask_b32_e32 v50, v50, v57, vcc
	s_cbranch_scc1 .LBB82_184
.LBB82_185:
	s_waitcnt lgkmcnt(0)
	v_cmp_eq_f32_e32 vcc, 0, v54
	s_and_saveexec_b64 s[0:1], vcc
	s_xor_b64 s[0:1], exec, s[0:1]
; %bb.186:
	v_cmp_ne_u32_e32 vcc, 0, v19
	s_nop 1
	v_cndmask_b32_e32 v19, 12, v19, vcc
; %bb.187:
	s_andn2_saveexec_b64 s[0:1], s[0:1]
	s_cbranch_execz .LBB82_189
; %bb.188:
	v_div_scale_f32 v55, s[2:3], v54, v54, 1.0
	v_rcp_f32_e32 v56, v55
	v_div_scale_f32 v57, vcc, 1.0, v54, 1.0
	v_fma_f32 v58, -v55, v56, 1.0
	v_fmac_f32_e32 v56, v58, v56
	v_mul_f32_e32 v58, v57, v56
	v_fma_f32 v59, -v55, v58, v57
	v_fmac_f32_e32 v58, v59, v56
	v_fma_f32 v55, -v55, v58, v57
	v_div_fmas_f32 v55, v55, v56, v58
	v_div_fixup_f32 v54, v55, v54, 1.0
.LBB82_189:
	s_or_b64 exec, exec, s[0:1]
	v_cmp_ne_u32_e32 vcc, v53, v50
	s_and_saveexec_b64 s[0:1], vcc
	s_xor_b64 s[0:1], exec, s[0:1]
	s_cbranch_execz .LBB82_195
; %bb.190:
	v_cmp_eq_u32_e32 vcc, 11, v53
	s_and_saveexec_b64 s[2:3], vcc
	s_cbranch_execz .LBB82_194
; %bb.191:
	v_cmp_ne_u32_e32 vcc, 11, v50
	s_xor_b64 s[18:19], s[16:17], -1
	s_and_b64 s[20:21], s[18:19], vcc
	s_and_saveexec_b64 s[18:19], s[20:21]
	s_cbranch_execz .LBB82_193
; %bb.192:
	v_ashrrev_i32_e32 v51, 31, v50
	v_lshl_add_u64 v[56:57], v[50:51], 2, v[20:21]
	global_load_dword v51, v[56:57], off
	global_load_dword v53, v[20:21], off offset:44
	s_waitcnt vmcnt(1)
	global_store_dword v[20:21], v51, off offset:44
	s_waitcnt vmcnt(1)
	global_store_dword v[56:57], v53, off
.LBB82_193:
	s_or_b64 exec, exec, s[18:19]
	v_mov_b32_e32 v51, v50
	v_mov_b32_e32 v53, v50
.LBB82_194:
	s_or_b64 exec, exec, s[2:3]
.LBB82_195:
	s_andn2_saveexec_b64 s[0:1], s[0:1]
	s_cbranch_execz .LBB82_197
; %bb.196:
	v_mov_b32_e32 v53, 11
	s_waitcnt vmcnt(28)
	ds_write2_b32 v17, v12, v13 offset0:12 offset1:13
	s_waitcnt vmcnt(26)
	ds_write2_b32 v17, v8, v9 offset0:14 offset1:15
	;; [unrolled: 2-line block ×15, first 2 shown]
.LBB82_197:
	s_or_b64 exec, exec, s[0:1]
	v_cmp_lt_i32_e32 vcc, 11, v53
	s_waitcnt lgkmcnt(0)
	s_barrier
	s_and_saveexec_b64 s[0:1], vcc
	s_cbranch_execz .LBB82_199
; %bb.198:
	ds_read2_b32 v[56:57], v17 offset0:12 offset1:13
	ds_read2_b32 v[58:59], v17 offset0:14 offset1:15
	;; [unrolled: 1-line block ×3, first 2 shown]
	v_mul_f32_e32 v50, v54, v23
	ds_read2_b32 v[54:55], v17 offset0:18 offset1:19
	s_waitcnt vmcnt(28) lgkmcnt(3)
	v_pk_fma_f32 v[12:13], v[50:51], v[56:57], v[12:13] op_sel_hi:[0,1,1] neg_lo:[1,0,0] neg_hi:[1,0,0]
	s_waitcnt vmcnt(26) lgkmcnt(2)
	v_pk_fma_f32 v[8:9], v[50:51], v[58:59], v[8:9] op_sel_hi:[0,1,1] neg_lo:[1,0,0] neg_hi:[1,0,0]
	s_waitcnt vmcnt(24) lgkmcnt(1)
	v_pk_fma_f32 v[34:35], v[50:51], v[60:61], v[34:35] op_sel_hi:[0,1,1] neg_lo:[1,0,0] neg_hi:[1,0,0]
	ds_read2_b32 v[56:57], v17 offset0:20 offset1:21
	ds_read2_b32 v[58:59], v17 offset0:22 offset1:23
	;; [unrolled: 1-line block ×3, first 2 shown]
	s_waitcnt vmcnt(22) lgkmcnt(3)
	v_pk_fma_f32 v[30:31], v[50:51], v[54:55], v[30:31] op_sel_hi:[0,1,1] neg_lo:[1,0,0] neg_hi:[1,0,0]
	ds_read2_b32 v[54:55], v17 offset0:26 offset1:27
	s_waitcnt vmcnt(20) lgkmcnt(3)
	v_pk_fma_f32 v[24:25], v[50:51], v[56:57], v[24:25] op_sel_hi:[0,1,1] neg_lo:[1,0,0] neg_hi:[1,0,0]
	s_waitcnt vmcnt(18) lgkmcnt(2)
	v_pk_fma_f32 v[14:15], v[50:51], v[58:59], v[14:15] op_sel_hi:[0,1,1] neg_lo:[1,0,0] neg_hi:[1,0,0]
	ds_read2_b32 v[56:57], v17 offset0:28 offset1:29
	ds_read2_b32 v[58:59], v17 offset0:30 offset1:31
	s_waitcnt vmcnt(16) lgkmcnt(3)
	v_pk_fma_f32 v[42:43], v[50:51], v[60:61], v[42:43] op_sel_hi:[0,1,1] neg_lo:[1,0,0] neg_hi:[1,0,0]
	s_waitcnt vmcnt(14) lgkmcnt(2)
	v_pk_fma_f32 v[36:37], v[50:51], v[54:55], v[36:37] op_sel_hi:[0,1,1] neg_lo:[1,0,0] neg_hi:[1,0,0]
	ds_read2_b32 v[54:55], v17 offset0:32 offset1:33
	ds_read2_b32 v[60:61], v17 offset0:34 offset1:35
	s_waitcnt vmcnt(12) lgkmcnt(3)
	v_pk_fma_f32 v[32:33], v[50:51], v[56:57], v[32:33] op_sel_hi:[0,1,1] neg_lo:[1,0,0] neg_hi:[1,0,0]
	s_waitcnt vmcnt(10) lgkmcnt(2)
	v_pk_fma_f32 v[26:27], v[50:51], v[58:59], v[26:27] op_sel_hi:[0,1,1] neg_lo:[1,0,0] neg_hi:[1,0,0]
	ds_read2_b32 v[56:57], v17 offset0:36 offset1:37
	ds_read2_b32 v[58:59], v17 offset0:38 offset1:39
	ds_read2_b32 v[62:63], v17 offset0:40 offset1:41
	s_waitcnt vmcnt(8) lgkmcnt(4)
	v_pk_fma_f32 v[48:49], v[50:51], v[54:55], v[48:49] op_sel_hi:[0,1,1] neg_lo:[1,0,0] neg_hi:[1,0,0]
	s_waitcnt vmcnt(6) lgkmcnt(3)
	v_pk_fma_f32 v[46:47], v[50:51], v[60:61], v[46:47] op_sel_hi:[0,1,1] neg_lo:[1,0,0] neg_hi:[1,0,0]
	;; [unrolled: 2-line block ×5, first 2 shown]
	v_mov_b32_e32 v23, v50
.LBB82_199:
	s_or_b64 exec, exec, s[0:1]
	v_lshl_add_u32 v50, v53, 2, v17
	s_barrier
	s_waitcnt vmcnt(29)
	ds_write_b32 v50, v12
	s_waitcnt lgkmcnt(0)
	s_barrier
	ds_read_b32 v54, v17 offset:48
	s_cmp_lt_i32 s22, 14
	v_mov_b32_e32 v50, 12
	s_cbranch_scc1 .LBB82_202
; %bb.200:
	v_add3_u32 v55, v52, 0, 52
	v_mov_b32_e32 v50, 12
	s_mov_b32 s0, 13
.LBB82_201:                             ; =>This Inner Loop Header: Depth=1
	ds_read_b32 v56, v55
	v_mov_b32_e32 v57, s0
	s_add_i32 s0, s0, 1
	v_add_u32_e32 v55, 4, v55
	s_cmp_lg_u32 s22, s0
	s_waitcnt lgkmcnt(0)
	v_cmp_lt_f32_e64 vcc, |v54|, |v56|
	s_nop 1
	v_cndmask_b32_e32 v54, v54, v56, vcc
	v_cndmask_b32_e32 v50, v50, v57, vcc
	s_cbranch_scc1 .LBB82_201
.LBB82_202:
	s_waitcnt lgkmcnt(0)
	v_cmp_eq_f32_e32 vcc, 0, v54
	s_and_saveexec_b64 s[0:1], vcc
	s_xor_b64 s[0:1], exec, s[0:1]
; %bb.203:
	v_cmp_ne_u32_e32 vcc, 0, v19
	s_nop 1
	v_cndmask_b32_e32 v19, 13, v19, vcc
; %bb.204:
	s_andn2_saveexec_b64 s[0:1], s[0:1]
	s_cbranch_execz .LBB82_206
; %bb.205:
	v_div_scale_f32 v55, s[2:3], v54, v54, 1.0
	v_rcp_f32_e32 v56, v55
	v_div_scale_f32 v57, vcc, 1.0, v54, 1.0
	v_fma_f32 v58, -v55, v56, 1.0
	v_fmac_f32_e32 v56, v58, v56
	v_mul_f32_e32 v58, v57, v56
	v_fma_f32 v59, -v55, v58, v57
	v_fmac_f32_e32 v58, v59, v56
	v_fma_f32 v55, -v55, v58, v57
	v_div_fmas_f32 v55, v55, v56, v58
	v_div_fixup_f32 v54, v55, v54, 1.0
.LBB82_206:
	s_or_b64 exec, exec, s[0:1]
	v_cmp_ne_u32_e32 vcc, v53, v50
	s_and_saveexec_b64 s[0:1], vcc
	s_xor_b64 s[0:1], exec, s[0:1]
	s_cbranch_execz .LBB82_212
; %bb.207:
	v_cmp_eq_u32_e32 vcc, 12, v53
	s_and_saveexec_b64 s[2:3], vcc
	s_cbranch_execz .LBB82_211
; %bb.208:
	v_cmp_ne_u32_e32 vcc, 12, v50
	s_xor_b64 s[18:19], s[16:17], -1
	s_and_b64 s[20:21], s[18:19], vcc
	s_and_saveexec_b64 s[18:19], s[20:21]
	s_cbranch_execz .LBB82_210
; %bb.209:
	v_ashrrev_i32_e32 v51, 31, v50
	v_lshl_add_u64 v[56:57], v[50:51], 2, v[20:21]
	global_load_dword v51, v[56:57], off
	global_load_dword v53, v[20:21], off offset:48
	s_waitcnt vmcnt(1)
	global_store_dword v[20:21], v51, off offset:48
	s_waitcnt vmcnt(1)
	global_store_dword v[56:57], v53, off
.LBB82_210:
	s_or_b64 exec, exec, s[18:19]
	v_mov_b32_e32 v51, v50
	v_mov_b32_e32 v53, v50
.LBB82_211:
	s_or_b64 exec, exec, s[2:3]
.LBB82_212:
	s_andn2_saveexec_b64 s[0:1], s[0:1]
	s_cbranch_execz .LBB82_214
; %bb.213:
	s_waitcnt vmcnt(26)
	v_pk_mov_b32 v[56:57], v[12:13], v[8:9] op_sel:[1,0]
	ds_write2_b32 v17, v56, v57 offset0:13 offset1:14
	s_waitcnt vmcnt(24)
	v_pk_mov_b32 v[56:57], v[8:9], v[34:35] op_sel:[1,0]
	ds_write2_b32 v17, v56, v57 offset0:15 offset1:16
	;; [unrolled: 3-line block ×13, first 2 shown]
	s_waitcnt vmcnt(0)
	v_pk_mov_b32 v[56:57], v[38:39], v[44:45] op_sel:[1,0]
	v_mov_b32_e32 v53, 12
	ds_write2_b32 v17, v56, v57 offset0:39 offset1:40
	ds_write_b32 v17, v45 offset:164
.LBB82_214:
	s_or_b64 exec, exec, s[0:1]
	v_cmp_lt_i32_e32 vcc, 12, v53
	s_waitcnt lgkmcnt(0)
	s_barrier
	s_and_saveexec_b64 s[0:1], vcc
	s_cbranch_execz .LBB82_216
; %bb.215:
	ds_read_b32 v50, v17 offset:52
	ds_read2_b32 v[56:57], v17 offset0:14 offset1:15
	ds_read2_b32 v[58:59], v17 offset0:16 offset1:17
	v_mul_f32_e32 v12, v54, v12
	ds_read2_b32 v[54:55], v17 offset0:18 offset1:19
	s_waitcnt vmcnt(28) lgkmcnt(3)
	v_fma_f32 v13, -v12, v50, v13
	s_waitcnt vmcnt(26) lgkmcnt(2)
	v_pk_fma_f32 v[8:9], v[12:13], v[56:57], v[8:9] op_sel_hi:[0,1,1] neg_lo:[1,0,0] neg_hi:[1,0,0]
	s_waitcnt vmcnt(24) lgkmcnt(1)
	v_pk_fma_f32 v[34:35], v[12:13], v[58:59], v[34:35] op_sel_hi:[0,1,1] neg_lo:[1,0,0] neg_hi:[1,0,0]
	ds_read2_b32 v[56:57], v17 offset0:20 offset1:21
	ds_read2_b32 v[58:59], v17 offset0:22 offset1:23
	;; [unrolled: 1-line block ×3, first 2 shown]
	s_waitcnt vmcnt(22) lgkmcnt(3)
	v_pk_fma_f32 v[30:31], v[12:13], v[54:55], v[30:31] op_sel_hi:[0,1,1] neg_lo:[1,0,0] neg_hi:[1,0,0]
	ds_read2_b32 v[54:55], v17 offset0:26 offset1:27
	s_waitcnt vmcnt(20) lgkmcnt(3)
	v_pk_fma_f32 v[24:25], v[12:13], v[56:57], v[24:25] op_sel_hi:[0,1,1] neg_lo:[1,0,0] neg_hi:[1,0,0]
	s_waitcnt vmcnt(18) lgkmcnt(2)
	v_pk_fma_f32 v[14:15], v[12:13], v[58:59], v[14:15] op_sel_hi:[0,1,1] neg_lo:[1,0,0] neg_hi:[1,0,0]
	ds_read2_b32 v[56:57], v17 offset0:28 offset1:29
	ds_read2_b32 v[58:59], v17 offset0:30 offset1:31
	s_waitcnt vmcnt(16) lgkmcnt(3)
	v_pk_fma_f32 v[42:43], v[12:13], v[60:61], v[42:43] op_sel_hi:[0,1,1] neg_lo:[1,0,0] neg_hi:[1,0,0]
	s_waitcnt vmcnt(14) lgkmcnt(2)
	v_pk_fma_f32 v[36:37], v[12:13], v[54:55], v[36:37] op_sel_hi:[0,1,1] neg_lo:[1,0,0] neg_hi:[1,0,0]
	ds_read2_b32 v[54:55], v17 offset0:32 offset1:33
	;; [unrolled: 6-line block ×3, first 2 shown]
	ds_read2_b32 v[58:59], v17 offset0:38 offset1:39
	ds_read2_b32 v[62:63], v17 offset0:40 offset1:41
	s_waitcnt vmcnt(8) lgkmcnt(4)
	v_pk_fma_f32 v[48:49], v[12:13], v[54:55], v[48:49] op_sel_hi:[0,1,1] neg_lo:[1,0,0] neg_hi:[1,0,0]
	s_waitcnt vmcnt(6) lgkmcnt(3)
	v_pk_fma_f32 v[46:47], v[12:13], v[60:61], v[46:47] op_sel_hi:[0,1,1] neg_lo:[1,0,0] neg_hi:[1,0,0]
	s_waitcnt vmcnt(4) lgkmcnt(2)
	v_pk_fma_f32 v[40:41], v[12:13], v[56:57], v[40:41] op_sel_hi:[0,1,1] neg_lo:[1,0,0] neg_hi:[1,0,0]
	s_waitcnt vmcnt(2) lgkmcnt(1)
	v_pk_fma_f32 v[38:39], v[12:13], v[58:59], v[38:39] op_sel_hi:[0,1,1] neg_lo:[1,0,0] neg_hi:[1,0,0]
	s_waitcnt vmcnt(0) lgkmcnt(0)
	v_pk_fma_f32 v[44:45], v[12:13], v[62:63], v[44:45] op_sel_hi:[0,1,1] neg_lo:[1,0,0] neg_hi:[1,0,0]
.LBB82_216:
	s_or_b64 exec, exec, s[0:1]
	v_lshl_add_u32 v50, v53, 2, v17
	s_barrier
	s_waitcnt vmcnt(28)
	ds_write_b32 v50, v13
	s_waitcnt lgkmcnt(0)
	s_barrier
	ds_read_b32 v54, v17 offset:52
	s_cmp_lt_i32 s22, 15
	v_mov_b32_e32 v50, 13
	s_cbranch_scc1 .LBB82_219
; %bb.217:
	v_add3_u32 v55, v52, 0, 56
	v_mov_b32_e32 v50, 13
	s_mov_b32 s0, 14
.LBB82_218:                             ; =>This Inner Loop Header: Depth=1
	ds_read_b32 v56, v55
	v_mov_b32_e32 v57, s0
	s_add_i32 s0, s0, 1
	v_add_u32_e32 v55, 4, v55
	s_cmp_lg_u32 s22, s0
	s_waitcnt lgkmcnt(0)
	v_cmp_lt_f32_e64 vcc, |v54|, |v56|
	s_nop 1
	v_cndmask_b32_e32 v54, v54, v56, vcc
	v_cndmask_b32_e32 v50, v50, v57, vcc
	s_cbranch_scc1 .LBB82_218
.LBB82_219:
	s_waitcnt lgkmcnt(0)
	v_cmp_eq_f32_e32 vcc, 0, v54
	s_and_saveexec_b64 s[0:1], vcc
	s_xor_b64 s[0:1], exec, s[0:1]
; %bb.220:
	v_cmp_ne_u32_e32 vcc, 0, v19
	s_nop 1
	v_cndmask_b32_e32 v19, 14, v19, vcc
; %bb.221:
	s_andn2_saveexec_b64 s[0:1], s[0:1]
	s_cbranch_execz .LBB82_223
; %bb.222:
	v_div_scale_f32 v55, s[2:3], v54, v54, 1.0
	v_rcp_f32_e32 v56, v55
	v_div_scale_f32 v57, vcc, 1.0, v54, 1.0
	v_fma_f32 v58, -v55, v56, 1.0
	v_fmac_f32_e32 v56, v58, v56
	v_mul_f32_e32 v58, v57, v56
	v_fma_f32 v59, -v55, v58, v57
	v_fmac_f32_e32 v58, v59, v56
	v_fma_f32 v55, -v55, v58, v57
	v_div_fmas_f32 v55, v55, v56, v58
	v_div_fixup_f32 v54, v55, v54, 1.0
.LBB82_223:
	s_or_b64 exec, exec, s[0:1]
	v_cmp_ne_u32_e32 vcc, v53, v50
	s_and_saveexec_b64 s[0:1], vcc
	s_xor_b64 s[0:1], exec, s[0:1]
	s_cbranch_execz .LBB82_229
; %bb.224:
	v_cmp_eq_u32_e32 vcc, 13, v53
	s_and_saveexec_b64 s[2:3], vcc
	s_cbranch_execz .LBB82_228
; %bb.225:
	v_cmp_ne_u32_e32 vcc, 13, v50
	s_xor_b64 s[18:19], s[16:17], -1
	s_and_b64 s[20:21], s[18:19], vcc
	s_and_saveexec_b64 s[18:19], s[20:21]
	s_cbranch_execz .LBB82_227
; %bb.226:
	v_ashrrev_i32_e32 v51, 31, v50
	v_lshl_add_u64 v[56:57], v[50:51], 2, v[20:21]
	global_load_dword v51, v[56:57], off
	global_load_dword v53, v[20:21], off offset:52
	s_waitcnt vmcnt(1)
	global_store_dword v[20:21], v51, off offset:52
	s_waitcnt vmcnt(1)
	global_store_dword v[56:57], v53, off
.LBB82_227:
	s_or_b64 exec, exec, s[18:19]
	v_mov_b32_e32 v51, v50
	v_mov_b32_e32 v53, v50
.LBB82_228:
	s_or_b64 exec, exec, s[2:3]
.LBB82_229:
	s_andn2_saveexec_b64 s[0:1], s[0:1]
	s_cbranch_execz .LBB82_231
; %bb.230:
	v_mov_b32_e32 v53, 13
	s_waitcnt vmcnt(26)
	ds_write2_b32 v17, v8, v9 offset0:14 offset1:15
	s_waitcnt vmcnt(24)
	ds_write2_b32 v17, v34, v35 offset0:16 offset1:17
	;; [unrolled: 2-line block ×14, first 2 shown]
.LBB82_231:
	s_or_b64 exec, exec, s[0:1]
	v_cmp_lt_i32_e32 vcc, 13, v53
	s_waitcnt lgkmcnt(0)
	s_barrier
	s_and_saveexec_b64 s[0:1], vcc
	s_cbranch_execz .LBB82_233
; %bb.232:
	ds_read2_b32 v[56:57], v17 offset0:14 offset1:15
	ds_read2_b32 v[58:59], v17 offset0:16 offset1:17
	ds_read2_b32 v[60:61], v17 offset0:18 offset1:19
	v_mul_f32_e32 v50, v54, v13
	ds_read2_b32 v[54:55], v17 offset0:20 offset1:21
	s_waitcnt vmcnt(26) lgkmcnt(3)
	v_pk_fma_f32 v[8:9], v[50:51], v[56:57], v[8:9] op_sel_hi:[0,1,1] neg_lo:[1,0,0] neg_hi:[1,0,0]
	s_waitcnt vmcnt(24) lgkmcnt(2)
	v_pk_fma_f32 v[34:35], v[50:51], v[58:59], v[34:35] op_sel_hi:[0,1,1] neg_lo:[1,0,0] neg_hi:[1,0,0]
	;; [unrolled: 2-line block ×3, first 2 shown]
	ds_read2_b32 v[56:57], v17 offset0:22 offset1:23
	ds_read2_b32 v[58:59], v17 offset0:24 offset1:25
	;; [unrolled: 1-line block ×3, first 2 shown]
	s_waitcnt vmcnt(20) lgkmcnt(3)
	v_pk_fma_f32 v[24:25], v[50:51], v[54:55], v[24:25] op_sel_hi:[0,1,1] neg_lo:[1,0,0] neg_hi:[1,0,0]
	ds_read2_b32 v[54:55], v17 offset0:28 offset1:29
	s_waitcnt vmcnt(18) lgkmcnt(3)
	v_pk_fma_f32 v[14:15], v[50:51], v[56:57], v[14:15] op_sel_hi:[0,1,1] neg_lo:[1,0,0] neg_hi:[1,0,0]
	ds_read2_b32 v[56:57], v17 offset0:30 offset1:31
	s_waitcnt vmcnt(16) lgkmcnt(3)
	v_pk_fma_f32 v[42:43], v[50:51], v[58:59], v[42:43] op_sel_hi:[0,1,1] neg_lo:[1,0,0] neg_hi:[1,0,0]
	s_waitcnt vmcnt(14) lgkmcnt(2)
	v_pk_fma_f32 v[36:37], v[50:51], v[60:61], v[36:37] op_sel_hi:[0,1,1] neg_lo:[1,0,0] neg_hi:[1,0,0]
	;; [unrolled: 2-line block ×3, first 2 shown]
	ds_read2_b32 v[54:55], v17 offset0:32 offset1:33
	ds_read2_b32 v[58:59], v17 offset0:34 offset1:35
	;; [unrolled: 1-line block ×3, first 2 shown]
	s_waitcnt vmcnt(10) lgkmcnt(3)
	v_pk_fma_f32 v[26:27], v[50:51], v[56:57], v[26:27] op_sel_hi:[0,1,1] neg_lo:[1,0,0] neg_hi:[1,0,0]
	ds_read2_b32 v[56:57], v17 offset0:38 offset1:39
	ds_read2_b32 v[62:63], v17 offset0:40 offset1:41
	s_waitcnt vmcnt(8) lgkmcnt(4)
	v_pk_fma_f32 v[48:49], v[50:51], v[54:55], v[48:49] op_sel_hi:[0,1,1] neg_lo:[1,0,0] neg_hi:[1,0,0]
	s_waitcnt vmcnt(6) lgkmcnt(3)
	v_pk_fma_f32 v[46:47], v[50:51], v[58:59], v[46:47] op_sel_hi:[0,1,1] neg_lo:[1,0,0] neg_hi:[1,0,0]
	s_waitcnt vmcnt(4) lgkmcnt(2)
	v_pk_fma_f32 v[40:41], v[50:51], v[60:61], v[40:41] op_sel_hi:[0,1,1] neg_lo:[1,0,0] neg_hi:[1,0,0]
	s_waitcnt vmcnt(2) lgkmcnt(1)
	v_pk_fma_f32 v[38:39], v[50:51], v[56:57], v[38:39] op_sel_hi:[0,1,1] neg_lo:[1,0,0] neg_hi:[1,0,0]
	s_waitcnt vmcnt(0) lgkmcnt(0)
	v_pk_fma_f32 v[44:45], v[50:51], v[62:63], v[44:45] op_sel_hi:[0,1,1] neg_lo:[1,0,0] neg_hi:[1,0,0]
	v_mov_b32_e32 v13, v50
.LBB82_233:
	s_or_b64 exec, exec, s[0:1]
	v_lshl_add_u32 v50, v53, 2, v17
	s_barrier
	s_waitcnt vmcnt(27)
	ds_write_b32 v50, v8
	s_waitcnt lgkmcnt(0)
	s_barrier
	ds_read_b32 v54, v17 offset:56
	s_cmp_lt_i32 s22, 16
	v_mov_b32_e32 v50, 14
	s_cbranch_scc1 .LBB82_236
; %bb.234:
	v_add3_u32 v55, v52, 0, 60
	v_mov_b32_e32 v50, 14
	s_mov_b32 s0, 15
.LBB82_235:                             ; =>This Inner Loop Header: Depth=1
	ds_read_b32 v56, v55
	v_mov_b32_e32 v57, s0
	s_add_i32 s0, s0, 1
	v_add_u32_e32 v55, 4, v55
	s_cmp_lg_u32 s22, s0
	s_waitcnt lgkmcnt(0)
	v_cmp_lt_f32_e64 vcc, |v54|, |v56|
	s_nop 1
	v_cndmask_b32_e32 v54, v54, v56, vcc
	v_cndmask_b32_e32 v50, v50, v57, vcc
	s_cbranch_scc1 .LBB82_235
.LBB82_236:
	s_waitcnt lgkmcnt(0)
	v_cmp_eq_f32_e32 vcc, 0, v54
	s_and_saveexec_b64 s[0:1], vcc
	s_xor_b64 s[0:1], exec, s[0:1]
; %bb.237:
	v_cmp_ne_u32_e32 vcc, 0, v19
	s_nop 1
	v_cndmask_b32_e32 v19, 15, v19, vcc
; %bb.238:
	s_andn2_saveexec_b64 s[0:1], s[0:1]
	s_cbranch_execz .LBB82_240
; %bb.239:
	v_div_scale_f32 v55, s[2:3], v54, v54, 1.0
	v_rcp_f32_e32 v56, v55
	v_div_scale_f32 v57, vcc, 1.0, v54, 1.0
	v_fma_f32 v58, -v55, v56, 1.0
	v_fmac_f32_e32 v56, v58, v56
	v_mul_f32_e32 v58, v57, v56
	v_fma_f32 v59, -v55, v58, v57
	v_fmac_f32_e32 v58, v59, v56
	v_fma_f32 v55, -v55, v58, v57
	v_div_fmas_f32 v55, v55, v56, v58
	v_div_fixup_f32 v54, v55, v54, 1.0
.LBB82_240:
	s_or_b64 exec, exec, s[0:1]
	v_cmp_ne_u32_e32 vcc, v53, v50
	s_and_saveexec_b64 s[0:1], vcc
	s_xor_b64 s[0:1], exec, s[0:1]
	s_cbranch_execz .LBB82_246
; %bb.241:
	v_cmp_eq_u32_e32 vcc, 14, v53
	s_and_saveexec_b64 s[2:3], vcc
	s_cbranch_execz .LBB82_245
; %bb.242:
	v_cmp_ne_u32_e32 vcc, 14, v50
	s_xor_b64 s[18:19], s[16:17], -1
	s_and_b64 s[20:21], s[18:19], vcc
	s_and_saveexec_b64 s[18:19], s[20:21]
	s_cbranch_execz .LBB82_244
; %bb.243:
	v_ashrrev_i32_e32 v51, 31, v50
	v_lshl_add_u64 v[56:57], v[50:51], 2, v[20:21]
	global_load_dword v51, v[56:57], off
	global_load_dword v53, v[20:21], off offset:56
	s_waitcnt vmcnt(1)
	global_store_dword v[20:21], v51, off offset:56
	s_waitcnt vmcnt(1)
	global_store_dword v[56:57], v53, off
.LBB82_244:
	s_or_b64 exec, exec, s[18:19]
	v_mov_b32_e32 v51, v50
	v_mov_b32_e32 v53, v50
.LBB82_245:
	s_or_b64 exec, exec, s[2:3]
.LBB82_246:
	s_andn2_saveexec_b64 s[0:1], s[0:1]
	s_cbranch_execz .LBB82_248
; %bb.247:
	s_waitcnt vmcnt(24)
	v_pk_mov_b32 v[56:57], v[8:9], v[34:35] op_sel:[1,0]
	ds_write2_b32 v17, v56, v57 offset0:15 offset1:16
	s_waitcnt vmcnt(22)
	v_pk_mov_b32 v[56:57], v[34:35], v[30:31] op_sel:[1,0]
	ds_write2_b32 v17, v56, v57 offset0:17 offset1:18
	;; [unrolled: 3-line block ×12, first 2 shown]
	s_waitcnt vmcnt(0)
	v_pk_mov_b32 v[56:57], v[38:39], v[44:45] op_sel:[1,0]
	v_mov_b32_e32 v53, 14
	ds_write2_b32 v17, v56, v57 offset0:39 offset1:40
	ds_write_b32 v17, v45 offset:164
.LBB82_248:
	s_or_b64 exec, exec, s[0:1]
	v_cmp_lt_i32_e32 vcc, 14, v53
	s_waitcnt lgkmcnt(0)
	s_barrier
	s_and_saveexec_b64 s[0:1], vcc
	s_cbranch_execz .LBB82_250
; %bb.249:
	ds_read_b32 v50, v17 offset:60
	ds_read2_b32 v[56:57], v17 offset0:16 offset1:17
	ds_read2_b32 v[58:59], v17 offset0:18 offset1:19
	v_mul_f32_e32 v8, v54, v8
	ds_read2_b32 v[54:55], v17 offset0:20 offset1:21
	s_waitcnt vmcnt(26) lgkmcnt(3)
	v_fma_f32 v9, -v8, v50, v9
	s_waitcnt vmcnt(24) lgkmcnt(2)
	v_pk_fma_f32 v[34:35], v[8:9], v[56:57], v[34:35] op_sel_hi:[0,1,1] neg_lo:[1,0,0] neg_hi:[1,0,0]
	s_waitcnt vmcnt(22) lgkmcnt(1)
	v_pk_fma_f32 v[30:31], v[8:9], v[58:59], v[30:31] op_sel_hi:[0,1,1] neg_lo:[1,0,0] neg_hi:[1,0,0]
	ds_read2_b32 v[56:57], v17 offset0:22 offset1:23
	ds_read2_b32 v[58:59], v17 offset0:24 offset1:25
	;; [unrolled: 1-line block ×3, first 2 shown]
	s_waitcnt vmcnt(20) lgkmcnt(3)
	v_pk_fma_f32 v[24:25], v[8:9], v[54:55], v[24:25] op_sel_hi:[0,1,1] neg_lo:[1,0,0] neg_hi:[1,0,0]
	ds_read2_b32 v[54:55], v17 offset0:28 offset1:29
	s_waitcnt vmcnt(18) lgkmcnt(3)
	v_pk_fma_f32 v[14:15], v[8:9], v[56:57], v[14:15] op_sel_hi:[0,1,1] neg_lo:[1,0,0] neg_hi:[1,0,0]
	ds_read2_b32 v[56:57], v17 offset0:30 offset1:31
	s_waitcnt vmcnt(16) lgkmcnt(3)
	v_pk_fma_f32 v[42:43], v[8:9], v[58:59], v[42:43] op_sel_hi:[0,1,1] neg_lo:[1,0,0] neg_hi:[1,0,0]
	s_waitcnt vmcnt(14) lgkmcnt(2)
	v_pk_fma_f32 v[36:37], v[8:9], v[60:61], v[36:37] op_sel_hi:[0,1,1] neg_lo:[1,0,0] neg_hi:[1,0,0]
	;; [unrolled: 2-line block ×3, first 2 shown]
	ds_read2_b32 v[54:55], v17 offset0:32 offset1:33
	ds_read2_b32 v[58:59], v17 offset0:34 offset1:35
	;; [unrolled: 1-line block ×3, first 2 shown]
	s_waitcnt vmcnt(10) lgkmcnt(3)
	v_pk_fma_f32 v[26:27], v[8:9], v[56:57], v[26:27] op_sel_hi:[0,1,1] neg_lo:[1,0,0] neg_hi:[1,0,0]
	ds_read2_b32 v[56:57], v17 offset0:38 offset1:39
	ds_read2_b32 v[62:63], v17 offset0:40 offset1:41
	s_waitcnt vmcnt(8) lgkmcnt(4)
	v_pk_fma_f32 v[48:49], v[8:9], v[54:55], v[48:49] op_sel_hi:[0,1,1] neg_lo:[1,0,0] neg_hi:[1,0,0]
	s_waitcnt vmcnt(6) lgkmcnt(3)
	v_pk_fma_f32 v[46:47], v[8:9], v[58:59], v[46:47] op_sel_hi:[0,1,1] neg_lo:[1,0,0] neg_hi:[1,0,0]
	;; [unrolled: 2-line block ×5, first 2 shown]
.LBB82_250:
	s_or_b64 exec, exec, s[0:1]
	v_lshl_add_u32 v50, v53, 2, v17
	s_barrier
	s_waitcnt vmcnt(26)
	ds_write_b32 v50, v9
	s_waitcnt lgkmcnt(0)
	s_barrier
	ds_read_b32 v54, v17 offset:60
	s_cmp_lt_i32 s22, 17
	v_mov_b32_e32 v50, 15
	s_cbranch_scc1 .LBB82_253
; %bb.251:
	v_add3_u32 v52, v52, 0, 64
	v_mov_b32_e32 v50, 15
	s_mov_b32 s0, 16
.LBB82_252:                             ; =>This Inner Loop Header: Depth=1
	ds_read_b32 v55, v52
	v_mov_b32_e32 v56, s0
	s_add_i32 s0, s0, 1
	v_add_u32_e32 v52, 4, v52
	s_cmp_lg_u32 s22, s0
	s_waitcnt lgkmcnt(0)
	v_cmp_lt_f32_e64 vcc, |v54|, |v55|
	s_nop 1
	v_cndmask_b32_e32 v54, v54, v55, vcc
	v_cndmask_b32_e32 v50, v50, v56, vcc
	s_cbranch_scc1 .LBB82_252
.LBB82_253:
	s_waitcnt lgkmcnt(0)
	v_cmp_eq_f32_e32 vcc, 0, v54
	s_and_saveexec_b64 s[0:1], vcc
	s_xor_b64 s[0:1], exec, s[0:1]
; %bb.254:
	v_cmp_ne_u32_e32 vcc, 0, v19
	s_nop 1
	v_cndmask_b32_e32 v19, 16, v19, vcc
; %bb.255:
	s_andn2_saveexec_b64 s[0:1], s[0:1]
	s_cbranch_execz .LBB82_257
; %bb.256:
	v_div_scale_f32 v52, s[2:3], v54, v54, 1.0
	v_rcp_f32_e32 v55, v52
	v_div_scale_f32 v56, vcc, 1.0, v54, 1.0
	v_fma_f32 v57, -v52, v55, 1.0
	v_fmac_f32_e32 v55, v57, v55
	v_mul_f32_e32 v57, v56, v55
	v_fma_f32 v58, -v52, v57, v56
	v_fmac_f32_e32 v57, v58, v55
	v_fma_f32 v52, -v52, v57, v56
	v_div_fmas_f32 v52, v52, v55, v57
	v_div_fixup_f32 v54, v52, v54, 1.0
.LBB82_257:
	s_or_b64 exec, exec, s[0:1]
	v_cmp_ne_u32_e32 vcc, v53, v50
	s_and_saveexec_b64 s[0:1], vcc
	s_xor_b64 s[0:1], exec, s[0:1]
	s_cbranch_execz .LBB82_263
; %bb.258:
	v_cmp_eq_u32_e32 vcc, 15, v53
	s_and_saveexec_b64 s[2:3], vcc
	s_cbranch_execz .LBB82_262
; %bb.259:
	v_cmp_ne_u32_e32 vcc, 15, v50
	s_xor_b64 s[18:19], s[16:17], -1
	s_and_b64 s[20:21], s[18:19], vcc
	s_and_saveexec_b64 s[18:19], s[20:21]
	s_cbranch_execz .LBB82_261
; %bb.260:
	v_ashrrev_i32_e32 v51, 31, v50
	v_lshl_add_u64 v[52:53], v[50:51], 2, v[20:21]
	global_load_dword v51, v[52:53], off
	global_load_dword v55, v[20:21], off offset:60
	s_waitcnt vmcnt(1)
	global_store_dword v[20:21], v51, off offset:60
	s_waitcnt vmcnt(1)
	global_store_dword v[52:53], v55, off
.LBB82_261:
	s_or_b64 exec, exec, s[18:19]
	v_mov_b32_e32 v51, v50
	v_mov_b32_e32 v53, v50
.LBB82_262:
	s_or_b64 exec, exec, s[2:3]
.LBB82_263:
	s_andn2_saveexec_b64 s[0:1], s[0:1]
	s_cbranch_execz .LBB82_265
; %bb.264:
	v_mov_b32_e32 v53, 15
	s_waitcnt vmcnt(24)
	ds_write2_b32 v17, v34, v35 offset0:16 offset1:17
	s_waitcnt vmcnt(22)
	ds_write2_b32 v17, v30, v31 offset0:18 offset1:19
	;; [unrolled: 2-line block ×13, first 2 shown]
.LBB82_265:
	s_or_b64 exec, exec, s[0:1]
	v_cmp_lt_i32_e32 vcc, 15, v53
	s_waitcnt lgkmcnt(0)
	s_barrier
	s_and_saveexec_b64 s[0:1], vcc
	s_cbranch_execz .LBB82_267
; %bb.266:
	ds_read2_b32 v[56:57], v17 offset0:16 offset1:17
	ds_read2_b32 v[58:59], v17 offset0:18 offset1:19
	;; [unrolled: 1-line block ×3, first 2 shown]
	v_mul_f32_e32 v50, v54, v9
	ds_read2_b32 v[54:55], v17 offset0:22 offset1:23
	s_waitcnt vmcnt(24) lgkmcnt(3)
	v_pk_fma_f32 v[34:35], v[50:51], v[56:57], v[34:35] op_sel_hi:[0,1,1] neg_lo:[1,0,0] neg_hi:[1,0,0]
	s_waitcnt vmcnt(22) lgkmcnt(2)
	v_pk_fma_f32 v[30:31], v[50:51], v[58:59], v[30:31] op_sel_hi:[0,1,1] neg_lo:[1,0,0] neg_hi:[1,0,0]
	s_waitcnt vmcnt(20) lgkmcnt(1)
	v_pk_fma_f32 v[24:25], v[50:51], v[60:61], v[24:25] op_sel_hi:[0,1,1] neg_lo:[1,0,0] neg_hi:[1,0,0]
	ds_read2_b32 v[56:57], v17 offset0:24 offset1:25
	ds_read2_b32 v[58:59], v17 offset0:26 offset1:27
	;; [unrolled: 1-line block ×4, first 2 shown]
	s_waitcnt vmcnt(18) lgkmcnt(4)
	v_pk_fma_f32 v[14:15], v[50:51], v[54:55], v[14:15] op_sel_hi:[0,1,1] neg_lo:[1,0,0] neg_hi:[1,0,0]
	s_waitcnt vmcnt(16) lgkmcnt(3)
	v_pk_fma_f32 v[42:43], v[50:51], v[56:57], v[42:43] op_sel_hi:[0,1,1] neg_lo:[1,0,0] neg_hi:[1,0,0]
	;; [unrolled: 2-line block ×5, first 2 shown]
	ds_read2_b32 v[54:55], v17 offset0:32 offset1:33
	ds_read2_b32 v[56:57], v17 offset0:34 offset1:35
	;; [unrolled: 1-line block ×5, first 2 shown]
	s_waitcnt vmcnt(8) lgkmcnt(4)
	v_pk_fma_f32 v[48:49], v[50:51], v[54:55], v[48:49] op_sel_hi:[0,1,1] neg_lo:[1,0,0] neg_hi:[1,0,0]
	s_waitcnt vmcnt(6) lgkmcnt(3)
	v_pk_fma_f32 v[46:47], v[50:51], v[56:57], v[46:47] op_sel_hi:[0,1,1] neg_lo:[1,0,0] neg_hi:[1,0,0]
	;; [unrolled: 2-line block ×5, first 2 shown]
	v_mov_b32_e32 v9, v50
.LBB82_267:
	s_or_b64 exec, exec, s[0:1]
	v_lshl_add_u32 v50, v53, 2, v17
	s_barrier
	s_waitcnt vmcnt(25)
	ds_write_b32 v50, v34
	s_waitcnt lgkmcnt(0)
	s_barrier
	ds_read_b32 v52, v17 offset:64
	s_cmp_lt_i32 s22, 18
	v_mov_b32_e32 v50, 16
	s_cbranch_scc1 .LBB82_270
; %bb.268:
	v_add_u32_e32 v54, 0x44, v17
	v_mov_b32_e32 v50, 16
	s_mov_b32 s0, 17
.LBB82_269:                             ; =>This Inner Loop Header: Depth=1
	ds_read_b32 v55, v54
	v_mov_b32_e32 v56, s0
	s_add_i32 s0, s0, 1
	v_add_u32_e32 v54, 4, v54
	s_cmp_lg_u32 s22, s0
	s_waitcnt lgkmcnt(0)
	v_cmp_lt_f32_e64 vcc, |v52|, |v55|
	s_nop 1
	v_cndmask_b32_e32 v52, v52, v55, vcc
	v_cndmask_b32_e32 v50, v50, v56, vcc
	s_cbranch_scc1 .LBB82_269
.LBB82_270:
	s_waitcnt lgkmcnt(0)
	v_cmp_eq_f32_e32 vcc, 0, v52
	s_and_saveexec_b64 s[0:1], vcc
	s_xor_b64 s[0:1], exec, s[0:1]
; %bb.271:
	v_cmp_ne_u32_e32 vcc, 0, v19
	s_nop 1
	v_cndmask_b32_e32 v19, 17, v19, vcc
; %bb.272:
	s_andn2_saveexec_b64 s[0:1], s[0:1]
	s_cbranch_execz .LBB82_274
; %bb.273:
	v_div_scale_f32 v54, s[2:3], v52, v52, 1.0
	v_rcp_f32_e32 v55, v54
	v_div_scale_f32 v56, vcc, 1.0, v52, 1.0
	v_fma_f32 v57, -v54, v55, 1.0
	v_fmac_f32_e32 v55, v57, v55
	v_mul_f32_e32 v57, v56, v55
	v_fma_f32 v58, -v54, v57, v56
	v_fmac_f32_e32 v57, v58, v55
	v_fma_f32 v54, -v54, v57, v56
	v_div_fmas_f32 v54, v54, v55, v57
	v_div_fixup_f32 v52, v54, v52, 1.0
.LBB82_274:
	s_or_b64 exec, exec, s[0:1]
	v_cmp_ne_u32_e32 vcc, v53, v50
	s_and_saveexec_b64 s[0:1], vcc
	s_xor_b64 s[0:1], exec, s[0:1]
	s_cbranch_execz .LBB82_280
; %bb.275:
	v_cmp_eq_u32_e32 vcc, 16, v53
	s_and_saveexec_b64 s[2:3], vcc
	s_cbranch_execz .LBB82_279
; %bb.276:
	v_cmp_ne_u32_e32 vcc, 16, v50
	s_xor_b64 s[18:19], s[16:17], -1
	s_and_b64 s[20:21], s[18:19], vcc
	s_and_saveexec_b64 s[18:19], s[20:21]
	s_cbranch_execz .LBB82_278
; %bb.277:
	v_ashrrev_i32_e32 v51, 31, v50
	v_lshl_add_u64 v[54:55], v[50:51], 2, v[20:21]
	global_load_dword v51, v[54:55], off
	global_load_dword v53, v[20:21], off offset:64
	s_waitcnt vmcnt(1)
	global_store_dword v[20:21], v51, off offset:64
	s_waitcnt vmcnt(1)
	global_store_dword v[54:55], v53, off
.LBB82_278:
	s_or_b64 exec, exec, s[18:19]
	v_mov_b32_e32 v51, v50
	v_mov_b32_e32 v53, v50
.LBB82_279:
	s_or_b64 exec, exec, s[2:3]
.LBB82_280:
	s_andn2_saveexec_b64 s[0:1], s[0:1]
	s_cbranch_execz .LBB82_282
; %bb.281:
	s_waitcnt vmcnt(22)
	v_pk_mov_b32 v[54:55], v[34:35], v[30:31] op_sel:[1,0]
	ds_write2_b32 v17, v54, v55 offset0:17 offset1:18
	s_waitcnt vmcnt(20)
	v_pk_mov_b32 v[54:55], v[30:31], v[24:25] op_sel:[1,0]
	ds_write2_b32 v17, v54, v55 offset0:19 offset1:20
	;; [unrolled: 3-line block ×11, first 2 shown]
	s_waitcnt vmcnt(0)
	v_pk_mov_b32 v[54:55], v[38:39], v[44:45] op_sel:[1,0]
	v_mov_b32_e32 v53, 16
	ds_write2_b32 v17, v54, v55 offset0:39 offset1:40
	ds_write_b32 v17, v45 offset:164
.LBB82_282:
	s_or_b64 exec, exec, s[0:1]
	v_cmp_lt_i32_e32 vcc, 16, v53
	s_waitcnt lgkmcnt(0)
	s_barrier
	s_and_saveexec_b64 s[0:1], vcc
	s_cbranch_execz .LBB82_284
; %bb.283:
	ds_read_b32 v50, v17 offset:68
	ds_read2_b32 v[54:55], v17 offset0:18 offset1:19
	ds_read2_b32 v[56:57], v17 offset0:20 offset1:21
	v_mul_f32_e32 v34, v52, v34
	ds_read2_b32 v[58:59], v17 offset0:22 offset1:23
	s_waitcnt vmcnt(24) lgkmcnt(3)
	v_fma_f32 v35, -v34, v50, v35
	s_waitcnt vmcnt(22) lgkmcnt(2)
	v_pk_fma_f32 v[30:31], v[34:35], v[54:55], v[30:31] op_sel_hi:[0,1,1] neg_lo:[1,0,0] neg_hi:[1,0,0]
	s_waitcnt vmcnt(20) lgkmcnt(1)
	v_pk_fma_f32 v[24:25], v[34:35], v[56:57], v[24:25] op_sel_hi:[0,1,1] neg_lo:[1,0,0] neg_hi:[1,0,0]
	ds_read2_b32 v[54:55], v17 offset0:24 offset1:25
	ds_read2_b32 v[56:57], v17 offset0:26 offset1:27
	;; [unrolled: 1-line block ×4, first 2 shown]
	s_waitcnt vmcnt(18) lgkmcnt(4)
	v_pk_fma_f32 v[14:15], v[34:35], v[58:59], v[14:15] op_sel_hi:[0,1,1] neg_lo:[1,0,0] neg_hi:[1,0,0]
	s_waitcnt vmcnt(16) lgkmcnt(3)
	v_pk_fma_f32 v[42:43], v[34:35], v[54:55], v[42:43] op_sel_hi:[0,1,1] neg_lo:[1,0,0] neg_hi:[1,0,0]
	;; [unrolled: 2-line block ×5, first 2 shown]
	ds_read2_b32 v[54:55], v17 offset0:32 offset1:33
	ds_read2_b32 v[56:57], v17 offset0:34 offset1:35
	;; [unrolled: 1-line block ×5, first 2 shown]
	s_waitcnt vmcnt(8) lgkmcnt(4)
	v_pk_fma_f32 v[48:49], v[34:35], v[54:55], v[48:49] op_sel_hi:[0,1,1] neg_lo:[1,0,0] neg_hi:[1,0,0]
	s_waitcnt vmcnt(6) lgkmcnt(3)
	v_pk_fma_f32 v[46:47], v[34:35], v[56:57], v[46:47] op_sel_hi:[0,1,1] neg_lo:[1,0,0] neg_hi:[1,0,0]
	;; [unrolled: 2-line block ×5, first 2 shown]
.LBB82_284:
	s_or_b64 exec, exec, s[0:1]
	v_lshl_add_u32 v50, v53, 2, v17
	s_barrier
	s_waitcnt vmcnt(24)
	ds_write_b32 v50, v35
	s_waitcnt lgkmcnt(0)
	s_barrier
	ds_read_b32 v52, v17 offset:68
	s_cmp_lt_i32 s22, 19
	v_mov_b32_e32 v50, 17
	s_cbranch_scc1 .LBB82_287
; %bb.285:
	v_add_u32_e32 v54, 0x48, v17
	v_mov_b32_e32 v50, 17
	s_mov_b32 s0, 18
.LBB82_286:                             ; =>This Inner Loop Header: Depth=1
	ds_read_b32 v55, v54
	v_mov_b32_e32 v56, s0
	s_add_i32 s0, s0, 1
	v_add_u32_e32 v54, 4, v54
	s_cmp_lg_u32 s22, s0
	s_waitcnt lgkmcnt(0)
	v_cmp_lt_f32_e64 vcc, |v52|, |v55|
	s_nop 1
	v_cndmask_b32_e32 v52, v52, v55, vcc
	v_cndmask_b32_e32 v50, v50, v56, vcc
	s_cbranch_scc1 .LBB82_286
.LBB82_287:
	s_waitcnt lgkmcnt(0)
	v_cmp_eq_f32_e32 vcc, 0, v52
	s_and_saveexec_b64 s[0:1], vcc
	s_xor_b64 s[0:1], exec, s[0:1]
; %bb.288:
	v_cmp_ne_u32_e32 vcc, 0, v19
	s_nop 1
	v_cndmask_b32_e32 v19, 18, v19, vcc
; %bb.289:
	s_andn2_saveexec_b64 s[0:1], s[0:1]
	s_cbranch_execz .LBB82_291
; %bb.290:
	v_div_scale_f32 v54, s[2:3], v52, v52, 1.0
	v_rcp_f32_e32 v55, v54
	v_div_scale_f32 v56, vcc, 1.0, v52, 1.0
	v_fma_f32 v57, -v54, v55, 1.0
	v_fmac_f32_e32 v55, v57, v55
	v_mul_f32_e32 v57, v56, v55
	v_fma_f32 v58, -v54, v57, v56
	v_fmac_f32_e32 v57, v58, v55
	v_fma_f32 v54, -v54, v57, v56
	v_div_fmas_f32 v54, v54, v55, v57
	v_div_fixup_f32 v52, v54, v52, 1.0
.LBB82_291:
	s_or_b64 exec, exec, s[0:1]
	v_cmp_ne_u32_e32 vcc, v53, v50
	s_and_saveexec_b64 s[0:1], vcc
	s_xor_b64 s[0:1], exec, s[0:1]
	s_cbranch_execz .LBB82_297
; %bb.292:
	v_cmp_eq_u32_e32 vcc, 17, v53
	s_and_saveexec_b64 s[2:3], vcc
	s_cbranch_execz .LBB82_296
; %bb.293:
	v_cmp_ne_u32_e32 vcc, 17, v50
	s_xor_b64 s[18:19], s[16:17], -1
	s_and_b64 s[20:21], s[18:19], vcc
	s_and_saveexec_b64 s[18:19], s[20:21]
	s_cbranch_execz .LBB82_295
; %bb.294:
	v_ashrrev_i32_e32 v51, 31, v50
	v_lshl_add_u64 v[54:55], v[50:51], 2, v[20:21]
	global_load_dword v51, v[54:55], off
	global_load_dword v53, v[20:21], off offset:68
	s_waitcnt vmcnt(1)
	global_store_dword v[20:21], v51, off offset:68
	s_waitcnt vmcnt(1)
	global_store_dword v[54:55], v53, off
.LBB82_295:
	s_or_b64 exec, exec, s[18:19]
	v_mov_b32_e32 v51, v50
	v_mov_b32_e32 v53, v50
.LBB82_296:
	s_or_b64 exec, exec, s[2:3]
.LBB82_297:
	s_andn2_saveexec_b64 s[0:1], s[0:1]
	s_cbranch_execz .LBB82_299
; %bb.298:
	v_mov_b32_e32 v53, 17
	s_waitcnt vmcnt(22)
	ds_write2_b32 v17, v30, v31 offset0:18 offset1:19
	s_waitcnt vmcnt(20)
	ds_write2_b32 v17, v24, v25 offset0:20 offset1:21
	;; [unrolled: 2-line block ×12, first 2 shown]
.LBB82_299:
	s_or_b64 exec, exec, s[0:1]
	v_cmp_lt_i32_e32 vcc, 17, v53
	s_waitcnt lgkmcnt(0)
	s_barrier
	s_and_saveexec_b64 s[0:1], vcc
	s_cbranch_execz .LBB82_301
; %bb.300:
	ds_read2_b32 v[54:55], v17 offset0:18 offset1:19
	ds_read2_b32 v[56:57], v17 offset0:20 offset1:21
	ds_read2_b32 v[58:59], v17 offset0:22 offset1:23
	v_mul_f32_e32 v50, v52, v35
	ds_read2_b32 v[60:61], v17 offset0:24 offset1:25
	s_waitcnt vmcnt(22) lgkmcnt(3)
	v_pk_fma_f32 v[30:31], v[50:51], v[54:55], v[30:31] op_sel_hi:[0,1,1] neg_lo:[1,0,0] neg_hi:[1,0,0]
	s_waitcnt vmcnt(20) lgkmcnt(2)
	v_pk_fma_f32 v[24:25], v[50:51], v[56:57], v[24:25] op_sel_hi:[0,1,1] neg_lo:[1,0,0] neg_hi:[1,0,0]
	;; [unrolled: 2-line block ×3, first 2 shown]
	ds_read2_b32 v[54:55], v17 offset0:26 offset1:27
	ds_read2_b32 v[56:57], v17 offset0:28 offset1:29
	;; [unrolled: 1-line block ×3, first 2 shown]
	s_waitcnt vmcnt(16) lgkmcnt(3)
	v_pk_fma_f32 v[42:43], v[50:51], v[60:61], v[42:43] op_sel_hi:[0,1,1] neg_lo:[1,0,0] neg_hi:[1,0,0]
	ds_read2_b32 v[60:61], v17 offset0:32 offset1:33
	s_waitcnt vmcnt(14) lgkmcnt(3)
	v_pk_fma_f32 v[36:37], v[50:51], v[54:55], v[36:37] op_sel_hi:[0,1,1] neg_lo:[1,0,0] neg_hi:[1,0,0]
	s_waitcnt vmcnt(12) lgkmcnt(2)
	v_pk_fma_f32 v[32:33], v[50:51], v[56:57], v[32:33] op_sel_hi:[0,1,1] neg_lo:[1,0,0] neg_hi:[1,0,0]
	;; [unrolled: 2-line block ×3, first 2 shown]
	ds_read2_b32 v[54:55], v17 offset0:34 offset1:35
	ds_read2_b32 v[56:57], v17 offset0:36 offset1:37
	;; [unrolled: 1-line block ×4, first 2 shown]
	s_waitcnt vmcnt(8) lgkmcnt(4)
	v_pk_fma_f32 v[48:49], v[50:51], v[60:61], v[48:49] op_sel_hi:[0,1,1] neg_lo:[1,0,0] neg_hi:[1,0,0]
	s_waitcnt vmcnt(6) lgkmcnt(3)
	v_pk_fma_f32 v[46:47], v[50:51], v[54:55], v[46:47] op_sel_hi:[0,1,1] neg_lo:[1,0,0] neg_hi:[1,0,0]
	;; [unrolled: 2-line block ×5, first 2 shown]
	v_mov_b32_e32 v35, v50
.LBB82_301:
	s_or_b64 exec, exec, s[0:1]
	v_lshl_add_u32 v50, v53, 2, v17
	s_barrier
	s_waitcnt vmcnt(23)
	ds_write_b32 v50, v30
	s_waitcnt lgkmcnt(0)
	s_barrier
	ds_read_b32 v52, v17 offset:72
	s_cmp_lt_i32 s22, 20
	v_mov_b32_e32 v50, 18
	s_cbranch_scc1 .LBB82_304
; %bb.302:
	v_add_u32_e32 v54, 0x4c, v17
	v_mov_b32_e32 v50, 18
	s_mov_b32 s0, 19
.LBB82_303:                             ; =>This Inner Loop Header: Depth=1
	ds_read_b32 v55, v54
	v_mov_b32_e32 v56, s0
	s_add_i32 s0, s0, 1
	v_add_u32_e32 v54, 4, v54
	s_cmp_lg_u32 s22, s0
	s_waitcnt lgkmcnt(0)
	v_cmp_lt_f32_e64 vcc, |v52|, |v55|
	s_nop 1
	v_cndmask_b32_e32 v52, v52, v55, vcc
	v_cndmask_b32_e32 v50, v50, v56, vcc
	s_cbranch_scc1 .LBB82_303
.LBB82_304:
	s_waitcnt lgkmcnt(0)
	v_cmp_eq_f32_e32 vcc, 0, v52
	s_and_saveexec_b64 s[0:1], vcc
	s_xor_b64 s[0:1], exec, s[0:1]
; %bb.305:
	v_cmp_ne_u32_e32 vcc, 0, v19
	s_nop 1
	v_cndmask_b32_e32 v19, 19, v19, vcc
; %bb.306:
	s_andn2_saveexec_b64 s[0:1], s[0:1]
	s_cbranch_execz .LBB82_308
; %bb.307:
	v_div_scale_f32 v54, s[2:3], v52, v52, 1.0
	v_rcp_f32_e32 v55, v54
	v_div_scale_f32 v56, vcc, 1.0, v52, 1.0
	v_fma_f32 v57, -v54, v55, 1.0
	v_fmac_f32_e32 v55, v57, v55
	v_mul_f32_e32 v57, v56, v55
	v_fma_f32 v58, -v54, v57, v56
	v_fmac_f32_e32 v57, v58, v55
	v_fma_f32 v54, -v54, v57, v56
	v_div_fmas_f32 v54, v54, v55, v57
	v_div_fixup_f32 v52, v54, v52, 1.0
.LBB82_308:
	s_or_b64 exec, exec, s[0:1]
	v_cmp_ne_u32_e32 vcc, v53, v50
	s_and_saveexec_b64 s[0:1], vcc
	s_xor_b64 s[0:1], exec, s[0:1]
	s_cbranch_execz .LBB82_314
; %bb.309:
	v_cmp_eq_u32_e32 vcc, 18, v53
	s_and_saveexec_b64 s[2:3], vcc
	s_cbranch_execz .LBB82_313
; %bb.310:
	v_cmp_ne_u32_e32 vcc, 18, v50
	s_xor_b64 s[18:19], s[16:17], -1
	s_and_b64 s[20:21], s[18:19], vcc
	s_and_saveexec_b64 s[18:19], s[20:21]
	s_cbranch_execz .LBB82_312
; %bb.311:
	v_ashrrev_i32_e32 v51, 31, v50
	v_lshl_add_u64 v[54:55], v[50:51], 2, v[20:21]
	global_load_dword v51, v[54:55], off
	global_load_dword v53, v[20:21], off offset:72
	s_waitcnt vmcnt(1)
	global_store_dword v[20:21], v51, off offset:72
	s_waitcnt vmcnt(1)
	global_store_dword v[54:55], v53, off
.LBB82_312:
	s_or_b64 exec, exec, s[18:19]
	v_mov_b32_e32 v51, v50
	v_mov_b32_e32 v53, v50
.LBB82_313:
	s_or_b64 exec, exec, s[2:3]
.LBB82_314:
	s_andn2_saveexec_b64 s[0:1], s[0:1]
	s_cbranch_execz .LBB82_316
; %bb.315:
	s_waitcnt vmcnt(20)
	v_pk_mov_b32 v[54:55], v[30:31], v[24:25] op_sel:[1,0]
	ds_write2_b32 v17, v54, v55 offset0:19 offset1:20
	s_waitcnt vmcnt(18)
	v_pk_mov_b32 v[54:55], v[24:25], v[14:15] op_sel:[1,0]
	ds_write2_b32 v17, v54, v55 offset0:21 offset1:22
	;; [unrolled: 3-line block ×10, first 2 shown]
	s_waitcnt vmcnt(0)
	v_pk_mov_b32 v[54:55], v[38:39], v[44:45] op_sel:[1,0]
	v_mov_b32_e32 v53, 18
	ds_write2_b32 v17, v54, v55 offset0:39 offset1:40
	ds_write_b32 v17, v45 offset:164
.LBB82_316:
	s_or_b64 exec, exec, s[0:1]
	v_cmp_lt_i32_e32 vcc, 18, v53
	s_waitcnt lgkmcnt(0)
	s_barrier
	s_and_saveexec_b64 s[0:1], vcc
	s_cbranch_execz .LBB82_318
; %bb.317:
	ds_read_b32 v50, v17 offset:76
	ds_read2_b32 v[54:55], v17 offset0:20 offset1:21
	ds_read2_b32 v[56:57], v17 offset0:22 offset1:23
	v_mul_f32_e32 v30, v52, v30
	ds_read2_b32 v[58:59], v17 offset0:24 offset1:25
	s_waitcnt vmcnt(22) lgkmcnt(3)
	v_fma_f32 v31, -v30, v50, v31
	s_waitcnt vmcnt(20) lgkmcnt(2)
	v_pk_fma_f32 v[24:25], v[30:31], v[54:55], v[24:25] op_sel_hi:[0,1,1] neg_lo:[1,0,0] neg_hi:[1,0,0]
	s_waitcnt vmcnt(18) lgkmcnt(1)
	v_pk_fma_f32 v[14:15], v[30:31], v[56:57], v[14:15] op_sel_hi:[0,1,1] neg_lo:[1,0,0] neg_hi:[1,0,0]
	ds_read2_b32 v[54:55], v17 offset0:26 offset1:27
	ds_read2_b32 v[56:57], v17 offset0:28 offset1:29
	;; [unrolled: 1-line block ×3, first 2 shown]
	s_waitcnt vmcnt(16) lgkmcnt(3)
	v_pk_fma_f32 v[42:43], v[30:31], v[58:59], v[42:43] op_sel_hi:[0,1,1] neg_lo:[1,0,0] neg_hi:[1,0,0]
	ds_read2_b32 v[58:59], v17 offset0:32 offset1:33
	s_waitcnt vmcnt(14) lgkmcnt(3)
	v_pk_fma_f32 v[36:37], v[30:31], v[54:55], v[36:37] op_sel_hi:[0,1,1] neg_lo:[1,0,0] neg_hi:[1,0,0]
	s_waitcnt vmcnt(12) lgkmcnt(2)
	v_pk_fma_f32 v[32:33], v[30:31], v[56:57], v[32:33] op_sel_hi:[0,1,1] neg_lo:[1,0,0] neg_hi:[1,0,0]
	;; [unrolled: 2-line block ×3, first 2 shown]
	ds_read2_b32 v[54:55], v17 offset0:34 offset1:35
	ds_read2_b32 v[56:57], v17 offset0:36 offset1:37
	;; [unrolled: 1-line block ×4, first 2 shown]
	s_waitcnt vmcnt(8) lgkmcnt(4)
	v_pk_fma_f32 v[48:49], v[30:31], v[58:59], v[48:49] op_sel_hi:[0,1,1] neg_lo:[1,0,0] neg_hi:[1,0,0]
	s_waitcnt vmcnt(6) lgkmcnt(3)
	v_pk_fma_f32 v[46:47], v[30:31], v[54:55], v[46:47] op_sel_hi:[0,1,1] neg_lo:[1,0,0] neg_hi:[1,0,0]
	;; [unrolled: 2-line block ×5, first 2 shown]
.LBB82_318:
	s_or_b64 exec, exec, s[0:1]
	v_lshl_add_u32 v50, v53, 2, v17
	s_barrier
	s_waitcnt vmcnt(22)
	ds_write_b32 v50, v31
	s_waitcnt lgkmcnt(0)
	s_barrier
	ds_read_b32 v52, v17 offset:76
	s_cmp_lt_i32 s22, 21
	v_mov_b32_e32 v50, 19
	s_cbranch_scc1 .LBB82_321
; %bb.319:
	v_add_u32_e32 v54, 0x50, v17
	v_mov_b32_e32 v50, 19
	s_mov_b32 s0, 20
.LBB82_320:                             ; =>This Inner Loop Header: Depth=1
	ds_read_b32 v55, v54
	v_mov_b32_e32 v56, s0
	s_add_i32 s0, s0, 1
	v_add_u32_e32 v54, 4, v54
	s_cmp_lg_u32 s22, s0
	s_waitcnt lgkmcnt(0)
	v_cmp_lt_f32_e64 vcc, |v52|, |v55|
	s_nop 1
	v_cndmask_b32_e32 v52, v52, v55, vcc
	v_cndmask_b32_e32 v50, v50, v56, vcc
	s_cbranch_scc1 .LBB82_320
.LBB82_321:
	s_waitcnt lgkmcnt(0)
	v_cmp_eq_f32_e32 vcc, 0, v52
	s_and_saveexec_b64 s[0:1], vcc
	s_xor_b64 s[0:1], exec, s[0:1]
; %bb.322:
	v_cmp_ne_u32_e32 vcc, 0, v19
	s_nop 1
	v_cndmask_b32_e32 v19, 20, v19, vcc
; %bb.323:
	s_andn2_saveexec_b64 s[0:1], s[0:1]
	s_cbranch_execz .LBB82_325
; %bb.324:
	v_div_scale_f32 v54, s[2:3], v52, v52, 1.0
	v_rcp_f32_e32 v55, v54
	v_div_scale_f32 v56, vcc, 1.0, v52, 1.0
	v_fma_f32 v57, -v54, v55, 1.0
	v_fmac_f32_e32 v55, v57, v55
	v_mul_f32_e32 v57, v56, v55
	v_fma_f32 v58, -v54, v57, v56
	v_fmac_f32_e32 v57, v58, v55
	v_fma_f32 v54, -v54, v57, v56
	v_div_fmas_f32 v54, v54, v55, v57
	v_div_fixup_f32 v52, v54, v52, 1.0
.LBB82_325:
	s_or_b64 exec, exec, s[0:1]
	v_cmp_ne_u32_e32 vcc, v53, v50
	s_and_saveexec_b64 s[0:1], vcc
	s_xor_b64 s[0:1], exec, s[0:1]
	s_cbranch_execz .LBB82_331
; %bb.326:
	v_cmp_eq_u32_e32 vcc, 19, v53
	s_and_saveexec_b64 s[2:3], vcc
	s_cbranch_execz .LBB82_330
; %bb.327:
	v_cmp_ne_u32_e32 vcc, 19, v50
	s_xor_b64 s[18:19], s[16:17], -1
	s_and_b64 s[20:21], s[18:19], vcc
	s_and_saveexec_b64 s[18:19], s[20:21]
	s_cbranch_execz .LBB82_329
; %bb.328:
	v_ashrrev_i32_e32 v51, 31, v50
	v_lshl_add_u64 v[54:55], v[50:51], 2, v[20:21]
	global_load_dword v51, v[54:55], off
	global_load_dword v53, v[20:21], off offset:76
	s_waitcnt vmcnt(1)
	global_store_dword v[20:21], v51, off offset:76
	s_waitcnt vmcnt(1)
	global_store_dword v[54:55], v53, off
.LBB82_329:
	s_or_b64 exec, exec, s[18:19]
	v_mov_b32_e32 v51, v50
	v_mov_b32_e32 v53, v50
.LBB82_330:
	s_or_b64 exec, exec, s[2:3]
.LBB82_331:
	s_andn2_saveexec_b64 s[0:1], s[0:1]
	s_cbranch_execz .LBB82_333
; %bb.332:
	v_mov_b32_e32 v53, 19
	s_waitcnt vmcnt(20)
	ds_write2_b32 v17, v24, v25 offset0:20 offset1:21
	s_waitcnt vmcnt(18)
	ds_write2_b32 v17, v14, v15 offset0:22 offset1:23
	;; [unrolled: 2-line block ×11, first 2 shown]
.LBB82_333:
	s_or_b64 exec, exec, s[0:1]
	v_cmp_lt_i32_e32 vcc, 19, v53
	s_waitcnt lgkmcnt(0)
	s_barrier
	s_and_saveexec_b64 s[0:1], vcc
	s_cbranch_execz .LBB82_335
; %bb.334:
	ds_read2_b32 v[54:55], v17 offset0:20 offset1:21
	ds_read2_b32 v[56:57], v17 offset0:22 offset1:23
	;; [unrolled: 1-line block ×3, first 2 shown]
	v_mul_f32_e32 v50, v52, v31
	ds_read2_b32 v[60:61], v17 offset0:26 offset1:27
	s_waitcnt vmcnt(20) lgkmcnt(3)
	v_pk_fma_f32 v[24:25], v[50:51], v[54:55], v[24:25] op_sel_hi:[0,1,1] neg_lo:[1,0,0] neg_hi:[1,0,0]
	s_waitcnt vmcnt(18) lgkmcnt(2)
	v_pk_fma_f32 v[14:15], v[50:51], v[56:57], v[14:15] op_sel_hi:[0,1,1] neg_lo:[1,0,0] neg_hi:[1,0,0]
	ds_read2_b32 v[54:55], v17 offset0:28 offset1:29
	ds_read2_b32 v[56:57], v17 offset0:30 offset1:31
	s_waitcnt vmcnt(16) lgkmcnt(3)
	v_pk_fma_f32 v[42:43], v[50:51], v[58:59], v[42:43] op_sel_hi:[0,1,1] neg_lo:[1,0,0] neg_hi:[1,0,0]
	s_waitcnt vmcnt(14) lgkmcnt(2)
	v_pk_fma_f32 v[36:37], v[50:51], v[60:61], v[36:37] op_sel_hi:[0,1,1] neg_lo:[1,0,0] neg_hi:[1,0,0]
	ds_read2_b32 v[58:59], v17 offset0:32 offset1:33
	;; [unrolled: 6-line block ×3, first 2 shown]
	ds_read2_b32 v[56:57], v17 offset0:38 offset1:39
	ds_read2_b32 v[62:63], v17 offset0:40 offset1:41
	s_waitcnt vmcnt(8) lgkmcnt(4)
	v_pk_fma_f32 v[48:49], v[50:51], v[58:59], v[48:49] op_sel_hi:[0,1,1] neg_lo:[1,0,0] neg_hi:[1,0,0]
	s_waitcnt vmcnt(6) lgkmcnt(3)
	v_pk_fma_f32 v[46:47], v[50:51], v[60:61], v[46:47] op_sel_hi:[0,1,1] neg_lo:[1,0,0] neg_hi:[1,0,0]
	;; [unrolled: 2-line block ×5, first 2 shown]
	v_mov_b32_e32 v31, v50
.LBB82_335:
	s_or_b64 exec, exec, s[0:1]
	v_lshl_add_u32 v50, v53, 2, v17
	s_barrier
	s_waitcnt vmcnt(21)
	ds_write_b32 v50, v24
	s_waitcnt lgkmcnt(0)
	s_barrier
	ds_read_b32 v52, v17 offset:80
	s_cmp_lt_i32 s22, 22
	v_mov_b32_e32 v50, 20
	s_cbranch_scc1 .LBB82_338
; %bb.336:
	v_add_u32_e32 v54, 0x54, v17
	v_mov_b32_e32 v50, 20
	s_mov_b32 s0, 21
.LBB82_337:                             ; =>This Inner Loop Header: Depth=1
	ds_read_b32 v55, v54
	v_mov_b32_e32 v56, s0
	s_add_i32 s0, s0, 1
	v_add_u32_e32 v54, 4, v54
	s_cmp_lg_u32 s22, s0
	s_waitcnt lgkmcnt(0)
	v_cmp_lt_f32_e64 vcc, |v52|, |v55|
	s_nop 1
	v_cndmask_b32_e32 v52, v52, v55, vcc
	v_cndmask_b32_e32 v50, v50, v56, vcc
	s_cbranch_scc1 .LBB82_337
.LBB82_338:
	s_waitcnt lgkmcnt(0)
	v_cmp_eq_f32_e32 vcc, 0, v52
	s_and_saveexec_b64 s[0:1], vcc
	s_xor_b64 s[0:1], exec, s[0:1]
; %bb.339:
	v_cmp_ne_u32_e32 vcc, 0, v19
	s_nop 1
	v_cndmask_b32_e32 v19, 21, v19, vcc
; %bb.340:
	s_andn2_saveexec_b64 s[0:1], s[0:1]
	s_cbranch_execz .LBB82_342
; %bb.341:
	v_div_scale_f32 v54, s[2:3], v52, v52, 1.0
	v_rcp_f32_e32 v55, v54
	v_div_scale_f32 v56, vcc, 1.0, v52, 1.0
	v_fma_f32 v57, -v54, v55, 1.0
	v_fmac_f32_e32 v55, v57, v55
	v_mul_f32_e32 v57, v56, v55
	v_fma_f32 v58, -v54, v57, v56
	v_fmac_f32_e32 v57, v58, v55
	v_fma_f32 v54, -v54, v57, v56
	v_div_fmas_f32 v54, v54, v55, v57
	v_div_fixup_f32 v52, v54, v52, 1.0
.LBB82_342:
	s_or_b64 exec, exec, s[0:1]
	v_cmp_ne_u32_e32 vcc, v53, v50
	s_and_saveexec_b64 s[0:1], vcc
	s_xor_b64 s[0:1], exec, s[0:1]
	s_cbranch_execz .LBB82_348
; %bb.343:
	v_cmp_eq_u32_e32 vcc, 20, v53
	s_and_saveexec_b64 s[2:3], vcc
	s_cbranch_execz .LBB82_347
; %bb.344:
	v_cmp_ne_u32_e32 vcc, 20, v50
	s_xor_b64 s[18:19], s[16:17], -1
	s_and_b64 s[20:21], s[18:19], vcc
	s_and_saveexec_b64 s[18:19], s[20:21]
	s_cbranch_execz .LBB82_346
; %bb.345:
	v_ashrrev_i32_e32 v51, 31, v50
	v_lshl_add_u64 v[54:55], v[50:51], 2, v[20:21]
	global_load_dword v51, v[54:55], off
	global_load_dword v53, v[20:21], off offset:80
	s_waitcnt vmcnt(1)
	global_store_dword v[20:21], v51, off offset:80
	s_waitcnt vmcnt(1)
	global_store_dword v[54:55], v53, off
.LBB82_346:
	s_or_b64 exec, exec, s[18:19]
	v_mov_b32_e32 v51, v50
	v_mov_b32_e32 v53, v50
.LBB82_347:
	s_or_b64 exec, exec, s[2:3]
.LBB82_348:
	s_andn2_saveexec_b64 s[0:1], s[0:1]
	s_cbranch_execz .LBB82_350
; %bb.349:
	s_waitcnt vmcnt(18)
	v_pk_mov_b32 v[54:55], v[24:25], v[14:15] op_sel:[1,0]
	ds_write2_b32 v17, v54, v55 offset0:21 offset1:22
	s_waitcnt vmcnt(16)
	v_pk_mov_b32 v[54:55], v[14:15], v[42:43] op_sel:[1,0]
	ds_write2_b32 v17, v54, v55 offset0:23 offset1:24
	;; [unrolled: 3-line block ×9, first 2 shown]
	s_waitcnt vmcnt(0)
	v_pk_mov_b32 v[54:55], v[38:39], v[44:45] op_sel:[1,0]
	v_mov_b32_e32 v53, 20
	ds_write2_b32 v17, v54, v55 offset0:39 offset1:40
	ds_write_b32 v17, v45 offset:164
.LBB82_350:
	s_or_b64 exec, exec, s[0:1]
	v_cmp_lt_i32_e32 vcc, 20, v53
	s_waitcnt lgkmcnt(0)
	s_barrier
	s_and_saveexec_b64 s[0:1], vcc
	s_cbranch_execz .LBB82_352
; %bb.351:
	ds_read_b32 v50, v17 offset:84
	ds_read2_b32 v[54:55], v17 offset0:22 offset1:23
	ds_read2_b32 v[56:57], v17 offset0:24 offset1:25
	v_mul_f32_e32 v24, v52, v24
	ds_read2_b32 v[58:59], v17 offset0:26 offset1:27
	s_waitcnt vmcnt(20) lgkmcnt(3)
	v_fma_f32 v25, -v24, v50, v25
	s_waitcnt vmcnt(18) lgkmcnt(2)
	v_pk_fma_f32 v[14:15], v[24:25], v[54:55], v[14:15] op_sel_hi:[0,1,1] neg_lo:[1,0,0] neg_hi:[1,0,0]
	s_waitcnt vmcnt(16) lgkmcnt(1)
	v_pk_fma_f32 v[42:43], v[24:25], v[56:57], v[42:43] op_sel_hi:[0,1,1] neg_lo:[1,0,0] neg_hi:[1,0,0]
	ds_read2_b32 v[54:55], v17 offset0:28 offset1:29
	ds_read2_b32 v[56:57], v17 offset0:30 offset1:31
	s_waitcnt vmcnt(14) lgkmcnt(2)
	v_pk_fma_f32 v[36:37], v[24:25], v[58:59], v[36:37] op_sel_hi:[0,1,1] neg_lo:[1,0,0] neg_hi:[1,0,0]
	ds_read2_b32 v[58:59], v17 offset0:32 offset1:33
	ds_read2_b32 v[60:61], v17 offset0:34 offset1:35
	s_waitcnt vmcnt(12) lgkmcnt(3)
	v_pk_fma_f32 v[32:33], v[24:25], v[54:55], v[32:33] op_sel_hi:[0,1,1] neg_lo:[1,0,0] neg_hi:[1,0,0]
	s_waitcnt vmcnt(10) lgkmcnt(2)
	v_pk_fma_f32 v[26:27], v[24:25], v[56:57], v[26:27] op_sel_hi:[0,1,1] neg_lo:[1,0,0] neg_hi:[1,0,0]
	ds_read2_b32 v[54:55], v17 offset0:36 offset1:37
	ds_read2_b32 v[56:57], v17 offset0:38 offset1:39
	;; [unrolled: 1-line block ×3, first 2 shown]
	s_waitcnt vmcnt(8) lgkmcnt(4)
	v_pk_fma_f32 v[48:49], v[24:25], v[58:59], v[48:49] op_sel_hi:[0,1,1] neg_lo:[1,0,0] neg_hi:[1,0,0]
	s_waitcnt vmcnt(6) lgkmcnt(3)
	v_pk_fma_f32 v[46:47], v[24:25], v[60:61], v[46:47] op_sel_hi:[0,1,1] neg_lo:[1,0,0] neg_hi:[1,0,0]
	;; [unrolled: 2-line block ×5, first 2 shown]
.LBB82_352:
	s_or_b64 exec, exec, s[0:1]
	v_lshl_add_u32 v50, v53, 2, v17
	s_barrier
	s_waitcnt vmcnt(20)
	ds_write_b32 v50, v25
	s_waitcnt lgkmcnt(0)
	s_barrier
	ds_read_b32 v52, v17 offset:84
	s_cmp_lt_i32 s22, 23
	v_mov_b32_e32 v50, 21
	s_cbranch_scc1 .LBB82_355
; %bb.353:
	v_add_u32_e32 v54, 0x58, v17
	v_mov_b32_e32 v50, 21
	s_mov_b32 s0, 22
.LBB82_354:                             ; =>This Inner Loop Header: Depth=1
	ds_read_b32 v55, v54
	v_mov_b32_e32 v56, s0
	s_add_i32 s0, s0, 1
	v_add_u32_e32 v54, 4, v54
	s_cmp_lg_u32 s22, s0
	s_waitcnt lgkmcnt(0)
	v_cmp_lt_f32_e64 vcc, |v52|, |v55|
	s_nop 1
	v_cndmask_b32_e32 v52, v52, v55, vcc
	v_cndmask_b32_e32 v50, v50, v56, vcc
	s_cbranch_scc1 .LBB82_354
.LBB82_355:
	s_waitcnt lgkmcnt(0)
	v_cmp_eq_f32_e32 vcc, 0, v52
	s_and_saveexec_b64 s[0:1], vcc
	s_xor_b64 s[0:1], exec, s[0:1]
; %bb.356:
	v_cmp_ne_u32_e32 vcc, 0, v19
	s_nop 1
	v_cndmask_b32_e32 v19, 22, v19, vcc
; %bb.357:
	s_andn2_saveexec_b64 s[0:1], s[0:1]
	s_cbranch_execz .LBB82_359
; %bb.358:
	v_div_scale_f32 v54, s[2:3], v52, v52, 1.0
	v_rcp_f32_e32 v55, v54
	v_div_scale_f32 v56, vcc, 1.0, v52, 1.0
	v_fma_f32 v57, -v54, v55, 1.0
	v_fmac_f32_e32 v55, v57, v55
	v_mul_f32_e32 v57, v56, v55
	v_fma_f32 v58, -v54, v57, v56
	v_fmac_f32_e32 v57, v58, v55
	v_fma_f32 v54, -v54, v57, v56
	v_div_fmas_f32 v54, v54, v55, v57
	v_div_fixup_f32 v52, v54, v52, 1.0
.LBB82_359:
	s_or_b64 exec, exec, s[0:1]
	v_cmp_ne_u32_e32 vcc, v53, v50
	s_and_saveexec_b64 s[0:1], vcc
	s_xor_b64 s[0:1], exec, s[0:1]
	s_cbranch_execz .LBB82_365
; %bb.360:
	v_cmp_eq_u32_e32 vcc, 21, v53
	s_and_saveexec_b64 s[2:3], vcc
	s_cbranch_execz .LBB82_364
; %bb.361:
	v_cmp_ne_u32_e32 vcc, 21, v50
	s_xor_b64 s[18:19], s[16:17], -1
	s_and_b64 s[20:21], s[18:19], vcc
	s_and_saveexec_b64 s[18:19], s[20:21]
	s_cbranch_execz .LBB82_363
; %bb.362:
	v_ashrrev_i32_e32 v51, 31, v50
	v_lshl_add_u64 v[54:55], v[50:51], 2, v[20:21]
	global_load_dword v51, v[54:55], off
	global_load_dword v53, v[20:21], off offset:84
	s_waitcnt vmcnt(1)
	global_store_dword v[20:21], v51, off offset:84
	s_waitcnt vmcnt(1)
	global_store_dword v[54:55], v53, off
.LBB82_363:
	s_or_b64 exec, exec, s[18:19]
	v_mov_b32_e32 v51, v50
	v_mov_b32_e32 v53, v50
.LBB82_364:
	s_or_b64 exec, exec, s[2:3]
.LBB82_365:
	s_andn2_saveexec_b64 s[0:1], s[0:1]
	s_cbranch_execz .LBB82_367
; %bb.366:
	v_mov_b32_e32 v53, 21
	s_waitcnt vmcnt(18)
	ds_write2_b32 v17, v14, v15 offset0:22 offset1:23
	s_waitcnt vmcnt(16)
	ds_write2_b32 v17, v42, v43 offset0:24 offset1:25
	;; [unrolled: 2-line block ×10, first 2 shown]
.LBB82_367:
	s_or_b64 exec, exec, s[0:1]
	v_cmp_lt_i32_e32 vcc, 21, v53
	s_waitcnt lgkmcnt(0)
	s_barrier
	s_and_saveexec_b64 s[0:1], vcc
	s_cbranch_execz .LBB82_369
; %bb.368:
	ds_read2_b32 v[54:55], v17 offset0:22 offset1:23
	ds_read2_b32 v[56:57], v17 offset0:24 offset1:25
	;; [unrolled: 1-line block ×3, first 2 shown]
	v_mul_f32_e32 v50, v52, v25
	ds_read2_b32 v[60:61], v17 offset0:28 offset1:29
	s_waitcnt vmcnt(18) lgkmcnt(3)
	v_pk_fma_f32 v[14:15], v[50:51], v[54:55], v[14:15] op_sel_hi:[0,1,1] neg_lo:[1,0,0] neg_hi:[1,0,0]
	ds_read2_b32 v[54:55], v17 offset0:30 offset1:31
	s_waitcnt vmcnt(16) lgkmcnt(3)
	v_pk_fma_f32 v[42:43], v[50:51], v[56:57], v[42:43] op_sel_hi:[0,1,1] neg_lo:[1,0,0] neg_hi:[1,0,0]
	s_waitcnt vmcnt(14) lgkmcnt(2)
	v_pk_fma_f32 v[36:37], v[50:51], v[58:59], v[36:37] op_sel_hi:[0,1,1] neg_lo:[1,0,0] neg_hi:[1,0,0]
	;; [unrolled: 2-line block ×3, first 2 shown]
	ds_read2_b32 v[56:57], v17 offset0:32 offset1:33
	ds_read2_b32 v[58:59], v17 offset0:34 offset1:35
	;; [unrolled: 1-line block ×3, first 2 shown]
	s_waitcnt vmcnt(10) lgkmcnt(3)
	v_pk_fma_f32 v[26:27], v[50:51], v[54:55], v[26:27] op_sel_hi:[0,1,1] neg_lo:[1,0,0] neg_hi:[1,0,0]
	ds_read2_b32 v[54:55], v17 offset0:38 offset1:39
	ds_read2_b32 v[62:63], v17 offset0:40 offset1:41
	s_waitcnt vmcnt(8) lgkmcnt(4)
	v_pk_fma_f32 v[48:49], v[50:51], v[56:57], v[48:49] op_sel_hi:[0,1,1] neg_lo:[1,0,0] neg_hi:[1,0,0]
	s_waitcnt vmcnt(6) lgkmcnt(3)
	v_pk_fma_f32 v[46:47], v[50:51], v[58:59], v[46:47] op_sel_hi:[0,1,1] neg_lo:[1,0,0] neg_hi:[1,0,0]
	;; [unrolled: 2-line block ×5, first 2 shown]
	v_mov_b32_e32 v25, v50
.LBB82_369:
	s_or_b64 exec, exec, s[0:1]
	v_lshl_add_u32 v50, v53, 2, v17
	s_barrier
	s_waitcnt vmcnt(19)
	ds_write_b32 v50, v14
	s_waitcnt lgkmcnt(0)
	s_barrier
	ds_read_b32 v52, v17 offset:88
	s_cmp_lt_i32 s22, 24
	v_mov_b32_e32 v50, 22
	s_cbranch_scc1 .LBB82_372
; %bb.370:
	v_add_u32_e32 v54, 0x5c, v17
	v_mov_b32_e32 v50, 22
	s_mov_b32 s0, 23
.LBB82_371:                             ; =>This Inner Loop Header: Depth=1
	ds_read_b32 v55, v54
	v_mov_b32_e32 v56, s0
	s_add_i32 s0, s0, 1
	v_add_u32_e32 v54, 4, v54
	s_cmp_lg_u32 s22, s0
	s_waitcnt lgkmcnt(0)
	v_cmp_lt_f32_e64 vcc, |v52|, |v55|
	s_nop 1
	v_cndmask_b32_e32 v52, v52, v55, vcc
	v_cndmask_b32_e32 v50, v50, v56, vcc
	s_cbranch_scc1 .LBB82_371
.LBB82_372:
	s_waitcnt lgkmcnt(0)
	v_cmp_eq_f32_e32 vcc, 0, v52
	s_and_saveexec_b64 s[0:1], vcc
	s_xor_b64 s[0:1], exec, s[0:1]
; %bb.373:
	v_cmp_ne_u32_e32 vcc, 0, v19
	s_nop 1
	v_cndmask_b32_e32 v19, 23, v19, vcc
; %bb.374:
	s_andn2_saveexec_b64 s[0:1], s[0:1]
	s_cbranch_execz .LBB82_376
; %bb.375:
	v_div_scale_f32 v54, s[2:3], v52, v52, 1.0
	v_rcp_f32_e32 v55, v54
	v_div_scale_f32 v56, vcc, 1.0, v52, 1.0
	v_fma_f32 v57, -v54, v55, 1.0
	v_fmac_f32_e32 v55, v57, v55
	v_mul_f32_e32 v57, v56, v55
	v_fma_f32 v58, -v54, v57, v56
	v_fmac_f32_e32 v57, v58, v55
	v_fma_f32 v54, -v54, v57, v56
	v_div_fmas_f32 v54, v54, v55, v57
	v_div_fixup_f32 v52, v54, v52, 1.0
.LBB82_376:
	s_or_b64 exec, exec, s[0:1]
	v_cmp_ne_u32_e32 vcc, v53, v50
	s_and_saveexec_b64 s[0:1], vcc
	s_xor_b64 s[0:1], exec, s[0:1]
	s_cbranch_execz .LBB82_382
; %bb.377:
	v_cmp_eq_u32_e32 vcc, 22, v53
	s_and_saveexec_b64 s[2:3], vcc
	s_cbranch_execz .LBB82_381
; %bb.378:
	v_cmp_ne_u32_e32 vcc, 22, v50
	s_xor_b64 s[18:19], s[16:17], -1
	s_and_b64 s[20:21], s[18:19], vcc
	s_and_saveexec_b64 s[18:19], s[20:21]
	s_cbranch_execz .LBB82_380
; %bb.379:
	v_ashrrev_i32_e32 v51, 31, v50
	v_lshl_add_u64 v[54:55], v[50:51], 2, v[20:21]
	global_load_dword v51, v[54:55], off
	global_load_dword v53, v[20:21], off offset:88
	s_waitcnt vmcnt(1)
	global_store_dword v[20:21], v51, off offset:88
	s_waitcnt vmcnt(1)
	global_store_dword v[54:55], v53, off
.LBB82_380:
	s_or_b64 exec, exec, s[18:19]
	v_mov_b32_e32 v51, v50
	v_mov_b32_e32 v53, v50
.LBB82_381:
	s_or_b64 exec, exec, s[2:3]
.LBB82_382:
	s_andn2_saveexec_b64 s[0:1], s[0:1]
	s_cbranch_execz .LBB82_384
; %bb.383:
	s_waitcnt vmcnt(16)
	v_pk_mov_b32 v[54:55], v[14:15], v[42:43] op_sel:[1,0]
	ds_write2_b32 v17, v54, v55 offset0:23 offset1:24
	s_waitcnt vmcnt(14)
	v_pk_mov_b32 v[54:55], v[42:43], v[36:37] op_sel:[1,0]
	ds_write2_b32 v17, v54, v55 offset0:25 offset1:26
	;; [unrolled: 3-line block ×8, first 2 shown]
	s_waitcnt vmcnt(0)
	v_pk_mov_b32 v[54:55], v[38:39], v[44:45] op_sel:[1,0]
	v_mov_b32_e32 v53, 22
	ds_write2_b32 v17, v54, v55 offset0:39 offset1:40
	ds_write_b32 v17, v45 offset:164
.LBB82_384:
	s_or_b64 exec, exec, s[0:1]
	v_cmp_lt_i32_e32 vcc, 22, v53
	s_waitcnt lgkmcnt(0)
	s_barrier
	s_and_saveexec_b64 s[0:1], vcc
	s_cbranch_execz .LBB82_386
; %bb.385:
	ds_read_b32 v50, v17 offset:92
	ds_read2_b32 v[54:55], v17 offset0:24 offset1:25
	ds_read2_b32 v[56:57], v17 offset0:26 offset1:27
	v_mul_f32_e32 v14, v52, v14
	ds_read2_b32 v[58:59], v17 offset0:28 offset1:29
	s_waitcnt vmcnt(18) lgkmcnt(3)
	v_fma_f32 v15, -v14, v50, v15
	s_waitcnt vmcnt(16) lgkmcnt(2)
	v_pk_fma_f32 v[42:43], v[14:15], v[54:55], v[42:43] op_sel_hi:[0,1,1] neg_lo:[1,0,0] neg_hi:[1,0,0]
	ds_read2_b32 v[54:55], v17 offset0:30 offset1:31
	s_waitcnt vmcnt(14) lgkmcnt(2)
	v_pk_fma_f32 v[36:37], v[14:15], v[56:57], v[36:37] op_sel_hi:[0,1,1] neg_lo:[1,0,0] neg_hi:[1,0,0]
	s_waitcnt vmcnt(12) lgkmcnt(1)
	v_pk_fma_f32 v[32:33], v[14:15], v[58:59], v[32:33] op_sel_hi:[0,1,1] neg_lo:[1,0,0] neg_hi:[1,0,0]
	ds_read2_b32 v[56:57], v17 offset0:32 offset1:33
	ds_read2_b32 v[58:59], v17 offset0:34 offset1:35
	;; [unrolled: 1-line block ×3, first 2 shown]
	s_waitcnt vmcnt(10) lgkmcnt(3)
	v_pk_fma_f32 v[26:27], v[14:15], v[54:55], v[26:27] op_sel_hi:[0,1,1] neg_lo:[1,0,0] neg_hi:[1,0,0]
	ds_read2_b32 v[54:55], v17 offset0:38 offset1:39
	ds_read2_b32 v[62:63], v17 offset0:40 offset1:41
	s_waitcnt vmcnt(8) lgkmcnt(4)
	v_pk_fma_f32 v[48:49], v[14:15], v[56:57], v[48:49] op_sel_hi:[0,1,1] neg_lo:[1,0,0] neg_hi:[1,0,0]
	s_waitcnt vmcnt(6) lgkmcnt(3)
	v_pk_fma_f32 v[46:47], v[14:15], v[58:59], v[46:47] op_sel_hi:[0,1,1] neg_lo:[1,0,0] neg_hi:[1,0,0]
	;; [unrolled: 2-line block ×5, first 2 shown]
.LBB82_386:
	s_or_b64 exec, exec, s[0:1]
	v_lshl_add_u32 v50, v53, 2, v17
	s_barrier
	s_waitcnt vmcnt(18)
	ds_write_b32 v50, v15
	s_waitcnt lgkmcnt(0)
	s_barrier
	ds_read_b32 v52, v17 offset:92
	s_cmp_lt_i32 s22, 25
	v_mov_b32_e32 v50, 23
	s_cbranch_scc1 .LBB82_389
; %bb.387:
	v_add_u32_e32 v54, 0x60, v17
	v_mov_b32_e32 v50, 23
	s_mov_b32 s0, 24
.LBB82_388:                             ; =>This Inner Loop Header: Depth=1
	ds_read_b32 v55, v54
	v_mov_b32_e32 v56, s0
	s_add_i32 s0, s0, 1
	v_add_u32_e32 v54, 4, v54
	s_cmp_lg_u32 s22, s0
	s_waitcnt lgkmcnt(0)
	v_cmp_lt_f32_e64 vcc, |v52|, |v55|
	s_nop 1
	v_cndmask_b32_e32 v52, v52, v55, vcc
	v_cndmask_b32_e32 v50, v50, v56, vcc
	s_cbranch_scc1 .LBB82_388
.LBB82_389:
	s_waitcnt lgkmcnt(0)
	v_cmp_eq_f32_e32 vcc, 0, v52
	s_and_saveexec_b64 s[0:1], vcc
	s_xor_b64 s[0:1], exec, s[0:1]
; %bb.390:
	v_cmp_ne_u32_e32 vcc, 0, v19
	s_nop 1
	v_cndmask_b32_e32 v19, 24, v19, vcc
; %bb.391:
	s_andn2_saveexec_b64 s[0:1], s[0:1]
	s_cbranch_execz .LBB82_393
; %bb.392:
	v_div_scale_f32 v54, s[2:3], v52, v52, 1.0
	v_rcp_f32_e32 v55, v54
	v_div_scale_f32 v56, vcc, 1.0, v52, 1.0
	v_fma_f32 v57, -v54, v55, 1.0
	v_fmac_f32_e32 v55, v57, v55
	v_mul_f32_e32 v57, v56, v55
	v_fma_f32 v58, -v54, v57, v56
	v_fmac_f32_e32 v57, v58, v55
	v_fma_f32 v54, -v54, v57, v56
	v_div_fmas_f32 v54, v54, v55, v57
	v_div_fixup_f32 v52, v54, v52, 1.0
.LBB82_393:
	s_or_b64 exec, exec, s[0:1]
	v_cmp_ne_u32_e32 vcc, v53, v50
	s_and_saveexec_b64 s[0:1], vcc
	s_xor_b64 s[0:1], exec, s[0:1]
	s_cbranch_execz .LBB82_399
; %bb.394:
	v_cmp_eq_u32_e32 vcc, 23, v53
	s_and_saveexec_b64 s[2:3], vcc
	s_cbranch_execz .LBB82_398
; %bb.395:
	v_cmp_ne_u32_e32 vcc, 23, v50
	s_xor_b64 s[18:19], s[16:17], -1
	s_and_b64 s[20:21], s[18:19], vcc
	s_and_saveexec_b64 s[18:19], s[20:21]
	s_cbranch_execz .LBB82_397
; %bb.396:
	v_ashrrev_i32_e32 v51, 31, v50
	v_lshl_add_u64 v[54:55], v[50:51], 2, v[20:21]
	global_load_dword v51, v[54:55], off
	global_load_dword v53, v[20:21], off offset:92
	s_waitcnt vmcnt(1)
	global_store_dword v[20:21], v51, off offset:92
	s_waitcnt vmcnt(1)
	global_store_dword v[54:55], v53, off
.LBB82_397:
	s_or_b64 exec, exec, s[18:19]
	v_mov_b32_e32 v51, v50
	v_mov_b32_e32 v53, v50
.LBB82_398:
	s_or_b64 exec, exec, s[2:3]
.LBB82_399:
	s_andn2_saveexec_b64 s[0:1], s[0:1]
	s_cbranch_execz .LBB82_401
; %bb.400:
	v_mov_b32_e32 v53, 23
	s_waitcnt vmcnt(16)
	ds_write2_b32 v17, v42, v43 offset0:24 offset1:25
	s_waitcnt vmcnt(14)
	ds_write2_b32 v17, v36, v37 offset0:26 offset1:27
	;; [unrolled: 2-line block ×9, first 2 shown]
.LBB82_401:
	s_or_b64 exec, exec, s[0:1]
	v_cmp_lt_i32_e32 vcc, 23, v53
	s_waitcnt lgkmcnt(0)
	s_barrier
	s_and_saveexec_b64 s[0:1], vcc
	s_cbranch_execz .LBB82_403
; %bb.402:
	ds_read2_b32 v[54:55], v17 offset0:24 offset1:25
	ds_read2_b32 v[56:57], v17 offset0:26 offset1:27
	ds_read2_b32 v[58:59], v17 offset0:28 offset1:29
	ds_read2_b32 v[60:61], v17 offset0:30 offset1:31
	v_mul_f32_e32 v50, v52, v15
	s_waitcnt vmcnt(16) lgkmcnt(3)
	v_pk_fma_f32 v[42:43], v[50:51], v[54:55], v[42:43] op_sel_hi:[0,1,1] neg_lo:[1,0,0] neg_hi:[1,0,0]
	s_waitcnt vmcnt(14) lgkmcnt(2)
	v_pk_fma_f32 v[36:37], v[50:51], v[56:57], v[36:37] op_sel_hi:[0,1,1] neg_lo:[1,0,0] neg_hi:[1,0,0]
	;; [unrolled: 2-line block ×4, first 2 shown]
	ds_read2_b32 v[54:55], v17 offset0:32 offset1:33
	ds_read2_b32 v[56:57], v17 offset0:34 offset1:35
	;; [unrolled: 1-line block ×5, first 2 shown]
	s_waitcnt vmcnt(8) lgkmcnt(4)
	v_pk_fma_f32 v[48:49], v[50:51], v[54:55], v[48:49] op_sel_hi:[0,1,1] neg_lo:[1,0,0] neg_hi:[1,0,0]
	s_waitcnt vmcnt(6) lgkmcnt(3)
	v_pk_fma_f32 v[46:47], v[50:51], v[56:57], v[46:47] op_sel_hi:[0,1,1] neg_lo:[1,0,0] neg_hi:[1,0,0]
	;; [unrolled: 2-line block ×5, first 2 shown]
	v_mov_b32_e32 v15, v50
.LBB82_403:
	s_or_b64 exec, exec, s[0:1]
	v_lshl_add_u32 v50, v53, 2, v17
	s_barrier
	s_waitcnt vmcnt(17)
	ds_write_b32 v50, v42
	s_waitcnt lgkmcnt(0)
	s_barrier
	ds_read_b32 v52, v17 offset:96
	s_cmp_lt_i32 s22, 26
	v_mov_b32_e32 v50, 24
	s_cbranch_scc1 .LBB82_406
; %bb.404:
	v_add_u32_e32 v54, 0x64, v17
	v_mov_b32_e32 v50, 24
	s_mov_b32 s0, 25
.LBB82_405:                             ; =>This Inner Loop Header: Depth=1
	ds_read_b32 v55, v54
	v_mov_b32_e32 v56, s0
	s_add_i32 s0, s0, 1
	v_add_u32_e32 v54, 4, v54
	s_cmp_lg_u32 s22, s0
	s_waitcnt lgkmcnt(0)
	v_cmp_lt_f32_e64 vcc, |v52|, |v55|
	s_nop 1
	v_cndmask_b32_e32 v52, v52, v55, vcc
	v_cndmask_b32_e32 v50, v50, v56, vcc
	s_cbranch_scc1 .LBB82_405
.LBB82_406:
	s_waitcnt lgkmcnt(0)
	v_cmp_eq_f32_e32 vcc, 0, v52
	s_and_saveexec_b64 s[0:1], vcc
	s_xor_b64 s[0:1], exec, s[0:1]
; %bb.407:
	v_cmp_ne_u32_e32 vcc, 0, v19
	s_nop 1
	v_cndmask_b32_e32 v19, 25, v19, vcc
; %bb.408:
	s_andn2_saveexec_b64 s[0:1], s[0:1]
	s_cbranch_execz .LBB82_410
; %bb.409:
	v_div_scale_f32 v54, s[2:3], v52, v52, 1.0
	v_rcp_f32_e32 v55, v54
	v_div_scale_f32 v56, vcc, 1.0, v52, 1.0
	v_fma_f32 v57, -v54, v55, 1.0
	v_fmac_f32_e32 v55, v57, v55
	v_mul_f32_e32 v57, v56, v55
	v_fma_f32 v58, -v54, v57, v56
	v_fmac_f32_e32 v57, v58, v55
	v_fma_f32 v54, -v54, v57, v56
	v_div_fmas_f32 v54, v54, v55, v57
	v_div_fixup_f32 v52, v54, v52, 1.0
.LBB82_410:
	s_or_b64 exec, exec, s[0:1]
	v_cmp_ne_u32_e32 vcc, v53, v50
	s_and_saveexec_b64 s[0:1], vcc
	s_xor_b64 s[0:1], exec, s[0:1]
	s_cbranch_execz .LBB82_416
; %bb.411:
	v_cmp_eq_u32_e32 vcc, 24, v53
	s_and_saveexec_b64 s[2:3], vcc
	s_cbranch_execz .LBB82_415
; %bb.412:
	v_cmp_ne_u32_e32 vcc, 24, v50
	s_xor_b64 s[18:19], s[16:17], -1
	s_and_b64 s[20:21], s[18:19], vcc
	s_and_saveexec_b64 s[18:19], s[20:21]
	s_cbranch_execz .LBB82_414
; %bb.413:
	v_ashrrev_i32_e32 v51, 31, v50
	v_lshl_add_u64 v[54:55], v[50:51], 2, v[20:21]
	global_load_dword v51, v[54:55], off
	global_load_dword v53, v[20:21], off offset:96
	s_waitcnt vmcnt(1)
	global_store_dword v[20:21], v51, off offset:96
	s_waitcnt vmcnt(1)
	global_store_dword v[54:55], v53, off
.LBB82_414:
	s_or_b64 exec, exec, s[18:19]
	v_mov_b32_e32 v51, v50
	v_mov_b32_e32 v53, v50
.LBB82_415:
	s_or_b64 exec, exec, s[2:3]
.LBB82_416:
	s_andn2_saveexec_b64 s[0:1], s[0:1]
	s_cbranch_execz .LBB82_418
; %bb.417:
	s_waitcnt vmcnt(14)
	v_pk_mov_b32 v[54:55], v[42:43], v[36:37] op_sel:[1,0]
	ds_write2_b32 v17, v54, v55 offset0:25 offset1:26
	s_waitcnt vmcnt(12)
	v_pk_mov_b32 v[54:55], v[36:37], v[32:33] op_sel:[1,0]
	ds_write2_b32 v17, v54, v55 offset0:27 offset1:28
	;; [unrolled: 3-line block ×7, first 2 shown]
	s_waitcnt vmcnt(0)
	v_pk_mov_b32 v[54:55], v[38:39], v[44:45] op_sel:[1,0]
	v_mov_b32_e32 v53, 24
	ds_write2_b32 v17, v54, v55 offset0:39 offset1:40
	ds_write_b32 v17, v45 offset:164
.LBB82_418:
	s_or_b64 exec, exec, s[0:1]
	v_cmp_lt_i32_e32 vcc, 24, v53
	s_waitcnt lgkmcnt(0)
	s_barrier
	s_and_saveexec_b64 s[0:1], vcc
	s_cbranch_execz .LBB82_420
; %bb.419:
	ds_read_b32 v50, v17 offset:100
	ds_read2_b32 v[54:55], v17 offset0:26 offset1:27
	ds_read2_b32 v[56:57], v17 offset0:28 offset1:29
	;; [unrolled: 1-line block ×3, first 2 shown]
	v_mul_f32_e32 v42, v52, v42
	s_waitcnt vmcnt(16) lgkmcnt(3)
	v_fma_f32 v43, -v42, v50, v43
	s_waitcnt vmcnt(14) lgkmcnt(2)
	v_pk_fma_f32 v[36:37], v[42:43], v[54:55], v[36:37] op_sel_hi:[0,1,1] neg_lo:[1,0,0] neg_hi:[1,0,0]
	s_waitcnt vmcnt(12) lgkmcnt(1)
	v_pk_fma_f32 v[32:33], v[42:43], v[56:57], v[32:33] op_sel_hi:[0,1,1] neg_lo:[1,0,0] neg_hi:[1,0,0]
	;; [unrolled: 2-line block ×3, first 2 shown]
	ds_read2_b32 v[54:55], v17 offset0:32 offset1:33
	ds_read2_b32 v[56:57], v17 offset0:34 offset1:35
	ds_read2_b32 v[58:59], v17 offset0:36 offset1:37
	ds_read2_b32 v[60:61], v17 offset0:38 offset1:39
	ds_read2_b32 v[62:63], v17 offset0:40 offset1:41
	s_waitcnt vmcnt(8) lgkmcnt(4)
	v_pk_fma_f32 v[48:49], v[42:43], v[54:55], v[48:49] op_sel_hi:[0,1,1] neg_lo:[1,0,0] neg_hi:[1,0,0]
	s_waitcnt vmcnt(6) lgkmcnt(3)
	v_pk_fma_f32 v[46:47], v[42:43], v[56:57], v[46:47] op_sel_hi:[0,1,1] neg_lo:[1,0,0] neg_hi:[1,0,0]
	;; [unrolled: 2-line block ×5, first 2 shown]
.LBB82_420:
	s_or_b64 exec, exec, s[0:1]
	v_lshl_add_u32 v50, v53, 2, v17
	s_barrier
	s_waitcnt vmcnt(16)
	ds_write_b32 v50, v43
	s_waitcnt lgkmcnt(0)
	s_barrier
	ds_read_b32 v52, v17 offset:100
	s_cmp_lt_i32 s22, 27
	v_mov_b32_e32 v50, 25
	s_cbranch_scc1 .LBB82_423
; %bb.421:
	v_add_u32_e32 v54, 0x68, v17
	v_mov_b32_e32 v50, 25
	s_mov_b32 s0, 26
.LBB82_422:                             ; =>This Inner Loop Header: Depth=1
	ds_read_b32 v55, v54
	v_mov_b32_e32 v56, s0
	s_add_i32 s0, s0, 1
	v_add_u32_e32 v54, 4, v54
	s_cmp_lg_u32 s22, s0
	s_waitcnt lgkmcnt(0)
	v_cmp_lt_f32_e64 vcc, |v52|, |v55|
	s_nop 1
	v_cndmask_b32_e32 v52, v52, v55, vcc
	v_cndmask_b32_e32 v50, v50, v56, vcc
	s_cbranch_scc1 .LBB82_422
.LBB82_423:
	s_waitcnt lgkmcnt(0)
	v_cmp_eq_f32_e32 vcc, 0, v52
	s_and_saveexec_b64 s[0:1], vcc
	s_xor_b64 s[0:1], exec, s[0:1]
; %bb.424:
	v_cmp_ne_u32_e32 vcc, 0, v19
	s_nop 1
	v_cndmask_b32_e32 v19, 26, v19, vcc
; %bb.425:
	s_andn2_saveexec_b64 s[0:1], s[0:1]
	s_cbranch_execz .LBB82_427
; %bb.426:
	v_div_scale_f32 v54, s[2:3], v52, v52, 1.0
	v_rcp_f32_e32 v55, v54
	v_div_scale_f32 v56, vcc, 1.0, v52, 1.0
	v_fma_f32 v57, -v54, v55, 1.0
	v_fmac_f32_e32 v55, v57, v55
	v_mul_f32_e32 v57, v56, v55
	v_fma_f32 v58, -v54, v57, v56
	v_fmac_f32_e32 v57, v58, v55
	v_fma_f32 v54, -v54, v57, v56
	v_div_fmas_f32 v54, v54, v55, v57
	v_div_fixup_f32 v52, v54, v52, 1.0
.LBB82_427:
	s_or_b64 exec, exec, s[0:1]
	v_cmp_ne_u32_e32 vcc, v53, v50
	s_and_saveexec_b64 s[0:1], vcc
	s_xor_b64 s[0:1], exec, s[0:1]
	s_cbranch_execz .LBB82_433
; %bb.428:
	v_cmp_eq_u32_e32 vcc, 25, v53
	s_and_saveexec_b64 s[2:3], vcc
	s_cbranch_execz .LBB82_432
; %bb.429:
	v_cmp_ne_u32_e32 vcc, 25, v50
	s_xor_b64 s[18:19], s[16:17], -1
	s_and_b64 s[20:21], s[18:19], vcc
	s_and_saveexec_b64 s[18:19], s[20:21]
	s_cbranch_execz .LBB82_431
; %bb.430:
	v_ashrrev_i32_e32 v51, 31, v50
	v_lshl_add_u64 v[54:55], v[50:51], 2, v[20:21]
	global_load_dword v51, v[54:55], off
	global_load_dword v53, v[20:21], off offset:100
	s_waitcnt vmcnt(1)
	global_store_dword v[20:21], v51, off offset:100
	s_waitcnt vmcnt(1)
	global_store_dword v[54:55], v53, off
.LBB82_431:
	s_or_b64 exec, exec, s[18:19]
	v_mov_b32_e32 v51, v50
	v_mov_b32_e32 v53, v50
.LBB82_432:
	s_or_b64 exec, exec, s[2:3]
.LBB82_433:
	s_andn2_saveexec_b64 s[0:1], s[0:1]
	s_cbranch_execz .LBB82_435
; %bb.434:
	v_mov_b32_e32 v53, 25
	s_waitcnt vmcnt(14)
	ds_write2_b32 v17, v36, v37 offset0:26 offset1:27
	s_waitcnt vmcnt(12)
	ds_write2_b32 v17, v32, v33 offset0:28 offset1:29
	;; [unrolled: 2-line block ×8, first 2 shown]
.LBB82_435:
	s_or_b64 exec, exec, s[0:1]
	v_cmp_lt_i32_e32 vcc, 25, v53
	s_waitcnt lgkmcnt(0)
	s_barrier
	s_and_saveexec_b64 s[0:1], vcc
	s_cbranch_execz .LBB82_437
; %bb.436:
	ds_read2_b32 v[54:55], v17 offset0:26 offset1:27
	ds_read2_b32 v[56:57], v17 offset0:28 offset1:29
	;; [unrolled: 1-line block ×3, first 2 shown]
	v_mul_f32_e32 v50, v52, v43
	ds_read2_b32 v[60:61], v17 offset0:32 offset1:33
	s_waitcnt vmcnt(14) lgkmcnt(3)
	v_pk_fma_f32 v[36:37], v[50:51], v[54:55], v[36:37] op_sel_hi:[0,1,1] neg_lo:[1,0,0] neg_hi:[1,0,0]
	s_waitcnt vmcnt(12) lgkmcnt(2)
	v_pk_fma_f32 v[32:33], v[50:51], v[56:57], v[32:33] op_sel_hi:[0,1,1] neg_lo:[1,0,0] neg_hi:[1,0,0]
	;; [unrolled: 2-line block ×3, first 2 shown]
	ds_read2_b32 v[54:55], v17 offset0:34 offset1:35
	ds_read2_b32 v[56:57], v17 offset0:36 offset1:37
	;; [unrolled: 1-line block ×4, first 2 shown]
	s_waitcnt vmcnt(8) lgkmcnt(4)
	v_pk_fma_f32 v[48:49], v[50:51], v[60:61], v[48:49] op_sel_hi:[0,1,1] neg_lo:[1,0,0] neg_hi:[1,0,0]
	s_waitcnt vmcnt(6) lgkmcnt(3)
	v_pk_fma_f32 v[46:47], v[50:51], v[54:55], v[46:47] op_sel_hi:[0,1,1] neg_lo:[1,0,0] neg_hi:[1,0,0]
	;; [unrolled: 2-line block ×5, first 2 shown]
	v_mov_b32_e32 v43, v50
.LBB82_437:
	s_or_b64 exec, exec, s[0:1]
	v_lshl_add_u32 v50, v53, 2, v17
	s_barrier
	s_waitcnt vmcnt(15)
	ds_write_b32 v50, v36
	s_waitcnt lgkmcnt(0)
	s_barrier
	ds_read_b32 v52, v17 offset:104
	s_cmp_lt_i32 s22, 28
	v_mov_b32_e32 v50, 26
	s_cbranch_scc1 .LBB82_440
; %bb.438:
	v_add_u32_e32 v54, 0x6c, v17
	v_mov_b32_e32 v50, 26
	s_mov_b32 s0, 27
.LBB82_439:                             ; =>This Inner Loop Header: Depth=1
	ds_read_b32 v55, v54
	v_mov_b32_e32 v56, s0
	s_add_i32 s0, s0, 1
	v_add_u32_e32 v54, 4, v54
	s_cmp_lg_u32 s22, s0
	s_waitcnt lgkmcnt(0)
	v_cmp_lt_f32_e64 vcc, |v52|, |v55|
	s_nop 1
	v_cndmask_b32_e32 v52, v52, v55, vcc
	v_cndmask_b32_e32 v50, v50, v56, vcc
	s_cbranch_scc1 .LBB82_439
.LBB82_440:
	s_waitcnt lgkmcnt(0)
	v_cmp_eq_f32_e32 vcc, 0, v52
	s_and_saveexec_b64 s[0:1], vcc
	s_xor_b64 s[0:1], exec, s[0:1]
; %bb.441:
	v_cmp_ne_u32_e32 vcc, 0, v19
	s_nop 1
	v_cndmask_b32_e32 v19, 27, v19, vcc
; %bb.442:
	s_andn2_saveexec_b64 s[0:1], s[0:1]
	s_cbranch_execz .LBB82_444
; %bb.443:
	v_div_scale_f32 v54, s[2:3], v52, v52, 1.0
	v_rcp_f32_e32 v55, v54
	v_div_scale_f32 v56, vcc, 1.0, v52, 1.0
	v_fma_f32 v57, -v54, v55, 1.0
	v_fmac_f32_e32 v55, v57, v55
	v_mul_f32_e32 v57, v56, v55
	v_fma_f32 v58, -v54, v57, v56
	v_fmac_f32_e32 v57, v58, v55
	v_fma_f32 v54, -v54, v57, v56
	v_div_fmas_f32 v54, v54, v55, v57
	v_div_fixup_f32 v52, v54, v52, 1.0
.LBB82_444:
	s_or_b64 exec, exec, s[0:1]
	v_cmp_ne_u32_e32 vcc, v53, v50
	s_and_saveexec_b64 s[0:1], vcc
	s_xor_b64 s[0:1], exec, s[0:1]
	s_cbranch_execz .LBB82_450
; %bb.445:
	v_cmp_eq_u32_e32 vcc, 26, v53
	s_and_saveexec_b64 s[2:3], vcc
	s_cbranch_execz .LBB82_449
; %bb.446:
	v_cmp_ne_u32_e32 vcc, 26, v50
	s_xor_b64 s[18:19], s[16:17], -1
	s_and_b64 s[20:21], s[18:19], vcc
	s_and_saveexec_b64 s[18:19], s[20:21]
	s_cbranch_execz .LBB82_448
; %bb.447:
	v_ashrrev_i32_e32 v51, 31, v50
	v_lshl_add_u64 v[54:55], v[50:51], 2, v[20:21]
	global_load_dword v51, v[54:55], off
	global_load_dword v53, v[20:21], off offset:104
	s_waitcnt vmcnt(1)
	global_store_dword v[20:21], v51, off offset:104
	s_waitcnt vmcnt(1)
	global_store_dword v[54:55], v53, off
.LBB82_448:
	s_or_b64 exec, exec, s[18:19]
	v_mov_b32_e32 v51, v50
	v_mov_b32_e32 v53, v50
.LBB82_449:
	s_or_b64 exec, exec, s[2:3]
.LBB82_450:
	s_andn2_saveexec_b64 s[0:1], s[0:1]
	s_cbranch_execz .LBB82_452
; %bb.451:
	s_waitcnt vmcnt(12)
	v_pk_mov_b32 v[54:55], v[36:37], v[32:33] op_sel:[1,0]
	ds_write2_b32 v17, v54, v55 offset0:27 offset1:28
	s_waitcnt vmcnt(10)
	v_pk_mov_b32 v[54:55], v[32:33], v[26:27] op_sel:[1,0]
	ds_write2_b32 v17, v54, v55 offset0:29 offset1:30
	;; [unrolled: 3-line block ×6, first 2 shown]
	s_waitcnt vmcnt(0)
	v_pk_mov_b32 v[54:55], v[38:39], v[44:45] op_sel:[1,0]
	v_mov_b32_e32 v53, 26
	ds_write2_b32 v17, v54, v55 offset0:39 offset1:40
	ds_write_b32 v17, v45 offset:164
.LBB82_452:
	s_or_b64 exec, exec, s[0:1]
	v_cmp_lt_i32_e32 vcc, 26, v53
	s_waitcnt lgkmcnt(0)
	s_barrier
	s_and_saveexec_b64 s[0:1], vcc
	s_cbranch_execz .LBB82_454
; %bb.453:
	ds_read_b32 v50, v17 offset:108
	ds_read2_b32 v[54:55], v17 offset0:28 offset1:29
	ds_read2_b32 v[56:57], v17 offset0:30 offset1:31
	v_mul_f32_e32 v36, v52, v36
	ds_read2_b32 v[58:59], v17 offset0:32 offset1:33
	s_waitcnt vmcnt(14) lgkmcnt(3)
	v_fma_f32 v37, -v36, v50, v37
	s_waitcnt vmcnt(12) lgkmcnt(2)
	v_pk_fma_f32 v[32:33], v[36:37], v[54:55], v[32:33] op_sel_hi:[0,1,1] neg_lo:[1,0,0] neg_hi:[1,0,0]
	s_waitcnt vmcnt(10) lgkmcnt(1)
	v_pk_fma_f32 v[26:27], v[36:37], v[56:57], v[26:27] op_sel_hi:[0,1,1] neg_lo:[1,0,0] neg_hi:[1,0,0]
	ds_read2_b32 v[54:55], v17 offset0:34 offset1:35
	ds_read2_b32 v[56:57], v17 offset0:36 offset1:37
	;; [unrolled: 1-line block ×4, first 2 shown]
	s_waitcnt vmcnt(8) lgkmcnt(4)
	v_pk_fma_f32 v[48:49], v[36:37], v[58:59], v[48:49] op_sel_hi:[0,1,1] neg_lo:[1,0,0] neg_hi:[1,0,0]
	s_waitcnt vmcnt(6) lgkmcnt(3)
	v_pk_fma_f32 v[46:47], v[36:37], v[54:55], v[46:47] op_sel_hi:[0,1,1] neg_lo:[1,0,0] neg_hi:[1,0,0]
	;; [unrolled: 2-line block ×5, first 2 shown]
.LBB82_454:
	s_or_b64 exec, exec, s[0:1]
	v_lshl_add_u32 v50, v53, 2, v17
	s_barrier
	s_waitcnt vmcnt(14)
	ds_write_b32 v50, v37
	s_waitcnt lgkmcnt(0)
	s_barrier
	ds_read_b32 v52, v17 offset:108
	s_cmp_lt_i32 s22, 29
	v_mov_b32_e32 v50, 27
	s_cbranch_scc1 .LBB82_457
; %bb.455:
	v_add_u32_e32 v54, 0x70, v17
	v_mov_b32_e32 v50, 27
	s_mov_b32 s0, 28
.LBB82_456:                             ; =>This Inner Loop Header: Depth=1
	ds_read_b32 v55, v54
	v_mov_b32_e32 v56, s0
	s_add_i32 s0, s0, 1
	v_add_u32_e32 v54, 4, v54
	s_cmp_lg_u32 s22, s0
	s_waitcnt lgkmcnt(0)
	v_cmp_lt_f32_e64 vcc, |v52|, |v55|
	s_nop 1
	v_cndmask_b32_e32 v52, v52, v55, vcc
	v_cndmask_b32_e32 v50, v50, v56, vcc
	s_cbranch_scc1 .LBB82_456
.LBB82_457:
	s_waitcnt lgkmcnt(0)
	v_cmp_eq_f32_e32 vcc, 0, v52
	s_and_saveexec_b64 s[0:1], vcc
	s_xor_b64 s[0:1], exec, s[0:1]
; %bb.458:
	v_cmp_ne_u32_e32 vcc, 0, v19
	s_nop 1
	v_cndmask_b32_e32 v19, 28, v19, vcc
; %bb.459:
	s_andn2_saveexec_b64 s[0:1], s[0:1]
	s_cbranch_execz .LBB82_461
; %bb.460:
	v_div_scale_f32 v54, s[2:3], v52, v52, 1.0
	v_rcp_f32_e32 v55, v54
	v_div_scale_f32 v56, vcc, 1.0, v52, 1.0
	v_fma_f32 v57, -v54, v55, 1.0
	v_fmac_f32_e32 v55, v57, v55
	v_mul_f32_e32 v57, v56, v55
	v_fma_f32 v58, -v54, v57, v56
	v_fmac_f32_e32 v57, v58, v55
	v_fma_f32 v54, -v54, v57, v56
	v_div_fmas_f32 v54, v54, v55, v57
	v_div_fixup_f32 v52, v54, v52, 1.0
.LBB82_461:
	s_or_b64 exec, exec, s[0:1]
	v_cmp_ne_u32_e32 vcc, v53, v50
	s_and_saveexec_b64 s[0:1], vcc
	s_xor_b64 s[0:1], exec, s[0:1]
	s_cbranch_execz .LBB82_467
; %bb.462:
	v_cmp_eq_u32_e32 vcc, 27, v53
	s_and_saveexec_b64 s[2:3], vcc
	s_cbranch_execz .LBB82_466
; %bb.463:
	v_cmp_ne_u32_e32 vcc, 27, v50
	s_xor_b64 s[18:19], s[16:17], -1
	s_and_b64 s[20:21], s[18:19], vcc
	s_and_saveexec_b64 s[18:19], s[20:21]
	s_cbranch_execz .LBB82_465
; %bb.464:
	v_ashrrev_i32_e32 v51, 31, v50
	v_lshl_add_u64 v[54:55], v[50:51], 2, v[20:21]
	global_load_dword v51, v[54:55], off
	global_load_dword v53, v[20:21], off offset:108
	s_waitcnt vmcnt(1)
	global_store_dword v[20:21], v51, off offset:108
	s_waitcnt vmcnt(1)
	global_store_dword v[54:55], v53, off
.LBB82_465:
	s_or_b64 exec, exec, s[18:19]
	v_mov_b32_e32 v51, v50
	v_mov_b32_e32 v53, v50
.LBB82_466:
	s_or_b64 exec, exec, s[2:3]
.LBB82_467:
	s_andn2_saveexec_b64 s[0:1], s[0:1]
	s_cbranch_execz .LBB82_469
; %bb.468:
	v_mov_b32_e32 v53, 27
	s_waitcnt vmcnt(12)
	ds_write2_b32 v17, v32, v33 offset0:28 offset1:29
	s_waitcnt vmcnt(10)
	ds_write2_b32 v17, v26, v27 offset0:30 offset1:31
	;; [unrolled: 2-line block ×7, first 2 shown]
.LBB82_469:
	s_or_b64 exec, exec, s[0:1]
	v_cmp_lt_i32_e32 vcc, 27, v53
	s_waitcnt lgkmcnt(0)
	s_barrier
	s_and_saveexec_b64 s[0:1], vcc
	s_cbranch_execz .LBB82_471
; %bb.470:
	ds_read2_b32 v[54:55], v17 offset0:28 offset1:29
	ds_read2_b32 v[56:57], v17 offset0:30 offset1:31
	v_mul_f32_e32 v50, v52, v37
	ds_read2_b32 v[58:59], v17 offset0:32 offset1:33
	ds_read2_b32 v[60:61], v17 offset0:34 offset1:35
	v_mov_b32_e32 v37, v50
	s_waitcnt vmcnt(12) lgkmcnt(3)
	v_pk_fma_f32 v[32:33], v[50:51], v[54:55], v[32:33] op_sel_hi:[0,1,1] neg_lo:[1,0,0] neg_hi:[1,0,0]
	s_waitcnt vmcnt(10) lgkmcnt(2)
	v_pk_fma_f32 v[26:27], v[50:51], v[56:57], v[26:27] op_sel_hi:[0,1,1] neg_lo:[1,0,0] neg_hi:[1,0,0]
	ds_read2_b32 v[54:55], v17 offset0:36 offset1:37
	ds_read2_b32 v[56:57], v17 offset0:38 offset1:39
	;; [unrolled: 1-line block ×3, first 2 shown]
	s_waitcnt vmcnt(8) lgkmcnt(4)
	v_pk_fma_f32 v[48:49], v[50:51], v[58:59], v[48:49] op_sel_hi:[0,1,1] neg_lo:[1,0,0] neg_hi:[1,0,0]
	s_waitcnt vmcnt(6) lgkmcnt(3)
	v_pk_fma_f32 v[46:47], v[50:51], v[60:61], v[46:47] op_sel_hi:[0,1,1] neg_lo:[1,0,0] neg_hi:[1,0,0]
	;; [unrolled: 2-line block ×5, first 2 shown]
.LBB82_471:
	s_or_b64 exec, exec, s[0:1]
	v_lshl_add_u32 v50, v53, 2, v17
	s_barrier
	s_waitcnt vmcnt(13)
	ds_write_b32 v50, v32
	s_waitcnt lgkmcnt(0)
	s_barrier
	ds_read_b32 v52, v17 offset:112
	s_cmp_lt_i32 s22, 30
	v_mov_b32_e32 v50, 28
	s_cbranch_scc1 .LBB82_474
; %bb.472:
	v_add_u32_e32 v54, 0x74, v17
	v_mov_b32_e32 v50, 28
	s_mov_b32 s0, 29
.LBB82_473:                             ; =>This Inner Loop Header: Depth=1
	ds_read_b32 v55, v54
	v_mov_b32_e32 v56, s0
	s_add_i32 s0, s0, 1
	v_add_u32_e32 v54, 4, v54
	s_cmp_lg_u32 s22, s0
	s_waitcnt lgkmcnt(0)
	v_cmp_lt_f32_e64 vcc, |v52|, |v55|
	s_nop 1
	v_cndmask_b32_e32 v52, v52, v55, vcc
	v_cndmask_b32_e32 v50, v50, v56, vcc
	s_cbranch_scc1 .LBB82_473
.LBB82_474:
	s_waitcnt lgkmcnt(0)
	v_cmp_eq_f32_e32 vcc, 0, v52
	s_and_saveexec_b64 s[0:1], vcc
	s_xor_b64 s[0:1], exec, s[0:1]
; %bb.475:
	v_cmp_ne_u32_e32 vcc, 0, v19
	s_nop 1
	v_cndmask_b32_e32 v19, 29, v19, vcc
; %bb.476:
	s_andn2_saveexec_b64 s[0:1], s[0:1]
	s_cbranch_execz .LBB82_478
; %bb.477:
	v_div_scale_f32 v54, s[2:3], v52, v52, 1.0
	v_rcp_f32_e32 v55, v54
	v_div_scale_f32 v56, vcc, 1.0, v52, 1.0
	v_fma_f32 v57, -v54, v55, 1.0
	v_fmac_f32_e32 v55, v57, v55
	v_mul_f32_e32 v57, v56, v55
	v_fma_f32 v58, -v54, v57, v56
	v_fmac_f32_e32 v57, v58, v55
	v_fma_f32 v54, -v54, v57, v56
	v_div_fmas_f32 v54, v54, v55, v57
	v_div_fixup_f32 v52, v54, v52, 1.0
.LBB82_478:
	s_or_b64 exec, exec, s[0:1]
	v_cmp_ne_u32_e32 vcc, v53, v50
	s_and_saveexec_b64 s[0:1], vcc
	s_xor_b64 s[0:1], exec, s[0:1]
	s_cbranch_execz .LBB82_484
; %bb.479:
	v_cmp_eq_u32_e32 vcc, 28, v53
	s_and_saveexec_b64 s[2:3], vcc
	s_cbranch_execz .LBB82_483
; %bb.480:
	v_cmp_ne_u32_e32 vcc, 28, v50
	s_xor_b64 s[18:19], s[16:17], -1
	s_and_b64 s[20:21], s[18:19], vcc
	s_and_saveexec_b64 s[18:19], s[20:21]
	s_cbranch_execz .LBB82_482
; %bb.481:
	v_ashrrev_i32_e32 v51, 31, v50
	v_lshl_add_u64 v[54:55], v[50:51], 2, v[20:21]
	global_load_dword v51, v[54:55], off
	global_load_dword v53, v[20:21], off offset:112
	s_waitcnt vmcnt(1)
	global_store_dword v[20:21], v51, off offset:112
	s_waitcnt vmcnt(1)
	global_store_dword v[54:55], v53, off
.LBB82_482:
	s_or_b64 exec, exec, s[18:19]
	v_mov_b32_e32 v51, v50
	v_mov_b32_e32 v53, v50
.LBB82_483:
	s_or_b64 exec, exec, s[2:3]
.LBB82_484:
	s_andn2_saveexec_b64 s[0:1], s[0:1]
	s_cbranch_execz .LBB82_486
; %bb.485:
	s_waitcnt vmcnt(10)
	v_pk_mov_b32 v[54:55], v[32:33], v[26:27] op_sel:[1,0]
	ds_write2_b32 v17, v54, v55 offset0:29 offset1:30
	s_waitcnt vmcnt(8)
	v_pk_mov_b32 v[54:55], v[26:27], v[48:49] op_sel:[1,0]
	ds_write2_b32 v17, v54, v55 offset0:31 offset1:32
	;; [unrolled: 3-line block ×5, first 2 shown]
	s_waitcnt vmcnt(0)
	v_pk_mov_b32 v[54:55], v[38:39], v[44:45] op_sel:[1,0]
	v_mov_b32_e32 v53, 28
	ds_write2_b32 v17, v54, v55 offset0:39 offset1:40
	ds_write_b32 v17, v45 offset:164
.LBB82_486:
	s_or_b64 exec, exec, s[0:1]
	v_cmp_lt_i32_e32 vcc, 28, v53
	s_waitcnt lgkmcnt(0)
	s_barrier
	s_and_saveexec_b64 s[0:1], vcc
	s_cbranch_execz .LBB82_488
; %bb.487:
	ds_read_b32 v50, v17 offset:116
	ds_read2_b32 v[54:55], v17 offset0:30 offset1:31
	v_mul_f32_e32 v32, v52, v32
	ds_read2_b32 v[56:57], v17 offset0:32 offset1:33
	ds_read2_b32 v[58:59], v17 offset0:34 offset1:35
	s_waitcnt vmcnt(12) lgkmcnt(3)
	v_fma_f32 v33, -v32, v50, v33
	s_waitcnt vmcnt(10) lgkmcnt(2)
	v_pk_fma_f32 v[26:27], v[32:33], v[54:55], v[26:27] op_sel_hi:[0,1,1] neg_lo:[1,0,0] neg_hi:[1,0,0]
	ds_read2_b32 v[54:55], v17 offset0:36 offset1:37
	ds_read2_b32 v[60:61], v17 offset0:38 offset1:39
	;; [unrolled: 1-line block ×3, first 2 shown]
	s_waitcnt vmcnt(8) lgkmcnt(4)
	v_pk_fma_f32 v[48:49], v[32:33], v[56:57], v[48:49] op_sel_hi:[0,1,1] neg_lo:[1,0,0] neg_hi:[1,0,0]
	s_waitcnt vmcnt(6) lgkmcnt(3)
	v_pk_fma_f32 v[46:47], v[32:33], v[58:59], v[46:47] op_sel_hi:[0,1,1] neg_lo:[1,0,0] neg_hi:[1,0,0]
	;; [unrolled: 2-line block ×5, first 2 shown]
.LBB82_488:
	s_or_b64 exec, exec, s[0:1]
	v_lshl_add_u32 v50, v53, 2, v17
	s_barrier
	s_waitcnt vmcnt(12)
	ds_write_b32 v50, v33
	s_waitcnt lgkmcnt(0)
	s_barrier
	ds_read_b32 v52, v17 offset:116
	s_cmp_lt_i32 s22, 31
	v_mov_b32_e32 v50, 29
	s_cbranch_scc1 .LBB82_491
; %bb.489:
	v_add_u32_e32 v54, 0x78, v17
	v_mov_b32_e32 v50, 29
	s_mov_b32 s0, 30
.LBB82_490:                             ; =>This Inner Loop Header: Depth=1
	ds_read_b32 v55, v54
	v_mov_b32_e32 v56, s0
	s_add_i32 s0, s0, 1
	v_add_u32_e32 v54, 4, v54
	s_cmp_lg_u32 s22, s0
	s_waitcnt lgkmcnt(0)
	v_cmp_lt_f32_e64 vcc, |v52|, |v55|
	s_nop 1
	v_cndmask_b32_e32 v52, v52, v55, vcc
	v_cndmask_b32_e32 v50, v50, v56, vcc
	s_cbranch_scc1 .LBB82_490
.LBB82_491:
	s_waitcnt lgkmcnt(0)
	v_cmp_eq_f32_e32 vcc, 0, v52
	s_and_saveexec_b64 s[0:1], vcc
	s_xor_b64 s[0:1], exec, s[0:1]
; %bb.492:
	v_cmp_ne_u32_e32 vcc, 0, v19
	s_nop 1
	v_cndmask_b32_e32 v19, 30, v19, vcc
; %bb.493:
	s_andn2_saveexec_b64 s[0:1], s[0:1]
	s_cbranch_execz .LBB82_495
; %bb.494:
	v_div_scale_f32 v54, s[2:3], v52, v52, 1.0
	v_rcp_f32_e32 v55, v54
	v_div_scale_f32 v56, vcc, 1.0, v52, 1.0
	v_fma_f32 v57, -v54, v55, 1.0
	v_fmac_f32_e32 v55, v57, v55
	v_mul_f32_e32 v57, v56, v55
	v_fma_f32 v58, -v54, v57, v56
	v_fmac_f32_e32 v57, v58, v55
	v_fma_f32 v54, -v54, v57, v56
	v_div_fmas_f32 v54, v54, v55, v57
	v_div_fixup_f32 v52, v54, v52, 1.0
.LBB82_495:
	s_or_b64 exec, exec, s[0:1]
	v_cmp_ne_u32_e32 vcc, v53, v50
	s_and_saveexec_b64 s[0:1], vcc
	s_xor_b64 s[0:1], exec, s[0:1]
	s_cbranch_execz .LBB82_501
; %bb.496:
	v_cmp_eq_u32_e32 vcc, 29, v53
	s_and_saveexec_b64 s[2:3], vcc
	s_cbranch_execz .LBB82_500
; %bb.497:
	v_cmp_ne_u32_e32 vcc, 29, v50
	s_xor_b64 s[18:19], s[16:17], -1
	s_and_b64 s[20:21], s[18:19], vcc
	s_and_saveexec_b64 s[18:19], s[20:21]
	s_cbranch_execz .LBB82_499
; %bb.498:
	v_ashrrev_i32_e32 v51, 31, v50
	v_lshl_add_u64 v[54:55], v[50:51], 2, v[20:21]
	global_load_dword v51, v[54:55], off
	global_load_dword v53, v[20:21], off offset:116
	s_waitcnt vmcnt(1)
	global_store_dword v[20:21], v51, off offset:116
	s_waitcnt vmcnt(1)
	global_store_dword v[54:55], v53, off
.LBB82_499:
	s_or_b64 exec, exec, s[18:19]
	v_mov_b32_e32 v51, v50
	v_mov_b32_e32 v53, v50
.LBB82_500:
	s_or_b64 exec, exec, s[2:3]
.LBB82_501:
	s_andn2_saveexec_b64 s[0:1], s[0:1]
	s_cbranch_execz .LBB82_503
; %bb.502:
	v_mov_b32_e32 v53, 29
	s_waitcnt vmcnt(10)
	ds_write2_b32 v17, v26, v27 offset0:30 offset1:31
	s_waitcnt vmcnt(8)
	ds_write2_b32 v17, v48, v49 offset0:32 offset1:33
	;; [unrolled: 2-line block ×6, first 2 shown]
.LBB82_503:
	s_or_b64 exec, exec, s[0:1]
	v_cmp_lt_i32_e32 vcc, 29, v53
	s_waitcnt lgkmcnt(0)
	s_barrier
	s_and_saveexec_b64 s[0:1], vcc
	s_cbranch_execz .LBB82_505
; %bb.504:
	ds_read2_b32 v[54:55], v17 offset0:30 offset1:31
	v_mul_f32_e32 v50, v52, v33
	ds_read2_b32 v[56:57], v17 offset0:32 offset1:33
	ds_read2_b32 v[58:59], v17 offset0:34 offset1:35
	;; [unrolled: 1-line block ×3, first 2 shown]
	v_mov_b32_e32 v33, v50
	s_waitcnt vmcnt(8) lgkmcnt(2)
	v_pk_fma_f32 v[48:49], v[50:51], v[56:57], v[48:49] op_sel_hi:[0,1,1] neg_lo:[1,0,0] neg_hi:[1,0,0]
	v_pk_fma_f32 v[26:27], v[50:51], v[54:55], v[26:27] op_sel_hi:[0,1,1] neg_lo:[1,0,0] neg_hi:[1,0,0]
	ds_read2_b32 v[54:55], v17 offset0:38 offset1:39
	ds_read2_b32 v[62:63], v17 offset0:40 offset1:41
	s_waitcnt vmcnt(6) lgkmcnt(3)
	v_pk_fma_f32 v[46:47], v[50:51], v[58:59], v[46:47] op_sel_hi:[0,1,1] neg_lo:[1,0,0] neg_hi:[1,0,0]
	s_waitcnt vmcnt(4) lgkmcnt(2)
	v_pk_fma_f32 v[40:41], v[50:51], v[60:61], v[40:41] op_sel_hi:[0,1,1] neg_lo:[1,0,0] neg_hi:[1,0,0]
	;; [unrolled: 2-line block ×4, first 2 shown]
.LBB82_505:
	s_or_b64 exec, exec, s[0:1]
	v_lshl_add_u32 v50, v53, 2, v17
	s_barrier
	s_waitcnt vmcnt(11)
	ds_write_b32 v50, v26
	s_waitcnt lgkmcnt(0)
	s_barrier
	ds_read_b32 v52, v17 offset:120
	s_cmp_lt_i32 s22, 32
	v_mov_b32_e32 v50, 30
	s_cbranch_scc1 .LBB82_508
; %bb.506:
	v_add_u32_e32 v54, 0x7c, v17
	v_mov_b32_e32 v50, 30
	s_mov_b32 s0, 31
.LBB82_507:                             ; =>This Inner Loop Header: Depth=1
	ds_read_b32 v55, v54
	v_mov_b32_e32 v56, s0
	s_add_i32 s0, s0, 1
	v_add_u32_e32 v54, 4, v54
	s_cmp_lg_u32 s22, s0
	s_waitcnt lgkmcnt(0)
	v_cmp_lt_f32_e64 vcc, |v52|, |v55|
	s_nop 1
	v_cndmask_b32_e32 v52, v52, v55, vcc
	v_cndmask_b32_e32 v50, v50, v56, vcc
	s_cbranch_scc1 .LBB82_507
.LBB82_508:
	s_waitcnt lgkmcnt(0)
	v_cmp_eq_f32_e32 vcc, 0, v52
	s_and_saveexec_b64 s[0:1], vcc
	s_xor_b64 s[0:1], exec, s[0:1]
; %bb.509:
	v_cmp_ne_u32_e32 vcc, 0, v19
	s_nop 1
	v_cndmask_b32_e32 v19, 31, v19, vcc
; %bb.510:
	s_andn2_saveexec_b64 s[0:1], s[0:1]
	s_cbranch_execz .LBB82_512
; %bb.511:
	v_div_scale_f32 v54, s[2:3], v52, v52, 1.0
	v_rcp_f32_e32 v55, v54
	v_div_scale_f32 v56, vcc, 1.0, v52, 1.0
	v_fma_f32 v57, -v54, v55, 1.0
	v_fmac_f32_e32 v55, v57, v55
	v_mul_f32_e32 v57, v56, v55
	v_fma_f32 v58, -v54, v57, v56
	v_fmac_f32_e32 v57, v58, v55
	v_fma_f32 v54, -v54, v57, v56
	v_div_fmas_f32 v54, v54, v55, v57
	v_div_fixup_f32 v52, v54, v52, 1.0
.LBB82_512:
	s_or_b64 exec, exec, s[0:1]
	v_cmp_ne_u32_e32 vcc, v53, v50
	s_and_saveexec_b64 s[0:1], vcc
	s_xor_b64 s[0:1], exec, s[0:1]
	s_cbranch_execz .LBB82_518
; %bb.513:
	v_cmp_eq_u32_e32 vcc, 30, v53
	s_and_saveexec_b64 s[2:3], vcc
	s_cbranch_execz .LBB82_517
; %bb.514:
	v_cmp_ne_u32_e32 vcc, 30, v50
	s_xor_b64 s[18:19], s[16:17], -1
	s_and_b64 s[20:21], s[18:19], vcc
	s_and_saveexec_b64 s[18:19], s[20:21]
	s_cbranch_execz .LBB82_516
; %bb.515:
	v_ashrrev_i32_e32 v51, 31, v50
	v_lshl_add_u64 v[54:55], v[50:51], 2, v[20:21]
	global_load_dword v51, v[54:55], off
	global_load_dword v53, v[20:21], off offset:120
	s_waitcnt vmcnt(1)
	global_store_dword v[20:21], v51, off offset:120
	s_waitcnt vmcnt(1)
	global_store_dword v[54:55], v53, off
.LBB82_516:
	s_or_b64 exec, exec, s[18:19]
	v_mov_b32_e32 v51, v50
	v_mov_b32_e32 v53, v50
.LBB82_517:
	s_or_b64 exec, exec, s[2:3]
.LBB82_518:
	s_andn2_saveexec_b64 s[0:1], s[0:1]
	s_cbranch_execz .LBB82_520
; %bb.519:
	s_waitcnt vmcnt(8)
	v_pk_mov_b32 v[54:55], v[26:27], v[48:49] op_sel:[1,0]
	ds_write2_b32 v17, v54, v55 offset0:31 offset1:32
	s_waitcnt vmcnt(6)
	v_pk_mov_b32 v[54:55], v[48:49], v[46:47] op_sel:[1,0]
	ds_write2_b32 v17, v54, v55 offset0:33 offset1:34
	;; [unrolled: 3-line block ×4, first 2 shown]
	s_waitcnt vmcnt(0)
	v_pk_mov_b32 v[54:55], v[38:39], v[44:45] op_sel:[1,0]
	v_mov_b32_e32 v53, 30
	ds_write2_b32 v17, v54, v55 offset0:39 offset1:40
	ds_write_b32 v17, v45 offset:164
.LBB82_520:
	s_or_b64 exec, exec, s[0:1]
	v_cmp_lt_i32_e32 vcc, 30, v53
	s_waitcnt lgkmcnt(0)
	s_barrier
	s_and_saveexec_b64 s[0:1], vcc
	s_cbranch_execz .LBB82_522
; %bb.521:
	ds_read_b32 v50, v17 offset:124
	ds_read2_b32 v[54:55], v17 offset0:32 offset1:33
	ds_read2_b32 v[56:57], v17 offset0:34 offset1:35
	;; [unrolled: 1-line block ×5, first 2 shown]
	v_mul_f32_e32 v26, v52, v26
	s_waitcnt vmcnt(10) lgkmcnt(5)
	v_fma_f32 v27, -v26, v50, v27
	s_waitcnt vmcnt(8) lgkmcnt(4)
	v_pk_fma_f32 v[48:49], v[26:27], v[54:55], v[48:49] op_sel_hi:[0,1,1] neg_lo:[1,0,0] neg_hi:[1,0,0]
	s_waitcnt vmcnt(6) lgkmcnt(3)
	v_pk_fma_f32 v[46:47], v[26:27], v[56:57], v[46:47] op_sel_hi:[0,1,1] neg_lo:[1,0,0] neg_hi:[1,0,0]
	;; [unrolled: 2-line block ×5, first 2 shown]
.LBB82_522:
	s_or_b64 exec, exec, s[0:1]
	v_lshl_add_u32 v50, v53, 2, v17
	s_barrier
	s_waitcnt vmcnt(10)
	ds_write_b32 v50, v27
	s_waitcnt lgkmcnt(0)
	s_barrier
	ds_read_b32 v52, v17 offset:124
	s_cmp_lt_i32 s22, 33
	v_mov_b32_e32 v50, 31
	s_cbranch_scc1 .LBB82_525
; %bb.523:
	v_add_u32_e32 v54, 0x80, v17
	v_mov_b32_e32 v50, 31
	s_mov_b32 s0, 32
.LBB82_524:                             ; =>This Inner Loop Header: Depth=1
	ds_read_b32 v55, v54
	v_mov_b32_e32 v56, s0
	s_add_i32 s0, s0, 1
	v_add_u32_e32 v54, 4, v54
	s_cmp_lg_u32 s22, s0
	s_waitcnt lgkmcnt(0)
	v_cmp_lt_f32_e64 vcc, |v52|, |v55|
	s_nop 1
	v_cndmask_b32_e32 v52, v52, v55, vcc
	v_cndmask_b32_e32 v50, v50, v56, vcc
	s_cbranch_scc1 .LBB82_524
.LBB82_525:
	s_waitcnt lgkmcnt(0)
	v_cmp_eq_f32_e32 vcc, 0, v52
	s_and_saveexec_b64 s[0:1], vcc
	s_xor_b64 s[0:1], exec, s[0:1]
; %bb.526:
	v_cmp_ne_u32_e32 vcc, 0, v19
	s_nop 1
	v_cndmask_b32_e32 v19, 32, v19, vcc
; %bb.527:
	s_andn2_saveexec_b64 s[0:1], s[0:1]
	s_cbranch_execz .LBB82_529
; %bb.528:
	v_div_scale_f32 v54, s[2:3], v52, v52, 1.0
	v_rcp_f32_e32 v55, v54
	v_div_scale_f32 v56, vcc, 1.0, v52, 1.0
	v_fma_f32 v57, -v54, v55, 1.0
	v_fmac_f32_e32 v55, v57, v55
	v_mul_f32_e32 v57, v56, v55
	v_fma_f32 v58, -v54, v57, v56
	v_fmac_f32_e32 v57, v58, v55
	v_fma_f32 v54, -v54, v57, v56
	v_div_fmas_f32 v54, v54, v55, v57
	v_div_fixup_f32 v52, v54, v52, 1.0
.LBB82_529:
	s_or_b64 exec, exec, s[0:1]
	v_cmp_ne_u32_e32 vcc, v53, v50
	s_and_saveexec_b64 s[0:1], vcc
	s_xor_b64 s[0:1], exec, s[0:1]
	s_cbranch_execz .LBB82_535
; %bb.530:
	v_cmp_eq_u32_e32 vcc, 31, v53
	s_and_saveexec_b64 s[2:3], vcc
	s_cbranch_execz .LBB82_534
; %bb.531:
	v_cmp_ne_u32_e32 vcc, 31, v50
	s_xor_b64 s[18:19], s[16:17], -1
	s_and_b64 s[20:21], s[18:19], vcc
	s_and_saveexec_b64 s[18:19], s[20:21]
	s_cbranch_execz .LBB82_533
; %bb.532:
	v_ashrrev_i32_e32 v51, 31, v50
	v_lshl_add_u64 v[54:55], v[50:51], 2, v[20:21]
	global_load_dword v51, v[54:55], off
	global_load_dword v53, v[20:21], off offset:124
	s_waitcnt vmcnt(1)
	global_store_dword v[20:21], v51, off offset:124
	s_waitcnt vmcnt(1)
	global_store_dword v[54:55], v53, off
.LBB82_533:
	s_or_b64 exec, exec, s[18:19]
	v_mov_b32_e32 v51, v50
	v_mov_b32_e32 v53, v50
.LBB82_534:
	s_or_b64 exec, exec, s[2:3]
.LBB82_535:
	s_andn2_saveexec_b64 s[0:1], s[0:1]
	s_cbranch_execz .LBB82_537
; %bb.536:
	v_mov_b32_e32 v53, 31
	s_waitcnt vmcnt(8)
	ds_write2_b32 v17, v48, v49 offset0:32 offset1:33
	s_waitcnt vmcnt(6)
	ds_write2_b32 v17, v46, v47 offset0:34 offset1:35
	;; [unrolled: 2-line block ×5, first 2 shown]
.LBB82_537:
	s_or_b64 exec, exec, s[0:1]
	v_cmp_lt_i32_e32 vcc, 31, v53
	s_waitcnt lgkmcnt(0)
	s_barrier
	s_and_saveexec_b64 s[0:1], vcc
	s_cbranch_execz .LBB82_539
; %bb.538:
	ds_read2_b32 v[54:55], v17 offset0:32 offset1:33
	ds_read2_b32 v[56:57], v17 offset0:34 offset1:35
	;; [unrolled: 1-line block ×5, first 2 shown]
	v_mul_f32_e32 v50, v52, v27
	s_waitcnt vmcnt(8) lgkmcnt(4)
	v_pk_fma_f32 v[48:49], v[50:51], v[54:55], v[48:49] op_sel_hi:[0,1,1] neg_lo:[1,0,0] neg_hi:[1,0,0]
	s_waitcnt vmcnt(6) lgkmcnt(3)
	v_pk_fma_f32 v[46:47], v[50:51], v[56:57], v[46:47] op_sel_hi:[0,1,1] neg_lo:[1,0,0] neg_hi:[1,0,0]
	;; [unrolled: 2-line block ×5, first 2 shown]
	v_mov_b32_e32 v27, v50
.LBB82_539:
	s_or_b64 exec, exec, s[0:1]
	v_lshl_add_u32 v50, v53, 2, v17
	s_barrier
	s_waitcnt vmcnt(9)
	ds_write_b32 v50, v48
	s_waitcnt lgkmcnt(0)
	s_barrier
	ds_read_b32 v52, v17 offset:128
	s_cmp_lt_i32 s22, 34
	v_mov_b32_e32 v50, 32
	s_cbranch_scc1 .LBB82_542
; %bb.540:
	v_add_u32_e32 v54, 0x84, v17
	v_mov_b32_e32 v50, 32
	s_mov_b32 s0, 33
.LBB82_541:                             ; =>This Inner Loop Header: Depth=1
	ds_read_b32 v55, v54
	v_mov_b32_e32 v56, s0
	s_add_i32 s0, s0, 1
	v_add_u32_e32 v54, 4, v54
	s_cmp_lg_u32 s22, s0
	s_waitcnt lgkmcnt(0)
	v_cmp_lt_f32_e64 vcc, |v52|, |v55|
	s_nop 1
	v_cndmask_b32_e32 v52, v52, v55, vcc
	v_cndmask_b32_e32 v50, v50, v56, vcc
	s_cbranch_scc1 .LBB82_541
.LBB82_542:
	s_waitcnt lgkmcnt(0)
	v_cmp_eq_f32_e32 vcc, 0, v52
	s_and_saveexec_b64 s[0:1], vcc
	s_xor_b64 s[0:1], exec, s[0:1]
; %bb.543:
	v_cmp_ne_u32_e32 vcc, 0, v19
	s_nop 1
	v_cndmask_b32_e32 v19, 33, v19, vcc
; %bb.544:
	s_andn2_saveexec_b64 s[0:1], s[0:1]
	s_cbranch_execz .LBB82_546
; %bb.545:
	v_div_scale_f32 v54, s[2:3], v52, v52, 1.0
	v_rcp_f32_e32 v55, v54
	v_div_scale_f32 v56, vcc, 1.0, v52, 1.0
	v_fma_f32 v57, -v54, v55, 1.0
	v_fmac_f32_e32 v55, v57, v55
	v_mul_f32_e32 v57, v56, v55
	v_fma_f32 v58, -v54, v57, v56
	v_fmac_f32_e32 v57, v58, v55
	v_fma_f32 v54, -v54, v57, v56
	v_div_fmas_f32 v54, v54, v55, v57
	v_div_fixup_f32 v52, v54, v52, 1.0
.LBB82_546:
	s_or_b64 exec, exec, s[0:1]
	v_cmp_ne_u32_e32 vcc, v53, v50
	s_and_saveexec_b64 s[0:1], vcc
	s_xor_b64 s[0:1], exec, s[0:1]
	s_cbranch_execz .LBB82_552
; %bb.547:
	v_cmp_eq_u32_e32 vcc, 32, v53
	s_and_saveexec_b64 s[2:3], vcc
	s_cbranch_execz .LBB82_551
; %bb.548:
	v_cmp_ne_u32_e32 vcc, 32, v50
	s_xor_b64 s[18:19], s[16:17], -1
	s_and_b64 s[20:21], s[18:19], vcc
	s_and_saveexec_b64 s[18:19], s[20:21]
	s_cbranch_execz .LBB82_550
; %bb.549:
	v_ashrrev_i32_e32 v51, 31, v50
	v_lshl_add_u64 v[54:55], v[50:51], 2, v[20:21]
	global_load_dword v51, v[54:55], off
	global_load_dword v53, v[20:21], off offset:128
	s_waitcnt vmcnt(1)
	global_store_dword v[20:21], v51, off offset:128
	s_waitcnt vmcnt(1)
	global_store_dword v[54:55], v53, off
.LBB82_550:
	s_or_b64 exec, exec, s[18:19]
	v_mov_b32_e32 v51, v50
	v_mov_b32_e32 v53, v50
.LBB82_551:
	s_or_b64 exec, exec, s[2:3]
.LBB82_552:
	s_andn2_saveexec_b64 s[0:1], s[0:1]
	s_cbranch_execz .LBB82_554
; %bb.553:
	s_waitcnt vmcnt(6)
	v_pk_mov_b32 v[54:55], v[48:49], v[46:47] op_sel:[1,0]
	ds_write2_b32 v17, v54, v55 offset0:33 offset1:34
	s_waitcnt vmcnt(4)
	v_pk_mov_b32 v[54:55], v[46:47], v[40:41] op_sel:[1,0]
	ds_write2_b32 v17, v54, v55 offset0:35 offset1:36
	s_waitcnt vmcnt(2)
	v_pk_mov_b32 v[54:55], v[40:41], v[38:39] op_sel:[1,0]
	ds_write2_b32 v17, v54, v55 offset0:37 offset1:38
	s_waitcnt vmcnt(0)
	v_pk_mov_b32 v[54:55], v[38:39], v[44:45] op_sel:[1,0]
	v_mov_b32_e32 v53, 32
	ds_write2_b32 v17, v54, v55 offset0:39 offset1:40
	ds_write_b32 v17, v45 offset:164
.LBB82_554:
	s_or_b64 exec, exec, s[0:1]
	v_cmp_lt_i32_e32 vcc, 32, v53
	s_waitcnt lgkmcnt(0)
	s_barrier
	s_and_saveexec_b64 s[0:1], vcc
	s_cbranch_execz .LBB82_556
; %bb.555:
	ds_read_b32 v50, v17 offset:132
	ds_read2_b32 v[54:55], v17 offset0:34 offset1:35
	ds_read2_b32 v[56:57], v17 offset0:36 offset1:37
	;; [unrolled: 1-line block ×4, first 2 shown]
	v_mul_f32_e32 v48, v52, v48
	s_waitcnt vmcnt(8) lgkmcnt(4)
	v_fma_f32 v49, -v48, v50, v49
	s_waitcnt vmcnt(6) lgkmcnt(3)
	v_pk_fma_f32 v[46:47], v[48:49], v[54:55], v[46:47] op_sel_hi:[0,1,1] neg_lo:[1,0,0] neg_hi:[1,0,0]
	s_waitcnt vmcnt(4) lgkmcnt(2)
	v_pk_fma_f32 v[40:41], v[48:49], v[56:57], v[40:41] op_sel_hi:[0,1,1] neg_lo:[1,0,0] neg_hi:[1,0,0]
	;; [unrolled: 2-line block ×4, first 2 shown]
.LBB82_556:
	s_or_b64 exec, exec, s[0:1]
	v_lshl_add_u32 v50, v53, 2, v17
	s_barrier
	s_waitcnt vmcnt(8)
	ds_write_b32 v50, v49
	s_waitcnt lgkmcnt(0)
	s_barrier
	ds_read_b32 v52, v17 offset:132
	s_cmp_lt_i32 s22, 35
	v_mov_b32_e32 v50, 33
	s_cbranch_scc1 .LBB82_559
; %bb.557:
	v_add_u32_e32 v54, 0x88, v17
	v_mov_b32_e32 v50, 33
	s_mov_b32 s0, 34
.LBB82_558:                             ; =>This Inner Loop Header: Depth=1
	ds_read_b32 v55, v54
	v_mov_b32_e32 v56, s0
	s_add_i32 s0, s0, 1
	v_add_u32_e32 v54, 4, v54
	s_cmp_lg_u32 s22, s0
	s_waitcnt lgkmcnt(0)
	v_cmp_lt_f32_e64 vcc, |v52|, |v55|
	s_nop 1
	v_cndmask_b32_e32 v52, v52, v55, vcc
	v_cndmask_b32_e32 v50, v50, v56, vcc
	s_cbranch_scc1 .LBB82_558
.LBB82_559:
	s_waitcnt lgkmcnt(0)
	v_cmp_eq_f32_e32 vcc, 0, v52
	s_and_saveexec_b64 s[0:1], vcc
	s_xor_b64 s[0:1], exec, s[0:1]
; %bb.560:
	v_cmp_ne_u32_e32 vcc, 0, v19
	s_nop 1
	v_cndmask_b32_e32 v19, 34, v19, vcc
; %bb.561:
	s_andn2_saveexec_b64 s[0:1], s[0:1]
	s_cbranch_execz .LBB82_563
; %bb.562:
	v_div_scale_f32 v54, s[2:3], v52, v52, 1.0
	v_rcp_f32_e32 v55, v54
	v_div_scale_f32 v56, vcc, 1.0, v52, 1.0
	v_fma_f32 v57, -v54, v55, 1.0
	v_fmac_f32_e32 v55, v57, v55
	v_mul_f32_e32 v57, v56, v55
	v_fma_f32 v58, -v54, v57, v56
	v_fmac_f32_e32 v57, v58, v55
	v_fma_f32 v54, -v54, v57, v56
	v_div_fmas_f32 v54, v54, v55, v57
	v_div_fixup_f32 v52, v54, v52, 1.0
.LBB82_563:
	s_or_b64 exec, exec, s[0:1]
	v_cmp_ne_u32_e32 vcc, v53, v50
	s_and_saveexec_b64 s[0:1], vcc
	s_xor_b64 s[0:1], exec, s[0:1]
	s_cbranch_execz .LBB82_569
; %bb.564:
	v_cmp_eq_u32_e32 vcc, 33, v53
	s_and_saveexec_b64 s[2:3], vcc
	s_cbranch_execz .LBB82_568
; %bb.565:
	v_cmp_ne_u32_e32 vcc, 33, v50
	s_xor_b64 s[18:19], s[16:17], -1
	s_and_b64 s[20:21], s[18:19], vcc
	s_and_saveexec_b64 s[18:19], s[20:21]
	s_cbranch_execz .LBB82_567
; %bb.566:
	v_ashrrev_i32_e32 v51, 31, v50
	v_lshl_add_u64 v[54:55], v[50:51], 2, v[20:21]
	global_load_dword v51, v[54:55], off
	global_load_dword v53, v[20:21], off offset:132
	s_waitcnt vmcnt(1)
	global_store_dword v[20:21], v51, off offset:132
	s_waitcnt vmcnt(1)
	global_store_dword v[54:55], v53, off
.LBB82_567:
	s_or_b64 exec, exec, s[18:19]
	v_mov_b32_e32 v51, v50
	v_mov_b32_e32 v53, v50
.LBB82_568:
	s_or_b64 exec, exec, s[2:3]
.LBB82_569:
	s_andn2_saveexec_b64 s[0:1], s[0:1]
	s_cbranch_execz .LBB82_571
; %bb.570:
	v_mov_b32_e32 v53, 33
	s_waitcnt vmcnt(6)
	ds_write2_b32 v17, v46, v47 offset0:34 offset1:35
	s_waitcnt vmcnt(4)
	ds_write2_b32 v17, v40, v41 offset0:36 offset1:37
	;; [unrolled: 2-line block ×4, first 2 shown]
.LBB82_571:
	s_or_b64 exec, exec, s[0:1]
	v_cmp_lt_i32_e32 vcc, 33, v53
	s_waitcnt lgkmcnt(0)
	s_barrier
	s_and_saveexec_b64 s[0:1], vcc
	s_cbranch_execz .LBB82_573
; %bb.572:
	ds_read2_b32 v[54:55], v17 offset0:34 offset1:35
	ds_read2_b32 v[56:57], v17 offset0:36 offset1:37
	;; [unrolled: 1-line block ×4, first 2 shown]
	v_mul_f32_e32 v50, v52, v49
	s_waitcnt vmcnt(6) lgkmcnt(3)
	v_pk_fma_f32 v[46:47], v[50:51], v[54:55], v[46:47] op_sel_hi:[0,1,1] neg_lo:[1,0,0] neg_hi:[1,0,0]
	s_waitcnt vmcnt(4) lgkmcnt(2)
	v_pk_fma_f32 v[40:41], v[50:51], v[56:57], v[40:41] op_sel_hi:[0,1,1] neg_lo:[1,0,0] neg_hi:[1,0,0]
	;; [unrolled: 2-line block ×4, first 2 shown]
	v_mov_b32_e32 v49, v50
.LBB82_573:
	s_or_b64 exec, exec, s[0:1]
	v_lshl_add_u32 v50, v53, 2, v17
	s_barrier
	s_waitcnt vmcnt(7)
	ds_write_b32 v50, v46
	s_waitcnt lgkmcnt(0)
	s_barrier
	ds_read_b32 v52, v17 offset:136
	s_cmp_lt_i32 s22, 36
	v_mov_b32_e32 v50, 34
	s_cbranch_scc1 .LBB82_576
; %bb.574:
	v_add_u32_e32 v54, 0x8c, v17
	v_mov_b32_e32 v50, 34
	s_mov_b32 s0, 35
.LBB82_575:                             ; =>This Inner Loop Header: Depth=1
	ds_read_b32 v55, v54
	v_mov_b32_e32 v56, s0
	s_add_i32 s0, s0, 1
	v_add_u32_e32 v54, 4, v54
	s_cmp_lg_u32 s22, s0
	s_waitcnt lgkmcnt(0)
	v_cmp_lt_f32_e64 vcc, |v52|, |v55|
	s_nop 1
	v_cndmask_b32_e32 v52, v52, v55, vcc
	v_cndmask_b32_e32 v50, v50, v56, vcc
	s_cbranch_scc1 .LBB82_575
.LBB82_576:
	s_waitcnt lgkmcnt(0)
	v_cmp_eq_f32_e32 vcc, 0, v52
	s_and_saveexec_b64 s[0:1], vcc
	s_xor_b64 s[0:1], exec, s[0:1]
; %bb.577:
	v_cmp_ne_u32_e32 vcc, 0, v19
	s_nop 1
	v_cndmask_b32_e32 v19, 35, v19, vcc
; %bb.578:
	s_andn2_saveexec_b64 s[0:1], s[0:1]
	s_cbranch_execz .LBB82_580
; %bb.579:
	v_div_scale_f32 v54, s[2:3], v52, v52, 1.0
	v_rcp_f32_e32 v55, v54
	v_div_scale_f32 v56, vcc, 1.0, v52, 1.0
	v_fma_f32 v57, -v54, v55, 1.0
	v_fmac_f32_e32 v55, v57, v55
	v_mul_f32_e32 v57, v56, v55
	v_fma_f32 v58, -v54, v57, v56
	v_fmac_f32_e32 v57, v58, v55
	v_fma_f32 v54, -v54, v57, v56
	v_div_fmas_f32 v54, v54, v55, v57
	v_div_fixup_f32 v52, v54, v52, 1.0
.LBB82_580:
	s_or_b64 exec, exec, s[0:1]
	v_cmp_ne_u32_e32 vcc, v53, v50
	s_and_saveexec_b64 s[0:1], vcc
	s_xor_b64 s[0:1], exec, s[0:1]
	s_cbranch_execz .LBB82_586
; %bb.581:
	v_cmp_eq_u32_e32 vcc, 34, v53
	s_and_saveexec_b64 s[2:3], vcc
	s_cbranch_execz .LBB82_585
; %bb.582:
	v_cmp_ne_u32_e32 vcc, 34, v50
	s_xor_b64 s[18:19], s[16:17], -1
	s_and_b64 s[20:21], s[18:19], vcc
	s_and_saveexec_b64 s[18:19], s[20:21]
	s_cbranch_execz .LBB82_584
; %bb.583:
	v_ashrrev_i32_e32 v51, 31, v50
	v_lshl_add_u64 v[54:55], v[50:51], 2, v[20:21]
	global_load_dword v51, v[54:55], off
	global_load_dword v53, v[20:21], off offset:136
	s_waitcnt vmcnt(1)
	global_store_dword v[20:21], v51, off offset:136
	s_waitcnt vmcnt(1)
	global_store_dword v[54:55], v53, off
.LBB82_584:
	s_or_b64 exec, exec, s[18:19]
	v_mov_b32_e32 v51, v50
	v_mov_b32_e32 v53, v50
.LBB82_585:
	s_or_b64 exec, exec, s[2:3]
.LBB82_586:
	s_andn2_saveexec_b64 s[0:1], s[0:1]
	s_cbranch_execz .LBB82_588
; %bb.587:
	s_waitcnt vmcnt(4)
	v_pk_mov_b32 v[54:55], v[46:47], v[40:41] op_sel:[1,0]
	ds_write2_b32 v17, v54, v55 offset0:35 offset1:36
	s_waitcnt vmcnt(2)
	v_pk_mov_b32 v[54:55], v[40:41], v[38:39] op_sel:[1,0]
	ds_write2_b32 v17, v54, v55 offset0:37 offset1:38
	s_waitcnt vmcnt(0)
	v_pk_mov_b32 v[54:55], v[38:39], v[44:45] op_sel:[1,0]
	v_mov_b32_e32 v53, 34
	ds_write2_b32 v17, v54, v55 offset0:39 offset1:40
	ds_write_b32 v17, v45 offset:164
.LBB82_588:
	s_or_b64 exec, exec, s[0:1]
	v_cmp_lt_i32_e32 vcc, 34, v53
	s_waitcnt lgkmcnt(0)
	s_barrier
	s_and_saveexec_b64 s[0:1], vcc
	s_cbranch_execz .LBB82_590
; %bb.589:
	ds_read_b32 v50, v17 offset:140
	ds_read2_b32 v[54:55], v17 offset0:36 offset1:37
	ds_read2_b32 v[56:57], v17 offset0:38 offset1:39
	;; [unrolled: 1-line block ×3, first 2 shown]
	v_mul_f32_e32 v46, v52, v46
	s_waitcnt vmcnt(6) lgkmcnt(3)
	v_fma_f32 v47, -v46, v50, v47
	s_waitcnt vmcnt(4) lgkmcnt(2)
	v_pk_fma_f32 v[40:41], v[46:47], v[54:55], v[40:41] op_sel_hi:[0,1,1] neg_lo:[1,0,0] neg_hi:[1,0,0]
	s_waitcnt vmcnt(2) lgkmcnt(1)
	v_pk_fma_f32 v[38:39], v[46:47], v[56:57], v[38:39] op_sel_hi:[0,1,1] neg_lo:[1,0,0] neg_hi:[1,0,0]
	;; [unrolled: 2-line block ×3, first 2 shown]
.LBB82_590:
	s_or_b64 exec, exec, s[0:1]
	v_lshl_add_u32 v50, v53, 2, v17
	s_barrier
	s_waitcnt vmcnt(6)
	ds_write_b32 v50, v47
	s_waitcnt lgkmcnt(0)
	s_barrier
	ds_read_b32 v52, v17 offset:140
	s_cmp_lt_i32 s22, 37
	v_mov_b32_e32 v50, 35
	s_cbranch_scc1 .LBB82_593
; %bb.591:
	v_add_u32_e32 v54, 0x90, v17
	v_mov_b32_e32 v50, 35
	s_mov_b32 s0, 36
.LBB82_592:                             ; =>This Inner Loop Header: Depth=1
	ds_read_b32 v55, v54
	v_mov_b32_e32 v56, s0
	s_add_i32 s0, s0, 1
	v_add_u32_e32 v54, 4, v54
	s_cmp_lg_u32 s22, s0
	s_waitcnt lgkmcnt(0)
	v_cmp_lt_f32_e64 vcc, |v52|, |v55|
	s_nop 1
	v_cndmask_b32_e32 v52, v52, v55, vcc
	v_cndmask_b32_e32 v50, v50, v56, vcc
	s_cbranch_scc1 .LBB82_592
.LBB82_593:
	s_waitcnt lgkmcnt(0)
	v_cmp_eq_f32_e32 vcc, 0, v52
	s_and_saveexec_b64 s[0:1], vcc
	s_xor_b64 s[0:1], exec, s[0:1]
; %bb.594:
	v_cmp_ne_u32_e32 vcc, 0, v19
	s_nop 1
	v_cndmask_b32_e32 v19, 36, v19, vcc
; %bb.595:
	s_andn2_saveexec_b64 s[0:1], s[0:1]
	s_cbranch_execz .LBB82_597
; %bb.596:
	v_div_scale_f32 v54, s[2:3], v52, v52, 1.0
	v_rcp_f32_e32 v55, v54
	v_div_scale_f32 v56, vcc, 1.0, v52, 1.0
	v_fma_f32 v57, -v54, v55, 1.0
	v_fmac_f32_e32 v55, v57, v55
	v_mul_f32_e32 v57, v56, v55
	v_fma_f32 v58, -v54, v57, v56
	v_fmac_f32_e32 v57, v58, v55
	v_fma_f32 v54, -v54, v57, v56
	v_div_fmas_f32 v54, v54, v55, v57
	v_div_fixup_f32 v52, v54, v52, 1.0
.LBB82_597:
	s_or_b64 exec, exec, s[0:1]
	v_cmp_ne_u32_e32 vcc, v53, v50
	s_and_saveexec_b64 s[0:1], vcc
	s_xor_b64 s[0:1], exec, s[0:1]
	s_cbranch_execz .LBB82_603
; %bb.598:
	v_cmp_eq_u32_e32 vcc, 35, v53
	s_and_saveexec_b64 s[2:3], vcc
	s_cbranch_execz .LBB82_602
; %bb.599:
	v_cmp_ne_u32_e32 vcc, 35, v50
	s_xor_b64 s[18:19], s[16:17], -1
	s_and_b64 s[20:21], s[18:19], vcc
	s_and_saveexec_b64 s[18:19], s[20:21]
	s_cbranch_execz .LBB82_601
; %bb.600:
	v_ashrrev_i32_e32 v51, 31, v50
	v_lshl_add_u64 v[54:55], v[50:51], 2, v[20:21]
	global_load_dword v51, v[54:55], off
	global_load_dword v53, v[20:21], off offset:140
	s_waitcnt vmcnt(1)
	global_store_dword v[20:21], v51, off offset:140
	s_waitcnt vmcnt(1)
	global_store_dword v[54:55], v53, off
.LBB82_601:
	s_or_b64 exec, exec, s[18:19]
	v_mov_b32_e32 v51, v50
	v_mov_b32_e32 v53, v50
.LBB82_602:
	s_or_b64 exec, exec, s[2:3]
.LBB82_603:
	s_andn2_saveexec_b64 s[0:1], s[0:1]
	s_cbranch_execz .LBB82_605
; %bb.604:
	v_mov_b32_e32 v53, 35
	s_waitcnt vmcnt(4)
	ds_write2_b32 v17, v40, v41 offset0:36 offset1:37
	s_waitcnt vmcnt(2)
	ds_write2_b32 v17, v38, v39 offset0:38 offset1:39
	;; [unrolled: 2-line block ×3, first 2 shown]
.LBB82_605:
	s_or_b64 exec, exec, s[0:1]
	v_cmp_lt_i32_e32 vcc, 35, v53
	s_waitcnt lgkmcnt(0)
	s_barrier
	s_and_saveexec_b64 s[0:1], vcc
	s_cbranch_execz .LBB82_607
; %bb.606:
	ds_read2_b32 v[54:55], v17 offset0:36 offset1:37
	ds_read2_b32 v[56:57], v17 offset0:38 offset1:39
	;; [unrolled: 1-line block ×3, first 2 shown]
	v_mul_f32_e32 v50, v52, v47
	v_mov_b32_e32 v47, v50
	s_waitcnt vmcnt(4) lgkmcnt(2)
	v_pk_fma_f32 v[40:41], v[50:51], v[54:55], v[40:41] op_sel_hi:[0,1,1] neg_lo:[1,0,0] neg_hi:[1,0,0]
	s_waitcnt vmcnt(2) lgkmcnt(1)
	v_pk_fma_f32 v[38:39], v[50:51], v[56:57], v[38:39] op_sel_hi:[0,1,1] neg_lo:[1,0,0] neg_hi:[1,0,0]
	;; [unrolled: 2-line block ×3, first 2 shown]
.LBB82_607:
	s_or_b64 exec, exec, s[0:1]
	v_lshl_add_u32 v50, v53, 2, v17
	s_barrier
	s_waitcnt vmcnt(5)
	ds_write_b32 v50, v40
	s_waitcnt lgkmcnt(0)
	s_barrier
	ds_read_b32 v52, v17 offset:144
	s_cmp_lt_i32 s22, 38
	v_mov_b32_e32 v50, 36
	s_cbranch_scc1 .LBB82_610
; %bb.608:
	v_add_u32_e32 v54, 0x94, v17
	v_mov_b32_e32 v50, 36
	s_mov_b32 s0, 37
.LBB82_609:                             ; =>This Inner Loop Header: Depth=1
	ds_read_b32 v55, v54
	v_mov_b32_e32 v56, s0
	s_add_i32 s0, s0, 1
	v_add_u32_e32 v54, 4, v54
	s_cmp_lg_u32 s22, s0
	s_waitcnt lgkmcnt(0)
	v_cmp_lt_f32_e64 vcc, |v52|, |v55|
	s_nop 1
	v_cndmask_b32_e32 v52, v52, v55, vcc
	v_cndmask_b32_e32 v50, v50, v56, vcc
	s_cbranch_scc1 .LBB82_609
.LBB82_610:
	s_waitcnt lgkmcnt(0)
	v_cmp_eq_f32_e32 vcc, 0, v52
	s_and_saveexec_b64 s[0:1], vcc
	s_xor_b64 s[0:1], exec, s[0:1]
; %bb.611:
	v_cmp_ne_u32_e32 vcc, 0, v19
	s_nop 1
	v_cndmask_b32_e32 v19, 37, v19, vcc
; %bb.612:
	s_andn2_saveexec_b64 s[0:1], s[0:1]
	s_cbranch_execz .LBB82_614
; %bb.613:
	v_div_scale_f32 v54, s[2:3], v52, v52, 1.0
	v_rcp_f32_e32 v55, v54
	v_div_scale_f32 v56, vcc, 1.0, v52, 1.0
	v_fma_f32 v57, -v54, v55, 1.0
	v_fmac_f32_e32 v55, v57, v55
	v_mul_f32_e32 v57, v56, v55
	v_fma_f32 v58, -v54, v57, v56
	v_fmac_f32_e32 v57, v58, v55
	v_fma_f32 v54, -v54, v57, v56
	v_div_fmas_f32 v54, v54, v55, v57
	v_div_fixup_f32 v52, v54, v52, 1.0
.LBB82_614:
	s_or_b64 exec, exec, s[0:1]
	v_cmp_ne_u32_e32 vcc, v53, v50
	s_and_saveexec_b64 s[0:1], vcc
	s_xor_b64 s[0:1], exec, s[0:1]
	s_cbranch_execz .LBB82_620
; %bb.615:
	v_cmp_eq_u32_e32 vcc, 36, v53
	s_and_saveexec_b64 s[2:3], vcc
	s_cbranch_execz .LBB82_619
; %bb.616:
	v_cmp_ne_u32_e32 vcc, 36, v50
	s_xor_b64 s[18:19], s[16:17], -1
	s_and_b64 s[20:21], s[18:19], vcc
	s_and_saveexec_b64 s[18:19], s[20:21]
	s_cbranch_execz .LBB82_618
; %bb.617:
	v_ashrrev_i32_e32 v51, 31, v50
	v_lshl_add_u64 v[54:55], v[50:51], 2, v[20:21]
	global_load_dword v51, v[54:55], off
	global_load_dword v53, v[20:21], off offset:144
	s_waitcnt vmcnt(1)
	global_store_dword v[20:21], v51, off offset:144
	s_waitcnt vmcnt(1)
	global_store_dword v[54:55], v53, off
.LBB82_618:
	s_or_b64 exec, exec, s[18:19]
	v_mov_b32_e32 v51, v50
	v_mov_b32_e32 v53, v50
.LBB82_619:
	s_or_b64 exec, exec, s[2:3]
.LBB82_620:
	s_andn2_saveexec_b64 s[0:1], s[0:1]
	s_cbranch_execz .LBB82_622
; %bb.621:
	s_waitcnt vmcnt(2)
	v_pk_mov_b32 v[54:55], v[40:41], v[38:39] op_sel:[1,0]
	ds_write2_b32 v17, v54, v55 offset0:37 offset1:38
	s_waitcnt vmcnt(0)
	v_pk_mov_b32 v[54:55], v[38:39], v[44:45] op_sel:[1,0]
	v_mov_b32_e32 v53, 36
	ds_write2_b32 v17, v54, v55 offset0:39 offset1:40
	ds_write_b32 v17, v45 offset:164
.LBB82_622:
	s_or_b64 exec, exec, s[0:1]
	v_cmp_lt_i32_e32 vcc, 36, v53
	s_waitcnt lgkmcnt(0)
	s_barrier
	s_and_saveexec_b64 s[0:1], vcc
	s_cbranch_execz .LBB82_624
; %bb.623:
	ds_read_b32 v50, v17 offset:148
	ds_read2_b32 v[54:55], v17 offset0:38 offset1:39
	ds_read2_b32 v[56:57], v17 offset0:40 offset1:41
	v_mul_f32_e32 v40, v52, v40
	s_waitcnt vmcnt(4) lgkmcnt(2)
	v_fma_f32 v41, -v40, v50, v41
	s_waitcnt vmcnt(2) lgkmcnt(1)
	v_pk_fma_f32 v[38:39], v[40:41], v[54:55], v[38:39] op_sel_hi:[0,1,1] neg_lo:[1,0,0] neg_hi:[1,0,0]
	s_waitcnt vmcnt(0) lgkmcnt(0)
	v_pk_fma_f32 v[44:45], v[40:41], v[56:57], v[44:45] op_sel_hi:[0,1,1] neg_lo:[1,0,0] neg_hi:[1,0,0]
.LBB82_624:
	s_or_b64 exec, exec, s[0:1]
	v_lshl_add_u32 v50, v53, 2, v17
	s_barrier
	s_waitcnt vmcnt(4)
	ds_write_b32 v50, v41
	s_waitcnt lgkmcnt(0)
	s_barrier
	ds_read_b32 v52, v17 offset:148
	s_cmp_lt_i32 s22, 39
	v_mov_b32_e32 v50, 37
	s_cbranch_scc1 .LBB82_627
; %bb.625:
	v_add_u32_e32 v54, 0x98, v17
	v_mov_b32_e32 v50, 37
	s_mov_b32 s0, 38
.LBB82_626:                             ; =>This Inner Loop Header: Depth=1
	ds_read_b32 v55, v54
	v_mov_b32_e32 v56, s0
	s_add_i32 s0, s0, 1
	v_add_u32_e32 v54, 4, v54
	s_cmp_lg_u32 s22, s0
	s_waitcnt lgkmcnt(0)
	v_cmp_lt_f32_e64 vcc, |v52|, |v55|
	s_nop 1
	v_cndmask_b32_e32 v52, v52, v55, vcc
	v_cndmask_b32_e32 v50, v50, v56, vcc
	s_cbranch_scc1 .LBB82_626
.LBB82_627:
	s_waitcnt lgkmcnt(0)
	v_cmp_eq_f32_e32 vcc, 0, v52
	s_and_saveexec_b64 s[0:1], vcc
	s_xor_b64 s[0:1], exec, s[0:1]
; %bb.628:
	v_cmp_ne_u32_e32 vcc, 0, v19
	s_nop 1
	v_cndmask_b32_e32 v19, 38, v19, vcc
; %bb.629:
	s_andn2_saveexec_b64 s[0:1], s[0:1]
	s_cbranch_execz .LBB82_631
; %bb.630:
	v_div_scale_f32 v54, s[2:3], v52, v52, 1.0
	v_rcp_f32_e32 v55, v54
	v_div_scale_f32 v56, vcc, 1.0, v52, 1.0
	v_fma_f32 v57, -v54, v55, 1.0
	v_fmac_f32_e32 v55, v57, v55
	v_mul_f32_e32 v57, v56, v55
	v_fma_f32 v58, -v54, v57, v56
	v_fmac_f32_e32 v57, v58, v55
	v_fma_f32 v54, -v54, v57, v56
	v_div_fmas_f32 v54, v54, v55, v57
	v_div_fixup_f32 v52, v54, v52, 1.0
.LBB82_631:
	s_or_b64 exec, exec, s[0:1]
	v_cmp_ne_u32_e32 vcc, v53, v50
	s_and_saveexec_b64 s[0:1], vcc
	s_xor_b64 s[0:1], exec, s[0:1]
	s_cbranch_execz .LBB82_637
; %bb.632:
	v_cmp_eq_u32_e32 vcc, 37, v53
	s_and_saveexec_b64 s[2:3], vcc
	s_cbranch_execz .LBB82_636
; %bb.633:
	v_cmp_ne_u32_e32 vcc, 37, v50
	s_xor_b64 s[18:19], s[16:17], -1
	s_and_b64 s[20:21], s[18:19], vcc
	s_and_saveexec_b64 s[18:19], s[20:21]
	s_cbranch_execz .LBB82_635
; %bb.634:
	v_ashrrev_i32_e32 v51, 31, v50
	v_lshl_add_u64 v[54:55], v[50:51], 2, v[20:21]
	global_load_dword v51, v[54:55], off
	global_load_dword v53, v[20:21], off offset:148
	s_waitcnt vmcnt(1)
	global_store_dword v[20:21], v51, off offset:148
	s_waitcnt vmcnt(1)
	global_store_dword v[54:55], v53, off
.LBB82_635:
	s_or_b64 exec, exec, s[18:19]
	v_mov_b32_e32 v51, v50
	v_mov_b32_e32 v53, v50
.LBB82_636:
	s_or_b64 exec, exec, s[2:3]
.LBB82_637:
	s_andn2_saveexec_b64 s[0:1], s[0:1]
	s_cbranch_execz .LBB82_639
; %bb.638:
	v_mov_b32_e32 v53, 37
	s_waitcnt vmcnt(2)
	ds_write2_b32 v17, v38, v39 offset0:38 offset1:39
	s_waitcnt vmcnt(0)
	ds_write2_b32 v17, v44, v45 offset0:40 offset1:41
.LBB82_639:
	s_or_b64 exec, exec, s[0:1]
	v_cmp_lt_i32_e32 vcc, 37, v53
	s_waitcnt lgkmcnt(0)
	s_barrier
	s_and_saveexec_b64 s[0:1], vcc
	s_cbranch_execz .LBB82_641
; %bb.640:
	ds_read2_b32 v[54:55], v17 offset0:38 offset1:39
	ds_read2_b32 v[56:57], v17 offset0:40 offset1:41
	v_mul_f32_e32 v50, v52, v41
	v_mov_b32_e32 v41, v50
	s_waitcnt vmcnt(2) lgkmcnt(1)
	v_pk_fma_f32 v[38:39], v[50:51], v[54:55], v[38:39] op_sel_hi:[0,1,1] neg_lo:[1,0,0] neg_hi:[1,0,0]
	s_waitcnt vmcnt(0) lgkmcnt(0)
	v_pk_fma_f32 v[44:45], v[50:51], v[56:57], v[44:45] op_sel_hi:[0,1,1] neg_lo:[1,0,0] neg_hi:[1,0,0]
.LBB82_641:
	s_or_b64 exec, exec, s[0:1]
	v_lshl_add_u32 v50, v53, 2, v17
	s_barrier
	s_waitcnt vmcnt(3)
	ds_write_b32 v50, v38
	s_waitcnt lgkmcnt(0)
	s_barrier
	ds_read_b32 v52, v17 offset:152
	s_cmp_lt_i32 s22, 40
	v_mov_b32_e32 v50, 38
	s_cbranch_scc1 .LBB82_644
; %bb.642:
	v_add_u32_e32 v54, 0x9c, v17
	v_mov_b32_e32 v50, 38
	s_mov_b32 s0, 39
.LBB82_643:                             ; =>This Inner Loop Header: Depth=1
	ds_read_b32 v55, v54
	v_mov_b32_e32 v56, s0
	s_add_i32 s0, s0, 1
	v_add_u32_e32 v54, 4, v54
	s_cmp_lg_u32 s22, s0
	s_waitcnt lgkmcnt(0)
	v_cmp_lt_f32_e64 vcc, |v52|, |v55|
	s_nop 1
	v_cndmask_b32_e32 v52, v52, v55, vcc
	v_cndmask_b32_e32 v50, v50, v56, vcc
	s_cbranch_scc1 .LBB82_643
.LBB82_644:
	s_waitcnt lgkmcnt(0)
	v_cmp_eq_f32_e32 vcc, 0, v52
	s_and_saveexec_b64 s[0:1], vcc
	s_xor_b64 s[0:1], exec, s[0:1]
; %bb.645:
	v_cmp_ne_u32_e32 vcc, 0, v19
	s_nop 1
	v_cndmask_b32_e32 v19, 39, v19, vcc
; %bb.646:
	s_andn2_saveexec_b64 s[0:1], s[0:1]
	s_cbranch_execz .LBB82_648
; %bb.647:
	v_div_scale_f32 v54, s[2:3], v52, v52, 1.0
	v_rcp_f32_e32 v55, v54
	v_div_scale_f32 v56, vcc, 1.0, v52, 1.0
	v_fma_f32 v57, -v54, v55, 1.0
	v_fmac_f32_e32 v55, v57, v55
	v_mul_f32_e32 v57, v56, v55
	v_fma_f32 v58, -v54, v57, v56
	v_fmac_f32_e32 v57, v58, v55
	v_fma_f32 v54, -v54, v57, v56
	v_div_fmas_f32 v54, v54, v55, v57
	v_div_fixup_f32 v52, v54, v52, 1.0
.LBB82_648:
	s_or_b64 exec, exec, s[0:1]
	v_cmp_ne_u32_e32 vcc, v53, v50
	s_and_saveexec_b64 s[0:1], vcc
	s_xor_b64 s[0:1], exec, s[0:1]
	s_cbranch_execz .LBB82_654
; %bb.649:
	v_cmp_eq_u32_e32 vcc, 38, v53
	s_and_saveexec_b64 s[2:3], vcc
	s_cbranch_execz .LBB82_653
; %bb.650:
	v_cmp_ne_u32_e32 vcc, 38, v50
	s_xor_b64 s[18:19], s[16:17], -1
	s_and_b64 s[20:21], s[18:19], vcc
	s_and_saveexec_b64 s[18:19], s[20:21]
	s_cbranch_execz .LBB82_652
; %bb.651:
	v_ashrrev_i32_e32 v51, 31, v50
	v_lshl_add_u64 v[54:55], v[50:51], 2, v[20:21]
	global_load_dword v51, v[54:55], off
	global_load_dword v53, v[20:21], off offset:152
	s_waitcnt vmcnt(1)
	global_store_dword v[20:21], v51, off offset:152
	s_waitcnt vmcnt(1)
	global_store_dword v[54:55], v53, off
.LBB82_652:
	s_or_b64 exec, exec, s[18:19]
	v_mov_b32_e32 v51, v50
	v_mov_b32_e32 v53, v50
.LBB82_653:
	s_or_b64 exec, exec, s[2:3]
.LBB82_654:
	s_andn2_saveexec_b64 s[0:1], s[0:1]
	s_cbranch_execz .LBB82_656
; %bb.655:
	s_waitcnt vmcnt(0)
	v_pk_mov_b32 v[54:55], v[38:39], v[44:45] op_sel:[1,0]
	v_mov_b32_e32 v53, 38
	ds_write2_b32 v17, v54, v55 offset0:39 offset1:40
	ds_write_b32 v17, v45 offset:164
.LBB82_656:
	s_or_b64 exec, exec, s[0:1]
	v_cmp_lt_i32_e32 vcc, 38, v53
	s_waitcnt lgkmcnt(0)
	s_barrier
	s_and_saveexec_b64 s[0:1], vcc
	s_cbranch_execz .LBB82_658
; %bb.657:
	ds_read_b32 v50, v17 offset:156
	ds_read2_b32 v[54:55], v17 offset0:40 offset1:41
	v_mul_f32_e32 v38, v52, v38
	s_waitcnt vmcnt(2) lgkmcnt(1)
	v_fma_f32 v39, -v38, v50, v39
	s_waitcnt vmcnt(0) lgkmcnt(0)
	v_pk_fma_f32 v[44:45], v[38:39], v[54:55], v[44:45] op_sel_hi:[0,1,1] neg_lo:[1,0,0] neg_hi:[1,0,0]
.LBB82_658:
	s_or_b64 exec, exec, s[0:1]
	v_lshl_add_u32 v50, v53, 2, v17
	s_barrier
	s_waitcnt vmcnt(2)
	ds_write_b32 v50, v39
	s_waitcnt lgkmcnt(0)
	s_barrier
	ds_read_b32 v52, v17 offset:156
	s_cmp_lt_i32 s22, 41
	v_mov_b32_e32 v50, 39
	s_cbranch_scc1 .LBB82_661
; %bb.659:
	v_add_u32_e32 v54, 0xa0, v17
	v_mov_b32_e32 v50, 39
	s_mov_b32 s0, 40
.LBB82_660:                             ; =>This Inner Loop Header: Depth=1
	ds_read_b32 v55, v54
	v_mov_b32_e32 v56, s0
	s_add_i32 s0, s0, 1
	v_add_u32_e32 v54, 4, v54
	s_cmp_lg_u32 s22, s0
	s_waitcnt lgkmcnt(0)
	v_cmp_lt_f32_e64 vcc, |v52|, |v55|
	s_nop 1
	v_cndmask_b32_e32 v52, v52, v55, vcc
	v_cndmask_b32_e32 v50, v50, v56, vcc
	s_cbranch_scc1 .LBB82_660
.LBB82_661:
	s_waitcnt lgkmcnt(0)
	v_cmp_eq_f32_e32 vcc, 0, v52
	s_and_saveexec_b64 s[0:1], vcc
	s_xor_b64 s[0:1], exec, s[0:1]
; %bb.662:
	v_cmp_ne_u32_e32 vcc, 0, v19
	s_nop 1
	v_cndmask_b32_e32 v19, 40, v19, vcc
; %bb.663:
	s_andn2_saveexec_b64 s[0:1], s[0:1]
	s_cbranch_execz .LBB82_665
; %bb.664:
	v_div_scale_f32 v54, s[2:3], v52, v52, 1.0
	v_rcp_f32_e32 v55, v54
	v_div_scale_f32 v56, vcc, 1.0, v52, 1.0
	v_fma_f32 v57, -v54, v55, 1.0
	v_fmac_f32_e32 v55, v57, v55
	v_mul_f32_e32 v57, v56, v55
	v_fma_f32 v58, -v54, v57, v56
	v_fmac_f32_e32 v57, v58, v55
	v_fma_f32 v54, -v54, v57, v56
	v_div_fmas_f32 v54, v54, v55, v57
	v_div_fixup_f32 v52, v54, v52, 1.0
.LBB82_665:
	s_or_b64 exec, exec, s[0:1]
	v_cmp_ne_u32_e32 vcc, v53, v50
	s_and_saveexec_b64 s[0:1], vcc
	s_xor_b64 s[0:1], exec, s[0:1]
	s_cbranch_execz .LBB82_671
; %bb.666:
	v_cmp_eq_u32_e32 vcc, 39, v53
	s_and_saveexec_b64 s[2:3], vcc
	s_cbranch_execz .LBB82_670
; %bb.667:
	v_cmp_ne_u32_e32 vcc, 39, v50
	s_xor_b64 s[18:19], s[16:17], -1
	s_and_b64 s[20:21], s[18:19], vcc
	s_and_saveexec_b64 s[18:19], s[20:21]
	s_cbranch_execz .LBB82_669
; %bb.668:
	v_ashrrev_i32_e32 v51, 31, v50
	v_lshl_add_u64 v[54:55], v[50:51], 2, v[20:21]
	global_load_dword v51, v[54:55], off
	global_load_dword v53, v[20:21], off offset:156
	s_waitcnt vmcnt(1)
	global_store_dword v[20:21], v51, off offset:156
	s_waitcnt vmcnt(1)
	global_store_dword v[54:55], v53, off
.LBB82_669:
	s_or_b64 exec, exec, s[18:19]
	v_mov_b32_e32 v51, v50
	v_mov_b32_e32 v53, v50
.LBB82_670:
	s_or_b64 exec, exec, s[2:3]
.LBB82_671:
	s_andn2_saveexec_b64 s[0:1], s[0:1]
	s_cbranch_execz .LBB82_673
; %bb.672:
	v_mov_b32_e32 v53, 39
	s_waitcnt vmcnt(0)
	ds_write2_b32 v17, v44, v45 offset0:40 offset1:41
.LBB82_673:
	s_or_b64 exec, exec, s[0:1]
	v_cmp_lt_i32_e32 vcc, 39, v53
	s_waitcnt lgkmcnt(0)
	s_barrier
	s_and_saveexec_b64 s[0:1], vcc
	s_cbranch_execz .LBB82_675
; %bb.674:
	ds_read2_b32 v[54:55], v17 offset0:40 offset1:41
	v_mul_f32_e32 v50, v52, v39
	v_mov_b32_e32 v39, v50
	s_waitcnt vmcnt(0) lgkmcnt(0)
	v_pk_fma_f32 v[44:45], v[50:51], v[54:55], v[44:45] op_sel_hi:[0,1,1] neg_lo:[1,0,0] neg_hi:[1,0,0]
.LBB82_675:
	s_or_b64 exec, exec, s[0:1]
	v_lshl_add_u32 v50, v53, 2, v17
	s_barrier
	s_waitcnt vmcnt(1)
	ds_write_b32 v50, v44
	s_waitcnt lgkmcnt(0)
	s_barrier
	ds_read_b32 v52, v17 offset:160
	s_cmp_lt_i32 s22, 42
	v_mov_b32_e32 v50, 40
	s_cbranch_scc1 .LBB82_678
; %bb.676:
	v_add_u32_e32 v54, 0xa4, v17
	v_mov_b32_e32 v50, 40
	s_mov_b32 s0, 41
.LBB82_677:                             ; =>This Inner Loop Header: Depth=1
	ds_read_b32 v55, v54
	v_mov_b32_e32 v56, s0
	s_add_i32 s0, s0, 1
	v_add_u32_e32 v54, 4, v54
	s_cmp_lg_u32 s22, s0
	s_waitcnt lgkmcnt(0)
	v_cmp_lt_f32_e64 vcc, |v52|, |v55|
	s_nop 1
	v_cndmask_b32_e32 v52, v52, v55, vcc
	v_cndmask_b32_e32 v50, v50, v56, vcc
	s_cbranch_scc1 .LBB82_677
.LBB82_678:
	s_waitcnt lgkmcnt(0)
	v_cmp_eq_f32_e32 vcc, 0, v52
	s_and_saveexec_b64 s[0:1], vcc
	s_xor_b64 s[0:1], exec, s[0:1]
; %bb.679:
	v_cmp_ne_u32_e32 vcc, 0, v19
	s_nop 1
	v_cndmask_b32_e32 v19, 41, v19, vcc
; %bb.680:
	s_andn2_saveexec_b64 s[0:1], s[0:1]
	s_cbranch_execz .LBB82_682
; %bb.681:
	v_div_scale_f32 v54, s[2:3], v52, v52, 1.0
	v_rcp_f32_e32 v55, v54
	v_div_scale_f32 v56, vcc, 1.0, v52, 1.0
	v_fma_f32 v57, -v54, v55, 1.0
	v_fmac_f32_e32 v55, v57, v55
	v_mul_f32_e32 v57, v56, v55
	v_fma_f32 v58, -v54, v57, v56
	v_fmac_f32_e32 v57, v58, v55
	v_fma_f32 v54, -v54, v57, v56
	v_div_fmas_f32 v54, v54, v55, v57
	v_div_fixup_f32 v52, v54, v52, 1.0
.LBB82_682:
	s_or_b64 exec, exec, s[0:1]
	v_cmp_ne_u32_e32 vcc, v53, v50
	s_and_saveexec_b64 s[0:1], vcc
	s_xor_b64 s[0:1], exec, s[0:1]
	s_cbranch_execz .LBB82_688
; %bb.683:
	v_cmp_eq_u32_e32 vcc, 40, v53
	s_and_saveexec_b64 s[2:3], vcc
	s_cbranch_execz .LBB82_687
; %bb.684:
	v_cmp_ne_u32_e32 vcc, 40, v50
	s_xor_b64 s[18:19], s[16:17], -1
	s_and_b64 s[20:21], s[18:19], vcc
	s_and_saveexec_b64 s[18:19], s[20:21]
	s_cbranch_execz .LBB82_686
; %bb.685:
	v_ashrrev_i32_e32 v51, 31, v50
	v_lshl_add_u64 v[54:55], v[50:51], 2, v[20:21]
	global_load_dword v51, v[54:55], off
	global_load_dword v53, v[20:21], off offset:160
	s_waitcnt vmcnt(1)
	global_store_dword v[20:21], v51, off offset:160
	s_waitcnt vmcnt(1)
	global_store_dword v[54:55], v53, off
.LBB82_686:
	s_or_b64 exec, exec, s[18:19]
	v_mov_b32_e32 v51, v50
	v_mov_b32_e32 v53, v50
.LBB82_687:
	s_or_b64 exec, exec, s[2:3]
.LBB82_688:
	s_andn2_saveexec_b64 s[0:1], s[0:1]
	s_cbranch_execz .LBB82_690
; %bb.689:
	v_mov_b32_e32 v53, 40
	s_waitcnt vmcnt(0)
	ds_write_b32 v17, v45 offset:164
.LBB82_690:
	s_or_b64 exec, exec, s[0:1]
	v_cmp_lt_i32_e32 vcc, 40, v53
	s_waitcnt lgkmcnt(0)
	s_barrier
	s_and_saveexec_b64 s[0:1], vcc
	s_cbranch_execz .LBB82_692
; %bb.691:
	ds_read_b32 v50, v17 offset:164
	v_mul_f32_e32 v44, v52, v44
	s_waitcnt vmcnt(0) lgkmcnt(0)
	v_fma_f32 v45, -v44, v50, v45
.LBB82_692:
	s_or_b64 exec, exec, s[0:1]
	v_lshl_add_u32 v50, v53, 2, v17
	s_barrier
	s_waitcnt vmcnt(0)
	ds_write_b32 v50, v45
	s_waitcnt lgkmcnt(0)
	s_barrier
	ds_read_b32 v54, v17 offset:164
	s_cmp_lt_i32 s22, 43
	v_mov_b32_e32 v50, 41
	s_cbranch_scc1 .LBB82_695
; %bb.693:
	v_add_u32_e32 v17, 0xa8, v17
	v_mov_b32_e32 v50, 41
	s_mov_b32 s0, 42
.LBB82_694:                             ; =>This Inner Loop Header: Depth=1
	ds_read_b32 v52, v17
	v_mov_b32_e32 v55, s0
	s_add_i32 s0, s0, 1
	v_add_u32_e32 v17, 4, v17
	s_cmp_lg_u32 s22, s0
	s_waitcnt lgkmcnt(0)
	v_cmp_lt_f32_e64 vcc, |v54|, |v52|
	s_nop 1
	v_cndmask_b32_e32 v54, v54, v52, vcc
	v_cndmask_b32_e32 v50, v50, v55, vcc
	s_cbranch_scc1 .LBB82_694
.LBB82_695:
	s_waitcnt lgkmcnt(0)
	v_cmp_eq_f32_e32 vcc, 0, v54
	s_and_saveexec_b64 s[0:1], vcc
	s_xor_b64 s[0:1], exec, s[0:1]
; %bb.696:
	v_cmp_ne_u32_e32 vcc, 0, v19
	s_nop 1
	v_cndmask_b32_e32 v19, 42, v19, vcc
; %bb.697:
	s_andn2_saveexec_b64 s[0:1], s[0:1]
	s_cbranch_execz .LBB82_699
; %bb.698:
	v_div_scale_f32 v17, s[2:3], v54, v54, 1.0
	v_rcp_f32_e32 v52, v17
	v_div_scale_f32 v55, vcc, 1.0, v54, 1.0
	v_fma_f32 v56, -v17, v52, 1.0
	v_fmac_f32_e32 v52, v56, v52
	v_mul_f32_e32 v56, v55, v52
	v_fma_f32 v57, -v17, v56, v55
	v_fmac_f32_e32 v56, v57, v52
	v_fma_f32 v17, -v17, v56, v55
	v_div_fmas_f32 v17, v17, v52, v56
	v_div_fixup_f32 v54, v17, v54, 1.0
.LBB82_699:
	s_or_b64 exec, exec, s[0:1]
	v_cmp_ne_u32_e32 vcc, v53, v50
	v_mov_b32_e32 v52, 41
	s_and_saveexec_b64 s[0:1], vcc
	s_cbranch_execz .LBB82_705
; %bb.700:
	v_cmp_eq_u32_e32 vcc, 41, v53
	s_and_saveexec_b64 s[2:3], vcc
	s_cbranch_execz .LBB82_704
; %bb.701:
	v_cmp_ne_u32_e32 vcc, 41, v50
	s_xor_b64 s[16:17], s[16:17], -1
	s_and_b64 s[18:19], s[16:17], vcc
	s_and_saveexec_b64 s[16:17], s[18:19]
	s_cbranch_execz .LBB82_703
; %bb.702:
	v_ashrrev_i32_e32 v51, 31, v50
	v_lshl_add_u64 v[52:53], v[50:51], 2, v[20:21]
	global_load_dword v17, v[52:53], off
	global_load_dword v51, v[20:21], off offset:164
	s_waitcnt vmcnt(1)
	global_store_dword v[20:21], v17, off offset:164
	s_waitcnt vmcnt(1)
	global_store_dword v[52:53], v51, off
.LBB82_703:
	s_or_b64 exec, exec, s[16:17]
	v_mov_b32_e32 v51, v50
	v_mov_b32_e32 v53, v50
.LBB82_704:
	s_or_b64 exec, exec, s[2:3]
	v_mov_b32_e32 v52, v53
.LBB82_705:
	s_or_b64 exec, exec, s[0:1]
	v_cmp_gt_i32_e32 vcc, 42, v52
	v_ashrrev_i32_e32 v53, 31, v52
	s_barrier
	s_barrier
	s_and_saveexec_b64 s[0:1], vcc
	s_cbranch_execz .LBB82_707
; %bb.706:
	v_mul_lo_u32 v17, s11, v4
	v_mul_lo_u32 v50, s10, v5
	v_mad_u64_u32 v[56:57], s[2:3], s10, v4, 0
	v_mov_b32_e32 v20, s6
	v_mov_b32_e32 v21, s7
	v_add3_u32 v57, v57, v50, v17
	v_lshl_add_u64 v[20:21], v[56:57], 2, v[20:21]
	v_lshl_add_u64 v[20:21], s[8:9], 2, v[20:21]
	;; [unrolled: 1-line block ×3, first 2 shown]
	v_add3_u32 v17, v51, s15, 1
	global_store_dword v[20:21], v17, off
.LBB82_707:
	s_or_b64 exec, exec, s[0:1]
	v_cmp_eq_u32_e32 vcc, 0, v52
	s_and_saveexec_b64 s[2:3], vcc
	s_cbranch_execz .LBB82_710
; %bb.708:
	v_mov_b32_e32 v20, s4
	v_mov_b32_e32 v21, s5
	v_lshl_add_u64 v[4:5], v[4:5], 2, v[20:21]
	global_load_dword v17, v[4:5], off
	v_cmp_ne_u32_e64 s[0:1], 0, v19
	s_waitcnt vmcnt(0)
	v_cmp_eq_u32_e32 vcc, 0, v17
	s_and_b64 s[0:1], vcc, s[0:1]
	s_and_b64 exec, exec, s[0:1]
	s_cbranch_execz .LBB82_710
; %bb.709:
	v_add_u32_e32 v17, s15, v19
	global_store_dword v[4:5], v17, off
.LBB82_710:
	s_or_b64 exec, exec, s[2:3]
	v_mul_f32_e32 v4, v54, v45
	v_cmp_lt_i32_e32 vcc, 41, v52
	s_nop 1
	v_cndmask_b32_e32 v19, v45, v4, vcc
	v_lshl_add_u64 v[4:5], v[52:53], 2, v[2:3]
	global_store_dword v[4:5], v18, off
	v_lshl_add_u64 v[4:5], s[12:13], 2, v[4:5]
	global_store_dword v[4:5], v16, off
	v_add_u32_e32 v4, s14, v52
	v_ashrrev_i32_e32 v5, 31, v4
	v_lshl_add_u64 v[16:17], v[4:5], 2, v[2:3]
	v_add_u32_e32 v4, s12, v4
	v_ashrrev_i32_e32 v5, 31, v4
	global_store_dword v[16:17], v10, off
	v_lshl_add_u64 v[16:17], v[4:5], 2, v[2:3]
	v_add_u32_e32 v4, s12, v4
	v_ashrrev_i32_e32 v5, 31, v4
	global_store_dword v[16:17], v11, off
	;; [unrolled: 4-line block ×5, first 2 shown]
	v_lshl_add_u64 v[6:7], v[4:5], 2, v[2:3]
	v_add_u32_e32 v0, s12, v4
	global_store_dword v[6:7], v1, off
	v_ashrrev_i32_e32 v1, 31, v0
	v_lshl_add_u64 v[4:5], v[0:1], 2, v[2:3]
	v_add_u32_e32 v0, s12, v0
	v_ashrrev_i32_e32 v1, 31, v0
	global_store_dword v[4:5], v28, off
	v_lshl_add_u64 v[4:5], v[0:1], 2, v[2:3]
	v_add_u32_e32 v0, s12, v0
	v_ashrrev_i32_e32 v1, 31, v0
	global_store_dword v[4:5], v29, off
	;; [unrolled: 4-line block ×32, first 2 shown]
	v_lshl_add_u64 v[4:5], v[0:1], 2, v[2:3]
	v_add_u32_e32 v0, s12, v0
	v_ashrrev_i32_e32 v1, 31, v0
	v_lshl_add_u64 v[0:1], v[0:1], 2, v[2:3]
	global_store_dword v[4:5], v44, off
	global_store_dword v[0:1], v19, off
.LBB82_711:
	s_endpgm
	.section	.rodata,"a",@progbits
	.p2align	6, 0x0
	.amdhsa_kernel _ZN9rocsolver6v33100L18getf2_small_kernelILi42EfiiPfEEvT1_T3_lS3_lPS3_llPT2_S3_S3_S5_l
		.amdhsa_group_segment_fixed_size 0
		.amdhsa_private_segment_fixed_size 0
		.amdhsa_kernarg_size 352
		.amdhsa_user_sgpr_count 2
		.amdhsa_user_sgpr_dispatch_ptr 0
		.amdhsa_user_sgpr_queue_ptr 0
		.amdhsa_user_sgpr_kernarg_segment_ptr 1
		.amdhsa_user_sgpr_dispatch_id 0
		.amdhsa_user_sgpr_kernarg_preload_length 0
		.amdhsa_user_sgpr_kernarg_preload_offset 0
		.amdhsa_user_sgpr_private_segment_size 0
		.amdhsa_uses_dynamic_stack 0
		.amdhsa_enable_private_segment 0
		.amdhsa_system_sgpr_workgroup_id_x 1
		.amdhsa_system_sgpr_workgroup_id_y 1
		.amdhsa_system_sgpr_workgroup_id_z 0
		.amdhsa_system_sgpr_workgroup_info 0
		.amdhsa_system_vgpr_workitem_id 1
		.amdhsa_next_free_vgpr 68
		.amdhsa_next_free_sgpr 26
		.amdhsa_accum_offset 68
		.amdhsa_reserve_vcc 1
		.amdhsa_float_round_mode_32 0
		.amdhsa_float_round_mode_16_64 0
		.amdhsa_float_denorm_mode_32 3
		.amdhsa_float_denorm_mode_16_64 3
		.amdhsa_dx10_clamp 1
		.amdhsa_ieee_mode 1
		.amdhsa_fp16_overflow 0
		.amdhsa_tg_split 0
		.amdhsa_exception_fp_ieee_invalid_op 0
		.amdhsa_exception_fp_denorm_src 0
		.amdhsa_exception_fp_ieee_div_zero 0
		.amdhsa_exception_fp_ieee_overflow 0
		.amdhsa_exception_fp_ieee_underflow 0
		.amdhsa_exception_fp_ieee_inexact 0
		.amdhsa_exception_int_div_zero 0
	.end_amdhsa_kernel
	.section	.text._ZN9rocsolver6v33100L18getf2_small_kernelILi42EfiiPfEEvT1_T3_lS3_lPS3_llPT2_S3_S3_S5_l,"axG",@progbits,_ZN9rocsolver6v33100L18getf2_small_kernelILi42EfiiPfEEvT1_T3_lS3_lPS3_llPT2_S3_S3_S5_l,comdat
.Lfunc_end82:
	.size	_ZN9rocsolver6v33100L18getf2_small_kernelILi42EfiiPfEEvT1_T3_lS3_lPS3_llPT2_S3_S3_S5_l, .Lfunc_end82-_ZN9rocsolver6v33100L18getf2_small_kernelILi42EfiiPfEEvT1_T3_lS3_lPS3_llPT2_S3_S3_S5_l
                                        ; -- End function
	.set _ZN9rocsolver6v33100L18getf2_small_kernelILi42EfiiPfEEvT1_T3_lS3_lPS3_llPT2_S3_S3_S5_l.num_vgpr, 68
	.set _ZN9rocsolver6v33100L18getf2_small_kernelILi42EfiiPfEEvT1_T3_lS3_lPS3_llPT2_S3_S3_S5_l.num_agpr, 0
	.set _ZN9rocsolver6v33100L18getf2_small_kernelILi42EfiiPfEEvT1_T3_lS3_lPS3_llPT2_S3_S3_S5_l.numbered_sgpr, 26
	.set _ZN9rocsolver6v33100L18getf2_small_kernelILi42EfiiPfEEvT1_T3_lS3_lPS3_llPT2_S3_S3_S5_l.num_named_barrier, 0
	.set _ZN9rocsolver6v33100L18getf2_small_kernelILi42EfiiPfEEvT1_T3_lS3_lPS3_llPT2_S3_S3_S5_l.private_seg_size, 0
	.set _ZN9rocsolver6v33100L18getf2_small_kernelILi42EfiiPfEEvT1_T3_lS3_lPS3_llPT2_S3_S3_S5_l.uses_vcc, 1
	.set _ZN9rocsolver6v33100L18getf2_small_kernelILi42EfiiPfEEvT1_T3_lS3_lPS3_llPT2_S3_S3_S5_l.uses_flat_scratch, 0
	.set _ZN9rocsolver6v33100L18getf2_small_kernelILi42EfiiPfEEvT1_T3_lS3_lPS3_llPT2_S3_S3_S5_l.has_dyn_sized_stack, 0
	.set _ZN9rocsolver6v33100L18getf2_small_kernelILi42EfiiPfEEvT1_T3_lS3_lPS3_llPT2_S3_S3_S5_l.has_recursion, 0
	.set _ZN9rocsolver6v33100L18getf2_small_kernelILi42EfiiPfEEvT1_T3_lS3_lPS3_llPT2_S3_S3_S5_l.has_indirect_call, 0
	.section	.AMDGPU.csdata,"",@progbits
; Kernel info:
; codeLenInByte = 34508
; TotalNumSgprs: 32
; NumVgprs: 68
; NumAgprs: 0
; TotalNumVgprs: 68
; ScratchSize: 0
; MemoryBound: 0
; FloatMode: 240
; IeeeMode: 1
; LDSByteSize: 0 bytes/workgroup (compile time only)
; SGPRBlocks: 3
; VGPRBlocks: 8
; NumSGPRsForWavesPerEU: 32
; NumVGPRsForWavesPerEU: 68
; AccumOffset: 68
; Occupancy: 7
; WaveLimiterHint : 0
; COMPUTE_PGM_RSRC2:SCRATCH_EN: 0
; COMPUTE_PGM_RSRC2:USER_SGPR: 2
; COMPUTE_PGM_RSRC2:TRAP_HANDLER: 0
; COMPUTE_PGM_RSRC2:TGID_X_EN: 1
; COMPUTE_PGM_RSRC2:TGID_Y_EN: 1
; COMPUTE_PGM_RSRC2:TGID_Z_EN: 0
; COMPUTE_PGM_RSRC2:TIDIG_COMP_CNT: 1
; COMPUTE_PGM_RSRC3_GFX90A:ACCUM_OFFSET: 16
; COMPUTE_PGM_RSRC3_GFX90A:TG_SPLIT: 0
	.section	.text._ZN9rocsolver6v33100L23getf2_npvt_small_kernelILi42EfiiPfEEvT1_T3_lS3_lPT2_S3_S3_,"axG",@progbits,_ZN9rocsolver6v33100L23getf2_npvt_small_kernelILi42EfiiPfEEvT1_T3_lS3_lPT2_S3_S3_,comdat
	.globl	_ZN9rocsolver6v33100L23getf2_npvt_small_kernelILi42EfiiPfEEvT1_T3_lS3_lPT2_S3_S3_ ; -- Begin function _ZN9rocsolver6v33100L23getf2_npvt_small_kernelILi42EfiiPfEEvT1_T3_lS3_lPT2_S3_S3_
	.p2align	8
	.type	_ZN9rocsolver6v33100L23getf2_npvt_small_kernelILi42EfiiPfEEvT1_T3_lS3_lPT2_S3_S3_,@function
_ZN9rocsolver6v33100L23getf2_npvt_small_kernelILi42EfiiPfEEvT1_T3_lS3_lPT2_S3_S3_: ; @_ZN9rocsolver6v33100L23getf2_npvt_small_kernelILi42EfiiPfEEvT1_T3_lS3_lPT2_S3_S3_
; %bb.0:
	s_load_dword s2, s[0:1], 0x44
	s_load_dwordx2 s[8:9], s[0:1], 0x30
	v_bfe_u32 v129, v0, 10, 10
	s_waitcnt lgkmcnt(0)
	s_lshr_b32 s10, s2, 16
	s_mul_i32 s3, s3, s10
	v_add_u32_e32 v24, s3, v129
	v_cmp_gt_i32_e32 vcc, s8, v24
	s_and_saveexec_b64 s[2:3], vcc
	s_cbranch_execz .LBB83_232
; %bb.1:
	s_load_dwordx4 s[12:15], s[0:1], 0x8
	s_load_dword s2, s[0:1], 0x18
	s_load_dwordx4 s[4:7], s[0:1], 0x20
	v_ashrrev_i32_e32 v25, 31, v24
	v_and_b32_e32 v127, 0x3ff, v0
	s_waitcnt lgkmcnt(0)
	v_mov_b32_e32 v0, s12
	v_mov_b32_e32 v1, s13
	v_mad_u64_u32 v[2:3], s[0:1], s4, v24, 0
	v_mul_lo_u32 v4, s5, v24
	v_mul_lo_u32 v5, s4, v25
	s_add_i32 s0, s2, s2
	v_add3_u32 v3, v3, v5, v4
	v_add_u32_e32 v4, s0, v127
	v_add_u32_e32 v6, s2, v4
	;; [unrolled: 1-line block ×38, first 2 shown]
	v_lshl_add_u64 v[0:1], v[2:3], 2, v[0:1]
	v_add_u32_e32 v84, s2, v80
	v_lshl_add_u64 v[82:83], s[14:15], 2, v[0:1]
	v_ashrrev_i32_e32 v5, 31, v4
	v_ashrrev_i32_e32 v7, 31, v6
	v_ashrrev_i32_e32 v9, 31, v8
	v_ashrrev_i32_e32 v11, 31, v10
	v_ashrrev_i32_e32 v13, 31, v12
	v_ashrrev_i32_e32 v15, 31, v14
	v_ashrrev_i32_e32 v17, 31, v16
	v_ashrrev_i32_e32 v19, 31, v18
	v_ashrrev_i32_e32 v21, 31, v20
	v_ashrrev_i32_e32 v23, 31, v22
	v_ashrrev_i32_e32 v27, 31, v26
	v_ashrrev_i32_e32 v29, 31, v28
	v_ashrrev_i32_e32 v31, 31, v30
	v_ashrrev_i32_e32 v33, 31, v32
	v_ashrrev_i32_e32 v35, 31, v34
	v_ashrrev_i32_e32 v37, 31, v36
	v_ashrrev_i32_e32 v39, 31, v38
	v_ashrrev_i32_e32 v41, 31, v40
	v_ashrrev_i32_e32 v43, 31, v42
	v_ashrrev_i32_e32 v45, 31, v44
	v_ashrrev_i32_e32 v47, 31, v46
	v_ashrrev_i32_e32 v49, 31, v48
	v_ashrrev_i32_e32 v51, 31, v50
	v_ashrrev_i32_e32 v53, 31, v52
	v_ashrrev_i32_e32 v55, 31, v54
	v_ashrrev_i32_e32 v57, 31, v56
	v_ashrrev_i32_e32 v59, 31, v58
	v_ashrrev_i32_e32 v61, 31, v60
	v_ashrrev_i32_e32 v63, 31, v62
	v_ashrrev_i32_e32 v65, 31, v64
	v_ashrrev_i32_e32 v67, 31, v66
	v_ashrrev_i32_e32 v69, 31, v68
	v_ashrrev_i32_e32 v71, 31, v70
	v_ashrrev_i32_e32 v73, 31, v72
	v_ashrrev_i32_e32 v75, 31, v74
	v_ashrrev_i32_e32 v77, 31, v76
	v_ashrrev_i32_e32 v79, 31, v78
	v_ashrrev_i32_e32 v81, 31, v80
	v_ashrrev_i32_e32 v85, 31, v84
	v_lshl_add_u64 v[2:3], v[4:5], 2, v[82:83]
	v_lshl_add_u64 v[4:5], v[6:7], 2, v[82:83]
	;; [unrolled: 1-line block ×39, first 2 shown]
	v_add_u32_e32 v84, s2, v84
	v_lshlrev_b32_e32 v0, 2, v127
	v_mov_b32_e32 v1, 0
	v_ashrrev_i32_e32 v85, 31, v84
	v_lshl_add_u64 v[0:1], v[82:83], 0, v[0:1]
	v_lshl_add_u64 v[82:83], v[84:85], 2, v[82:83]
	global_load_dword v114, v[14:15], off
	global_load_dword v115, v[16:17], off
	;; [unrolled: 1-line block ×34, first 2 shown]
	s_ashr_i32 s3, s2, 31
	v_lshl_add_u64 v[124:125], s[2:3], 2, v[0:1]
	global_load_dword v120, v[2:3], off
	global_load_dword v121, v[4:5], off
	;; [unrolled: 1-line block ×8, first 2 shown]
	s_mulk_i32 s10, 0xa8
	s_movk_i32 s0, 0xa8
	s_add_i32 s1, s10, 0
	v_mad_u32_u24 v131, v129, s0, 0
	v_lshl_add_u32 v129, v129, 2, s1
	v_cmp_ne_u32_e64 s[2:3], 0, v127
	v_cmp_eq_u32_e64 s[0:1], 0, v127
	s_and_saveexec_b64 s[4:5], s[0:1]
	s_cbranch_execz .LBB83_4
; %bb.2:
	s_waitcnt vmcnt(1)
	ds_write_b32 v129, v126
	s_waitcnt vmcnt(0)
	ds_write2_b32 v131, v128, v120 offset0:1 offset1:2
	ds_write2_b32 v131, v121, v122 offset0:3 offset1:4
	;; [unrolled: 1-line block ×20, first 2 shown]
	ds_write_b32 v131, v117 offset:164
	ds_read_b32 v130, v129
	s_waitcnt lgkmcnt(0)
	v_cmp_neq_f32_e32 vcc, 0, v130
	s_and_b64 exec, exec, vcc
	s_cbranch_execz .LBB83_4
; %bb.3:
	v_div_scale_f32 v132, s[10:11], v130, v130, 1.0
	v_rcp_f32_e32 v133, v132
	v_div_scale_f32 v134, vcc, 1.0, v130, 1.0
	v_fma_f32 v135, -v132, v133, 1.0
	v_fmac_f32_e32 v133, v135, v133
	v_mul_f32_e32 v135, v134, v133
	v_fma_f32 v136, -v132, v135, v134
	v_fmac_f32_e32 v135, v136, v133
	v_fma_f32 v132, -v132, v135, v134
	v_div_fmas_f32 v132, v132, v133, v135
	v_div_fixup_f32 v130, v132, v130, 1.0
	ds_write_b32 v129, v130
.LBB83_4:
	s_or_b64 exec, exec, s[4:5]
	s_waitcnt lgkmcnt(0)
	s_barrier
	ds_read_b32 v130, v129
	s_and_saveexec_b64 s[4:5], s[2:3]
	s_cbranch_execz .LBB83_6
; %bb.5:
	ds_read_b32 v140, v131 offset:4
	ds_read2_b64 v[132:135], v131 offset0:1 offset1:2
	s_waitcnt vmcnt(1) lgkmcnt(2)
	v_mul_f32_e32 v126, v130, v126
	ds_read2_b64 v[136:139], v131 offset0:3 offset1:4
	s_waitcnt vmcnt(0) lgkmcnt(2)
	v_fma_f32 v128, -v126, v140, v128
	s_waitcnt lgkmcnt(1)
	v_pk_fma_f32 v[120:121], v[126:127], v[132:133], v[120:121] op_sel_hi:[0,1,1] neg_lo:[1,0,0] neg_hi:[1,0,0]
	ds_read2_b64 v[140:143], v131 offset0:5 offset1:6
	v_pk_fma_f32 v[122:123], v[126:127], v[134:135], v[122:123] op_sel_hi:[0,1,1] neg_lo:[1,0,0] neg_hi:[1,0,0]
	ds_read2_b64 v[132:135], v131 offset0:7 offset1:8
	s_waitcnt lgkmcnt(2)
	v_pk_fma_f32 v[118:119], v[126:127], v[136:137], v[118:119] op_sel_hi:[0,1,1] neg_lo:[1,0,0] neg_hi:[1,0,0]
	v_pk_fma_f32 v[114:115], v[126:127], v[138:139], v[114:115] op_sel_hi:[0,1,1] neg_lo:[1,0,0] neg_hi:[1,0,0]
	s_waitcnt lgkmcnt(1)
	v_pk_fma_f32 v[98:99], v[126:127], v[140:141], v[98:99] op_sel_hi:[0,1,1] neg_lo:[1,0,0] neg_hi:[1,0,0]
	ds_read2_b64 v[136:139], v131 offset0:9 offset1:10
	v_pk_fma_f32 v[112:113], v[126:127], v[142:143], v[112:113] op_sel_hi:[0,1,1] neg_lo:[1,0,0] neg_hi:[1,0,0]
	s_waitcnt lgkmcnt(1)
	v_pk_fma_f32 v[96:97], v[126:127], v[132:133], v[96:97] op_sel_hi:[0,1,1] neg_lo:[1,0,0] neg_hi:[1,0,0]
	ds_read2_b64 v[140:143], v131 offset0:11 offset1:12
	v_pk_fma_f32 v[110:111], v[126:127], v[134:135], v[110:111] op_sel_hi:[0,1,1] neg_lo:[1,0,0] neg_hi:[1,0,0]
	ds_read2_b64 v[132:135], v131 offset0:13 offset1:14
	s_waitcnt lgkmcnt(2)
	v_pk_fma_f32 v[94:95], v[126:127], v[136:137], v[94:95] op_sel_hi:[0,1,1] neg_lo:[1,0,0] neg_hi:[1,0,0]
	v_pk_fma_f32 v[108:109], v[126:127], v[138:139], v[108:109] op_sel_hi:[0,1,1] neg_lo:[1,0,0] neg_hi:[1,0,0]
	s_waitcnt lgkmcnt(1)
	v_pk_fma_f32 v[92:93], v[126:127], v[140:141], v[92:93] op_sel_hi:[0,1,1] neg_lo:[1,0,0] neg_hi:[1,0,0]
	v_pk_fma_f32 v[106:107], v[126:127], v[142:143], v[106:107] op_sel_hi:[0,1,1] neg_lo:[1,0,0] neg_hi:[1,0,0]
	ds_read2_b64 v[136:139], v131 offset0:15 offset1:16
	ds_read2_b64 v[140:143], v131 offset0:17 offset1:18
	s_waitcnt lgkmcnt(2)
	v_pk_fma_f32 v[90:91], v[126:127], v[132:133], v[90:91] op_sel_hi:[0,1,1] neg_lo:[1,0,0] neg_hi:[1,0,0]
	v_pk_fma_f32 v[104:105], v[126:127], v[134:135], v[104:105] op_sel_hi:[0,1,1] neg_lo:[1,0,0] neg_hi:[1,0,0]
	ds_read2_b64 v[132:135], v131 offset0:19 offset1:20
	s_waitcnt lgkmcnt(2)
	v_pk_fma_f32 v[88:89], v[126:127], v[136:137], v[88:89] op_sel_hi:[0,1,1] neg_lo:[1,0,0] neg_hi:[1,0,0]
	v_pk_fma_f32 v[102:103], v[126:127], v[138:139], v[102:103] op_sel_hi:[0,1,1] neg_lo:[1,0,0] neg_hi:[1,0,0]
	s_waitcnt lgkmcnt(1)
	v_pk_fma_f32 v[86:87], v[126:127], v[140:141], v[86:87] op_sel_hi:[0,1,1] neg_lo:[1,0,0] neg_hi:[1,0,0]
	v_pk_fma_f32 v[100:101], v[126:127], v[142:143], v[100:101] op_sel_hi:[0,1,1] neg_lo:[1,0,0] neg_hi:[1,0,0]
	;; [unrolled: 3-line block ×3, first 2 shown]
.LBB83_6:
	s_or_b64 exec, exec, s[4:5]
	v_cmp_eq_u32_e32 vcc, 1, v127
	s_waitcnt lgkmcnt(0)
	s_barrier
	s_and_saveexec_b64 s[2:3], vcc
	s_cbranch_execz .LBB83_9
; %bb.7:
	s_waitcnt vmcnt(0)
	ds_write_b32 v129, v128
	ds_write2_b64 v131, v[120:121], v[122:123] offset0:1 offset1:2
	ds_write2_b64 v131, v[118:119], v[114:115] offset0:3 offset1:4
	;; [unrolled: 1-line block ×10, first 2 shown]
	ds_read_b32 v132, v129
	s_waitcnt lgkmcnt(0)
	v_cmp_neq_f32_e32 vcc, 0, v132
	s_and_b64 exec, exec, vcc
	s_cbranch_execz .LBB83_9
; %bb.8:
	v_div_scale_f32 v133, s[4:5], v132, v132, 1.0
	v_rcp_f32_e32 v134, v133
	v_div_scale_f32 v135, vcc, 1.0, v132, 1.0
	v_fma_f32 v136, -v133, v134, 1.0
	v_fmac_f32_e32 v134, v136, v134
	v_mul_f32_e32 v136, v135, v134
	v_fma_f32 v137, -v133, v136, v135
	v_fmac_f32_e32 v136, v137, v134
	v_fma_f32 v133, -v133, v136, v135
	v_div_fmas_f32 v133, v133, v134, v136
	v_div_fixup_f32 v132, v133, v132, 1.0
	ds_write_b32 v129, v132
.LBB83_9:
	s_or_b64 exec, exec, s[2:3]
	s_waitcnt lgkmcnt(0)
	s_barrier
	ds_read_b32 v132, v129
	v_cmp_lt_u32_e32 vcc, 1, v127
	s_and_saveexec_b64 s[2:3], vcc
	s_cbranch_execz .LBB83_11
; %bb.10:
	ds_read2_b64 v[134:137], v131 offset0:1 offset1:2
	ds_read2_b64 v[138:141], v131 offset0:3 offset1:4
	s_waitcnt vmcnt(0) lgkmcnt(2)
	v_mul_f32_e32 v128, v132, v128
	ds_read2_b64 v[142:145], v131 offset0:5 offset1:6
	s_waitcnt lgkmcnt(2)
	v_pk_fma_f32 v[120:121], v[128:129], v[134:135], v[120:121] op_sel_hi:[0,1,1] neg_lo:[1,0,0] neg_hi:[1,0,0]
	v_pk_fma_f32 v[122:123], v[128:129], v[136:137], v[122:123] op_sel_hi:[0,1,1] neg_lo:[1,0,0] neg_hi:[1,0,0]
	ds_read2_b64 v[134:137], v131 offset0:7 offset1:8
	s_waitcnt lgkmcnt(2)
	v_pk_fma_f32 v[118:119], v[128:129], v[138:139], v[118:119] op_sel_hi:[0,1,1] neg_lo:[1,0,0] neg_hi:[1,0,0]
	v_pk_fma_f32 v[114:115], v[128:129], v[140:141], v[114:115] op_sel_hi:[0,1,1] neg_lo:[1,0,0] neg_hi:[1,0,0]
	s_waitcnt lgkmcnt(1)
	v_pk_fma_f32 v[98:99], v[128:129], v[142:143], v[98:99] op_sel_hi:[0,1,1] neg_lo:[1,0,0] neg_hi:[1,0,0]
	ds_read2_b64 v[138:141], v131 offset0:9 offset1:10
	v_pk_fma_f32 v[112:113], v[128:129], v[144:145], v[112:113] op_sel_hi:[0,1,1] neg_lo:[1,0,0] neg_hi:[1,0,0]
	s_waitcnt lgkmcnt(1)
	v_pk_fma_f32 v[96:97], v[128:129], v[134:135], v[96:97] op_sel_hi:[0,1,1] neg_lo:[1,0,0] neg_hi:[1,0,0]
	ds_read2_b64 v[142:145], v131 offset0:11 offset1:12
	v_pk_fma_f32 v[110:111], v[128:129], v[136:137], v[110:111] op_sel_hi:[0,1,1] neg_lo:[1,0,0] neg_hi:[1,0,0]
	ds_read2_b64 v[134:137], v131 offset0:13 offset1:14
	s_waitcnt lgkmcnt(2)
	v_pk_fma_f32 v[94:95], v[128:129], v[138:139], v[94:95] op_sel_hi:[0,1,1] neg_lo:[1,0,0] neg_hi:[1,0,0]
	v_pk_fma_f32 v[108:109], v[128:129], v[140:141], v[108:109] op_sel_hi:[0,1,1] neg_lo:[1,0,0] neg_hi:[1,0,0]
	s_waitcnt lgkmcnt(1)
	v_pk_fma_f32 v[92:93], v[128:129], v[142:143], v[92:93] op_sel_hi:[0,1,1] neg_lo:[1,0,0] neg_hi:[1,0,0]
	v_pk_fma_f32 v[106:107], v[128:129], v[144:145], v[106:107] op_sel_hi:[0,1,1] neg_lo:[1,0,0] neg_hi:[1,0,0]
	ds_read2_b64 v[138:141], v131 offset0:15 offset1:16
	s_waitcnt lgkmcnt(1)
	v_pk_fma_f32 v[90:91], v[128:129], v[134:135], v[90:91] op_sel_hi:[0,1,1] neg_lo:[1,0,0] neg_hi:[1,0,0]
	ds_read2_b64 v[142:145], v131 offset0:17 offset1:18
	v_pk_fma_f32 v[104:105], v[128:129], v[136:137], v[104:105] op_sel_hi:[0,1,1] neg_lo:[1,0,0] neg_hi:[1,0,0]
	ds_read2_b64 v[134:137], v131 offset0:19 offset1:20
	s_waitcnt lgkmcnt(2)
	v_pk_fma_f32 v[88:89], v[128:129], v[138:139], v[88:89] op_sel_hi:[0,1,1] neg_lo:[1,0,0] neg_hi:[1,0,0]
	v_pk_fma_f32 v[102:103], v[128:129], v[140:141], v[102:103] op_sel_hi:[0,1,1] neg_lo:[1,0,0] neg_hi:[1,0,0]
	s_waitcnt lgkmcnt(1)
	v_pk_fma_f32 v[86:87], v[128:129], v[142:143], v[86:87] op_sel_hi:[0,1,1] neg_lo:[1,0,0] neg_hi:[1,0,0]
	v_pk_fma_f32 v[100:101], v[128:129], v[144:145], v[100:101] op_sel_hi:[0,1,1] neg_lo:[1,0,0] neg_hi:[1,0,0]
	;; [unrolled: 3-line block ×3, first 2 shown]
.LBB83_11:
	s_or_b64 exec, exec, s[2:3]
	v_cmp_eq_u32_e32 vcc, 2, v127
	s_waitcnt lgkmcnt(0)
	s_barrier
	s_and_saveexec_b64 s[2:3], vcc
	s_cbranch_execz .LBB83_14
; %bb.12:
	s_waitcnt vmcnt(4)
	v_pk_mov_b32 v[134:135], v[120:121], v[122:123] op_sel:[1,0]
	ds_write_b32 v129, v120
	ds_write2_b32 v131, v134, v135 offset0:3 offset1:4
	s_waitcnt vmcnt(2)
	v_pk_mov_b32 v[134:135], v[122:123], v[118:119] op_sel:[1,0]
	ds_write2_b32 v131, v134, v135 offset0:5 offset1:6
	v_pk_mov_b32 v[134:135], v[118:119], v[114:115] op_sel:[1,0]
	ds_write2_b32 v131, v134, v135 offset0:7 offset1:8
	;; [unrolled: 2-line block ×18, first 2 shown]
	ds_write_b32 v131, v117 offset:164
	ds_read_b32 v133, v129
	s_waitcnt lgkmcnt(0)
	v_cmp_neq_f32_e32 vcc, 0, v133
	s_and_b64 exec, exec, vcc
	s_cbranch_execz .LBB83_14
; %bb.13:
	v_div_scale_f32 v134, s[4:5], v133, v133, 1.0
	v_rcp_f32_e32 v135, v134
	v_div_scale_f32 v136, vcc, 1.0, v133, 1.0
	v_fma_f32 v137, -v134, v135, 1.0
	v_fmac_f32_e32 v135, v137, v135
	v_mul_f32_e32 v137, v136, v135
	v_fma_f32 v138, -v134, v137, v136
	v_fmac_f32_e32 v137, v138, v135
	v_fma_f32 v134, -v134, v137, v136
	v_div_fmas_f32 v134, v134, v135, v137
	v_div_fixup_f32 v133, v134, v133, 1.0
	ds_write_b32 v129, v133
.LBB83_14:
	s_or_b64 exec, exec, s[2:3]
	s_waitcnt lgkmcnt(0)
	s_barrier
	ds_read_b32 v133, v129
	v_cmp_lt_u32_e32 vcc, 2, v127
	s_and_saveexec_b64 s[2:3], vcc
	s_cbranch_execz .LBB83_16
; %bb.15:
	ds_read_b32 v146, v131 offset:12
	ds_read2_b64 v[134:137], v131 offset0:2 offset1:3
	s_waitcnt vmcnt(7) lgkmcnt(2)
	v_mul_f32_e32 v120, v133, v120
	ds_read2_b64 v[138:141], v131 offset0:4 offset1:5
	ds_read2_b64 v[142:145], v131 offset0:6 offset1:7
	s_waitcnt vmcnt(6) lgkmcnt(3)
	v_fma_f32 v121, -v120, v146, v121
	s_waitcnt vmcnt(4) lgkmcnt(2)
	v_pk_fma_f32 v[122:123], v[120:121], v[134:135], v[122:123] op_sel_hi:[0,1,1] neg_lo:[1,0,0] neg_hi:[1,0,0]
	s_waitcnt vmcnt(2)
	v_pk_fma_f32 v[118:119], v[120:121], v[136:137], v[118:119] op_sel_hi:[0,1,1] neg_lo:[1,0,0] neg_hi:[1,0,0]
	ds_read2_b64 v[134:137], v131 offset0:8 offset1:9
	s_waitcnt lgkmcnt(2)
	v_pk_fma_f32 v[114:115], v[120:121], v[138:139], v[114:115] op_sel_hi:[0,1,1] neg_lo:[1,0,0] neg_hi:[1,0,0]
	v_pk_fma_f32 v[98:99], v[120:121], v[140:141], v[98:99] op_sel_hi:[0,1,1] neg_lo:[1,0,0] neg_hi:[1,0,0]
	s_waitcnt lgkmcnt(1)
	v_pk_fma_f32 v[112:113], v[120:121], v[142:143], v[112:113] op_sel_hi:[0,1,1] neg_lo:[1,0,0] neg_hi:[1,0,0]
	ds_read2_b64 v[138:141], v131 offset0:10 offset1:11
	v_pk_fma_f32 v[96:97], v[120:121], v[144:145], v[96:97] op_sel_hi:[0,1,1] neg_lo:[1,0,0] neg_hi:[1,0,0]
	s_waitcnt lgkmcnt(1)
	v_pk_fma_f32 v[110:111], v[120:121], v[134:135], v[110:111] op_sel_hi:[0,1,1] neg_lo:[1,0,0] neg_hi:[1,0,0]
	ds_read2_b64 v[142:145], v131 offset0:12 offset1:13
	v_pk_fma_f32 v[94:95], v[120:121], v[136:137], v[94:95] op_sel_hi:[0,1,1] neg_lo:[1,0,0] neg_hi:[1,0,0]
	ds_read2_b64 v[134:137], v131 offset0:14 offset1:15
	s_waitcnt lgkmcnt(2)
	v_pk_fma_f32 v[108:109], v[120:121], v[138:139], v[108:109] op_sel_hi:[0,1,1] neg_lo:[1,0,0] neg_hi:[1,0,0]
	v_pk_fma_f32 v[92:93], v[120:121], v[140:141], v[92:93] op_sel_hi:[0,1,1] neg_lo:[1,0,0] neg_hi:[1,0,0]
	s_waitcnt lgkmcnt(1)
	v_pk_fma_f32 v[106:107], v[120:121], v[142:143], v[106:107] op_sel_hi:[0,1,1] neg_lo:[1,0,0] neg_hi:[1,0,0]
	v_pk_fma_f32 v[90:91], v[120:121], v[144:145], v[90:91] op_sel_hi:[0,1,1] neg_lo:[1,0,0] neg_hi:[1,0,0]
	ds_read2_b64 v[138:141], v131 offset0:16 offset1:17
	ds_read2_b64 v[142:145], v131 offset0:18 offset1:19
	s_waitcnt lgkmcnt(2)
	v_pk_fma_f32 v[104:105], v[120:121], v[134:135], v[104:105] op_sel_hi:[0,1,1] neg_lo:[1,0,0] neg_hi:[1,0,0]
	ds_read_b64 v[134:135], v131 offset:160
	v_pk_fma_f32 v[88:89], v[120:121], v[136:137], v[88:89] op_sel_hi:[0,1,1] neg_lo:[1,0,0] neg_hi:[1,0,0]
	s_waitcnt lgkmcnt(2)
	v_pk_fma_f32 v[102:103], v[120:121], v[138:139], v[102:103] op_sel_hi:[0,1,1] neg_lo:[1,0,0] neg_hi:[1,0,0]
	v_pk_fma_f32 v[86:87], v[120:121], v[140:141], v[86:87] op_sel_hi:[0,1,1] neg_lo:[1,0,0] neg_hi:[1,0,0]
	s_waitcnt lgkmcnt(1)
	v_pk_fma_f32 v[100:101], v[120:121], v[142:143], v[100:101] op_sel_hi:[0,1,1] neg_lo:[1,0,0] neg_hi:[1,0,0]
	;; [unrolled: 3-line block ×3, first 2 shown]
.LBB83_16:
	s_or_b64 exec, exec, s[2:3]
	v_cmp_eq_u32_e32 vcc, 3, v127
	s_waitcnt lgkmcnt(0)
	s_barrier
	s_and_saveexec_b64 s[2:3], vcc
	s_cbranch_execz .LBB83_19
; %bb.17:
	s_waitcnt vmcnt(5)
	v_mov_b32_e32 v134, v122
	s_waitcnt vmcnt(4)
	v_mov_b32_e32 v135, v123
	;; [unrolled: 2-line block ×4, first 2 shown]
	ds_write_b32 v129, v121
	ds_write2_b64 v131, v[134:135], v[136:137] offset0:2 offset1:3
	v_mov_b32_e32 v134, v114
	v_mov_b32_e32 v135, v115
	v_mov_b32_e32 v136, v98
	v_mov_b32_e32 v137, v99
	ds_write2_b64 v131, v[134:135], v[136:137] offset0:4 offset1:5
	v_mov_b32_e32 v134, v112
	v_mov_b32_e32 v135, v113
	v_mov_b32_e32 v136, v96
	v_mov_b32_e32 v137, v97
	;; [unrolled: 5-line block ×8, first 2 shown]
	ds_write2_b64 v131, v[134:135], v[136:137] offset0:18 offset1:19
	ds_write_b64 v131, v[116:117] offset:160
	ds_read_b32 v134, v129
	s_waitcnt lgkmcnt(0)
	v_cmp_neq_f32_e32 vcc, 0, v134
	s_and_b64 exec, exec, vcc
	s_cbranch_execz .LBB83_19
; %bb.18:
	v_div_scale_f32 v135, s[4:5], v134, v134, 1.0
	v_rcp_f32_e32 v136, v135
	v_div_scale_f32 v137, vcc, 1.0, v134, 1.0
	v_fma_f32 v138, -v135, v136, 1.0
	v_fmac_f32_e32 v136, v138, v136
	v_mul_f32_e32 v138, v137, v136
	v_fma_f32 v139, -v135, v138, v137
	v_fmac_f32_e32 v138, v139, v136
	v_fma_f32 v135, -v135, v138, v137
	v_div_fmas_f32 v135, v135, v136, v138
	v_div_fixup_f32 v134, v135, v134, 1.0
	ds_write_b32 v129, v134
.LBB83_19:
	s_or_b64 exec, exec, s[2:3]
	s_waitcnt lgkmcnt(0)
	s_barrier
	ds_read_b32 v134, v129
	v_cmp_lt_u32_e32 vcc, 3, v127
	s_and_saveexec_b64 s[2:3], vcc
	s_cbranch_execz .LBB83_21
; %bb.20:
	ds_read2_b64 v[136:139], v131 offset0:2 offset1:3
	ds_read2_b64 v[140:143], v131 offset0:4 offset1:5
	s_waitcnt vmcnt(6) lgkmcnt(2)
	v_mul_f32_e32 v148, v134, v121
	ds_read2_b64 v[144:147], v131 offset0:6 offset1:7
	v_mov_b32_e32 v121, v148
	s_waitcnt vmcnt(4) lgkmcnt(2)
	v_pk_fma_f32 v[122:123], v[148:149], v[136:137], v[122:123] op_sel_hi:[0,1,1] neg_lo:[1,0,0] neg_hi:[1,0,0]
	s_waitcnt vmcnt(2)
	v_pk_fma_f32 v[118:119], v[148:149], v[138:139], v[118:119] op_sel_hi:[0,1,1] neg_lo:[1,0,0] neg_hi:[1,0,0]
	ds_read2_b64 v[136:139], v131 offset0:8 offset1:9
	s_waitcnt lgkmcnt(2)
	v_pk_fma_f32 v[114:115], v[148:149], v[140:141], v[114:115] op_sel_hi:[0,1,1] neg_lo:[1,0,0] neg_hi:[1,0,0]
	v_pk_fma_f32 v[98:99], v[148:149], v[142:143], v[98:99] op_sel_hi:[0,1,1] neg_lo:[1,0,0] neg_hi:[1,0,0]
	s_waitcnt lgkmcnt(1)
	v_pk_fma_f32 v[112:113], v[148:149], v[144:145], v[112:113] op_sel_hi:[0,1,1] neg_lo:[1,0,0] neg_hi:[1,0,0]
	ds_read2_b64 v[140:143], v131 offset0:10 offset1:11
	v_pk_fma_f32 v[96:97], v[148:149], v[146:147], v[96:97] op_sel_hi:[0,1,1] neg_lo:[1,0,0] neg_hi:[1,0,0]
	s_waitcnt lgkmcnt(1)
	v_pk_fma_f32 v[110:111], v[148:149], v[136:137], v[110:111] op_sel_hi:[0,1,1] neg_lo:[1,0,0] neg_hi:[1,0,0]
	ds_read2_b64 v[144:147], v131 offset0:12 offset1:13
	v_pk_fma_f32 v[94:95], v[148:149], v[138:139], v[94:95] op_sel_hi:[0,1,1] neg_lo:[1,0,0] neg_hi:[1,0,0]
	ds_read2_b64 v[136:139], v131 offset0:14 offset1:15
	s_waitcnt lgkmcnt(2)
	v_pk_fma_f32 v[108:109], v[148:149], v[140:141], v[108:109] op_sel_hi:[0,1,1] neg_lo:[1,0,0] neg_hi:[1,0,0]
	v_pk_fma_f32 v[92:93], v[148:149], v[142:143], v[92:93] op_sel_hi:[0,1,1] neg_lo:[1,0,0] neg_hi:[1,0,0]
	s_waitcnt lgkmcnt(1)
	v_pk_fma_f32 v[106:107], v[148:149], v[144:145], v[106:107] op_sel_hi:[0,1,1] neg_lo:[1,0,0] neg_hi:[1,0,0]
	v_pk_fma_f32 v[90:91], v[148:149], v[146:147], v[90:91] op_sel_hi:[0,1,1] neg_lo:[1,0,0] neg_hi:[1,0,0]
	ds_read2_b64 v[140:143], v131 offset0:16 offset1:17
	s_waitcnt lgkmcnt(1)
	v_pk_fma_f32 v[104:105], v[148:149], v[136:137], v[104:105] op_sel_hi:[0,1,1] neg_lo:[1,0,0] neg_hi:[1,0,0]
	ds_read2_b64 v[144:147], v131 offset0:18 offset1:19
	ds_read_b64 v[136:137], v131 offset:160
	v_pk_fma_f32 v[88:89], v[148:149], v[138:139], v[88:89] op_sel_hi:[0,1,1] neg_lo:[1,0,0] neg_hi:[1,0,0]
	s_waitcnt lgkmcnt(2)
	v_pk_fma_f32 v[102:103], v[148:149], v[140:141], v[102:103] op_sel_hi:[0,1,1] neg_lo:[1,0,0] neg_hi:[1,0,0]
	v_pk_fma_f32 v[86:87], v[148:149], v[142:143], v[86:87] op_sel_hi:[0,1,1] neg_lo:[1,0,0] neg_hi:[1,0,0]
	s_waitcnt lgkmcnt(1)
	v_pk_fma_f32 v[100:101], v[148:149], v[144:145], v[100:101] op_sel_hi:[0,1,1] neg_lo:[1,0,0] neg_hi:[1,0,0]
	;; [unrolled: 3-line block ×3, first 2 shown]
.LBB83_21:
	s_or_b64 exec, exec, s[2:3]
	v_cmp_eq_u32_e32 vcc, 4, v127
	s_waitcnt lgkmcnt(0)
	s_barrier
	s_and_saveexec_b64 s[2:3], vcc
	s_cbranch_execz .LBB83_24
; %bb.22:
	s_waitcnt vmcnt(2)
	v_pk_mov_b32 v[136:137], v[122:123], v[118:119] op_sel:[1,0]
	ds_write_b32 v129, v122
	ds_write2_b32 v131, v136, v137 offset0:5 offset1:6
	v_pk_mov_b32 v[136:137], v[118:119], v[114:115] op_sel:[1,0]
	ds_write2_b32 v131, v136, v137 offset0:7 offset1:8
	v_pk_mov_b32 v[136:137], v[114:115], v[98:99] op_sel:[1,0]
	;; [unrolled: 2-line block ×17, first 2 shown]
	ds_write2_b32 v131, v136, v137 offset0:39 offset1:40
	ds_write_b32 v131, v117 offset:164
	ds_read_b32 v135, v129
	s_waitcnt lgkmcnt(0)
	v_cmp_neq_f32_e32 vcc, 0, v135
	s_and_b64 exec, exec, vcc
	s_cbranch_execz .LBB83_24
; %bb.23:
	v_div_scale_f32 v136, s[4:5], v135, v135, 1.0
	v_rcp_f32_e32 v137, v136
	v_div_scale_f32 v138, vcc, 1.0, v135, 1.0
	v_fma_f32 v139, -v136, v137, 1.0
	v_fmac_f32_e32 v137, v139, v137
	v_mul_f32_e32 v139, v138, v137
	v_fma_f32 v140, -v136, v139, v138
	v_fmac_f32_e32 v139, v140, v137
	v_fma_f32 v136, -v136, v139, v138
	v_div_fmas_f32 v136, v136, v137, v139
	v_div_fixup_f32 v135, v136, v135, 1.0
	ds_write_b32 v129, v135
.LBB83_24:
	s_or_b64 exec, exec, s[2:3]
	s_waitcnt lgkmcnt(0)
	s_barrier
	ds_read_b32 v135, v129
	v_cmp_lt_u32_e32 vcc, 4, v127
	s_and_saveexec_b64 s[2:3], vcc
	s_cbranch_execz .LBB83_26
; %bb.25:
	ds_read_b32 v148, v131 offset:20
	ds_read2_b64 v[136:139], v131 offset0:3 offset1:4
	ds_read2_b64 v[140:143], v131 offset0:5 offset1:6
	ds_read2_b64 v[144:147], v131 offset0:7 offset1:8
	s_waitcnt vmcnt(5) lgkmcnt(4)
	v_mul_f32_e32 v122, v135, v122
	s_waitcnt vmcnt(4) lgkmcnt(3)
	v_fma_f32 v123, -v122, v148, v123
	s_waitcnt vmcnt(2) lgkmcnt(2)
	v_pk_fma_f32 v[118:119], v[122:123], v[136:137], v[118:119] op_sel_hi:[0,1,1] neg_lo:[1,0,0] neg_hi:[1,0,0]
	v_pk_fma_f32 v[114:115], v[122:123], v[138:139], v[114:115] op_sel_hi:[0,1,1] neg_lo:[1,0,0] neg_hi:[1,0,0]
	s_waitcnt lgkmcnt(1)
	v_pk_fma_f32 v[98:99], v[122:123], v[140:141], v[98:99] op_sel_hi:[0,1,1] neg_lo:[1,0,0] neg_hi:[1,0,0]
	ds_read2_b64 v[136:139], v131 offset0:9 offset1:10
	v_pk_fma_f32 v[112:113], v[122:123], v[142:143], v[112:113] op_sel_hi:[0,1,1] neg_lo:[1,0,0] neg_hi:[1,0,0]
	s_waitcnt lgkmcnt(1)
	v_pk_fma_f32 v[96:97], v[122:123], v[144:145], v[96:97] op_sel_hi:[0,1,1] neg_lo:[1,0,0] neg_hi:[1,0,0]
	ds_read2_b64 v[140:143], v131 offset0:11 offset1:12
	v_pk_fma_f32 v[110:111], v[122:123], v[146:147], v[110:111] op_sel_hi:[0,1,1] neg_lo:[1,0,0] neg_hi:[1,0,0]
	ds_read2_b64 v[144:147], v131 offset0:13 offset1:14
	s_waitcnt lgkmcnt(2)
	v_pk_fma_f32 v[94:95], v[122:123], v[136:137], v[94:95] op_sel_hi:[0,1,1] neg_lo:[1,0,0] neg_hi:[1,0,0]
	v_pk_fma_f32 v[108:109], v[122:123], v[138:139], v[108:109] op_sel_hi:[0,1,1] neg_lo:[1,0,0] neg_hi:[1,0,0]
	s_waitcnt lgkmcnt(1)
	v_pk_fma_f32 v[92:93], v[122:123], v[140:141], v[92:93] op_sel_hi:[0,1,1] neg_lo:[1,0,0] neg_hi:[1,0,0]
	v_pk_fma_f32 v[106:107], v[122:123], v[142:143], v[106:107] op_sel_hi:[0,1,1] neg_lo:[1,0,0] neg_hi:[1,0,0]
	ds_read2_b64 v[136:139], v131 offset0:15 offset1:16
	s_waitcnt lgkmcnt(1)
	v_pk_fma_f32 v[90:91], v[122:123], v[144:145], v[90:91] op_sel_hi:[0,1,1] neg_lo:[1,0,0] neg_hi:[1,0,0]
	ds_read2_b64 v[140:143], v131 offset0:17 offset1:18
	v_pk_fma_f32 v[104:105], v[122:123], v[146:147], v[104:105] op_sel_hi:[0,1,1] neg_lo:[1,0,0] neg_hi:[1,0,0]
	ds_read2_b64 v[144:147], v131 offset0:19 offset1:20
	s_waitcnt lgkmcnt(2)
	v_pk_fma_f32 v[88:89], v[122:123], v[136:137], v[88:89] op_sel_hi:[0,1,1] neg_lo:[1,0,0] neg_hi:[1,0,0]
	v_pk_fma_f32 v[102:103], v[122:123], v[138:139], v[102:103] op_sel_hi:[0,1,1] neg_lo:[1,0,0] neg_hi:[1,0,0]
	s_waitcnt lgkmcnt(1)
	v_pk_fma_f32 v[86:87], v[122:123], v[140:141], v[86:87] op_sel_hi:[0,1,1] neg_lo:[1,0,0] neg_hi:[1,0,0]
	v_pk_fma_f32 v[100:101], v[122:123], v[142:143], v[100:101] op_sel_hi:[0,1,1] neg_lo:[1,0,0] neg_hi:[1,0,0]
	;; [unrolled: 3-line block ×3, first 2 shown]
.LBB83_26:
	s_or_b64 exec, exec, s[2:3]
	v_cmp_ne_u32_e32 vcc, 5, v127
	s_waitcnt lgkmcnt(0)
	s_barrier
	s_and_saveexec_b64 s[2:3], vcc
	s_xor_b64 s[2:3], exec, s[2:3]
	s_andn2_saveexec_b64 s[2:3], s[2:3]
	s_cbranch_execz .LBB83_30
; %bb.27:
	s_waitcnt vmcnt(4)
	ds_write_b32 v129, v123
	s_waitcnt vmcnt(2)
	ds_write2_b64 v131, v[118:119], v[114:115] offset0:3 offset1:4
	ds_write2_b64 v131, v[98:99], v[112:113] offset0:5 offset1:6
	;; [unrolled: 1-line block ×9, first 2 shown]
	ds_read_b32 v136, v129
	s_waitcnt lgkmcnt(0)
	v_cmp_neq_f32_e32 vcc, 0, v136
	s_and_saveexec_b64 s[4:5], vcc
	s_cbranch_execz .LBB83_29
; %bb.28:
	v_div_scale_f32 v137, s[10:11], v136, v136, 1.0
	v_rcp_f32_e32 v138, v137
	v_div_scale_f32 v139, vcc, 1.0, v136, 1.0
	v_fma_f32 v140, -v137, v138, 1.0
	v_fmac_f32_e32 v138, v140, v138
	v_mul_f32_e32 v140, v139, v138
	v_fma_f32 v141, -v137, v140, v139
	v_fmac_f32_e32 v140, v141, v138
	v_fma_f32 v137, -v137, v140, v139
	v_div_fmas_f32 v137, v137, v138, v140
	v_div_fixup_f32 v136, v137, v136, 1.0
	ds_write_b32 v129, v136
.LBB83_29:
	s_or_b64 exec, exec, s[4:5]
.LBB83_30:
	s_or_b64 exec, exec, s[2:3]
	s_waitcnt lgkmcnt(0)
	s_barrier
	ds_read_b32 v136, v129
	v_cmp_lt_u32_e32 vcc, 5, v127
	s_and_saveexec_b64 s[2:3], vcc
	s_cbranch_execz .LBB83_32
; %bb.31:
	ds_read2_b64 v[138:141], v131 offset0:3 offset1:4
	ds_read2_b64 v[142:145], v131 offset0:5 offset1:6
	;; [unrolled: 1-line block ×3, first 2 shown]
	s_waitcnt vmcnt(4) lgkmcnt(3)
	v_mul_f32_e32 v150, v136, v123
	v_mov_b32_e32 v123, v150
	s_waitcnt vmcnt(2) lgkmcnt(2)
	v_pk_fma_f32 v[118:119], v[150:151], v[138:139], v[118:119] op_sel_hi:[0,1,1] neg_lo:[1,0,0] neg_hi:[1,0,0]
	v_pk_fma_f32 v[114:115], v[150:151], v[140:141], v[114:115] op_sel_hi:[0,1,1] neg_lo:[1,0,0] neg_hi:[1,0,0]
	s_waitcnt lgkmcnt(1)
	v_pk_fma_f32 v[98:99], v[150:151], v[142:143], v[98:99] op_sel_hi:[0,1,1] neg_lo:[1,0,0] neg_hi:[1,0,0]
	ds_read2_b64 v[138:141], v131 offset0:9 offset1:10
	v_pk_fma_f32 v[112:113], v[150:151], v[144:145], v[112:113] op_sel_hi:[0,1,1] neg_lo:[1,0,0] neg_hi:[1,0,0]
	s_waitcnt lgkmcnt(1)
	v_pk_fma_f32 v[96:97], v[150:151], v[146:147], v[96:97] op_sel_hi:[0,1,1] neg_lo:[1,0,0] neg_hi:[1,0,0]
	ds_read2_b64 v[142:145], v131 offset0:11 offset1:12
	v_pk_fma_f32 v[110:111], v[150:151], v[148:149], v[110:111] op_sel_hi:[0,1,1] neg_lo:[1,0,0] neg_hi:[1,0,0]
	ds_read2_b64 v[146:149], v131 offset0:13 offset1:14
	s_waitcnt lgkmcnt(2)
	v_pk_fma_f32 v[94:95], v[150:151], v[138:139], v[94:95] op_sel_hi:[0,1,1] neg_lo:[1,0,0] neg_hi:[1,0,0]
	v_pk_fma_f32 v[108:109], v[150:151], v[140:141], v[108:109] op_sel_hi:[0,1,1] neg_lo:[1,0,0] neg_hi:[1,0,0]
	s_waitcnt lgkmcnt(1)
	v_pk_fma_f32 v[92:93], v[150:151], v[142:143], v[92:93] op_sel_hi:[0,1,1] neg_lo:[1,0,0] neg_hi:[1,0,0]
	v_pk_fma_f32 v[106:107], v[150:151], v[144:145], v[106:107] op_sel_hi:[0,1,1] neg_lo:[1,0,0] neg_hi:[1,0,0]
	ds_read2_b64 v[138:141], v131 offset0:15 offset1:16
	ds_read2_b64 v[142:145], v131 offset0:17 offset1:18
	s_waitcnt lgkmcnt(2)
	v_pk_fma_f32 v[90:91], v[150:151], v[146:147], v[90:91] op_sel_hi:[0,1,1] neg_lo:[1,0,0] neg_hi:[1,0,0]
	v_pk_fma_f32 v[104:105], v[150:151], v[148:149], v[104:105] op_sel_hi:[0,1,1] neg_lo:[1,0,0] neg_hi:[1,0,0]
	ds_read2_b64 v[146:149], v131 offset0:19 offset1:20
	s_waitcnt lgkmcnt(2)
	v_pk_fma_f32 v[88:89], v[150:151], v[138:139], v[88:89] op_sel_hi:[0,1,1] neg_lo:[1,0,0] neg_hi:[1,0,0]
	v_pk_fma_f32 v[102:103], v[150:151], v[140:141], v[102:103] op_sel_hi:[0,1,1] neg_lo:[1,0,0] neg_hi:[1,0,0]
	s_waitcnt lgkmcnt(1)
	v_pk_fma_f32 v[86:87], v[150:151], v[142:143], v[86:87] op_sel_hi:[0,1,1] neg_lo:[1,0,0] neg_hi:[1,0,0]
	v_pk_fma_f32 v[100:101], v[150:151], v[144:145], v[100:101] op_sel_hi:[0,1,1] neg_lo:[1,0,0] neg_hi:[1,0,0]
	;; [unrolled: 3-line block ×3, first 2 shown]
.LBB83_32:
	s_or_b64 exec, exec, s[2:3]
	v_cmp_eq_u32_e32 vcc, 6, v127
	s_waitcnt lgkmcnt(0)
	s_barrier
	s_and_saveexec_b64 s[2:3], vcc
	s_cbranch_execz .LBB83_35
; %bb.33:
	s_waitcnt vmcnt(2)
	v_pk_mov_b32 v[138:139], v[118:119], v[114:115] op_sel:[1,0]
	ds_write_b32 v129, v118
	ds_write2_b32 v131, v138, v139 offset0:7 offset1:8
	v_pk_mov_b32 v[138:139], v[114:115], v[98:99] op_sel:[1,0]
	ds_write2_b32 v131, v138, v139 offset0:9 offset1:10
	v_pk_mov_b32 v[138:139], v[98:99], v[112:113] op_sel:[1,0]
	;; [unrolled: 2-line block ×16, first 2 shown]
	ds_write2_b32 v131, v138, v139 offset0:39 offset1:40
	ds_write_b32 v131, v117 offset:164
	ds_read_b32 v137, v129
	s_waitcnt lgkmcnt(0)
	v_cmp_neq_f32_e32 vcc, 0, v137
	s_and_b64 exec, exec, vcc
	s_cbranch_execz .LBB83_35
; %bb.34:
	v_div_scale_f32 v138, s[4:5], v137, v137, 1.0
	v_rcp_f32_e32 v139, v138
	v_div_scale_f32 v140, vcc, 1.0, v137, 1.0
	v_fma_f32 v141, -v138, v139, 1.0
	v_fmac_f32_e32 v139, v141, v139
	v_mul_f32_e32 v141, v140, v139
	v_fma_f32 v142, -v138, v141, v140
	v_fmac_f32_e32 v141, v142, v139
	v_fma_f32 v138, -v138, v141, v140
	v_div_fmas_f32 v138, v138, v139, v141
	v_div_fixup_f32 v137, v138, v137, 1.0
	ds_write_b32 v129, v137
.LBB83_35:
	s_or_b64 exec, exec, s[2:3]
	s_waitcnt lgkmcnt(0)
	s_barrier
	ds_read_b32 v137, v129
	v_cmp_lt_u32_e32 vcc, 6, v127
	s_and_saveexec_b64 s[2:3], vcc
	s_cbranch_execz .LBB83_37
; %bb.36:
	ds_read_b32 v150, v131 offset:28
	ds_read2_b64 v[138:141], v131 offset0:4 offset1:5
	ds_read2_b64 v[142:145], v131 offset0:6 offset1:7
	;; [unrolled: 1-line block ×3, first 2 shown]
	s_waitcnt vmcnt(3) lgkmcnt(4)
	v_mul_f32_e32 v118, v137, v118
	s_waitcnt vmcnt(2) lgkmcnt(3)
	v_fma_f32 v119, -v118, v150, v119
	s_waitcnt lgkmcnt(2)
	v_pk_fma_f32 v[114:115], v[118:119], v[138:139], v[114:115] op_sel_hi:[0,1,1] neg_lo:[1,0,0] neg_hi:[1,0,0]
	v_pk_fma_f32 v[98:99], v[118:119], v[140:141], v[98:99] op_sel_hi:[0,1,1] neg_lo:[1,0,0] neg_hi:[1,0,0]
	s_waitcnt lgkmcnt(1)
	v_pk_fma_f32 v[112:113], v[118:119], v[142:143], v[112:113] op_sel_hi:[0,1,1] neg_lo:[1,0,0] neg_hi:[1,0,0]
	ds_read2_b64 v[138:141], v131 offset0:10 offset1:11
	v_pk_fma_f32 v[96:97], v[118:119], v[144:145], v[96:97] op_sel_hi:[0,1,1] neg_lo:[1,0,0] neg_hi:[1,0,0]
	s_waitcnt lgkmcnt(1)
	v_pk_fma_f32 v[110:111], v[118:119], v[146:147], v[110:111] op_sel_hi:[0,1,1] neg_lo:[1,0,0] neg_hi:[1,0,0]
	ds_read2_b64 v[142:145], v131 offset0:12 offset1:13
	v_pk_fma_f32 v[94:95], v[118:119], v[148:149], v[94:95] op_sel_hi:[0,1,1] neg_lo:[1,0,0] neg_hi:[1,0,0]
	ds_read2_b64 v[146:149], v131 offset0:14 offset1:15
	s_waitcnt lgkmcnt(2)
	v_pk_fma_f32 v[108:109], v[118:119], v[138:139], v[108:109] op_sel_hi:[0,1,1] neg_lo:[1,0,0] neg_hi:[1,0,0]
	v_pk_fma_f32 v[92:93], v[118:119], v[140:141], v[92:93] op_sel_hi:[0,1,1] neg_lo:[1,0,0] neg_hi:[1,0,0]
	s_waitcnt lgkmcnt(1)
	v_pk_fma_f32 v[106:107], v[118:119], v[142:143], v[106:107] op_sel_hi:[0,1,1] neg_lo:[1,0,0] neg_hi:[1,0,0]
	v_pk_fma_f32 v[90:91], v[118:119], v[144:145], v[90:91] op_sel_hi:[0,1,1] neg_lo:[1,0,0] neg_hi:[1,0,0]
	ds_read2_b64 v[138:141], v131 offset0:16 offset1:17
	s_waitcnt lgkmcnt(1)
	v_pk_fma_f32 v[104:105], v[118:119], v[146:147], v[104:105] op_sel_hi:[0,1,1] neg_lo:[1,0,0] neg_hi:[1,0,0]
	ds_read2_b64 v[142:145], v131 offset0:18 offset1:19
	ds_read_b64 v[146:147], v131 offset:160
	v_pk_fma_f32 v[88:89], v[118:119], v[148:149], v[88:89] op_sel_hi:[0,1,1] neg_lo:[1,0,0] neg_hi:[1,0,0]
	s_waitcnt lgkmcnt(2)
	v_pk_fma_f32 v[102:103], v[118:119], v[138:139], v[102:103] op_sel_hi:[0,1,1] neg_lo:[1,0,0] neg_hi:[1,0,0]
	v_pk_fma_f32 v[86:87], v[118:119], v[140:141], v[86:87] op_sel_hi:[0,1,1] neg_lo:[1,0,0] neg_hi:[1,0,0]
	s_waitcnt lgkmcnt(1)
	v_pk_fma_f32 v[100:101], v[118:119], v[142:143], v[100:101] op_sel_hi:[0,1,1] neg_lo:[1,0,0] neg_hi:[1,0,0]
	;; [unrolled: 3-line block ×3, first 2 shown]
.LBB83_37:
	s_or_b64 exec, exec, s[2:3]
	v_cmp_ne_u32_e32 vcc, 7, v127
	s_waitcnt lgkmcnt(0)
	s_barrier
	s_and_saveexec_b64 s[2:3], vcc
	s_xor_b64 s[2:3], exec, s[2:3]
	s_andn2_saveexec_b64 s[2:3], s[2:3]
	s_cbranch_execz .LBB83_41
; %bb.38:
	s_waitcnt vmcnt(41)
	v_mov_b32_e32 v138, v114
	s_waitcnt vmcnt(40)
	v_mov_b32_e32 v139, v115
	;; [unrolled: 2-line block ×4, first 2 shown]
	s_waitcnt vmcnt(2)
	ds_write_b32 v129, v119
	ds_write2_b64 v131, v[138:139], v[140:141] offset0:4 offset1:5
	v_mov_b32_e32 v138, v112
	v_mov_b32_e32 v139, v113
	v_mov_b32_e32 v140, v96
	v_mov_b32_e32 v141, v97
	ds_write2_b64 v131, v[138:139], v[140:141] offset0:6 offset1:7
	v_mov_b32_e32 v138, v110
	v_mov_b32_e32 v139, v111
	v_mov_b32_e32 v140, v94
	v_mov_b32_e32 v141, v95
	;; [unrolled: 5-line block ×7, first 2 shown]
	ds_write2_b64 v131, v[138:139], v[140:141] offset0:18 offset1:19
	ds_write_b64 v131, v[116:117] offset:160
	ds_read_b32 v138, v129
	s_waitcnt lgkmcnt(0)
	v_cmp_neq_f32_e32 vcc, 0, v138
	s_and_saveexec_b64 s[4:5], vcc
	s_cbranch_execz .LBB83_40
; %bb.39:
	v_div_scale_f32 v139, s[10:11], v138, v138, 1.0
	v_rcp_f32_e32 v140, v139
	v_div_scale_f32 v141, vcc, 1.0, v138, 1.0
	v_fma_f32 v142, -v139, v140, 1.0
	v_fmac_f32_e32 v140, v142, v140
	v_mul_f32_e32 v142, v141, v140
	v_fma_f32 v143, -v139, v142, v141
	v_fmac_f32_e32 v142, v143, v140
	v_fma_f32 v139, -v139, v142, v141
	v_div_fmas_f32 v139, v139, v140, v142
	v_div_fixup_f32 v138, v139, v138, 1.0
	ds_write_b32 v129, v138
.LBB83_40:
	s_or_b64 exec, exec, s[4:5]
.LBB83_41:
	s_or_b64 exec, exec, s[2:3]
	s_waitcnt lgkmcnt(0)
	s_barrier
	ds_read_b32 v138, v129
	v_cmp_lt_u32_e32 vcc, 7, v127
	s_and_saveexec_b64 s[2:3], vcc
	s_cbranch_execz .LBB83_43
; %bb.42:
	ds_read2_b64 v[140:143], v131 offset0:4 offset1:5
	ds_read2_b64 v[144:147], v131 offset0:6 offset1:7
	;; [unrolled: 1-line block ×3, first 2 shown]
	s_waitcnt vmcnt(2) lgkmcnt(3)
	v_mul_f32_e32 v152, v138, v119
	v_mov_b32_e32 v119, v152
	s_waitcnt lgkmcnt(2)
	v_pk_fma_f32 v[114:115], v[152:153], v[140:141], v[114:115] op_sel_hi:[0,1,1] neg_lo:[1,0,0] neg_hi:[1,0,0]
	v_pk_fma_f32 v[98:99], v[152:153], v[142:143], v[98:99] op_sel_hi:[0,1,1] neg_lo:[1,0,0] neg_hi:[1,0,0]
	s_waitcnt lgkmcnt(1)
	v_pk_fma_f32 v[112:113], v[152:153], v[144:145], v[112:113] op_sel_hi:[0,1,1] neg_lo:[1,0,0] neg_hi:[1,0,0]
	ds_read2_b64 v[140:143], v131 offset0:10 offset1:11
	v_pk_fma_f32 v[96:97], v[152:153], v[146:147], v[96:97] op_sel_hi:[0,1,1] neg_lo:[1,0,0] neg_hi:[1,0,0]
	s_waitcnt lgkmcnt(1)
	v_pk_fma_f32 v[110:111], v[152:153], v[148:149], v[110:111] op_sel_hi:[0,1,1] neg_lo:[1,0,0] neg_hi:[1,0,0]
	ds_read2_b64 v[144:147], v131 offset0:12 offset1:13
	v_pk_fma_f32 v[94:95], v[152:153], v[150:151], v[94:95] op_sel_hi:[0,1,1] neg_lo:[1,0,0] neg_hi:[1,0,0]
	ds_read2_b64 v[148:151], v131 offset0:14 offset1:15
	s_waitcnt lgkmcnt(2)
	v_pk_fma_f32 v[108:109], v[152:153], v[140:141], v[108:109] op_sel_hi:[0,1,1] neg_lo:[1,0,0] neg_hi:[1,0,0]
	v_pk_fma_f32 v[92:93], v[152:153], v[142:143], v[92:93] op_sel_hi:[0,1,1] neg_lo:[1,0,0] neg_hi:[1,0,0]
	s_waitcnt lgkmcnt(1)
	v_pk_fma_f32 v[106:107], v[152:153], v[144:145], v[106:107] op_sel_hi:[0,1,1] neg_lo:[1,0,0] neg_hi:[1,0,0]
	v_pk_fma_f32 v[90:91], v[152:153], v[146:147], v[90:91] op_sel_hi:[0,1,1] neg_lo:[1,0,0] neg_hi:[1,0,0]
	ds_read2_b64 v[140:143], v131 offset0:16 offset1:17
	ds_read2_b64 v[144:147], v131 offset0:18 offset1:19
	s_waitcnt lgkmcnt(2)
	v_pk_fma_f32 v[104:105], v[152:153], v[148:149], v[104:105] op_sel_hi:[0,1,1] neg_lo:[1,0,0] neg_hi:[1,0,0]
	ds_read_b64 v[148:149], v131 offset:160
	v_pk_fma_f32 v[88:89], v[152:153], v[150:151], v[88:89] op_sel_hi:[0,1,1] neg_lo:[1,0,0] neg_hi:[1,0,0]
	s_waitcnt lgkmcnt(2)
	v_pk_fma_f32 v[102:103], v[152:153], v[140:141], v[102:103] op_sel_hi:[0,1,1] neg_lo:[1,0,0] neg_hi:[1,0,0]
	v_pk_fma_f32 v[86:87], v[152:153], v[142:143], v[86:87] op_sel_hi:[0,1,1] neg_lo:[1,0,0] neg_hi:[1,0,0]
	s_waitcnt lgkmcnt(1)
	v_pk_fma_f32 v[100:101], v[152:153], v[144:145], v[100:101] op_sel_hi:[0,1,1] neg_lo:[1,0,0] neg_hi:[1,0,0]
	;; [unrolled: 3-line block ×3, first 2 shown]
.LBB83_43:
	s_or_b64 exec, exec, s[2:3]
	v_cmp_eq_u32_e32 vcc, 8, v127
	s_waitcnt lgkmcnt(0)
	s_barrier
	s_and_saveexec_b64 s[2:3], vcc
	s_cbranch_execz .LBB83_46
; %bb.44:
	s_waitcnt vmcnt(38)
	v_pk_mov_b32 v[140:141], v[114:115], v[98:99] op_sel:[1,0]
	ds_write_b32 v129, v114
	ds_write2_b32 v131, v140, v141 offset0:9 offset1:10
	s_waitcnt vmcnt(36)
	v_pk_mov_b32 v[140:141], v[98:99], v[112:113] op_sel:[1,0]
	ds_write2_b32 v131, v140, v141 offset0:11 offset1:12
	s_waitcnt vmcnt(34)
	v_pk_mov_b32 v[140:141], v[112:113], v[96:97] op_sel:[1,0]
	;; [unrolled: 3-line block ×15, first 2 shown]
	ds_write2_b32 v131, v140, v141 offset0:39 offset1:40
	ds_write_b32 v131, v117 offset:164
	ds_read_b32 v139, v129
	s_waitcnt lgkmcnt(0)
	v_cmp_neq_f32_e32 vcc, 0, v139
	s_and_b64 exec, exec, vcc
	s_cbranch_execz .LBB83_46
; %bb.45:
	v_div_scale_f32 v140, s[4:5], v139, v139, 1.0
	v_rcp_f32_e32 v141, v140
	v_div_scale_f32 v142, vcc, 1.0, v139, 1.0
	v_fma_f32 v143, -v140, v141, 1.0
	v_fmac_f32_e32 v141, v143, v141
	v_mul_f32_e32 v143, v142, v141
	v_fma_f32 v144, -v140, v143, v142
	v_fmac_f32_e32 v143, v144, v141
	v_fma_f32 v140, -v140, v143, v142
	v_div_fmas_f32 v140, v140, v141, v143
	v_div_fixup_f32 v139, v140, v139, 1.0
	ds_write_b32 v129, v139
.LBB83_46:
	s_or_b64 exec, exec, s[2:3]
	s_waitcnt lgkmcnt(0)
	s_barrier
	ds_read_b32 v139, v129
	v_cmp_lt_u32_e32 vcc, 8, v127
	s_and_saveexec_b64 s[2:3], vcc
	s_cbranch_execz .LBB83_48
; %bb.47:
	ds_read_b32 v152, v131 offset:36
	ds_read2_b64 v[140:143], v131 offset0:5 offset1:6
	ds_read2_b64 v[144:147], v131 offset0:7 offset1:8
	;; [unrolled: 1-line block ×3, first 2 shown]
	s_waitcnt vmcnt(41) lgkmcnt(4)
	v_mul_f32_e32 v114, v139, v114
	s_waitcnt vmcnt(40) lgkmcnt(3)
	v_fma_f32 v115, -v114, v152, v115
	s_waitcnt vmcnt(38) lgkmcnt(2)
	v_pk_fma_f32 v[98:99], v[114:115], v[140:141], v[98:99] op_sel_hi:[0,1,1] neg_lo:[1,0,0] neg_hi:[1,0,0]
	s_waitcnt vmcnt(36)
	v_pk_fma_f32 v[112:113], v[114:115], v[142:143], v[112:113] op_sel_hi:[0,1,1] neg_lo:[1,0,0] neg_hi:[1,0,0]
	s_waitcnt vmcnt(34) lgkmcnt(1)
	v_pk_fma_f32 v[96:97], v[114:115], v[144:145], v[96:97] op_sel_hi:[0,1,1] neg_lo:[1,0,0] neg_hi:[1,0,0]
	ds_read2_b64 v[140:143], v131 offset0:11 offset1:12
	s_waitcnt vmcnt(32)
	v_pk_fma_f32 v[110:111], v[114:115], v[146:147], v[110:111] op_sel_hi:[0,1,1] neg_lo:[1,0,0] neg_hi:[1,0,0]
	ds_read2_b64 v[144:147], v131 offset0:13 offset1:14
	s_waitcnt vmcnt(30) lgkmcnt(2)
	v_pk_fma_f32 v[94:95], v[114:115], v[148:149], v[94:95] op_sel_hi:[0,1,1] neg_lo:[1,0,0] neg_hi:[1,0,0]
	s_waitcnt vmcnt(28)
	v_pk_fma_f32 v[108:109], v[114:115], v[150:151], v[108:109] op_sel_hi:[0,1,1] neg_lo:[1,0,0] neg_hi:[1,0,0]
	s_waitcnt vmcnt(26) lgkmcnt(1)
	v_pk_fma_f32 v[92:93], v[114:115], v[140:141], v[92:93] op_sel_hi:[0,1,1] neg_lo:[1,0,0] neg_hi:[1,0,0]
	s_waitcnt vmcnt(24)
	v_pk_fma_f32 v[106:107], v[114:115], v[142:143], v[106:107] op_sel_hi:[0,1,1] neg_lo:[1,0,0] neg_hi:[1,0,0]
	ds_read2_b64 v[140:143], v131 offset0:15 offset1:16
	ds_read2_b64 v[148:151], v131 offset0:17 offset1:18
	s_waitcnt vmcnt(22) lgkmcnt(2)
	v_pk_fma_f32 v[90:91], v[114:115], v[144:145], v[90:91] op_sel_hi:[0,1,1] neg_lo:[1,0,0] neg_hi:[1,0,0]
	s_waitcnt vmcnt(20)
	v_pk_fma_f32 v[104:105], v[114:115], v[146:147], v[104:105] op_sel_hi:[0,1,1] neg_lo:[1,0,0] neg_hi:[1,0,0]
	ds_read2_b64 v[144:147], v131 offset0:19 offset1:20
	s_waitcnt vmcnt(18) lgkmcnt(2)
	v_pk_fma_f32 v[88:89], v[114:115], v[140:141], v[88:89] op_sel_hi:[0,1,1] neg_lo:[1,0,0] neg_hi:[1,0,0]
	s_waitcnt vmcnt(16)
	v_pk_fma_f32 v[102:103], v[114:115], v[142:143], v[102:103] op_sel_hi:[0,1,1] neg_lo:[1,0,0] neg_hi:[1,0,0]
	s_waitcnt vmcnt(14) lgkmcnt(1)
	v_pk_fma_f32 v[86:87], v[114:115], v[148:149], v[86:87] op_sel_hi:[0,1,1] neg_lo:[1,0,0] neg_hi:[1,0,0]
	s_waitcnt vmcnt(12)
	v_pk_fma_f32 v[100:101], v[114:115], v[150:151], v[100:101] op_sel_hi:[0,1,1] neg_lo:[1,0,0] neg_hi:[1,0,0]
	;; [unrolled: 4-line block ×3, first 2 shown]
.LBB83_48:
	s_or_b64 exec, exec, s[2:3]
	v_cmp_ne_u32_e32 vcc, 9, v127
	s_waitcnt lgkmcnt(0)
	s_barrier
	s_and_saveexec_b64 s[2:3], vcc
	s_xor_b64 s[2:3], exec, s[2:3]
	s_andn2_saveexec_b64 s[2:3], s[2:3]
	s_cbranch_execz .LBB83_52
; %bb.49:
	s_waitcnt vmcnt(40)
	ds_write_b32 v129, v115
	s_waitcnt vmcnt(36)
	ds_write2_b64 v131, v[98:99], v[112:113] offset0:5 offset1:6
	s_waitcnt vmcnt(32)
	ds_write2_b64 v131, v[96:97], v[110:111] offset0:7 offset1:8
	;; [unrolled: 2-line block ×8, first 2 shown]
	ds_read_b32 v140, v129
	s_waitcnt lgkmcnt(0)
	v_cmp_neq_f32_e32 vcc, 0, v140
	s_and_saveexec_b64 s[4:5], vcc
	s_cbranch_execz .LBB83_51
; %bb.50:
	v_div_scale_f32 v141, s[10:11], v140, v140, 1.0
	v_rcp_f32_e32 v142, v141
	v_div_scale_f32 v143, vcc, 1.0, v140, 1.0
	v_fma_f32 v144, -v141, v142, 1.0
	v_fmac_f32_e32 v142, v144, v142
	v_mul_f32_e32 v144, v143, v142
	v_fma_f32 v145, -v141, v144, v143
	v_fmac_f32_e32 v144, v145, v142
	v_fma_f32 v141, -v141, v144, v143
	v_div_fmas_f32 v141, v141, v142, v144
	v_div_fixup_f32 v140, v141, v140, 1.0
	ds_write_b32 v129, v140
.LBB83_51:
	s_or_b64 exec, exec, s[4:5]
.LBB83_52:
	s_or_b64 exec, exec, s[2:3]
	s_waitcnt lgkmcnt(0)
	s_barrier
	ds_read_b32 v140, v129
	v_cmp_lt_u32_e32 vcc, 9, v127
	s_and_saveexec_b64 s[2:3], vcc
	s_cbranch_execz .LBB83_54
; %bb.53:
	ds_read2_b64 v[142:145], v131 offset0:5 offset1:6
	ds_read2_b64 v[146:149], v131 offset0:7 offset1:8
	s_waitcnt vmcnt(40) lgkmcnt(2)
	v_mul_f32_e32 v154, v140, v115
	ds_read2_b64 v[150:153], v131 offset0:9 offset1:10
	v_mov_b32_e32 v115, v154
	s_waitcnt vmcnt(38) lgkmcnt(2)
	v_pk_fma_f32 v[98:99], v[154:155], v[142:143], v[98:99] op_sel_hi:[0,1,1] neg_lo:[1,0,0] neg_hi:[1,0,0]
	s_waitcnt vmcnt(36)
	v_pk_fma_f32 v[112:113], v[154:155], v[144:145], v[112:113] op_sel_hi:[0,1,1] neg_lo:[1,0,0] neg_hi:[1,0,0]
	s_waitcnt vmcnt(34) lgkmcnt(1)
	v_pk_fma_f32 v[96:97], v[154:155], v[146:147], v[96:97] op_sel_hi:[0,1,1] neg_lo:[1,0,0] neg_hi:[1,0,0]
	ds_read2_b64 v[142:145], v131 offset0:11 offset1:12
	s_waitcnt vmcnt(32)
	v_pk_fma_f32 v[110:111], v[154:155], v[148:149], v[110:111] op_sel_hi:[0,1,1] neg_lo:[1,0,0] neg_hi:[1,0,0]
	ds_read2_b64 v[146:149], v131 offset0:13 offset1:14
	s_waitcnt vmcnt(30) lgkmcnt(2)
	v_pk_fma_f32 v[94:95], v[154:155], v[150:151], v[94:95] op_sel_hi:[0,1,1] neg_lo:[1,0,0] neg_hi:[1,0,0]
	s_waitcnt vmcnt(28)
	v_pk_fma_f32 v[108:109], v[154:155], v[152:153], v[108:109] op_sel_hi:[0,1,1] neg_lo:[1,0,0] neg_hi:[1,0,0]
	s_waitcnt vmcnt(26) lgkmcnt(1)
	v_pk_fma_f32 v[92:93], v[154:155], v[142:143], v[92:93] op_sel_hi:[0,1,1] neg_lo:[1,0,0] neg_hi:[1,0,0]
	s_waitcnt vmcnt(24)
	v_pk_fma_f32 v[106:107], v[154:155], v[144:145], v[106:107] op_sel_hi:[0,1,1] neg_lo:[1,0,0] neg_hi:[1,0,0]
	ds_read2_b64 v[142:145], v131 offset0:15 offset1:16
	s_waitcnt vmcnt(22) lgkmcnt(1)
	v_pk_fma_f32 v[90:91], v[154:155], v[146:147], v[90:91] op_sel_hi:[0,1,1] neg_lo:[1,0,0] neg_hi:[1,0,0]
	ds_read2_b64 v[150:153], v131 offset0:17 offset1:18
	s_waitcnt vmcnt(20)
	v_pk_fma_f32 v[104:105], v[154:155], v[148:149], v[104:105] op_sel_hi:[0,1,1] neg_lo:[1,0,0] neg_hi:[1,0,0]
	ds_read2_b64 v[146:149], v131 offset0:19 offset1:20
	s_waitcnt vmcnt(18) lgkmcnt(2)
	v_pk_fma_f32 v[88:89], v[154:155], v[142:143], v[88:89] op_sel_hi:[0,1,1] neg_lo:[1,0,0] neg_hi:[1,0,0]
	s_waitcnt vmcnt(16)
	v_pk_fma_f32 v[102:103], v[154:155], v[144:145], v[102:103] op_sel_hi:[0,1,1] neg_lo:[1,0,0] neg_hi:[1,0,0]
	s_waitcnt vmcnt(14) lgkmcnt(1)
	v_pk_fma_f32 v[86:87], v[154:155], v[150:151], v[86:87] op_sel_hi:[0,1,1] neg_lo:[1,0,0] neg_hi:[1,0,0]
	s_waitcnt vmcnt(12)
	v_pk_fma_f32 v[100:101], v[154:155], v[152:153], v[100:101] op_sel_hi:[0,1,1] neg_lo:[1,0,0] neg_hi:[1,0,0]
	;; [unrolled: 4-line block ×3, first 2 shown]
.LBB83_54:
	s_or_b64 exec, exec, s[2:3]
	v_cmp_eq_u32_e32 vcc, 10, v127
	s_waitcnt lgkmcnt(0)
	s_barrier
	s_and_saveexec_b64 s[2:3], vcc
	s_cbranch_execz .LBB83_57
; %bb.55:
	s_waitcnt vmcnt(36)
	v_pk_mov_b32 v[142:143], v[98:99], v[112:113] op_sel:[1,0]
	ds_write_b32 v129, v98
	ds_write2_b32 v131, v142, v143 offset0:11 offset1:12
	s_waitcnt vmcnt(34)
	v_pk_mov_b32 v[142:143], v[112:113], v[96:97] op_sel:[1,0]
	ds_write2_b32 v131, v142, v143 offset0:13 offset1:14
	s_waitcnt vmcnt(32)
	v_pk_mov_b32 v[142:143], v[96:97], v[110:111] op_sel:[1,0]
	;; [unrolled: 3-line block ×14, first 2 shown]
	ds_write2_b32 v131, v142, v143 offset0:39 offset1:40
	ds_write_b32 v131, v117 offset:164
	ds_read_b32 v141, v129
	s_waitcnt lgkmcnt(0)
	v_cmp_neq_f32_e32 vcc, 0, v141
	s_and_b64 exec, exec, vcc
	s_cbranch_execz .LBB83_57
; %bb.56:
	v_div_scale_f32 v142, s[4:5], v141, v141, 1.0
	v_rcp_f32_e32 v143, v142
	v_div_scale_f32 v144, vcc, 1.0, v141, 1.0
	v_fma_f32 v145, -v142, v143, 1.0
	v_fmac_f32_e32 v143, v145, v143
	v_mul_f32_e32 v145, v144, v143
	v_fma_f32 v146, -v142, v145, v144
	v_fmac_f32_e32 v145, v146, v143
	v_fma_f32 v142, -v142, v145, v144
	v_div_fmas_f32 v142, v142, v143, v145
	v_div_fixup_f32 v141, v142, v141, 1.0
	ds_write_b32 v129, v141
.LBB83_57:
	s_or_b64 exec, exec, s[2:3]
	s_waitcnt lgkmcnt(0)
	s_barrier
	ds_read_b32 v141, v129
	v_cmp_lt_u32_e32 vcc, 10, v127
	s_and_saveexec_b64 s[2:3], vcc
	s_cbranch_execz .LBB83_59
; %bb.58:
	ds_read_b32 v154, v131 offset:44
	ds_read2_b64 v[142:145], v131 offset0:6 offset1:7
	ds_read2_b64 v[146:149], v131 offset0:8 offset1:9
	;; [unrolled: 1-line block ×3, first 2 shown]
	s_waitcnt vmcnt(39) lgkmcnt(4)
	v_mul_f32_e32 v98, v141, v98
	s_waitcnt vmcnt(38) lgkmcnt(3)
	v_fma_f32 v99, -v98, v154, v99
	s_waitcnt vmcnt(36) lgkmcnt(2)
	v_pk_fma_f32 v[112:113], v[98:99], v[142:143], v[112:113] op_sel_hi:[0,1,1] neg_lo:[1,0,0] neg_hi:[1,0,0]
	s_waitcnt vmcnt(34)
	v_pk_fma_f32 v[96:97], v[98:99], v[144:145], v[96:97] op_sel_hi:[0,1,1] neg_lo:[1,0,0] neg_hi:[1,0,0]
	s_waitcnt vmcnt(32) lgkmcnt(1)
	v_pk_fma_f32 v[110:111], v[98:99], v[146:147], v[110:111] op_sel_hi:[0,1,1] neg_lo:[1,0,0] neg_hi:[1,0,0]
	ds_read2_b64 v[142:145], v131 offset0:12 offset1:13
	s_waitcnt vmcnt(30)
	v_pk_fma_f32 v[94:95], v[98:99], v[148:149], v[94:95] op_sel_hi:[0,1,1] neg_lo:[1,0,0] neg_hi:[1,0,0]
	ds_read2_b64 v[146:149], v131 offset0:14 offset1:15
	s_waitcnt vmcnt(28) lgkmcnt(2)
	v_pk_fma_f32 v[108:109], v[98:99], v[150:151], v[108:109] op_sel_hi:[0,1,1] neg_lo:[1,0,0] neg_hi:[1,0,0]
	s_waitcnt vmcnt(26)
	v_pk_fma_f32 v[92:93], v[98:99], v[152:153], v[92:93] op_sel_hi:[0,1,1] neg_lo:[1,0,0] neg_hi:[1,0,0]
	s_waitcnt vmcnt(24) lgkmcnt(1)
	v_pk_fma_f32 v[106:107], v[98:99], v[142:143], v[106:107] op_sel_hi:[0,1,1] neg_lo:[1,0,0] neg_hi:[1,0,0]
	s_waitcnt vmcnt(22)
	v_pk_fma_f32 v[90:91], v[98:99], v[144:145], v[90:91] op_sel_hi:[0,1,1] neg_lo:[1,0,0] neg_hi:[1,0,0]
	ds_read2_b64 v[142:145], v131 offset0:16 offset1:17
	ds_read2_b64 v[150:153], v131 offset0:18 offset1:19
	s_waitcnt vmcnt(20) lgkmcnt(2)
	v_pk_fma_f32 v[104:105], v[98:99], v[146:147], v[104:105] op_sel_hi:[0,1,1] neg_lo:[1,0,0] neg_hi:[1,0,0]
	ds_read_b64 v[146:147], v131 offset:160
	s_waitcnt vmcnt(18)
	v_pk_fma_f32 v[88:89], v[98:99], v[148:149], v[88:89] op_sel_hi:[0,1,1] neg_lo:[1,0,0] neg_hi:[1,0,0]
	s_waitcnt vmcnt(16) lgkmcnt(2)
	v_pk_fma_f32 v[102:103], v[98:99], v[142:143], v[102:103] op_sel_hi:[0,1,1] neg_lo:[1,0,0] neg_hi:[1,0,0]
	s_waitcnt vmcnt(14)
	v_pk_fma_f32 v[86:87], v[98:99], v[144:145], v[86:87] op_sel_hi:[0,1,1] neg_lo:[1,0,0] neg_hi:[1,0,0]
	s_waitcnt vmcnt(12) lgkmcnt(1)
	v_pk_fma_f32 v[100:101], v[98:99], v[150:151], v[100:101] op_sel_hi:[0,1,1] neg_lo:[1,0,0] neg_hi:[1,0,0]
	;; [unrolled: 4-line block ×3, first 2 shown]
.LBB83_59:
	s_or_b64 exec, exec, s[2:3]
	v_cmp_ne_u32_e32 vcc, 11, v127
	s_waitcnt lgkmcnt(0)
	s_barrier
	s_and_saveexec_b64 s[2:3], vcc
	s_xor_b64 s[2:3], exec, s[2:3]
	s_andn2_saveexec_b64 s[2:3], s[2:3]
	s_cbranch_execz .LBB83_63
; %bb.60:
	s_waitcnt vmcnt(37)
	v_mov_b32_e32 v142, v112
	s_waitcnt vmcnt(36)
	v_mov_b32_e32 v143, v113
	;; [unrolled: 2-line block ×4, first 2 shown]
	ds_write_b32 v129, v99
	ds_write2_b64 v131, v[142:143], v[144:145] offset0:6 offset1:7
	s_waitcnt vmcnt(33)
	v_mov_b32_e32 v142, v110
	s_waitcnt vmcnt(32)
	v_mov_b32_e32 v143, v111
	s_waitcnt vmcnt(31)
	v_mov_b32_e32 v144, v94
	s_waitcnt vmcnt(30)
	v_mov_b32_e32 v145, v95
	ds_write2_b64 v131, v[142:143], v[144:145] offset0:8 offset1:9
	s_waitcnt vmcnt(29)
	v_mov_b32_e32 v142, v108
	s_waitcnt vmcnt(28)
	v_mov_b32_e32 v143, v109
	s_waitcnt vmcnt(27)
	v_mov_b32_e32 v144, v92
	s_waitcnt vmcnt(26)
	v_mov_b32_e32 v145, v93
	;; [unrolled: 9-line block ×6, first 2 shown]
	ds_write2_b64 v131, v[142:143], v[144:145] offset0:18 offset1:19
	s_waitcnt vmcnt(8)
	ds_write_b64 v131, v[116:117] offset:160
	ds_read_b32 v142, v129
	s_waitcnt lgkmcnt(0)
	v_cmp_neq_f32_e32 vcc, 0, v142
	s_and_saveexec_b64 s[4:5], vcc
	s_cbranch_execz .LBB83_62
; %bb.61:
	v_div_scale_f32 v143, s[10:11], v142, v142, 1.0
	v_rcp_f32_e32 v144, v143
	v_div_scale_f32 v145, vcc, 1.0, v142, 1.0
	v_fma_f32 v146, -v143, v144, 1.0
	v_fmac_f32_e32 v144, v146, v144
	v_mul_f32_e32 v146, v145, v144
	v_fma_f32 v147, -v143, v146, v145
	v_fmac_f32_e32 v146, v147, v144
	v_fma_f32 v143, -v143, v146, v145
	v_div_fmas_f32 v143, v143, v144, v146
	v_div_fixup_f32 v142, v143, v142, 1.0
	ds_write_b32 v129, v142
.LBB83_62:
	s_or_b64 exec, exec, s[4:5]
.LBB83_63:
	s_or_b64 exec, exec, s[2:3]
	s_waitcnt lgkmcnt(0)
	s_barrier
	ds_read_b32 v142, v129
	v_cmp_lt_u32_e32 vcc, 11, v127
	s_and_saveexec_b64 s[2:3], vcc
	s_cbranch_execz .LBB83_65
; %bb.64:
	ds_read2_b64 v[144:147], v131 offset0:6 offset1:7
	ds_read2_b64 v[148:151], v131 offset0:8 offset1:9
	s_waitcnt vmcnt(38) lgkmcnt(2)
	v_mul_f32_e32 v156, v142, v99
	ds_read2_b64 v[152:155], v131 offset0:10 offset1:11
	v_mov_b32_e32 v99, v156
	s_waitcnt vmcnt(36) lgkmcnt(2)
	v_pk_fma_f32 v[112:113], v[156:157], v[144:145], v[112:113] op_sel_hi:[0,1,1] neg_lo:[1,0,0] neg_hi:[1,0,0]
	s_waitcnt vmcnt(34)
	v_pk_fma_f32 v[96:97], v[156:157], v[146:147], v[96:97] op_sel_hi:[0,1,1] neg_lo:[1,0,0] neg_hi:[1,0,0]
	s_waitcnt vmcnt(32) lgkmcnt(1)
	v_pk_fma_f32 v[110:111], v[156:157], v[148:149], v[110:111] op_sel_hi:[0,1,1] neg_lo:[1,0,0] neg_hi:[1,0,0]
	ds_read2_b64 v[144:147], v131 offset0:12 offset1:13
	s_waitcnt vmcnt(30)
	v_pk_fma_f32 v[94:95], v[156:157], v[150:151], v[94:95] op_sel_hi:[0,1,1] neg_lo:[1,0,0] neg_hi:[1,0,0]
	ds_read2_b64 v[148:151], v131 offset0:14 offset1:15
	s_waitcnt vmcnt(28) lgkmcnt(2)
	v_pk_fma_f32 v[108:109], v[156:157], v[152:153], v[108:109] op_sel_hi:[0,1,1] neg_lo:[1,0,0] neg_hi:[1,0,0]
	s_waitcnt vmcnt(26)
	v_pk_fma_f32 v[92:93], v[156:157], v[154:155], v[92:93] op_sel_hi:[0,1,1] neg_lo:[1,0,0] neg_hi:[1,0,0]
	s_waitcnt vmcnt(24) lgkmcnt(1)
	v_pk_fma_f32 v[106:107], v[156:157], v[144:145], v[106:107] op_sel_hi:[0,1,1] neg_lo:[1,0,0] neg_hi:[1,0,0]
	s_waitcnt vmcnt(22)
	v_pk_fma_f32 v[90:91], v[156:157], v[146:147], v[90:91] op_sel_hi:[0,1,1] neg_lo:[1,0,0] neg_hi:[1,0,0]
	ds_read2_b64 v[144:147], v131 offset0:16 offset1:17
	s_waitcnt vmcnt(20) lgkmcnt(1)
	v_pk_fma_f32 v[104:105], v[156:157], v[148:149], v[104:105] op_sel_hi:[0,1,1] neg_lo:[1,0,0] neg_hi:[1,0,0]
	ds_read2_b64 v[152:155], v131 offset0:18 offset1:19
	ds_read_b64 v[148:149], v131 offset:160
	s_waitcnt vmcnt(18)
	v_pk_fma_f32 v[88:89], v[156:157], v[150:151], v[88:89] op_sel_hi:[0,1,1] neg_lo:[1,0,0] neg_hi:[1,0,0]
	s_waitcnt vmcnt(16) lgkmcnt(2)
	v_pk_fma_f32 v[102:103], v[156:157], v[144:145], v[102:103] op_sel_hi:[0,1,1] neg_lo:[1,0,0] neg_hi:[1,0,0]
	s_waitcnt vmcnt(14)
	v_pk_fma_f32 v[86:87], v[156:157], v[146:147], v[86:87] op_sel_hi:[0,1,1] neg_lo:[1,0,0] neg_hi:[1,0,0]
	s_waitcnt vmcnt(12) lgkmcnt(1)
	v_pk_fma_f32 v[100:101], v[156:157], v[152:153], v[100:101] op_sel_hi:[0,1,1] neg_lo:[1,0,0] neg_hi:[1,0,0]
	;; [unrolled: 4-line block ×3, first 2 shown]
.LBB83_65:
	s_or_b64 exec, exec, s[2:3]
	v_cmp_eq_u32_e32 vcc, 12, v127
	s_waitcnt lgkmcnt(0)
	s_barrier
	s_and_saveexec_b64 s[2:3], vcc
	s_cbranch_execz .LBB83_68
; %bb.66:
	s_waitcnt vmcnt(34)
	v_pk_mov_b32 v[144:145], v[112:113], v[96:97] op_sel:[1,0]
	ds_write_b32 v129, v112
	ds_write2_b32 v131, v144, v145 offset0:13 offset1:14
	s_waitcnt vmcnt(32)
	v_pk_mov_b32 v[144:145], v[96:97], v[110:111] op_sel:[1,0]
	ds_write2_b32 v131, v144, v145 offset0:15 offset1:16
	s_waitcnt vmcnt(30)
	v_pk_mov_b32 v[144:145], v[110:111], v[94:95] op_sel:[1,0]
	;; [unrolled: 3-line block ×13, first 2 shown]
	ds_write2_b32 v131, v144, v145 offset0:39 offset1:40
	ds_write_b32 v131, v117 offset:164
	ds_read_b32 v143, v129
	s_waitcnt lgkmcnt(0)
	v_cmp_neq_f32_e32 vcc, 0, v143
	s_and_b64 exec, exec, vcc
	s_cbranch_execz .LBB83_68
; %bb.67:
	v_div_scale_f32 v144, s[4:5], v143, v143, 1.0
	v_rcp_f32_e32 v145, v144
	v_div_scale_f32 v146, vcc, 1.0, v143, 1.0
	v_fma_f32 v147, -v144, v145, 1.0
	v_fmac_f32_e32 v145, v147, v145
	v_mul_f32_e32 v147, v146, v145
	v_fma_f32 v148, -v144, v147, v146
	v_fmac_f32_e32 v147, v148, v145
	v_fma_f32 v144, -v144, v147, v146
	v_div_fmas_f32 v144, v144, v145, v147
	v_div_fixup_f32 v143, v144, v143, 1.0
	ds_write_b32 v129, v143
.LBB83_68:
	s_or_b64 exec, exec, s[2:3]
	s_waitcnt lgkmcnt(0)
	s_barrier
	ds_read_b32 v143, v129
	v_cmp_lt_u32_e32 vcc, 12, v127
	s_and_saveexec_b64 s[2:3], vcc
	s_cbranch_execz .LBB83_70
; %bb.69:
	ds_read_b32 v156, v131 offset:52
	ds_read2_b64 v[144:147], v131 offset0:7 offset1:8
	s_waitcnt vmcnt(37) lgkmcnt(2)
	v_mul_f32_e32 v112, v143, v112
	ds_read2_b64 v[148:151], v131 offset0:9 offset1:10
	ds_read2_b64 v[152:155], v131 offset0:11 offset1:12
	s_waitcnt vmcnt(36) lgkmcnt(3)
	v_fma_f32 v113, -v112, v156, v113
	s_waitcnt vmcnt(34) lgkmcnt(2)
	v_pk_fma_f32 v[96:97], v[112:113], v[144:145], v[96:97] op_sel_hi:[0,1,1] neg_lo:[1,0,0] neg_hi:[1,0,0]
	s_waitcnt vmcnt(32)
	v_pk_fma_f32 v[110:111], v[112:113], v[146:147], v[110:111] op_sel_hi:[0,1,1] neg_lo:[1,0,0] neg_hi:[1,0,0]
	ds_read2_b64 v[144:147], v131 offset0:13 offset1:14
	s_waitcnt vmcnt(30) lgkmcnt(2)
	v_pk_fma_f32 v[94:95], v[112:113], v[148:149], v[94:95] op_sel_hi:[0,1,1] neg_lo:[1,0,0] neg_hi:[1,0,0]
	s_waitcnt vmcnt(28)
	v_pk_fma_f32 v[108:109], v[112:113], v[150:151], v[108:109] op_sel_hi:[0,1,1] neg_lo:[1,0,0] neg_hi:[1,0,0]
	s_waitcnt vmcnt(26) lgkmcnt(1)
	v_pk_fma_f32 v[92:93], v[112:113], v[152:153], v[92:93] op_sel_hi:[0,1,1] neg_lo:[1,0,0] neg_hi:[1,0,0]
	s_waitcnt vmcnt(24)
	v_pk_fma_f32 v[106:107], v[112:113], v[154:155], v[106:107] op_sel_hi:[0,1,1] neg_lo:[1,0,0] neg_hi:[1,0,0]
	ds_read2_b64 v[148:151], v131 offset0:15 offset1:16
	s_waitcnt vmcnt(22) lgkmcnt(1)
	v_pk_fma_f32 v[90:91], v[112:113], v[144:145], v[90:91] op_sel_hi:[0,1,1] neg_lo:[1,0,0] neg_hi:[1,0,0]
	ds_read2_b64 v[152:155], v131 offset0:17 offset1:18
	s_waitcnt vmcnt(20)
	v_pk_fma_f32 v[104:105], v[112:113], v[146:147], v[104:105] op_sel_hi:[0,1,1] neg_lo:[1,0,0] neg_hi:[1,0,0]
	ds_read2_b64 v[144:147], v131 offset0:19 offset1:20
	s_waitcnt vmcnt(18) lgkmcnt(2)
	v_pk_fma_f32 v[88:89], v[112:113], v[148:149], v[88:89] op_sel_hi:[0,1,1] neg_lo:[1,0,0] neg_hi:[1,0,0]
	s_waitcnt vmcnt(16)
	v_pk_fma_f32 v[102:103], v[112:113], v[150:151], v[102:103] op_sel_hi:[0,1,1] neg_lo:[1,0,0] neg_hi:[1,0,0]
	s_waitcnt vmcnt(14) lgkmcnt(1)
	v_pk_fma_f32 v[86:87], v[112:113], v[152:153], v[86:87] op_sel_hi:[0,1,1] neg_lo:[1,0,0] neg_hi:[1,0,0]
	s_waitcnt vmcnt(12)
	v_pk_fma_f32 v[100:101], v[112:113], v[154:155], v[100:101] op_sel_hi:[0,1,1] neg_lo:[1,0,0] neg_hi:[1,0,0]
	;; [unrolled: 4-line block ×3, first 2 shown]
.LBB83_70:
	s_or_b64 exec, exec, s[2:3]
	v_cmp_ne_u32_e32 vcc, 13, v127
	s_waitcnt lgkmcnt(0)
	s_barrier
	s_and_saveexec_b64 s[2:3], vcc
	s_xor_b64 s[2:3], exec, s[2:3]
	s_andn2_saveexec_b64 s[2:3], s[2:3]
	s_cbranch_execz .LBB83_74
; %bb.71:
	s_waitcnt vmcnt(36)
	ds_write_b32 v129, v113
	s_waitcnt vmcnt(32)
	ds_write2_b64 v131, v[96:97], v[110:111] offset0:7 offset1:8
	s_waitcnt vmcnt(28)
	ds_write2_b64 v131, v[94:95], v[108:109] offset0:9 offset1:10
	;; [unrolled: 2-line block ×7, first 2 shown]
	ds_read_b32 v144, v129
	s_waitcnt lgkmcnt(0)
	v_cmp_neq_f32_e32 vcc, 0, v144
	s_and_saveexec_b64 s[4:5], vcc
	s_cbranch_execz .LBB83_73
; %bb.72:
	v_div_scale_f32 v145, s[10:11], v144, v144, 1.0
	v_rcp_f32_e32 v146, v145
	v_div_scale_f32 v147, vcc, 1.0, v144, 1.0
	v_fma_f32 v148, -v145, v146, 1.0
	v_fmac_f32_e32 v146, v148, v146
	v_mul_f32_e32 v148, v147, v146
	v_fma_f32 v149, -v145, v148, v147
	v_fmac_f32_e32 v148, v149, v146
	v_fma_f32 v145, -v145, v148, v147
	v_div_fmas_f32 v145, v145, v146, v148
	v_div_fixup_f32 v144, v145, v144, 1.0
	ds_write_b32 v129, v144
.LBB83_73:
	s_or_b64 exec, exec, s[4:5]
.LBB83_74:
	s_or_b64 exec, exec, s[2:3]
	s_waitcnt lgkmcnt(0)
	s_barrier
	ds_read_b32 v144, v129
	v_cmp_lt_u32_e32 vcc, 13, v127
	s_and_saveexec_b64 s[2:3], vcc
	s_cbranch_execz .LBB83_76
; %bb.75:
	ds_read2_b64 v[146:149], v131 offset0:7 offset1:8
	ds_read2_b64 v[150:153], v131 offset0:9 offset1:10
	s_waitcnt vmcnt(36) lgkmcnt(2)
	v_mul_f32_e32 v158, v144, v113
	ds_read2_b64 v[154:157], v131 offset0:11 offset1:12
	v_mov_b32_e32 v113, v158
	s_waitcnt vmcnt(34) lgkmcnt(2)
	v_pk_fma_f32 v[96:97], v[158:159], v[146:147], v[96:97] op_sel_hi:[0,1,1] neg_lo:[1,0,0] neg_hi:[1,0,0]
	s_waitcnt vmcnt(32)
	v_pk_fma_f32 v[110:111], v[158:159], v[148:149], v[110:111] op_sel_hi:[0,1,1] neg_lo:[1,0,0] neg_hi:[1,0,0]
	ds_read2_b64 v[146:149], v131 offset0:13 offset1:14
	s_waitcnt vmcnt(30) lgkmcnt(2)
	v_pk_fma_f32 v[94:95], v[158:159], v[150:151], v[94:95] op_sel_hi:[0,1,1] neg_lo:[1,0,0] neg_hi:[1,0,0]
	s_waitcnt vmcnt(28)
	v_pk_fma_f32 v[108:109], v[158:159], v[152:153], v[108:109] op_sel_hi:[0,1,1] neg_lo:[1,0,0] neg_hi:[1,0,0]
	s_waitcnt vmcnt(26) lgkmcnt(1)
	v_pk_fma_f32 v[92:93], v[158:159], v[154:155], v[92:93] op_sel_hi:[0,1,1] neg_lo:[1,0,0] neg_hi:[1,0,0]
	s_waitcnt vmcnt(24)
	v_pk_fma_f32 v[106:107], v[158:159], v[156:157], v[106:107] op_sel_hi:[0,1,1] neg_lo:[1,0,0] neg_hi:[1,0,0]
	ds_read2_b64 v[150:153], v131 offset0:15 offset1:16
	ds_read2_b64 v[154:157], v131 offset0:17 offset1:18
	s_waitcnt vmcnt(22) lgkmcnt(2)
	v_pk_fma_f32 v[90:91], v[158:159], v[146:147], v[90:91] op_sel_hi:[0,1,1] neg_lo:[1,0,0] neg_hi:[1,0,0]
	s_waitcnt vmcnt(20)
	v_pk_fma_f32 v[104:105], v[158:159], v[148:149], v[104:105] op_sel_hi:[0,1,1] neg_lo:[1,0,0] neg_hi:[1,0,0]
	ds_read2_b64 v[146:149], v131 offset0:19 offset1:20
	s_waitcnt vmcnt(18) lgkmcnt(2)
	v_pk_fma_f32 v[88:89], v[158:159], v[150:151], v[88:89] op_sel_hi:[0,1,1] neg_lo:[1,0,0] neg_hi:[1,0,0]
	s_waitcnt vmcnt(16)
	v_pk_fma_f32 v[102:103], v[158:159], v[152:153], v[102:103] op_sel_hi:[0,1,1] neg_lo:[1,0,0] neg_hi:[1,0,0]
	s_waitcnt vmcnt(14) lgkmcnt(1)
	v_pk_fma_f32 v[86:87], v[158:159], v[154:155], v[86:87] op_sel_hi:[0,1,1] neg_lo:[1,0,0] neg_hi:[1,0,0]
	s_waitcnt vmcnt(12)
	v_pk_fma_f32 v[100:101], v[158:159], v[156:157], v[100:101] op_sel_hi:[0,1,1] neg_lo:[1,0,0] neg_hi:[1,0,0]
	;; [unrolled: 4-line block ×3, first 2 shown]
.LBB83_76:
	s_or_b64 exec, exec, s[2:3]
	v_cmp_eq_u32_e32 vcc, 14, v127
	s_waitcnt lgkmcnt(0)
	s_barrier
	s_and_saveexec_b64 s[2:3], vcc
	s_cbranch_execz .LBB83_79
; %bb.77:
	s_waitcnt vmcnt(32)
	v_pk_mov_b32 v[146:147], v[96:97], v[110:111] op_sel:[1,0]
	ds_write_b32 v129, v96
	ds_write2_b32 v131, v146, v147 offset0:15 offset1:16
	s_waitcnt vmcnt(30)
	v_pk_mov_b32 v[146:147], v[110:111], v[94:95] op_sel:[1,0]
	ds_write2_b32 v131, v146, v147 offset0:17 offset1:18
	s_waitcnt vmcnt(28)
	v_pk_mov_b32 v[146:147], v[94:95], v[108:109] op_sel:[1,0]
	ds_write2_b32 v131, v146, v147 offset0:19 offset1:20
	s_waitcnt vmcnt(26)
	v_pk_mov_b32 v[146:147], v[108:109], v[92:93] op_sel:[1,0]
	ds_write2_b32 v131, v146, v147 offset0:21 offset1:22
	s_waitcnt vmcnt(24)
	v_pk_mov_b32 v[146:147], v[92:93], v[106:107] op_sel:[1,0]
	ds_write2_b32 v131, v146, v147 offset0:23 offset1:24
	s_waitcnt vmcnt(22)
	v_pk_mov_b32 v[146:147], v[106:107], v[90:91] op_sel:[1,0]
	ds_write2_b32 v131, v146, v147 offset0:25 offset1:26
	s_waitcnt vmcnt(20)
	v_pk_mov_b32 v[146:147], v[90:91], v[104:105] op_sel:[1,0]
	ds_write2_b32 v131, v146, v147 offset0:27 offset1:28
	s_waitcnt vmcnt(18)
	v_pk_mov_b32 v[146:147], v[104:105], v[88:89] op_sel:[1,0]
	ds_write2_b32 v131, v146, v147 offset0:29 offset1:30
	s_waitcnt vmcnt(16)
	v_pk_mov_b32 v[146:147], v[88:89], v[102:103] op_sel:[1,0]
	ds_write2_b32 v131, v146, v147 offset0:31 offset1:32
	s_waitcnt vmcnt(14)
	v_pk_mov_b32 v[146:147], v[102:103], v[86:87] op_sel:[1,0]
	ds_write2_b32 v131, v146, v147 offset0:33 offset1:34
	s_waitcnt vmcnt(12)
	v_pk_mov_b32 v[146:147], v[86:87], v[100:101] op_sel:[1,0]
	ds_write2_b32 v131, v146, v147 offset0:35 offset1:36
	s_waitcnt vmcnt(10)
	v_pk_mov_b32 v[146:147], v[100:101], v[84:85] op_sel:[1,0]
	ds_write2_b32 v131, v146, v147 offset0:37 offset1:38
	s_waitcnt vmcnt(8)
	v_pk_mov_b32 v[146:147], v[84:85], v[116:117] op_sel:[1,0]
	ds_write2_b32 v131, v146, v147 offset0:39 offset1:40
	ds_write_b32 v131, v117 offset:164
	ds_read_b32 v145, v129
	s_waitcnt lgkmcnt(0)
	v_cmp_neq_f32_e32 vcc, 0, v145
	s_and_b64 exec, exec, vcc
	s_cbranch_execz .LBB83_79
; %bb.78:
	v_div_scale_f32 v146, s[4:5], v145, v145, 1.0
	v_rcp_f32_e32 v147, v146
	v_div_scale_f32 v148, vcc, 1.0, v145, 1.0
	v_fma_f32 v149, -v146, v147, 1.0
	v_fmac_f32_e32 v147, v149, v147
	v_mul_f32_e32 v149, v148, v147
	v_fma_f32 v150, -v146, v149, v148
	v_fmac_f32_e32 v149, v150, v147
	v_fma_f32 v146, -v146, v149, v148
	v_div_fmas_f32 v146, v146, v147, v149
	v_div_fixup_f32 v145, v146, v145, 1.0
	ds_write_b32 v129, v145
.LBB83_79:
	s_or_b64 exec, exec, s[2:3]
	s_waitcnt lgkmcnt(0)
	s_barrier
	ds_read_b32 v145, v129
	v_cmp_lt_u32_e32 vcc, 14, v127
	s_and_saveexec_b64 s[2:3], vcc
	s_cbranch_execz .LBB83_81
; %bb.80:
	ds_read_b32 v158, v131 offset:60
	ds_read2_b64 v[146:149], v131 offset0:8 offset1:9
	s_waitcnt vmcnt(35) lgkmcnt(2)
	v_mul_f32_e32 v96, v145, v96
	ds_read2_b64 v[150:153], v131 offset0:10 offset1:11
	ds_read2_b64 v[154:157], v131 offset0:12 offset1:13
	s_waitcnt vmcnt(34) lgkmcnt(3)
	v_fma_f32 v97, -v96, v158, v97
	s_waitcnt vmcnt(32) lgkmcnt(2)
	v_pk_fma_f32 v[110:111], v[96:97], v[146:147], v[110:111] op_sel_hi:[0,1,1] neg_lo:[1,0,0] neg_hi:[1,0,0]
	s_waitcnt vmcnt(30)
	v_pk_fma_f32 v[94:95], v[96:97], v[148:149], v[94:95] op_sel_hi:[0,1,1] neg_lo:[1,0,0] neg_hi:[1,0,0]
	ds_read2_b64 v[146:149], v131 offset0:14 offset1:15
	s_waitcnt vmcnt(28) lgkmcnt(2)
	v_pk_fma_f32 v[108:109], v[96:97], v[150:151], v[108:109] op_sel_hi:[0,1,1] neg_lo:[1,0,0] neg_hi:[1,0,0]
	s_waitcnt vmcnt(26)
	v_pk_fma_f32 v[92:93], v[96:97], v[152:153], v[92:93] op_sel_hi:[0,1,1] neg_lo:[1,0,0] neg_hi:[1,0,0]
	s_waitcnt vmcnt(24) lgkmcnt(1)
	v_pk_fma_f32 v[106:107], v[96:97], v[154:155], v[106:107] op_sel_hi:[0,1,1] neg_lo:[1,0,0] neg_hi:[1,0,0]
	s_waitcnt vmcnt(22)
	v_pk_fma_f32 v[90:91], v[96:97], v[156:157], v[90:91] op_sel_hi:[0,1,1] neg_lo:[1,0,0] neg_hi:[1,0,0]
	ds_read2_b64 v[150:153], v131 offset0:16 offset1:17
	s_waitcnt vmcnt(20) lgkmcnt(1)
	v_pk_fma_f32 v[104:105], v[96:97], v[146:147], v[104:105] op_sel_hi:[0,1,1] neg_lo:[1,0,0] neg_hi:[1,0,0]
	ds_read2_b64 v[154:157], v131 offset0:18 offset1:19
	ds_read_b64 v[146:147], v131 offset:160
	s_waitcnt vmcnt(18)
	v_pk_fma_f32 v[88:89], v[96:97], v[148:149], v[88:89] op_sel_hi:[0,1,1] neg_lo:[1,0,0] neg_hi:[1,0,0]
	s_waitcnt vmcnt(16) lgkmcnt(2)
	v_pk_fma_f32 v[102:103], v[96:97], v[150:151], v[102:103] op_sel_hi:[0,1,1] neg_lo:[1,0,0] neg_hi:[1,0,0]
	s_waitcnt vmcnt(14)
	v_pk_fma_f32 v[86:87], v[96:97], v[152:153], v[86:87] op_sel_hi:[0,1,1] neg_lo:[1,0,0] neg_hi:[1,0,0]
	s_waitcnt vmcnt(12) lgkmcnt(1)
	v_pk_fma_f32 v[100:101], v[96:97], v[154:155], v[100:101] op_sel_hi:[0,1,1] neg_lo:[1,0,0] neg_hi:[1,0,0]
	s_waitcnt vmcnt(10)
	v_pk_fma_f32 v[84:85], v[96:97], v[156:157], v[84:85] op_sel_hi:[0,1,1] neg_lo:[1,0,0] neg_hi:[1,0,0]
	s_waitcnt vmcnt(8) lgkmcnt(0)
	v_pk_fma_f32 v[116:117], v[96:97], v[146:147], v[116:117] op_sel_hi:[0,1,1] neg_lo:[1,0,0] neg_hi:[1,0,0]
.LBB83_81:
	s_or_b64 exec, exec, s[2:3]
	v_cmp_ne_u32_e32 vcc, 15, v127
	s_waitcnt lgkmcnt(0)
	s_barrier
	s_and_saveexec_b64 s[2:3], vcc
	s_xor_b64 s[2:3], exec, s[2:3]
	s_andn2_saveexec_b64 s[2:3], s[2:3]
	s_cbranch_execz .LBB83_85
; %bb.82:
	s_waitcnt vmcnt(33)
	v_mov_b32_e32 v146, v110
	s_waitcnt vmcnt(32)
	v_mov_b32_e32 v147, v111
	s_waitcnt vmcnt(31)
	v_mov_b32_e32 v148, v94
	s_waitcnt vmcnt(30)
	v_mov_b32_e32 v149, v95
	ds_write_b32 v129, v97
	ds_write2_b64 v131, v[146:147], v[148:149] offset0:8 offset1:9
	s_waitcnt vmcnt(29)
	v_mov_b32_e32 v146, v108
	s_waitcnt vmcnt(28)
	v_mov_b32_e32 v147, v109
	s_waitcnt vmcnt(27)
	v_mov_b32_e32 v148, v92
	s_waitcnt vmcnt(26)
	v_mov_b32_e32 v149, v93
	ds_write2_b64 v131, v[146:147], v[148:149] offset0:10 offset1:11
	s_waitcnt vmcnt(25)
	v_mov_b32_e32 v146, v106
	s_waitcnt vmcnt(24)
	v_mov_b32_e32 v147, v107
	s_waitcnt vmcnt(23)
	v_mov_b32_e32 v148, v90
	s_waitcnt vmcnt(22)
	v_mov_b32_e32 v149, v91
	ds_write2_b64 v131, v[146:147], v[148:149] offset0:12 offset1:13
	s_waitcnt vmcnt(21)
	v_mov_b32_e32 v146, v104
	s_waitcnt vmcnt(20)
	v_mov_b32_e32 v147, v105
	s_waitcnt vmcnt(19)
	v_mov_b32_e32 v148, v88
	s_waitcnt vmcnt(18)
	v_mov_b32_e32 v149, v89
	ds_write2_b64 v131, v[146:147], v[148:149] offset0:14 offset1:15
	s_waitcnt vmcnt(17)
	v_mov_b32_e32 v146, v102
	s_waitcnt vmcnt(16)
	v_mov_b32_e32 v147, v103
	s_waitcnt vmcnt(15)
	v_mov_b32_e32 v148, v86
	s_waitcnt vmcnt(14)
	v_mov_b32_e32 v149, v87
	ds_write2_b64 v131, v[146:147], v[148:149] offset0:16 offset1:17
	s_waitcnt vmcnt(13)
	v_mov_b32_e32 v146, v100
	s_waitcnt vmcnt(12)
	v_mov_b32_e32 v147, v101
	s_waitcnt vmcnt(11)
	v_mov_b32_e32 v148, v84
	s_waitcnt vmcnt(10)
	v_mov_b32_e32 v149, v85
	ds_write2_b64 v131, v[146:147], v[148:149] offset0:18 offset1:19
	s_waitcnt vmcnt(8)
	ds_write_b64 v131, v[116:117] offset:160
	ds_read_b32 v146, v129
	s_waitcnt lgkmcnt(0)
	v_cmp_neq_f32_e32 vcc, 0, v146
	s_and_saveexec_b64 s[4:5], vcc
	s_cbranch_execz .LBB83_84
; %bb.83:
	v_div_scale_f32 v147, s[10:11], v146, v146, 1.0
	v_rcp_f32_e32 v148, v147
	v_div_scale_f32 v149, vcc, 1.0, v146, 1.0
	v_fma_f32 v150, -v147, v148, 1.0
	v_fmac_f32_e32 v148, v150, v148
	v_mul_f32_e32 v150, v149, v148
	v_fma_f32 v151, -v147, v150, v149
	v_fmac_f32_e32 v150, v151, v148
	v_fma_f32 v147, -v147, v150, v149
	v_div_fmas_f32 v147, v147, v148, v150
	v_div_fixup_f32 v146, v147, v146, 1.0
	ds_write_b32 v129, v146
.LBB83_84:
	s_or_b64 exec, exec, s[4:5]
.LBB83_85:
	s_or_b64 exec, exec, s[2:3]
	s_waitcnt lgkmcnt(0)
	s_barrier
	ds_read_b32 v146, v129
	v_cmp_lt_u32_e32 vcc, 15, v127
	s_and_saveexec_b64 s[2:3], vcc
	s_cbranch_execz .LBB83_87
; %bb.86:
	ds_read2_b64 v[148:151], v131 offset0:8 offset1:9
	ds_read2_b64 v[152:155], v131 offset0:10 offset1:11
	s_waitcnt vmcnt(34) lgkmcnt(2)
	v_mul_f32_e32 v160, v146, v97
	ds_read2_b64 v[156:159], v131 offset0:12 offset1:13
	v_mov_b32_e32 v97, v160
	s_waitcnt vmcnt(32) lgkmcnt(2)
	v_pk_fma_f32 v[110:111], v[160:161], v[148:149], v[110:111] op_sel_hi:[0,1,1] neg_lo:[1,0,0] neg_hi:[1,0,0]
	s_waitcnt vmcnt(30)
	v_pk_fma_f32 v[94:95], v[160:161], v[150:151], v[94:95] op_sel_hi:[0,1,1] neg_lo:[1,0,0] neg_hi:[1,0,0]
	ds_read2_b64 v[148:151], v131 offset0:14 offset1:15
	s_waitcnt vmcnt(28) lgkmcnt(2)
	v_pk_fma_f32 v[108:109], v[160:161], v[152:153], v[108:109] op_sel_hi:[0,1,1] neg_lo:[1,0,0] neg_hi:[1,0,0]
	s_waitcnt vmcnt(26)
	v_pk_fma_f32 v[92:93], v[160:161], v[154:155], v[92:93] op_sel_hi:[0,1,1] neg_lo:[1,0,0] neg_hi:[1,0,0]
	s_waitcnt vmcnt(24) lgkmcnt(1)
	v_pk_fma_f32 v[106:107], v[160:161], v[156:157], v[106:107] op_sel_hi:[0,1,1] neg_lo:[1,0,0] neg_hi:[1,0,0]
	s_waitcnt vmcnt(22)
	v_pk_fma_f32 v[90:91], v[160:161], v[158:159], v[90:91] op_sel_hi:[0,1,1] neg_lo:[1,0,0] neg_hi:[1,0,0]
	ds_read2_b64 v[152:155], v131 offset0:16 offset1:17
	ds_read2_b64 v[156:159], v131 offset0:18 offset1:19
	s_waitcnt vmcnt(20) lgkmcnt(2)
	v_pk_fma_f32 v[104:105], v[160:161], v[148:149], v[104:105] op_sel_hi:[0,1,1] neg_lo:[1,0,0] neg_hi:[1,0,0]
	ds_read_b64 v[148:149], v131 offset:160
	s_waitcnt vmcnt(18)
	v_pk_fma_f32 v[88:89], v[160:161], v[150:151], v[88:89] op_sel_hi:[0,1,1] neg_lo:[1,0,0] neg_hi:[1,0,0]
	s_waitcnt vmcnt(16) lgkmcnt(2)
	v_pk_fma_f32 v[102:103], v[160:161], v[152:153], v[102:103] op_sel_hi:[0,1,1] neg_lo:[1,0,0] neg_hi:[1,0,0]
	s_waitcnt vmcnt(14)
	v_pk_fma_f32 v[86:87], v[160:161], v[154:155], v[86:87] op_sel_hi:[0,1,1] neg_lo:[1,0,0] neg_hi:[1,0,0]
	s_waitcnt vmcnt(12) lgkmcnt(1)
	v_pk_fma_f32 v[100:101], v[160:161], v[156:157], v[100:101] op_sel_hi:[0,1,1] neg_lo:[1,0,0] neg_hi:[1,0,0]
	s_waitcnt vmcnt(10)
	v_pk_fma_f32 v[84:85], v[160:161], v[158:159], v[84:85] op_sel_hi:[0,1,1] neg_lo:[1,0,0] neg_hi:[1,0,0]
	s_waitcnt vmcnt(8) lgkmcnt(0)
	v_pk_fma_f32 v[116:117], v[160:161], v[148:149], v[116:117] op_sel_hi:[0,1,1] neg_lo:[1,0,0] neg_hi:[1,0,0]
.LBB83_87:
	s_or_b64 exec, exec, s[2:3]
	v_cmp_eq_u32_e32 vcc, 16, v127
	s_waitcnt lgkmcnt(0)
	s_barrier
	s_and_saveexec_b64 s[2:3], vcc
	s_cbranch_execz .LBB83_90
; %bb.88:
	s_waitcnt vmcnt(30)
	v_pk_mov_b32 v[148:149], v[110:111], v[94:95] op_sel:[1,0]
	ds_write_b32 v129, v110
	ds_write2_b32 v131, v148, v149 offset0:17 offset1:18
	s_waitcnt vmcnt(28)
	v_pk_mov_b32 v[148:149], v[94:95], v[108:109] op_sel:[1,0]
	ds_write2_b32 v131, v148, v149 offset0:19 offset1:20
	s_waitcnt vmcnt(26)
	v_pk_mov_b32 v[148:149], v[108:109], v[92:93] op_sel:[1,0]
	;; [unrolled: 3-line block ×11, first 2 shown]
	ds_write2_b32 v131, v148, v149 offset0:39 offset1:40
	ds_write_b32 v131, v117 offset:164
	ds_read_b32 v147, v129
	s_waitcnt lgkmcnt(0)
	v_cmp_neq_f32_e32 vcc, 0, v147
	s_and_b64 exec, exec, vcc
	s_cbranch_execz .LBB83_90
; %bb.89:
	v_div_scale_f32 v148, s[4:5], v147, v147, 1.0
	v_rcp_f32_e32 v149, v148
	v_div_scale_f32 v150, vcc, 1.0, v147, 1.0
	v_fma_f32 v151, -v148, v149, 1.0
	v_fmac_f32_e32 v149, v151, v149
	v_mul_f32_e32 v151, v150, v149
	v_fma_f32 v152, -v148, v151, v150
	v_fmac_f32_e32 v151, v152, v149
	v_fma_f32 v148, -v148, v151, v150
	v_div_fmas_f32 v148, v148, v149, v151
	v_div_fixup_f32 v147, v148, v147, 1.0
	ds_write_b32 v129, v147
.LBB83_90:
	s_or_b64 exec, exec, s[2:3]
	s_waitcnt lgkmcnt(0)
	s_barrier
	ds_read_b32 v147, v129
	v_cmp_lt_u32_e32 vcc, 16, v127
	s_and_saveexec_b64 s[2:3], vcc
	s_cbranch_execz .LBB83_92
; %bb.91:
	ds_read_b32 v160, v131 offset:68
	ds_read2_b64 v[148:151], v131 offset0:9 offset1:10
	ds_read2_b64 v[152:155], v131 offset0:11 offset1:12
	;; [unrolled: 1-line block ×3, first 2 shown]
	s_waitcnt vmcnt(33) lgkmcnt(4)
	v_mul_f32_e32 v110, v147, v110
	s_waitcnt vmcnt(32) lgkmcnt(3)
	v_fma_f32 v111, -v110, v160, v111
	s_waitcnt vmcnt(30) lgkmcnt(2)
	v_pk_fma_f32 v[94:95], v[110:111], v[148:149], v[94:95] op_sel_hi:[0,1,1] neg_lo:[1,0,0] neg_hi:[1,0,0]
	s_waitcnt vmcnt(28)
	v_pk_fma_f32 v[108:109], v[110:111], v[150:151], v[108:109] op_sel_hi:[0,1,1] neg_lo:[1,0,0] neg_hi:[1,0,0]
	s_waitcnt vmcnt(26) lgkmcnt(1)
	v_pk_fma_f32 v[92:93], v[110:111], v[152:153], v[92:93] op_sel_hi:[0,1,1] neg_lo:[1,0,0] neg_hi:[1,0,0]
	s_waitcnt vmcnt(24)
	v_pk_fma_f32 v[106:107], v[110:111], v[154:155], v[106:107] op_sel_hi:[0,1,1] neg_lo:[1,0,0] neg_hi:[1,0,0]
	ds_read2_b64 v[148:151], v131 offset0:15 offset1:16
	ds_read2_b64 v[152:155], v131 offset0:17 offset1:18
	s_waitcnt vmcnt(22) lgkmcnt(2)
	v_pk_fma_f32 v[90:91], v[110:111], v[156:157], v[90:91] op_sel_hi:[0,1,1] neg_lo:[1,0,0] neg_hi:[1,0,0]
	s_waitcnt vmcnt(20)
	v_pk_fma_f32 v[104:105], v[110:111], v[158:159], v[104:105] op_sel_hi:[0,1,1] neg_lo:[1,0,0] neg_hi:[1,0,0]
	ds_read2_b64 v[156:159], v131 offset0:19 offset1:20
	s_waitcnt vmcnt(18) lgkmcnt(2)
	v_pk_fma_f32 v[88:89], v[110:111], v[148:149], v[88:89] op_sel_hi:[0,1,1] neg_lo:[1,0,0] neg_hi:[1,0,0]
	s_waitcnt vmcnt(16)
	v_pk_fma_f32 v[102:103], v[110:111], v[150:151], v[102:103] op_sel_hi:[0,1,1] neg_lo:[1,0,0] neg_hi:[1,0,0]
	s_waitcnt vmcnt(14) lgkmcnt(1)
	v_pk_fma_f32 v[86:87], v[110:111], v[152:153], v[86:87] op_sel_hi:[0,1,1] neg_lo:[1,0,0] neg_hi:[1,0,0]
	s_waitcnt vmcnt(12)
	v_pk_fma_f32 v[100:101], v[110:111], v[154:155], v[100:101] op_sel_hi:[0,1,1] neg_lo:[1,0,0] neg_hi:[1,0,0]
	;; [unrolled: 4-line block ×3, first 2 shown]
.LBB83_92:
	s_or_b64 exec, exec, s[2:3]
	v_cmp_ne_u32_e32 vcc, 17, v127
	s_waitcnt lgkmcnt(0)
	s_barrier
	s_and_saveexec_b64 s[2:3], vcc
	s_xor_b64 s[2:3], exec, s[2:3]
	s_andn2_saveexec_b64 s[2:3], s[2:3]
	s_cbranch_execz .LBB83_96
; %bb.93:
	s_waitcnt vmcnt(32)
	ds_write_b32 v129, v111
	s_waitcnt vmcnt(28)
	ds_write2_b64 v131, v[94:95], v[108:109] offset0:9 offset1:10
	s_waitcnt vmcnt(24)
	ds_write2_b64 v131, v[92:93], v[106:107] offset0:11 offset1:12
	;; [unrolled: 2-line block ×6, first 2 shown]
	ds_read_b32 v148, v129
	s_waitcnt lgkmcnt(0)
	v_cmp_neq_f32_e32 vcc, 0, v148
	s_and_saveexec_b64 s[4:5], vcc
	s_cbranch_execz .LBB83_95
; %bb.94:
	v_div_scale_f32 v149, s[10:11], v148, v148, 1.0
	v_rcp_f32_e32 v150, v149
	v_div_scale_f32 v151, vcc, 1.0, v148, 1.0
	v_fma_f32 v152, -v149, v150, 1.0
	v_fmac_f32_e32 v150, v152, v150
	v_mul_f32_e32 v152, v151, v150
	v_fma_f32 v153, -v149, v152, v151
	v_fmac_f32_e32 v152, v153, v150
	v_fma_f32 v149, -v149, v152, v151
	v_div_fmas_f32 v149, v149, v150, v152
	v_div_fixup_f32 v148, v149, v148, 1.0
	ds_write_b32 v129, v148
.LBB83_95:
	s_or_b64 exec, exec, s[4:5]
.LBB83_96:
	s_or_b64 exec, exec, s[2:3]
	s_waitcnt lgkmcnt(0)
	s_barrier
	ds_read_b32 v148, v129
	v_cmp_lt_u32_e32 vcc, 17, v127
	s_and_saveexec_b64 s[2:3], vcc
	s_cbranch_execz .LBB83_98
; %bb.97:
	ds_read2_b64 v[150:153], v131 offset0:9 offset1:10
	ds_read2_b64 v[154:157], v131 offset0:11 offset1:12
	ds_read2_b64 v[158:161], v131 offset0:13 offset1:14
	s_waitcnt vmcnt(32) lgkmcnt(3)
	v_mul_f32_e32 v162, v148, v111
	v_mov_b32_e32 v111, v162
	s_waitcnt vmcnt(30) lgkmcnt(2)
	v_pk_fma_f32 v[94:95], v[162:163], v[150:151], v[94:95] op_sel_hi:[0,1,1] neg_lo:[1,0,0] neg_hi:[1,0,0]
	s_waitcnt vmcnt(28)
	v_pk_fma_f32 v[108:109], v[162:163], v[152:153], v[108:109] op_sel_hi:[0,1,1] neg_lo:[1,0,0] neg_hi:[1,0,0]
	s_waitcnt vmcnt(26) lgkmcnt(1)
	v_pk_fma_f32 v[92:93], v[162:163], v[154:155], v[92:93] op_sel_hi:[0,1,1] neg_lo:[1,0,0] neg_hi:[1,0,0]
	s_waitcnt vmcnt(24)
	v_pk_fma_f32 v[106:107], v[162:163], v[156:157], v[106:107] op_sel_hi:[0,1,1] neg_lo:[1,0,0] neg_hi:[1,0,0]
	ds_read2_b64 v[150:153], v131 offset0:15 offset1:16
	s_waitcnt vmcnt(22) lgkmcnt(1)
	v_pk_fma_f32 v[90:91], v[162:163], v[158:159], v[90:91] op_sel_hi:[0,1,1] neg_lo:[1,0,0] neg_hi:[1,0,0]
	ds_read2_b64 v[154:157], v131 offset0:17 offset1:18
	s_waitcnt vmcnt(20)
	v_pk_fma_f32 v[104:105], v[162:163], v[160:161], v[104:105] op_sel_hi:[0,1,1] neg_lo:[1,0,0] neg_hi:[1,0,0]
	ds_read2_b64 v[158:161], v131 offset0:19 offset1:20
	s_waitcnt vmcnt(18) lgkmcnt(2)
	v_pk_fma_f32 v[88:89], v[162:163], v[150:151], v[88:89] op_sel_hi:[0,1,1] neg_lo:[1,0,0] neg_hi:[1,0,0]
	s_waitcnt vmcnt(16)
	v_pk_fma_f32 v[102:103], v[162:163], v[152:153], v[102:103] op_sel_hi:[0,1,1] neg_lo:[1,0,0] neg_hi:[1,0,0]
	s_waitcnt vmcnt(14) lgkmcnt(1)
	v_pk_fma_f32 v[86:87], v[162:163], v[154:155], v[86:87] op_sel_hi:[0,1,1] neg_lo:[1,0,0] neg_hi:[1,0,0]
	s_waitcnt vmcnt(12)
	v_pk_fma_f32 v[100:101], v[162:163], v[156:157], v[100:101] op_sel_hi:[0,1,1] neg_lo:[1,0,0] neg_hi:[1,0,0]
	;; [unrolled: 4-line block ×3, first 2 shown]
.LBB83_98:
	s_or_b64 exec, exec, s[2:3]
	v_cmp_eq_u32_e32 vcc, 18, v127
	s_waitcnt lgkmcnt(0)
	s_barrier
	s_and_saveexec_b64 s[2:3], vcc
	s_cbranch_execz .LBB83_101
; %bb.99:
	s_waitcnt vmcnt(28)
	v_pk_mov_b32 v[150:151], v[94:95], v[108:109] op_sel:[1,0]
	ds_write_b32 v129, v94
	ds_write2_b32 v131, v150, v151 offset0:19 offset1:20
	s_waitcnt vmcnt(26)
	v_pk_mov_b32 v[150:151], v[108:109], v[92:93] op_sel:[1,0]
	ds_write2_b32 v131, v150, v151 offset0:21 offset1:22
	s_waitcnt vmcnt(24)
	v_pk_mov_b32 v[150:151], v[92:93], v[106:107] op_sel:[1,0]
	;; [unrolled: 3-line block ×10, first 2 shown]
	ds_write2_b32 v131, v150, v151 offset0:39 offset1:40
	ds_write_b32 v131, v117 offset:164
	ds_read_b32 v149, v129
	s_waitcnt lgkmcnt(0)
	v_cmp_neq_f32_e32 vcc, 0, v149
	s_and_b64 exec, exec, vcc
	s_cbranch_execz .LBB83_101
; %bb.100:
	v_div_scale_f32 v150, s[4:5], v149, v149, 1.0
	v_rcp_f32_e32 v151, v150
	v_div_scale_f32 v152, vcc, 1.0, v149, 1.0
	v_fma_f32 v153, -v150, v151, 1.0
	v_fmac_f32_e32 v151, v153, v151
	v_mul_f32_e32 v153, v152, v151
	v_fma_f32 v154, -v150, v153, v152
	v_fmac_f32_e32 v153, v154, v151
	v_fma_f32 v150, -v150, v153, v152
	v_div_fmas_f32 v150, v150, v151, v153
	v_div_fixup_f32 v149, v150, v149, 1.0
	ds_write_b32 v129, v149
.LBB83_101:
	s_or_b64 exec, exec, s[2:3]
	s_waitcnt lgkmcnt(0)
	s_barrier
	ds_read_b32 v149, v129
	v_cmp_lt_u32_e32 vcc, 18, v127
	s_and_saveexec_b64 s[2:3], vcc
	s_cbranch_execz .LBB83_103
; %bb.102:
	ds_read_b32 v162, v131 offset:76
	ds_read2_b64 v[150:153], v131 offset0:10 offset1:11
	ds_read2_b64 v[154:157], v131 offset0:12 offset1:13
	;; [unrolled: 1-line block ×3, first 2 shown]
	s_waitcnt vmcnt(31) lgkmcnt(4)
	v_mul_f32_e32 v94, v149, v94
	s_waitcnt vmcnt(30) lgkmcnt(3)
	v_fma_f32 v95, -v94, v162, v95
	s_waitcnt vmcnt(28) lgkmcnt(2)
	v_pk_fma_f32 v[108:109], v[94:95], v[150:151], v[108:109] op_sel_hi:[0,1,1] neg_lo:[1,0,0] neg_hi:[1,0,0]
	s_waitcnt vmcnt(26)
	v_pk_fma_f32 v[92:93], v[94:95], v[152:153], v[92:93] op_sel_hi:[0,1,1] neg_lo:[1,0,0] neg_hi:[1,0,0]
	s_waitcnt vmcnt(24) lgkmcnt(1)
	v_pk_fma_f32 v[106:107], v[94:95], v[154:155], v[106:107] op_sel_hi:[0,1,1] neg_lo:[1,0,0] neg_hi:[1,0,0]
	s_waitcnt vmcnt(22)
	v_pk_fma_f32 v[90:91], v[94:95], v[156:157], v[90:91] op_sel_hi:[0,1,1] neg_lo:[1,0,0] neg_hi:[1,0,0]
	ds_read2_b64 v[150:153], v131 offset0:16 offset1:17
	ds_read2_b64 v[154:157], v131 offset0:18 offset1:19
	s_waitcnt vmcnt(20) lgkmcnt(2)
	v_pk_fma_f32 v[104:105], v[94:95], v[158:159], v[104:105] op_sel_hi:[0,1,1] neg_lo:[1,0,0] neg_hi:[1,0,0]
	ds_read_b64 v[158:159], v131 offset:160
	s_waitcnt vmcnt(18)
	v_pk_fma_f32 v[88:89], v[94:95], v[160:161], v[88:89] op_sel_hi:[0,1,1] neg_lo:[1,0,0] neg_hi:[1,0,0]
	s_waitcnt vmcnt(16) lgkmcnt(2)
	v_pk_fma_f32 v[102:103], v[94:95], v[150:151], v[102:103] op_sel_hi:[0,1,1] neg_lo:[1,0,0] neg_hi:[1,0,0]
	s_waitcnt vmcnt(14)
	v_pk_fma_f32 v[86:87], v[94:95], v[152:153], v[86:87] op_sel_hi:[0,1,1] neg_lo:[1,0,0] neg_hi:[1,0,0]
	s_waitcnt vmcnt(12) lgkmcnt(1)
	v_pk_fma_f32 v[100:101], v[94:95], v[154:155], v[100:101] op_sel_hi:[0,1,1] neg_lo:[1,0,0] neg_hi:[1,0,0]
	;; [unrolled: 4-line block ×3, first 2 shown]
.LBB83_103:
	s_or_b64 exec, exec, s[2:3]
	v_cmp_ne_u32_e32 vcc, 19, v127
	s_waitcnt lgkmcnt(0)
	s_barrier
	s_and_saveexec_b64 s[2:3], vcc
	s_xor_b64 s[2:3], exec, s[2:3]
	s_andn2_saveexec_b64 s[2:3], s[2:3]
	s_cbranch_execz .LBB83_107
; %bb.104:
	s_waitcnt vmcnt(29)
	v_mov_b32_e32 v150, v108
	s_waitcnt vmcnt(28)
	v_mov_b32_e32 v151, v109
	;; [unrolled: 2-line block ×4, first 2 shown]
	ds_write_b32 v129, v95
	ds_write2_b64 v131, v[150:151], v[152:153] offset0:10 offset1:11
	s_waitcnt vmcnt(25)
	v_mov_b32_e32 v150, v106
	s_waitcnt vmcnt(24)
	v_mov_b32_e32 v151, v107
	s_waitcnt vmcnt(23)
	v_mov_b32_e32 v152, v90
	s_waitcnt vmcnt(22)
	v_mov_b32_e32 v153, v91
	ds_write2_b64 v131, v[150:151], v[152:153] offset0:12 offset1:13
	s_waitcnt vmcnt(21)
	v_mov_b32_e32 v150, v104
	s_waitcnt vmcnt(20)
	v_mov_b32_e32 v151, v105
	s_waitcnt vmcnt(19)
	v_mov_b32_e32 v152, v88
	s_waitcnt vmcnt(18)
	v_mov_b32_e32 v153, v89
	;; [unrolled: 9-line block ×4, first 2 shown]
	ds_write2_b64 v131, v[150:151], v[152:153] offset0:18 offset1:19
	s_waitcnt vmcnt(8)
	ds_write_b64 v131, v[116:117] offset:160
	ds_read_b32 v150, v129
	s_waitcnt lgkmcnt(0)
	v_cmp_neq_f32_e32 vcc, 0, v150
	s_and_saveexec_b64 s[4:5], vcc
	s_cbranch_execz .LBB83_106
; %bb.105:
	v_div_scale_f32 v151, s[10:11], v150, v150, 1.0
	v_rcp_f32_e32 v152, v151
	v_div_scale_f32 v153, vcc, 1.0, v150, 1.0
	v_fma_f32 v154, -v151, v152, 1.0
	v_fmac_f32_e32 v152, v154, v152
	v_mul_f32_e32 v154, v153, v152
	v_fma_f32 v155, -v151, v154, v153
	v_fmac_f32_e32 v154, v155, v152
	v_fma_f32 v151, -v151, v154, v153
	v_div_fmas_f32 v151, v151, v152, v154
	v_div_fixup_f32 v150, v151, v150, 1.0
	ds_write_b32 v129, v150
.LBB83_106:
	s_or_b64 exec, exec, s[4:5]
.LBB83_107:
	s_or_b64 exec, exec, s[2:3]
	s_waitcnt lgkmcnt(0)
	s_barrier
	ds_read_b32 v150, v129
	v_cmp_lt_u32_e32 vcc, 19, v127
	s_and_saveexec_b64 s[2:3], vcc
	s_cbranch_execz .LBB83_109
; %bb.108:
	ds_read2_b64 v[152:155], v131 offset0:10 offset1:11
	ds_read2_b64 v[156:159], v131 offset0:12 offset1:13
	ds_read2_b64 v[160:163], v131 offset0:14 offset1:15
	s_waitcnt vmcnt(30) lgkmcnt(3)
	v_mul_f32_e32 v164, v150, v95
	v_mov_b32_e32 v95, v164
	s_waitcnt vmcnt(28) lgkmcnt(2)
	v_pk_fma_f32 v[108:109], v[164:165], v[152:153], v[108:109] op_sel_hi:[0,1,1] neg_lo:[1,0,0] neg_hi:[1,0,0]
	s_waitcnt vmcnt(26)
	v_pk_fma_f32 v[92:93], v[164:165], v[154:155], v[92:93] op_sel_hi:[0,1,1] neg_lo:[1,0,0] neg_hi:[1,0,0]
	s_waitcnt vmcnt(24) lgkmcnt(1)
	v_pk_fma_f32 v[106:107], v[164:165], v[156:157], v[106:107] op_sel_hi:[0,1,1] neg_lo:[1,0,0] neg_hi:[1,0,0]
	s_waitcnt vmcnt(22)
	v_pk_fma_f32 v[90:91], v[164:165], v[158:159], v[90:91] op_sel_hi:[0,1,1] neg_lo:[1,0,0] neg_hi:[1,0,0]
	ds_read2_b64 v[152:155], v131 offset0:16 offset1:17
	s_waitcnt vmcnt(20) lgkmcnt(1)
	v_pk_fma_f32 v[104:105], v[164:165], v[160:161], v[104:105] op_sel_hi:[0,1,1] neg_lo:[1,0,0] neg_hi:[1,0,0]
	ds_read2_b64 v[156:159], v131 offset0:18 offset1:19
	ds_read_b64 v[160:161], v131 offset:160
	s_waitcnt vmcnt(18)
	v_pk_fma_f32 v[88:89], v[164:165], v[162:163], v[88:89] op_sel_hi:[0,1,1] neg_lo:[1,0,0] neg_hi:[1,0,0]
	s_waitcnt vmcnt(16) lgkmcnt(2)
	v_pk_fma_f32 v[102:103], v[164:165], v[152:153], v[102:103] op_sel_hi:[0,1,1] neg_lo:[1,0,0] neg_hi:[1,0,0]
	s_waitcnt vmcnt(14)
	v_pk_fma_f32 v[86:87], v[164:165], v[154:155], v[86:87] op_sel_hi:[0,1,1] neg_lo:[1,0,0] neg_hi:[1,0,0]
	s_waitcnt vmcnt(12) lgkmcnt(1)
	v_pk_fma_f32 v[100:101], v[164:165], v[156:157], v[100:101] op_sel_hi:[0,1,1] neg_lo:[1,0,0] neg_hi:[1,0,0]
	;; [unrolled: 4-line block ×3, first 2 shown]
.LBB83_109:
	s_or_b64 exec, exec, s[2:3]
	v_cmp_eq_u32_e32 vcc, 20, v127
	s_waitcnt lgkmcnt(0)
	s_barrier
	s_and_saveexec_b64 s[2:3], vcc
	s_cbranch_execz .LBB83_112
; %bb.110:
	s_waitcnt vmcnt(26)
	v_pk_mov_b32 v[152:153], v[108:109], v[92:93] op_sel:[1,0]
	ds_write_b32 v129, v108
	ds_write2_b32 v131, v152, v153 offset0:21 offset1:22
	s_waitcnt vmcnt(24)
	v_pk_mov_b32 v[152:153], v[92:93], v[106:107] op_sel:[1,0]
	ds_write2_b32 v131, v152, v153 offset0:23 offset1:24
	s_waitcnt vmcnt(22)
	v_pk_mov_b32 v[152:153], v[106:107], v[90:91] op_sel:[1,0]
	;; [unrolled: 3-line block ×9, first 2 shown]
	ds_write2_b32 v131, v152, v153 offset0:39 offset1:40
	ds_write_b32 v131, v117 offset:164
	ds_read_b32 v151, v129
	s_waitcnt lgkmcnt(0)
	v_cmp_neq_f32_e32 vcc, 0, v151
	s_and_b64 exec, exec, vcc
	s_cbranch_execz .LBB83_112
; %bb.111:
	v_div_scale_f32 v152, s[4:5], v151, v151, 1.0
	v_rcp_f32_e32 v153, v152
	v_div_scale_f32 v154, vcc, 1.0, v151, 1.0
	v_fma_f32 v155, -v152, v153, 1.0
	v_fmac_f32_e32 v153, v155, v153
	v_mul_f32_e32 v155, v154, v153
	v_fma_f32 v156, -v152, v155, v154
	v_fmac_f32_e32 v155, v156, v153
	v_fma_f32 v152, -v152, v155, v154
	v_div_fmas_f32 v152, v152, v153, v155
	v_div_fixup_f32 v151, v152, v151, 1.0
	ds_write_b32 v129, v151
.LBB83_112:
	s_or_b64 exec, exec, s[2:3]
	s_waitcnt lgkmcnt(0)
	s_barrier
	ds_read_b32 v151, v129
	v_cmp_lt_u32_e32 vcc, 20, v127
	s_and_saveexec_b64 s[2:3], vcc
	s_cbranch_execz .LBB83_114
; %bb.113:
	ds_read_b32 v160, v131 offset:84
	ds_read2_b64 v[152:155], v131 offset0:11 offset1:12
	ds_read2_b64 v[156:159], v131 offset0:13 offset1:14
	s_waitcnt vmcnt(29) lgkmcnt(3)
	v_mul_f32_e32 v108, v151, v108
	s_waitcnt vmcnt(28) lgkmcnt(2)
	v_fma_f32 v109, -v108, v160, v109
	s_waitcnt vmcnt(26) lgkmcnt(1)
	v_pk_fma_f32 v[92:93], v[108:109], v[152:153], v[92:93] op_sel_hi:[0,1,1] neg_lo:[1,0,0] neg_hi:[1,0,0]
	s_waitcnt vmcnt(24)
	v_pk_fma_f32 v[106:107], v[108:109], v[154:155], v[106:107] op_sel_hi:[0,1,1] neg_lo:[1,0,0] neg_hi:[1,0,0]
	ds_read2_b64 v[152:155], v131 offset0:15 offset1:16
	s_waitcnt vmcnt(22) lgkmcnt(1)
	v_pk_fma_f32 v[90:91], v[108:109], v[156:157], v[90:91] op_sel_hi:[0,1,1] neg_lo:[1,0,0] neg_hi:[1,0,0]
	ds_read2_b64 v[160:163], v131 offset0:17 offset1:18
	s_waitcnt vmcnt(20)
	v_pk_fma_f32 v[104:105], v[108:109], v[158:159], v[104:105] op_sel_hi:[0,1,1] neg_lo:[1,0,0] neg_hi:[1,0,0]
	ds_read2_b64 v[156:159], v131 offset0:19 offset1:20
	s_waitcnt vmcnt(18) lgkmcnt(2)
	v_pk_fma_f32 v[88:89], v[108:109], v[152:153], v[88:89] op_sel_hi:[0,1,1] neg_lo:[1,0,0] neg_hi:[1,0,0]
	s_waitcnt vmcnt(16)
	v_pk_fma_f32 v[102:103], v[108:109], v[154:155], v[102:103] op_sel_hi:[0,1,1] neg_lo:[1,0,0] neg_hi:[1,0,0]
	s_waitcnt vmcnt(14) lgkmcnt(1)
	v_pk_fma_f32 v[86:87], v[108:109], v[160:161], v[86:87] op_sel_hi:[0,1,1] neg_lo:[1,0,0] neg_hi:[1,0,0]
	s_waitcnt vmcnt(12)
	v_pk_fma_f32 v[100:101], v[108:109], v[162:163], v[100:101] op_sel_hi:[0,1,1] neg_lo:[1,0,0] neg_hi:[1,0,0]
	;; [unrolled: 4-line block ×3, first 2 shown]
.LBB83_114:
	s_or_b64 exec, exec, s[2:3]
	v_cmp_ne_u32_e32 vcc, 21, v127
	s_waitcnt lgkmcnt(0)
	s_barrier
	s_and_saveexec_b64 s[2:3], vcc
	s_xor_b64 s[2:3], exec, s[2:3]
	s_andn2_saveexec_b64 s[2:3], s[2:3]
	s_cbranch_execz .LBB83_118
; %bb.115:
	s_waitcnt vmcnt(28)
	ds_write_b32 v129, v109
	s_waitcnt vmcnt(24)
	ds_write2_b64 v131, v[92:93], v[106:107] offset0:11 offset1:12
	s_waitcnt vmcnt(20)
	ds_write2_b64 v131, v[90:91], v[104:105] offset0:13 offset1:14
	;; [unrolled: 2-line block ×5, first 2 shown]
	ds_read_b32 v152, v129
	s_waitcnt lgkmcnt(0)
	v_cmp_neq_f32_e32 vcc, 0, v152
	s_and_saveexec_b64 s[4:5], vcc
	s_cbranch_execz .LBB83_117
; %bb.116:
	v_div_scale_f32 v153, s[10:11], v152, v152, 1.0
	v_rcp_f32_e32 v154, v153
	v_div_scale_f32 v155, vcc, 1.0, v152, 1.0
	v_fma_f32 v156, -v153, v154, 1.0
	v_fmac_f32_e32 v154, v156, v154
	v_mul_f32_e32 v156, v155, v154
	v_fma_f32 v157, -v153, v156, v155
	v_fmac_f32_e32 v156, v157, v154
	v_fma_f32 v153, -v153, v156, v155
	v_div_fmas_f32 v153, v153, v154, v156
	v_div_fixup_f32 v152, v153, v152, 1.0
	ds_write_b32 v129, v152
.LBB83_117:
	s_or_b64 exec, exec, s[4:5]
.LBB83_118:
	s_or_b64 exec, exec, s[2:3]
	s_waitcnt lgkmcnt(0)
	s_barrier
	ds_read_b32 v152, v129
	v_cmp_lt_u32_e32 vcc, 21, v127
	s_and_saveexec_b64 s[2:3], vcc
	s_cbranch_execz .LBB83_120
; %bb.119:
	ds_read2_b64 v[154:157], v131 offset0:11 offset1:12
	ds_read2_b64 v[158:161], v131 offset0:13 offset1:14
	s_waitcnt vmcnt(28) lgkmcnt(2)
	v_mul_f32_e32 v166, v152, v109
	ds_read2_b64 v[162:165], v131 offset0:15 offset1:16
	v_mov_b32_e32 v109, v166
	s_waitcnt vmcnt(26) lgkmcnt(2)
	v_pk_fma_f32 v[92:93], v[166:167], v[154:155], v[92:93] op_sel_hi:[0,1,1] neg_lo:[1,0,0] neg_hi:[1,0,0]
	s_waitcnt vmcnt(24)
	v_pk_fma_f32 v[106:107], v[166:167], v[156:157], v[106:107] op_sel_hi:[0,1,1] neg_lo:[1,0,0] neg_hi:[1,0,0]
	s_waitcnt vmcnt(22) lgkmcnt(1)
	v_pk_fma_f32 v[90:91], v[166:167], v[158:159], v[90:91] op_sel_hi:[0,1,1] neg_lo:[1,0,0] neg_hi:[1,0,0]
	ds_read2_b64 v[154:157], v131 offset0:17 offset1:18
	s_waitcnt vmcnt(20)
	v_pk_fma_f32 v[104:105], v[166:167], v[160:161], v[104:105] op_sel_hi:[0,1,1] neg_lo:[1,0,0] neg_hi:[1,0,0]
	ds_read2_b64 v[158:161], v131 offset0:19 offset1:20
	s_waitcnt vmcnt(18) lgkmcnt(2)
	v_pk_fma_f32 v[88:89], v[166:167], v[162:163], v[88:89] op_sel_hi:[0,1,1] neg_lo:[1,0,0] neg_hi:[1,0,0]
	s_waitcnt vmcnt(16)
	v_pk_fma_f32 v[102:103], v[166:167], v[164:165], v[102:103] op_sel_hi:[0,1,1] neg_lo:[1,0,0] neg_hi:[1,0,0]
	s_waitcnt vmcnt(14) lgkmcnt(1)
	v_pk_fma_f32 v[86:87], v[166:167], v[154:155], v[86:87] op_sel_hi:[0,1,1] neg_lo:[1,0,0] neg_hi:[1,0,0]
	s_waitcnt vmcnt(12)
	v_pk_fma_f32 v[100:101], v[166:167], v[156:157], v[100:101] op_sel_hi:[0,1,1] neg_lo:[1,0,0] neg_hi:[1,0,0]
	;; [unrolled: 4-line block ×3, first 2 shown]
.LBB83_120:
	s_or_b64 exec, exec, s[2:3]
	v_cmp_eq_u32_e32 vcc, 22, v127
	s_waitcnt lgkmcnt(0)
	s_barrier
	s_and_saveexec_b64 s[2:3], vcc
	s_cbranch_execz .LBB83_123
; %bb.121:
	s_waitcnt vmcnt(24)
	v_pk_mov_b32 v[154:155], v[92:93], v[106:107] op_sel:[1,0]
	ds_write_b32 v129, v92
	ds_write2_b32 v131, v154, v155 offset0:23 offset1:24
	s_waitcnt vmcnt(22)
	v_pk_mov_b32 v[154:155], v[106:107], v[90:91] op_sel:[1,0]
	ds_write2_b32 v131, v154, v155 offset0:25 offset1:26
	s_waitcnt vmcnt(20)
	v_pk_mov_b32 v[154:155], v[90:91], v[104:105] op_sel:[1,0]
	;; [unrolled: 3-line block ×8, first 2 shown]
	ds_write2_b32 v131, v154, v155 offset0:39 offset1:40
	ds_write_b32 v131, v117 offset:164
	ds_read_b32 v153, v129
	s_waitcnt lgkmcnt(0)
	v_cmp_neq_f32_e32 vcc, 0, v153
	s_and_b64 exec, exec, vcc
	s_cbranch_execz .LBB83_123
; %bb.122:
	v_div_scale_f32 v154, s[4:5], v153, v153, 1.0
	v_rcp_f32_e32 v155, v154
	v_div_scale_f32 v156, vcc, 1.0, v153, 1.0
	v_fma_f32 v157, -v154, v155, 1.0
	v_fmac_f32_e32 v155, v157, v155
	v_mul_f32_e32 v157, v156, v155
	v_fma_f32 v158, -v154, v157, v156
	v_fmac_f32_e32 v157, v158, v155
	v_fma_f32 v154, -v154, v157, v156
	v_div_fmas_f32 v154, v154, v155, v157
	v_div_fixup_f32 v153, v154, v153, 1.0
	ds_write_b32 v129, v153
.LBB83_123:
	s_or_b64 exec, exec, s[2:3]
	s_waitcnt lgkmcnt(0)
	s_barrier
	ds_read_b32 v153, v129
	v_cmp_lt_u32_e32 vcc, 22, v127
	s_and_saveexec_b64 s[2:3], vcc
	s_cbranch_execz .LBB83_125
; %bb.124:
	ds_read_b32 v162, v131 offset:92
	ds_read2_b64 v[154:157], v131 offset0:12 offset1:13
	ds_read2_b64 v[158:161], v131 offset0:14 offset1:15
	s_waitcnt vmcnt(27) lgkmcnt(3)
	v_mul_f32_e32 v92, v153, v92
	s_waitcnt vmcnt(26) lgkmcnt(2)
	v_fma_f32 v93, -v92, v162, v93
	s_waitcnt vmcnt(24) lgkmcnt(1)
	v_pk_fma_f32 v[106:107], v[92:93], v[154:155], v[106:107] op_sel_hi:[0,1,1] neg_lo:[1,0,0] neg_hi:[1,0,0]
	s_waitcnt vmcnt(22)
	v_pk_fma_f32 v[90:91], v[92:93], v[156:157], v[90:91] op_sel_hi:[0,1,1] neg_lo:[1,0,0] neg_hi:[1,0,0]
	ds_read2_b64 v[154:157], v131 offset0:16 offset1:17
	s_waitcnt vmcnt(20) lgkmcnt(1)
	v_pk_fma_f32 v[104:105], v[92:93], v[158:159], v[104:105] op_sel_hi:[0,1,1] neg_lo:[1,0,0] neg_hi:[1,0,0]
	ds_read2_b64 v[162:165], v131 offset0:18 offset1:19
	ds_read_b64 v[158:159], v131 offset:160
	s_waitcnt vmcnt(18)
	v_pk_fma_f32 v[88:89], v[92:93], v[160:161], v[88:89] op_sel_hi:[0,1,1] neg_lo:[1,0,0] neg_hi:[1,0,0]
	s_waitcnt vmcnt(16) lgkmcnt(2)
	v_pk_fma_f32 v[102:103], v[92:93], v[154:155], v[102:103] op_sel_hi:[0,1,1] neg_lo:[1,0,0] neg_hi:[1,0,0]
	s_waitcnt vmcnt(14)
	v_pk_fma_f32 v[86:87], v[92:93], v[156:157], v[86:87] op_sel_hi:[0,1,1] neg_lo:[1,0,0] neg_hi:[1,0,0]
	s_waitcnt vmcnt(12) lgkmcnt(1)
	v_pk_fma_f32 v[100:101], v[92:93], v[162:163], v[100:101] op_sel_hi:[0,1,1] neg_lo:[1,0,0] neg_hi:[1,0,0]
	;; [unrolled: 4-line block ×3, first 2 shown]
.LBB83_125:
	s_or_b64 exec, exec, s[2:3]
	v_cmp_ne_u32_e32 vcc, 23, v127
	s_waitcnt lgkmcnt(0)
	s_barrier
	s_and_saveexec_b64 s[2:3], vcc
	s_xor_b64 s[2:3], exec, s[2:3]
	s_andn2_saveexec_b64 s[2:3], s[2:3]
	s_cbranch_execz .LBB83_129
; %bb.126:
	s_waitcnt vmcnt(25)
	v_mov_b32_e32 v154, v106
	s_waitcnt vmcnt(24)
	v_mov_b32_e32 v155, v107
	s_waitcnt vmcnt(23)
	v_mov_b32_e32 v156, v90
	s_waitcnt vmcnt(22)
	v_mov_b32_e32 v157, v91
	ds_write_b32 v129, v93
	ds_write2_b64 v131, v[154:155], v[156:157] offset0:12 offset1:13
	s_waitcnt vmcnt(21)
	v_mov_b32_e32 v154, v104
	s_waitcnt vmcnt(20)
	v_mov_b32_e32 v155, v105
	s_waitcnt vmcnt(19)
	v_mov_b32_e32 v156, v88
	s_waitcnt vmcnt(18)
	v_mov_b32_e32 v157, v89
	ds_write2_b64 v131, v[154:155], v[156:157] offset0:14 offset1:15
	s_waitcnt vmcnt(17)
	v_mov_b32_e32 v154, v102
	s_waitcnt vmcnt(16)
	v_mov_b32_e32 v155, v103
	s_waitcnt vmcnt(15)
	v_mov_b32_e32 v156, v86
	s_waitcnt vmcnt(14)
	v_mov_b32_e32 v157, v87
	;; [unrolled: 9-line block ×3, first 2 shown]
	ds_write2_b64 v131, v[154:155], v[156:157] offset0:18 offset1:19
	s_waitcnt vmcnt(8)
	ds_write_b64 v131, v[116:117] offset:160
	ds_read_b32 v154, v129
	s_waitcnt lgkmcnt(0)
	v_cmp_neq_f32_e32 vcc, 0, v154
	s_and_saveexec_b64 s[4:5], vcc
	s_cbranch_execz .LBB83_128
; %bb.127:
	v_div_scale_f32 v155, s[10:11], v154, v154, 1.0
	v_rcp_f32_e32 v156, v155
	v_div_scale_f32 v157, vcc, 1.0, v154, 1.0
	v_fma_f32 v158, -v155, v156, 1.0
	v_fmac_f32_e32 v156, v158, v156
	v_mul_f32_e32 v158, v157, v156
	v_fma_f32 v159, -v155, v158, v157
	v_fmac_f32_e32 v158, v159, v156
	v_fma_f32 v155, -v155, v158, v157
	v_div_fmas_f32 v155, v155, v156, v158
	v_div_fixup_f32 v154, v155, v154, 1.0
	ds_write_b32 v129, v154
.LBB83_128:
	s_or_b64 exec, exec, s[4:5]
.LBB83_129:
	s_or_b64 exec, exec, s[2:3]
	s_waitcnt lgkmcnt(0)
	s_barrier
	ds_read_b32 v154, v129
	v_cmp_lt_u32_e32 vcc, 23, v127
	s_and_saveexec_b64 s[2:3], vcc
	s_cbranch_execz .LBB83_131
; %bb.130:
	ds_read2_b64 v[156:159], v131 offset0:12 offset1:13
	ds_read2_b64 v[160:163], v131 offset0:14 offset1:15
	s_waitcnt vmcnt(26) lgkmcnt(2)
	v_mul_f32_e32 v168, v154, v93
	ds_read2_b64 v[164:167], v131 offset0:16 offset1:17
	v_mov_b32_e32 v93, v168
	s_waitcnt vmcnt(24) lgkmcnt(2)
	v_pk_fma_f32 v[106:107], v[168:169], v[156:157], v[106:107] op_sel_hi:[0,1,1] neg_lo:[1,0,0] neg_hi:[1,0,0]
	s_waitcnt vmcnt(22)
	v_pk_fma_f32 v[90:91], v[168:169], v[158:159], v[90:91] op_sel_hi:[0,1,1] neg_lo:[1,0,0] neg_hi:[1,0,0]
	s_waitcnt vmcnt(20) lgkmcnt(1)
	v_pk_fma_f32 v[104:105], v[168:169], v[160:161], v[104:105] op_sel_hi:[0,1,1] neg_lo:[1,0,0] neg_hi:[1,0,0]
	ds_read2_b64 v[156:159], v131 offset0:18 offset1:19
	ds_read_b64 v[160:161], v131 offset:160
	s_waitcnt vmcnt(18)
	v_pk_fma_f32 v[88:89], v[168:169], v[162:163], v[88:89] op_sel_hi:[0,1,1] neg_lo:[1,0,0] neg_hi:[1,0,0]
	s_waitcnt vmcnt(16) lgkmcnt(2)
	v_pk_fma_f32 v[102:103], v[168:169], v[164:165], v[102:103] op_sel_hi:[0,1,1] neg_lo:[1,0,0] neg_hi:[1,0,0]
	s_waitcnt vmcnt(14)
	v_pk_fma_f32 v[86:87], v[168:169], v[166:167], v[86:87] op_sel_hi:[0,1,1] neg_lo:[1,0,0] neg_hi:[1,0,0]
	s_waitcnt vmcnt(12) lgkmcnt(1)
	v_pk_fma_f32 v[100:101], v[168:169], v[156:157], v[100:101] op_sel_hi:[0,1,1] neg_lo:[1,0,0] neg_hi:[1,0,0]
	;; [unrolled: 4-line block ×3, first 2 shown]
.LBB83_131:
	s_or_b64 exec, exec, s[2:3]
	v_cmp_eq_u32_e32 vcc, 24, v127
	s_waitcnt lgkmcnt(0)
	s_barrier
	s_and_saveexec_b64 s[2:3], vcc
	s_cbranch_execz .LBB83_134
; %bb.132:
	s_waitcnt vmcnt(22)
	v_pk_mov_b32 v[156:157], v[106:107], v[90:91] op_sel:[1,0]
	ds_write_b32 v129, v106
	ds_write2_b32 v131, v156, v157 offset0:25 offset1:26
	s_waitcnt vmcnt(20)
	v_pk_mov_b32 v[156:157], v[90:91], v[104:105] op_sel:[1,0]
	ds_write2_b32 v131, v156, v157 offset0:27 offset1:28
	s_waitcnt vmcnt(18)
	v_pk_mov_b32 v[156:157], v[104:105], v[88:89] op_sel:[1,0]
	;; [unrolled: 3-line block ×7, first 2 shown]
	ds_write2_b32 v131, v156, v157 offset0:39 offset1:40
	ds_write_b32 v131, v117 offset:164
	ds_read_b32 v155, v129
	s_waitcnt lgkmcnt(0)
	v_cmp_neq_f32_e32 vcc, 0, v155
	s_and_b64 exec, exec, vcc
	s_cbranch_execz .LBB83_134
; %bb.133:
	v_div_scale_f32 v156, s[4:5], v155, v155, 1.0
	v_rcp_f32_e32 v157, v156
	v_div_scale_f32 v158, vcc, 1.0, v155, 1.0
	v_fma_f32 v159, -v156, v157, 1.0
	v_fmac_f32_e32 v157, v159, v157
	v_mul_f32_e32 v159, v158, v157
	v_fma_f32 v160, -v156, v159, v158
	v_fmac_f32_e32 v159, v160, v157
	v_fma_f32 v156, -v156, v159, v158
	v_div_fmas_f32 v156, v156, v157, v159
	v_div_fixup_f32 v155, v156, v155, 1.0
	ds_write_b32 v129, v155
.LBB83_134:
	s_or_b64 exec, exec, s[2:3]
	s_waitcnt lgkmcnt(0)
	s_barrier
	ds_read_b32 v155, v129
	v_cmp_lt_u32_e32 vcc, 24, v127
	s_and_saveexec_b64 s[2:3], vcc
	s_cbranch_execz .LBB83_136
; %bb.135:
	ds_read_b32 v156, v131 offset:100
	s_waitcnt vmcnt(25) lgkmcnt(1)
	v_mul_f32_e32 v106, v155, v106
	s_waitcnt vmcnt(24) lgkmcnt(0)
	v_fma_f32 v107, -v106, v156, v107
	ds_read2_b64 v[156:159], v131 offset0:13 offset1:14
	s_waitcnt vmcnt(22) lgkmcnt(0)
	v_pk_fma_f32 v[90:91], v[106:107], v[156:157], v[90:91] op_sel_hi:[0,1,1] neg_lo:[1,0,0] neg_hi:[1,0,0]
	s_waitcnt vmcnt(20)
	v_pk_fma_f32 v[104:105], v[106:107], v[158:159], v[104:105] op_sel_hi:[0,1,1] neg_lo:[1,0,0] neg_hi:[1,0,0]
	ds_read2_b64 v[156:159], v131 offset0:15 offset1:16
	s_waitcnt vmcnt(18) lgkmcnt(0)
	v_pk_fma_f32 v[88:89], v[106:107], v[156:157], v[88:89] op_sel_hi:[0,1,1] neg_lo:[1,0,0] neg_hi:[1,0,0]
	s_waitcnt vmcnt(16)
	v_pk_fma_f32 v[102:103], v[106:107], v[158:159], v[102:103] op_sel_hi:[0,1,1] neg_lo:[1,0,0] neg_hi:[1,0,0]
	;; [unrolled: 5-line block ×4, first 2 shown]
.LBB83_136:
	s_or_b64 exec, exec, s[2:3]
	v_cmp_ne_u32_e32 vcc, 25, v127
	s_waitcnt lgkmcnt(0)
	s_barrier
	s_and_saveexec_b64 s[2:3], vcc
	s_xor_b64 s[2:3], exec, s[2:3]
	s_andn2_saveexec_b64 s[2:3], s[2:3]
	s_cbranch_execz .LBB83_140
; %bb.137:
	s_waitcnt vmcnt(24)
	ds_write_b32 v129, v107
	s_waitcnt vmcnt(20)
	ds_write2_b64 v131, v[90:91], v[104:105] offset0:13 offset1:14
	s_waitcnt vmcnt(16)
	ds_write2_b64 v131, v[88:89], v[102:103] offset0:15 offset1:16
	;; [unrolled: 2-line block ×4, first 2 shown]
	ds_read_b32 v156, v129
	s_waitcnt lgkmcnt(0)
	v_cmp_neq_f32_e32 vcc, 0, v156
	s_and_saveexec_b64 s[4:5], vcc
	s_cbranch_execz .LBB83_139
; %bb.138:
	v_div_scale_f32 v157, s[10:11], v156, v156, 1.0
	v_rcp_f32_e32 v158, v157
	v_div_scale_f32 v159, vcc, 1.0, v156, 1.0
	v_fma_f32 v160, -v157, v158, 1.0
	v_fmac_f32_e32 v158, v160, v158
	v_mul_f32_e32 v160, v159, v158
	v_fma_f32 v161, -v157, v160, v159
	v_fmac_f32_e32 v160, v161, v158
	v_fma_f32 v157, -v157, v160, v159
	v_div_fmas_f32 v157, v157, v158, v160
	v_div_fixup_f32 v156, v157, v156, 1.0
	ds_write_b32 v129, v156
.LBB83_139:
	s_or_b64 exec, exec, s[4:5]
.LBB83_140:
	s_or_b64 exec, exec, s[2:3]
	s_waitcnt lgkmcnt(0)
	s_barrier
	ds_read_b32 v156, v129
	v_cmp_lt_u32_e32 vcc, 25, v127
	s_and_saveexec_b64 s[2:3], vcc
	s_cbranch_execz .LBB83_142
; %bb.141:
	ds_read2_b64 v[158:161], v131 offset0:13 offset1:14
	s_waitcnt vmcnt(24) lgkmcnt(1)
	v_mul_f32_e32 v162, v156, v107
	v_mov_b32_e32 v107, v162
	s_waitcnt vmcnt(22) lgkmcnt(0)
	v_pk_fma_f32 v[90:91], v[162:163], v[158:159], v[90:91] op_sel_hi:[0,1,1] neg_lo:[1,0,0] neg_hi:[1,0,0]
	s_waitcnt vmcnt(20)
	v_pk_fma_f32 v[104:105], v[162:163], v[160:161], v[104:105] op_sel_hi:[0,1,1] neg_lo:[1,0,0] neg_hi:[1,0,0]
	ds_read2_b64 v[158:161], v131 offset0:15 offset1:16
	s_waitcnt vmcnt(18) lgkmcnt(0)
	v_pk_fma_f32 v[88:89], v[162:163], v[158:159], v[88:89] op_sel_hi:[0,1,1] neg_lo:[1,0,0] neg_hi:[1,0,0]
	s_waitcnt vmcnt(16)
	v_pk_fma_f32 v[102:103], v[162:163], v[160:161], v[102:103] op_sel_hi:[0,1,1] neg_lo:[1,0,0] neg_hi:[1,0,0]
	ds_read2_b64 v[158:161], v131 offset0:17 offset1:18
	;; [unrolled: 5-line block ×3, first 2 shown]
	s_waitcnt vmcnt(10) lgkmcnt(0)
	v_pk_fma_f32 v[84:85], v[162:163], v[158:159], v[84:85] op_sel_hi:[0,1,1] neg_lo:[1,0,0] neg_hi:[1,0,0]
	s_waitcnt vmcnt(8)
	v_pk_fma_f32 v[116:117], v[162:163], v[160:161], v[116:117] op_sel_hi:[0,1,1] neg_lo:[1,0,0] neg_hi:[1,0,0]
.LBB83_142:
	s_or_b64 exec, exec, s[2:3]
	v_cmp_eq_u32_e32 vcc, 26, v127
	s_waitcnt lgkmcnt(0)
	s_barrier
	s_and_saveexec_b64 s[2:3], vcc
	s_cbranch_execz .LBB83_145
; %bb.143:
	s_waitcnt vmcnt(20)
	v_pk_mov_b32 v[158:159], v[90:91], v[104:105] op_sel:[1,0]
	ds_write_b32 v129, v90
	ds_write2_b32 v131, v158, v159 offset0:27 offset1:28
	s_waitcnt vmcnt(18)
	v_pk_mov_b32 v[158:159], v[104:105], v[88:89] op_sel:[1,0]
	ds_write2_b32 v131, v158, v159 offset0:29 offset1:30
	s_waitcnt vmcnt(16)
	v_pk_mov_b32 v[158:159], v[88:89], v[102:103] op_sel:[1,0]
	;; [unrolled: 3-line block ×6, first 2 shown]
	ds_write2_b32 v131, v158, v159 offset0:39 offset1:40
	ds_write_b32 v131, v117 offset:164
	ds_read_b32 v157, v129
	s_waitcnt lgkmcnt(0)
	v_cmp_neq_f32_e32 vcc, 0, v157
	s_and_b64 exec, exec, vcc
	s_cbranch_execz .LBB83_145
; %bb.144:
	v_div_scale_f32 v158, s[4:5], v157, v157, 1.0
	v_rcp_f32_e32 v159, v158
	v_div_scale_f32 v160, vcc, 1.0, v157, 1.0
	v_fma_f32 v161, -v158, v159, 1.0
	v_fmac_f32_e32 v159, v161, v159
	v_mul_f32_e32 v161, v160, v159
	v_fma_f32 v162, -v158, v161, v160
	v_fmac_f32_e32 v161, v162, v159
	v_fma_f32 v158, -v158, v161, v160
	v_div_fmas_f32 v158, v158, v159, v161
	v_div_fixup_f32 v157, v158, v157, 1.0
	ds_write_b32 v129, v157
.LBB83_145:
	s_or_b64 exec, exec, s[2:3]
	s_waitcnt lgkmcnt(0)
	s_barrier
	ds_read_b32 v157, v129
	v_cmp_lt_u32_e32 vcc, 26, v127
	s_and_saveexec_b64 s[2:3], vcc
	s_cbranch_execz .LBB83_147
; %bb.146:
	ds_read_b32 v158, v131 offset:108
	ds_read_b64 v[162:163], v131 offset:160
	s_waitcnt vmcnt(23) lgkmcnt(2)
	v_mul_f32_e32 v90, v157, v90
	s_waitcnt vmcnt(22) lgkmcnt(1)
	v_fma_f32 v91, -v90, v158, v91
	ds_read2_b64 v[158:161], v131 offset0:14 offset1:15
	s_waitcnt vmcnt(8) lgkmcnt(1)
	v_pk_fma_f32 v[116:117], v[90:91], v[162:163], v[116:117] op_sel_hi:[0,1,1] neg_lo:[1,0,0] neg_hi:[1,0,0]
	s_waitcnt lgkmcnt(0)
	v_pk_fma_f32 v[104:105], v[90:91], v[158:159], v[104:105] op_sel_hi:[0,1,1] neg_lo:[1,0,0] neg_hi:[1,0,0]
	v_pk_fma_f32 v[88:89], v[90:91], v[160:161], v[88:89] op_sel_hi:[0,1,1] neg_lo:[1,0,0] neg_hi:[1,0,0]
	ds_read2_b64 v[158:161], v131 offset0:16 offset1:17
	s_waitcnt lgkmcnt(0)
	v_pk_fma_f32 v[102:103], v[90:91], v[158:159], v[102:103] op_sel_hi:[0,1,1] neg_lo:[1,0,0] neg_hi:[1,0,0]
	v_pk_fma_f32 v[86:87], v[90:91], v[160:161], v[86:87] op_sel_hi:[0,1,1] neg_lo:[1,0,0] neg_hi:[1,0,0]
	ds_read2_b64 v[158:161], v131 offset0:18 offset1:19
	s_waitcnt lgkmcnt(0)
	v_pk_fma_f32 v[100:101], v[90:91], v[158:159], v[100:101] op_sel_hi:[0,1,1] neg_lo:[1,0,0] neg_hi:[1,0,0]
	v_pk_fma_f32 v[84:85], v[90:91], v[160:161], v[84:85] op_sel_hi:[0,1,1] neg_lo:[1,0,0] neg_hi:[1,0,0]
.LBB83_147:
	s_or_b64 exec, exec, s[2:3]
	v_cmp_ne_u32_e32 vcc, 27, v127
	s_waitcnt lgkmcnt(0)
	s_barrier
	s_and_saveexec_b64 s[2:3], vcc
	s_xor_b64 s[2:3], exec, s[2:3]
	s_andn2_saveexec_b64 s[2:3], s[2:3]
	s_cbranch_execz .LBB83_151
; %bb.148:
	s_waitcnt vmcnt(21)
	v_mov_b32_e32 v158, v104
	s_waitcnt vmcnt(20)
	v_mov_b32_e32 v159, v105
	;; [unrolled: 2-line block ×4, first 2 shown]
	ds_write_b32 v129, v91
	ds_write2_b64 v131, v[158:159], v[160:161] offset0:14 offset1:15
	s_waitcnt vmcnt(17)
	v_mov_b32_e32 v158, v102
	s_waitcnt vmcnt(16)
	v_mov_b32_e32 v159, v103
	s_waitcnt vmcnt(15)
	v_mov_b32_e32 v160, v86
	s_waitcnt vmcnt(14)
	v_mov_b32_e32 v161, v87
	ds_write2_b64 v131, v[158:159], v[160:161] offset0:16 offset1:17
	s_waitcnt vmcnt(13)
	v_mov_b32_e32 v158, v100
	s_waitcnt vmcnt(12)
	v_mov_b32_e32 v159, v101
	;; [unrolled: 2-line block ×4, first 2 shown]
	ds_write2_b64 v131, v[158:159], v[160:161] offset0:18 offset1:19
	s_waitcnt vmcnt(8)
	ds_write_b64 v131, v[116:117] offset:160
	ds_read_b32 v158, v129
	s_waitcnt lgkmcnt(0)
	v_cmp_neq_f32_e32 vcc, 0, v158
	s_and_saveexec_b64 s[4:5], vcc
	s_cbranch_execz .LBB83_150
; %bb.149:
	v_div_scale_f32 v159, s[10:11], v158, v158, 1.0
	v_rcp_f32_e32 v160, v159
	v_div_scale_f32 v161, vcc, 1.0, v158, 1.0
	v_fma_f32 v162, -v159, v160, 1.0
	v_fmac_f32_e32 v160, v162, v160
	v_mul_f32_e32 v162, v161, v160
	v_fma_f32 v163, -v159, v162, v161
	v_fmac_f32_e32 v162, v163, v160
	v_fma_f32 v159, -v159, v162, v161
	v_div_fmas_f32 v159, v159, v160, v162
	v_div_fixup_f32 v158, v159, v158, 1.0
	ds_write_b32 v129, v158
.LBB83_150:
	s_or_b64 exec, exec, s[4:5]
.LBB83_151:
	s_or_b64 exec, exec, s[2:3]
	s_waitcnt lgkmcnt(0)
	s_barrier
	ds_read_b32 v158, v129
	v_cmp_lt_u32_e32 vcc, 27, v127
	s_and_saveexec_b64 s[2:3], vcc
	s_cbranch_execz .LBB83_153
; %bb.152:
	ds_read2_b64 v[160:163], v131 offset0:14 offset1:15
	s_waitcnt vmcnt(22) lgkmcnt(1)
	v_mul_f32_e32 v164, v158, v91
	v_mov_b32_e32 v91, v164
	s_waitcnt vmcnt(20) lgkmcnt(0)
	v_pk_fma_f32 v[104:105], v[164:165], v[160:161], v[104:105] op_sel_hi:[0,1,1] neg_lo:[1,0,0] neg_hi:[1,0,0]
	s_waitcnt vmcnt(18)
	v_pk_fma_f32 v[88:89], v[164:165], v[162:163], v[88:89] op_sel_hi:[0,1,1] neg_lo:[1,0,0] neg_hi:[1,0,0]
	ds_read2_b64 v[160:163], v131 offset0:16 offset1:17
	s_waitcnt vmcnt(16) lgkmcnt(0)
	v_pk_fma_f32 v[102:103], v[164:165], v[160:161], v[102:103] op_sel_hi:[0,1,1] neg_lo:[1,0,0] neg_hi:[1,0,0]
	s_waitcnt vmcnt(14)
	v_pk_fma_f32 v[86:87], v[164:165], v[162:163], v[86:87] op_sel_hi:[0,1,1] neg_lo:[1,0,0] neg_hi:[1,0,0]
	ds_read2_b64 v[160:163], v131 offset0:18 offset1:19
	s_waitcnt vmcnt(12) lgkmcnt(0)
	v_pk_fma_f32 v[100:101], v[164:165], v[160:161], v[100:101] op_sel_hi:[0,1,1] neg_lo:[1,0,0] neg_hi:[1,0,0]
	ds_read_b64 v[160:161], v131 offset:160
	s_waitcnt vmcnt(10)
	v_pk_fma_f32 v[84:85], v[164:165], v[162:163], v[84:85] op_sel_hi:[0,1,1] neg_lo:[1,0,0] neg_hi:[1,0,0]
	s_waitcnt vmcnt(8) lgkmcnt(0)
	v_pk_fma_f32 v[116:117], v[164:165], v[160:161], v[116:117] op_sel_hi:[0,1,1] neg_lo:[1,0,0] neg_hi:[1,0,0]
.LBB83_153:
	s_or_b64 exec, exec, s[2:3]
	v_cmp_eq_u32_e32 vcc, 28, v127
	s_waitcnt lgkmcnt(0)
	s_barrier
	s_and_saveexec_b64 s[2:3], vcc
	s_cbranch_execz .LBB83_156
; %bb.154:
	s_waitcnt vmcnt(18)
	v_pk_mov_b32 v[160:161], v[104:105], v[88:89] op_sel:[1,0]
	ds_write_b32 v129, v104
	ds_write2_b32 v131, v160, v161 offset0:29 offset1:30
	s_waitcnt vmcnt(16)
	v_pk_mov_b32 v[160:161], v[88:89], v[102:103] op_sel:[1,0]
	ds_write2_b32 v131, v160, v161 offset0:31 offset1:32
	s_waitcnt vmcnt(14)
	v_pk_mov_b32 v[160:161], v[102:103], v[86:87] op_sel:[1,0]
	;; [unrolled: 3-line block ×5, first 2 shown]
	ds_write2_b32 v131, v160, v161 offset0:39 offset1:40
	ds_write_b32 v131, v117 offset:164
	ds_read_b32 v159, v129
	s_waitcnt lgkmcnt(0)
	v_cmp_neq_f32_e32 vcc, 0, v159
	s_and_b64 exec, exec, vcc
	s_cbranch_execz .LBB83_156
; %bb.155:
	v_div_scale_f32 v160, s[4:5], v159, v159, 1.0
	v_rcp_f32_e32 v161, v160
	v_div_scale_f32 v162, vcc, 1.0, v159, 1.0
	v_fma_f32 v163, -v160, v161, 1.0
	v_fmac_f32_e32 v161, v163, v161
	v_mul_f32_e32 v163, v162, v161
	v_fma_f32 v164, -v160, v163, v162
	v_fmac_f32_e32 v163, v164, v161
	v_fma_f32 v160, -v160, v163, v162
	v_div_fmas_f32 v160, v160, v161, v163
	v_div_fixup_f32 v159, v160, v159, 1.0
	ds_write_b32 v129, v159
.LBB83_156:
	s_or_b64 exec, exec, s[2:3]
	s_waitcnt lgkmcnt(0)
	s_barrier
	ds_read_b32 v159, v129
	v_cmp_lt_u32_e32 vcc, 28, v127
	s_and_saveexec_b64 s[2:3], vcc
	s_cbranch_execz .LBB83_158
; %bb.157:
	ds_read_b32 v160, v131 offset:116
	s_waitcnt vmcnt(21) lgkmcnt(1)
	v_mul_f32_e32 v104, v159, v104
	s_waitcnt vmcnt(20) lgkmcnt(0)
	v_fma_f32 v105, -v104, v160, v105
	ds_read2_b64 v[160:163], v131 offset0:15 offset1:16
	s_waitcnt vmcnt(18) lgkmcnt(0)
	v_pk_fma_f32 v[88:89], v[104:105], v[160:161], v[88:89] op_sel_hi:[0,1,1] neg_lo:[1,0,0] neg_hi:[1,0,0]
	s_waitcnt vmcnt(16)
	v_pk_fma_f32 v[102:103], v[104:105], v[162:163], v[102:103] op_sel_hi:[0,1,1] neg_lo:[1,0,0] neg_hi:[1,0,0]
	ds_read2_b64 v[160:163], v131 offset0:17 offset1:18
	s_waitcnt vmcnt(14) lgkmcnt(0)
	v_pk_fma_f32 v[86:87], v[104:105], v[160:161], v[86:87] op_sel_hi:[0,1,1] neg_lo:[1,0,0] neg_hi:[1,0,0]
	s_waitcnt vmcnt(12)
	v_pk_fma_f32 v[100:101], v[104:105], v[162:163], v[100:101] op_sel_hi:[0,1,1] neg_lo:[1,0,0] neg_hi:[1,0,0]
	;; [unrolled: 5-line block ×3, first 2 shown]
.LBB83_158:
	s_or_b64 exec, exec, s[2:3]
	v_cmp_ne_u32_e32 vcc, 29, v127
	s_waitcnt lgkmcnt(0)
	s_barrier
	s_and_saveexec_b64 s[2:3], vcc
	s_xor_b64 s[2:3], exec, s[2:3]
	s_andn2_saveexec_b64 s[2:3], s[2:3]
	s_cbranch_execz .LBB83_162
; %bb.159:
	s_waitcnt vmcnt(20)
	ds_write_b32 v129, v105
	s_waitcnt vmcnt(16)
	ds_write2_b64 v131, v[88:89], v[102:103] offset0:15 offset1:16
	s_waitcnt vmcnt(12)
	ds_write2_b64 v131, v[86:87], v[100:101] offset0:17 offset1:18
	;; [unrolled: 2-line block ×3, first 2 shown]
	ds_read_b32 v160, v129
	s_waitcnt lgkmcnt(0)
	v_cmp_neq_f32_e32 vcc, 0, v160
	s_and_saveexec_b64 s[4:5], vcc
	s_cbranch_execz .LBB83_161
; %bb.160:
	v_div_scale_f32 v161, s[10:11], v160, v160, 1.0
	v_rcp_f32_e32 v162, v161
	v_div_scale_f32 v163, vcc, 1.0, v160, 1.0
	v_fma_f32 v164, -v161, v162, 1.0
	v_fmac_f32_e32 v162, v164, v162
	v_mul_f32_e32 v164, v163, v162
	v_fma_f32 v165, -v161, v164, v163
	v_fmac_f32_e32 v164, v165, v162
	v_fma_f32 v161, -v161, v164, v163
	v_div_fmas_f32 v161, v161, v162, v164
	v_div_fixup_f32 v160, v161, v160, 1.0
	ds_write_b32 v129, v160
.LBB83_161:
	s_or_b64 exec, exec, s[4:5]
.LBB83_162:
	s_or_b64 exec, exec, s[2:3]
	s_waitcnt lgkmcnt(0)
	s_barrier
	ds_read_b32 v160, v129
	v_cmp_lt_u32_e32 vcc, 29, v127
	s_and_saveexec_b64 s[2:3], vcc
	s_cbranch_execz .LBB83_164
; %bb.163:
	ds_read2_b64 v[162:165], v131 offset0:15 offset1:16
	s_waitcnt vmcnt(20) lgkmcnt(1)
	v_mul_f32_e32 v166, v160, v105
	v_mov_b32_e32 v105, v166
	s_waitcnt vmcnt(18) lgkmcnt(0)
	v_pk_fma_f32 v[88:89], v[166:167], v[162:163], v[88:89] op_sel_hi:[0,1,1] neg_lo:[1,0,0] neg_hi:[1,0,0]
	s_waitcnt vmcnt(16)
	v_pk_fma_f32 v[102:103], v[166:167], v[164:165], v[102:103] op_sel_hi:[0,1,1] neg_lo:[1,0,0] neg_hi:[1,0,0]
	ds_read2_b64 v[162:165], v131 offset0:17 offset1:18
	s_waitcnt vmcnt(14) lgkmcnt(0)
	v_pk_fma_f32 v[86:87], v[166:167], v[162:163], v[86:87] op_sel_hi:[0,1,1] neg_lo:[1,0,0] neg_hi:[1,0,0]
	s_waitcnt vmcnt(12)
	v_pk_fma_f32 v[100:101], v[166:167], v[164:165], v[100:101] op_sel_hi:[0,1,1] neg_lo:[1,0,0] neg_hi:[1,0,0]
	ds_read2_b64 v[162:165], v131 offset0:19 offset1:20
	s_waitcnt vmcnt(10) lgkmcnt(0)
	v_pk_fma_f32 v[84:85], v[166:167], v[162:163], v[84:85] op_sel_hi:[0,1,1] neg_lo:[1,0,0] neg_hi:[1,0,0]
	s_waitcnt vmcnt(8)
	v_pk_fma_f32 v[116:117], v[166:167], v[164:165], v[116:117] op_sel_hi:[0,1,1] neg_lo:[1,0,0] neg_hi:[1,0,0]
.LBB83_164:
	s_or_b64 exec, exec, s[2:3]
	v_cmp_eq_u32_e32 vcc, 30, v127
	s_waitcnt lgkmcnt(0)
	s_barrier
	s_and_saveexec_b64 s[2:3], vcc
	s_cbranch_execz .LBB83_167
; %bb.165:
	s_waitcnt vmcnt(16)
	v_pk_mov_b32 v[162:163], v[88:89], v[102:103] op_sel:[1,0]
	ds_write_b32 v129, v88
	ds_write2_b32 v131, v162, v163 offset0:31 offset1:32
	s_waitcnt vmcnt(14)
	v_pk_mov_b32 v[162:163], v[102:103], v[86:87] op_sel:[1,0]
	ds_write2_b32 v131, v162, v163 offset0:33 offset1:34
	s_waitcnt vmcnt(12)
	v_pk_mov_b32 v[162:163], v[86:87], v[100:101] op_sel:[1,0]
	;; [unrolled: 3-line block ×4, first 2 shown]
	ds_write2_b32 v131, v162, v163 offset0:39 offset1:40
	ds_write_b32 v131, v117 offset:164
	ds_read_b32 v161, v129
	s_waitcnt lgkmcnt(0)
	v_cmp_neq_f32_e32 vcc, 0, v161
	s_and_b64 exec, exec, vcc
	s_cbranch_execz .LBB83_167
; %bb.166:
	v_div_scale_f32 v162, s[4:5], v161, v161, 1.0
	v_rcp_f32_e32 v163, v162
	v_div_scale_f32 v164, vcc, 1.0, v161, 1.0
	v_fma_f32 v165, -v162, v163, 1.0
	v_fmac_f32_e32 v163, v165, v163
	v_mul_f32_e32 v165, v164, v163
	v_fma_f32 v166, -v162, v165, v164
	v_fmac_f32_e32 v165, v166, v163
	v_fma_f32 v162, -v162, v165, v164
	v_div_fmas_f32 v162, v162, v163, v165
	v_div_fixup_f32 v161, v162, v161, 1.0
	ds_write_b32 v129, v161
.LBB83_167:
	s_or_b64 exec, exec, s[2:3]
	s_waitcnt lgkmcnt(0)
	s_barrier
	ds_read_b32 v161, v129
	v_cmp_lt_u32_e32 vcc, 30, v127
	s_and_saveexec_b64 s[2:3], vcc
	s_cbranch_execz .LBB83_169
; %bb.168:
	ds_read_b32 v162, v131 offset:124
	ds_read_b64 v[166:167], v131 offset:160
	s_waitcnt vmcnt(19) lgkmcnt(2)
	v_mul_f32_e32 v88, v161, v88
	s_waitcnt vmcnt(18) lgkmcnt(1)
	v_fma_f32 v89, -v88, v162, v89
	ds_read2_b64 v[162:165], v131 offset0:16 offset1:17
	s_waitcnt vmcnt(8) lgkmcnt(1)
	v_pk_fma_f32 v[116:117], v[88:89], v[166:167], v[116:117] op_sel_hi:[0,1,1] neg_lo:[1,0,0] neg_hi:[1,0,0]
	s_waitcnt lgkmcnt(0)
	v_pk_fma_f32 v[102:103], v[88:89], v[162:163], v[102:103] op_sel_hi:[0,1,1] neg_lo:[1,0,0] neg_hi:[1,0,0]
	v_pk_fma_f32 v[86:87], v[88:89], v[164:165], v[86:87] op_sel_hi:[0,1,1] neg_lo:[1,0,0] neg_hi:[1,0,0]
	ds_read2_b64 v[162:165], v131 offset0:18 offset1:19
	s_waitcnt lgkmcnt(0)
	v_pk_fma_f32 v[100:101], v[88:89], v[162:163], v[100:101] op_sel_hi:[0,1,1] neg_lo:[1,0,0] neg_hi:[1,0,0]
	v_pk_fma_f32 v[84:85], v[88:89], v[164:165], v[84:85] op_sel_hi:[0,1,1] neg_lo:[1,0,0] neg_hi:[1,0,0]
.LBB83_169:
	s_or_b64 exec, exec, s[2:3]
	v_cmp_ne_u32_e32 vcc, 31, v127
	s_waitcnt lgkmcnt(0)
	s_barrier
	s_and_saveexec_b64 s[2:3], vcc
	s_xor_b64 s[2:3], exec, s[2:3]
	s_andn2_saveexec_b64 s[2:3], s[2:3]
	s_cbranch_execz .LBB83_173
; %bb.170:
	s_waitcnt vmcnt(17)
	v_mov_b32_e32 v162, v102
	s_waitcnt vmcnt(16)
	v_mov_b32_e32 v163, v103
	;; [unrolled: 2-line block ×4, first 2 shown]
	ds_write_b32 v129, v89
	ds_write2_b64 v131, v[162:163], v[164:165] offset0:16 offset1:17
	s_waitcnt vmcnt(13)
	v_mov_b32_e32 v162, v100
	s_waitcnt vmcnt(12)
	v_mov_b32_e32 v163, v101
	;; [unrolled: 2-line block ×4, first 2 shown]
	ds_write2_b64 v131, v[162:163], v[164:165] offset0:18 offset1:19
	s_waitcnt vmcnt(8)
	ds_write_b64 v131, v[116:117] offset:160
	ds_read_b32 v162, v129
	s_waitcnt lgkmcnt(0)
	v_cmp_neq_f32_e32 vcc, 0, v162
	s_and_saveexec_b64 s[4:5], vcc
	s_cbranch_execz .LBB83_172
; %bb.171:
	v_div_scale_f32 v163, s[10:11], v162, v162, 1.0
	v_rcp_f32_e32 v164, v163
	v_div_scale_f32 v165, vcc, 1.0, v162, 1.0
	v_fma_f32 v166, -v163, v164, 1.0
	v_fmac_f32_e32 v164, v166, v164
	v_mul_f32_e32 v166, v165, v164
	v_fma_f32 v167, -v163, v166, v165
	v_fmac_f32_e32 v166, v167, v164
	v_fma_f32 v163, -v163, v166, v165
	v_div_fmas_f32 v163, v163, v164, v166
	v_div_fixup_f32 v162, v163, v162, 1.0
	ds_write_b32 v129, v162
.LBB83_172:
	s_or_b64 exec, exec, s[4:5]
.LBB83_173:
	s_or_b64 exec, exec, s[2:3]
	s_waitcnt lgkmcnt(0)
	s_barrier
	ds_read_b32 v162, v129
	v_cmp_lt_u32_e32 vcc, 31, v127
	s_and_saveexec_b64 s[2:3], vcc
	s_cbranch_execz .LBB83_175
; %bb.174:
	ds_read2_b64 v[164:167], v131 offset0:16 offset1:17
	s_waitcnt vmcnt(18) lgkmcnt(1)
	v_mul_f32_e32 v168, v162, v89
	v_mov_b32_e32 v89, v168
	s_waitcnt vmcnt(16) lgkmcnt(0)
	v_pk_fma_f32 v[102:103], v[168:169], v[164:165], v[102:103] op_sel_hi:[0,1,1] neg_lo:[1,0,0] neg_hi:[1,0,0]
	s_waitcnt vmcnt(14)
	v_pk_fma_f32 v[86:87], v[168:169], v[166:167], v[86:87] op_sel_hi:[0,1,1] neg_lo:[1,0,0] neg_hi:[1,0,0]
	ds_read2_b64 v[164:167], v131 offset0:18 offset1:19
	s_waitcnt vmcnt(12) lgkmcnt(0)
	v_pk_fma_f32 v[100:101], v[168:169], v[164:165], v[100:101] op_sel_hi:[0,1,1] neg_lo:[1,0,0] neg_hi:[1,0,0]
	ds_read_b64 v[164:165], v131 offset:160
	s_waitcnt vmcnt(10)
	v_pk_fma_f32 v[84:85], v[168:169], v[166:167], v[84:85] op_sel_hi:[0,1,1] neg_lo:[1,0,0] neg_hi:[1,0,0]
	s_waitcnt vmcnt(8) lgkmcnt(0)
	v_pk_fma_f32 v[116:117], v[168:169], v[164:165], v[116:117] op_sel_hi:[0,1,1] neg_lo:[1,0,0] neg_hi:[1,0,0]
.LBB83_175:
	s_or_b64 exec, exec, s[2:3]
	v_cmp_eq_u32_e32 vcc, 32, v127
	s_waitcnt lgkmcnt(0)
	s_barrier
	s_and_saveexec_b64 s[2:3], vcc
	s_cbranch_execz .LBB83_178
; %bb.176:
	s_waitcnt vmcnt(14)
	v_pk_mov_b32 v[164:165], v[102:103], v[86:87] op_sel:[1,0]
	ds_write_b32 v129, v102
	ds_write2_b32 v131, v164, v165 offset0:33 offset1:34
	s_waitcnt vmcnt(12)
	v_pk_mov_b32 v[164:165], v[86:87], v[100:101] op_sel:[1,0]
	ds_write2_b32 v131, v164, v165 offset0:35 offset1:36
	s_waitcnt vmcnt(10)
	v_pk_mov_b32 v[164:165], v[100:101], v[84:85] op_sel:[1,0]
	;; [unrolled: 3-line block ×3, first 2 shown]
	ds_write2_b32 v131, v164, v165 offset0:39 offset1:40
	ds_write_b32 v131, v117 offset:164
	ds_read_b32 v163, v129
	s_waitcnt lgkmcnt(0)
	v_cmp_neq_f32_e32 vcc, 0, v163
	s_and_b64 exec, exec, vcc
	s_cbranch_execz .LBB83_178
; %bb.177:
	v_div_scale_f32 v164, s[4:5], v163, v163, 1.0
	v_rcp_f32_e32 v165, v164
	v_div_scale_f32 v166, vcc, 1.0, v163, 1.0
	v_fma_f32 v167, -v164, v165, 1.0
	v_fmac_f32_e32 v165, v167, v165
	v_mul_f32_e32 v167, v166, v165
	v_fma_f32 v168, -v164, v167, v166
	v_fmac_f32_e32 v167, v168, v165
	v_fma_f32 v164, -v164, v167, v166
	v_div_fmas_f32 v164, v164, v165, v167
	v_div_fixup_f32 v163, v164, v163, 1.0
	ds_write_b32 v129, v163
.LBB83_178:
	s_or_b64 exec, exec, s[2:3]
	s_waitcnt lgkmcnt(0)
	s_barrier
	ds_read_b32 v163, v129
	v_cmp_lt_u32_e32 vcc, 32, v127
	s_and_saveexec_b64 s[2:3], vcc
	s_cbranch_execz .LBB83_180
; %bb.179:
	ds_read_b32 v172, v131 offset:132
	ds_read2_b64 v[164:167], v131 offset0:17 offset1:18
	ds_read2_b64 v[168:171], v131 offset0:19 offset1:20
	s_waitcnt vmcnt(17) lgkmcnt(3)
	v_mul_f32_e32 v102, v163, v102
	s_waitcnt vmcnt(16) lgkmcnt(2)
	v_fma_f32 v103, -v102, v172, v103
	s_waitcnt vmcnt(14) lgkmcnt(1)
	v_pk_fma_f32 v[86:87], v[102:103], v[164:165], v[86:87] op_sel_hi:[0,1,1] neg_lo:[1,0,0] neg_hi:[1,0,0]
	s_waitcnt vmcnt(12)
	v_pk_fma_f32 v[100:101], v[102:103], v[166:167], v[100:101] op_sel_hi:[0,1,1] neg_lo:[1,0,0] neg_hi:[1,0,0]
	s_waitcnt vmcnt(10) lgkmcnt(0)
	v_pk_fma_f32 v[84:85], v[102:103], v[168:169], v[84:85] op_sel_hi:[0,1,1] neg_lo:[1,0,0] neg_hi:[1,0,0]
	s_waitcnt vmcnt(8)
	v_pk_fma_f32 v[116:117], v[102:103], v[170:171], v[116:117] op_sel_hi:[0,1,1] neg_lo:[1,0,0] neg_hi:[1,0,0]
.LBB83_180:
	s_or_b64 exec, exec, s[2:3]
	v_cmp_ne_u32_e32 vcc, 33, v127
	s_waitcnt lgkmcnt(0)
	s_barrier
	s_and_saveexec_b64 s[2:3], vcc
	s_xor_b64 s[2:3], exec, s[2:3]
	s_andn2_saveexec_b64 s[2:3], s[2:3]
	s_cbranch_execz .LBB83_184
; %bb.181:
	s_waitcnt vmcnt(16)
	ds_write_b32 v129, v103
	s_waitcnt vmcnt(12)
	ds_write2_b64 v131, v[86:87], v[100:101] offset0:17 offset1:18
	s_waitcnt vmcnt(8)
	ds_write2_b64 v131, v[84:85], v[116:117] offset0:19 offset1:20
	ds_read_b32 v164, v129
	s_waitcnt lgkmcnt(0)
	v_cmp_neq_f32_e32 vcc, 0, v164
	s_and_saveexec_b64 s[4:5], vcc
	s_cbranch_execz .LBB83_183
; %bb.182:
	v_div_scale_f32 v165, s[10:11], v164, v164, 1.0
	v_rcp_f32_e32 v166, v165
	v_div_scale_f32 v167, vcc, 1.0, v164, 1.0
	v_fma_f32 v168, -v165, v166, 1.0
	v_fmac_f32_e32 v166, v168, v166
	v_mul_f32_e32 v168, v167, v166
	v_fma_f32 v169, -v165, v168, v167
	v_fmac_f32_e32 v168, v169, v166
	v_fma_f32 v165, -v165, v168, v167
	v_div_fmas_f32 v165, v165, v166, v168
	v_div_fixup_f32 v164, v165, v164, 1.0
	ds_write_b32 v129, v164
.LBB83_183:
	s_or_b64 exec, exec, s[4:5]
.LBB83_184:
	s_or_b64 exec, exec, s[2:3]
	s_waitcnt lgkmcnt(0)
	s_barrier
	ds_read_b32 v164, v129
	v_cmp_lt_u32_e32 vcc, 33, v127
	s_and_saveexec_b64 s[2:3], vcc
	s_cbranch_execz .LBB83_186
; %bb.185:
	ds_read2_b64 v[166:169], v131 offset0:17 offset1:18
	ds_read2_b64 v[170:173], v131 offset0:19 offset1:20
	s_waitcnt vmcnt(16) lgkmcnt(2)
	v_mul_f32_e32 v174, v164, v103
	v_mov_b32_e32 v103, v174
	s_waitcnt vmcnt(14) lgkmcnt(1)
	v_pk_fma_f32 v[86:87], v[174:175], v[166:167], v[86:87] op_sel_hi:[0,1,1] neg_lo:[1,0,0] neg_hi:[1,0,0]
	s_waitcnt vmcnt(12)
	v_pk_fma_f32 v[100:101], v[174:175], v[168:169], v[100:101] op_sel_hi:[0,1,1] neg_lo:[1,0,0] neg_hi:[1,0,0]
	s_waitcnt vmcnt(10) lgkmcnt(0)
	v_pk_fma_f32 v[84:85], v[174:175], v[170:171], v[84:85] op_sel_hi:[0,1,1] neg_lo:[1,0,0] neg_hi:[1,0,0]
	s_waitcnt vmcnt(8)
	v_pk_fma_f32 v[116:117], v[174:175], v[172:173], v[116:117] op_sel_hi:[0,1,1] neg_lo:[1,0,0] neg_hi:[1,0,0]
.LBB83_186:
	s_or_b64 exec, exec, s[2:3]
	v_cmp_eq_u32_e32 vcc, 34, v127
	s_waitcnt lgkmcnt(0)
	s_barrier
	s_and_saveexec_b64 s[2:3], vcc
	s_cbranch_execz .LBB83_189
; %bb.187:
	s_waitcnt vmcnt(12)
	v_pk_mov_b32 v[166:167], v[86:87], v[100:101] op_sel:[1,0]
	ds_write_b32 v129, v86
	ds_write2_b32 v131, v166, v167 offset0:35 offset1:36
	s_waitcnt vmcnt(10)
	v_pk_mov_b32 v[166:167], v[100:101], v[84:85] op_sel:[1,0]
	ds_write2_b32 v131, v166, v167 offset0:37 offset1:38
	s_waitcnt vmcnt(8)
	v_pk_mov_b32 v[166:167], v[84:85], v[116:117] op_sel:[1,0]
	ds_write2_b32 v131, v166, v167 offset0:39 offset1:40
	ds_write_b32 v131, v117 offset:164
	ds_read_b32 v165, v129
	s_waitcnt lgkmcnt(0)
	v_cmp_neq_f32_e32 vcc, 0, v165
	s_and_b64 exec, exec, vcc
	s_cbranch_execz .LBB83_189
; %bb.188:
	v_div_scale_f32 v166, s[4:5], v165, v165, 1.0
	v_rcp_f32_e32 v167, v166
	v_div_scale_f32 v168, vcc, 1.0, v165, 1.0
	v_fma_f32 v169, -v166, v167, 1.0
	v_fmac_f32_e32 v167, v169, v167
	v_mul_f32_e32 v169, v168, v167
	v_fma_f32 v170, -v166, v169, v168
	v_fmac_f32_e32 v169, v170, v167
	v_fma_f32 v166, -v166, v169, v168
	v_div_fmas_f32 v166, v166, v167, v169
	v_div_fixup_f32 v165, v166, v165, 1.0
	ds_write_b32 v129, v165
.LBB83_189:
	s_or_b64 exec, exec, s[2:3]
	s_waitcnt lgkmcnt(0)
	s_barrier
	ds_read_b32 v165, v129
	v_cmp_lt_u32_e32 vcc, 34, v127
	s_and_saveexec_b64 s[2:3], vcc
	s_cbranch_execz .LBB83_191
; %bb.190:
	ds_read_b32 v172, v131 offset:140
	ds_read2_b64 v[166:169], v131 offset0:18 offset1:19
	ds_read_b64 v[170:171], v131 offset:160
	s_waitcnt vmcnt(15) lgkmcnt(3)
	v_mul_f32_e32 v86, v165, v86
	s_waitcnt vmcnt(14) lgkmcnt(2)
	v_fma_f32 v87, -v86, v172, v87
	s_waitcnt vmcnt(12) lgkmcnt(1)
	v_pk_fma_f32 v[100:101], v[86:87], v[166:167], v[100:101] op_sel_hi:[0,1,1] neg_lo:[1,0,0] neg_hi:[1,0,0]
	s_waitcnt vmcnt(10)
	v_pk_fma_f32 v[84:85], v[86:87], v[168:169], v[84:85] op_sel_hi:[0,1,1] neg_lo:[1,0,0] neg_hi:[1,0,0]
	s_waitcnt vmcnt(8) lgkmcnt(0)
	v_pk_fma_f32 v[116:117], v[86:87], v[170:171], v[116:117] op_sel_hi:[0,1,1] neg_lo:[1,0,0] neg_hi:[1,0,0]
.LBB83_191:
	s_or_b64 exec, exec, s[2:3]
	v_cmp_ne_u32_e32 vcc, 35, v127
	s_waitcnt lgkmcnt(0)
	s_barrier
	s_and_saveexec_b64 s[2:3], vcc
	s_xor_b64 s[2:3], exec, s[2:3]
	s_andn2_saveexec_b64 s[2:3], s[2:3]
	s_cbranch_execz .LBB83_195
; %bb.192:
	s_waitcnt vmcnt(13)
	v_mov_b32_e32 v166, v100
	s_waitcnt vmcnt(12)
	v_mov_b32_e32 v167, v101
	;; [unrolled: 2-line block ×4, first 2 shown]
	ds_write_b32 v129, v87
	ds_write2_b64 v131, v[166:167], v[168:169] offset0:18 offset1:19
	s_waitcnt vmcnt(8)
	ds_write_b64 v131, v[116:117] offset:160
	ds_read_b32 v166, v129
	s_waitcnt lgkmcnt(0)
	v_cmp_neq_f32_e32 vcc, 0, v166
	s_and_saveexec_b64 s[4:5], vcc
	s_cbranch_execz .LBB83_194
; %bb.193:
	v_div_scale_f32 v167, s[10:11], v166, v166, 1.0
	v_rcp_f32_e32 v168, v167
	v_div_scale_f32 v169, vcc, 1.0, v166, 1.0
	v_fma_f32 v170, -v167, v168, 1.0
	v_fmac_f32_e32 v168, v170, v168
	v_mul_f32_e32 v170, v169, v168
	v_fma_f32 v171, -v167, v170, v169
	v_fmac_f32_e32 v170, v171, v168
	v_fma_f32 v167, -v167, v170, v169
	v_div_fmas_f32 v167, v167, v168, v170
	v_div_fixup_f32 v166, v167, v166, 1.0
	ds_write_b32 v129, v166
.LBB83_194:
	s_or_b64 exec, exec, s[4:5]
.LBB83_195:
	s_or_b64 exec, exec, s[2:3]
	s_waitcnt lgkmcnt(0)
	s_barrier
	ds_read_b32 v166, v129
	v_cmp_lt_u32_e32 vcc, 35, v127
	s_and_saveexec_b64 s[2:3], vcc
	s_cbranch_execz .LBB83_197
; %bb.196:
	ds_read2_b64 v[168:171], v131 offset0:18 offset1:19
	ds_read_b64 v[172:173], v131 offset:160
	s_waitcnt vmcnt(14) lgkmcnt(2)
	v_mul_f32_e32 v174, v166, v87
	v_mov_b32_e32 v87, v174
	s_waitcnt vmcnt(12) lgkmcnt(1)
	v_pk_fma_f32 v[100:101], v[174:175], v[168:169], v[100:101] op_sel_hi:[0,1,1] neg_lo:[1,0,0] neg_hi:[1,0,0]
	s_waitcnt vmcnt(10)
	v_pk_fma_f32 v[84:85], v[174:175], v[170:171], v[84:85] op_sel_hi:[0,1,1] neg_lo:[1,0,0] neg_hi:[1,0,0]
	s_waitcnt vmcnt(8) lgkmcnt(0)
	v_pk_fma_f32 v[116:117], v[174:175], v[172:173], v[116:117] op_sel_hi:[0,1,1] neg_lo:[1,0,0] neg_hi:[1,0,0]
.LBB83_197:
	s_or_b64 exec, exec, s[2:3]
	v_cmp_eq_u32_e32 vcc, 36, v127
	s_waitcnt lgkmcnt(0)
	s_barrier
	s_and_saveexec_b64 s[2:3], vcc
	s_cbranch_execz .LBB83_200
; %bb.198:
	s_waitcnt vmcnt(10)
	v_pk_mov_b32 v[168:169], v[100:101], v[84:85] op_sel:[1,0]
	ds_write_b32 v129, v100
	ds_write2_b32 v131, v168, v169 offset0:37 offset1:38
	s_waitcnt vmcnt(8)
	v_pk_mov_b32 v[168:169], v[84:85], v[116:117] op_sel:[1,0]
	ds_write2_b32 v131, v168, v169 offset0:39 offset1:40
	ds_write_b32 v131, v117 offset:164
	ds_read_b32 v167, v129
	s_waitcnt lgkmcnt(0)
	v_cmp_neq_f32_e32 vcc, 0, v167
	s_and_b64 exec, exec, vcc
	s_cbranch_execz .LBB83_200
; %bb.199:
	v_div_scale_f32 v168, s[4:5], v167, v167, 1.0
	v_rcp_f32_e32 v169, v168
	v_div_scale_f32 v170, vcc, 1.0, v167, 1.0
	v_fma_f32 v171, -v168, v169, 1.0
	v_fmac_f32_e32 v169, v171, v169
	v_mul_f32_e32 v171, v170, v169
	v_fma_f32 v172, -v168, v171, v170
	v_fmac_f32_e32 v171, v172, v169
	v_fma_f32 v168, -v168, v171, v170
	v_div_fmas_f32 v168, v168, v169, v171
	v_div_fixup_f32 v167, v168, v167, 1.0
	ds_write_b32 v129, v167
.LBB83_200:
	s_or_b64 exec, exec, s[2:3]
	s_waitcnt lgkmcnt(0)
	s_barrier
	ds_read_b32 v167, v129
	v_cmp_lt_u32_e32 vcc, 36, v127
	s_and_saveexec_b64 s[2:3], vcc
	s_cbranch_execz .LBB83_202
; %bb.201:
	ds_read_b32 v172, v131 offset:148
	ds_read2_b64 v[168:171], v131 offset0:19 offset1:20
	s_waitcnt vmcnt(13) lgkmcnt(2)
	v_mul_f32_e32 v100, v167, v100
	s_waitcnt vmcnt(12) lgkmcnt(1)
	v_fma_f32 v101, -v100, v172, v101
	s_waitcnt vmcnt(10) lgkmcnt(0)
	v_pk_fma_f32 v[84:85], v[100:101], v[168:169], v[84:85] op_sel_hi:[0,1,1] neg_lo:[1,0,0] neg_hi:[1,0,0]
	s_waitcnt vmcnt(8)
	v_pk_fma_f32 v[116:117], v[100:101], v[170:171], v[116:117] op_sel_hi:[0,1,1] neg_lo:[1,0,0] neg_hi:[1,0,0]
.LBB83_202:
	s_or_b64 exec, exec, s[2:3]
	v_cmp_ne_u32_e32 vcc, 37, v127
	s_waitcnt lgkmcnt(0)
	s_barrier
	s_and_saveexec_b64 s[2:3], vcc
	s_xor_b64 s[2:3], exec, s[2:3]
	s_andn2_saveexec_b64 s[2:3], s[2:3]
	s_cbranch_execz .LBB83_206
; %bb.203:
	s_waitcnt vmcnt(12)
	ds_write_b32 v129, v101
	s_waitcnt vmcnt(8)
	ds_write2_b64 v131, v[84:85], v[116:117] offset0:19 offset1:20
	ds_read_b32 v168, v129
	s_waitcnt lgkmcnt(0)
	v_cmp_neq_f32_e32 vcc, 0, v168
	s_and_saveexec_b64 s[4:5], vcc
	s_cbranch_execz .LBB83_205
; %bb.204:
	v_div_scale_f32 v169, s[10:11], v168, v168, 1.0
	v_rcp_f32_e32 v170, v169
	v_div_scale_f32 v171, vcc, 1.0, v168, 1.0
	v_fma_f32 v172, -v169, v170, 1.0
	v_fmac_f32_e32 v170, v172, v170
	v_mul_f32_e32 v172, v171, v170
	v_fma_f32 v173, -v169, v172, v171
	v_fmac_f32_e32 v172, v173, v170
	v_fma_f32 v169, -v169, v172, v171
	v_div_fmas_f32 v169, v169, v170, v172
	v_div_fixup_f32 v168, v169, v168, 1.0
	ds_write_b32 v129, v168
.LBB83_205:
	s_or_b64 exec, exec, s[4:5]
.LBB83_206:
	s_or_b64 exec, exec, s[2:3]
	s_waitcnt lgkmcnt(0)
	s_barrier
	ds_read_b32 v168, v129
	v_cmp_lt_u32_e32 vcc, 37, v127
	s_and_saveexec_b64 s[2:3], vcc
	s_cbranch_execz .LBB83_208
; %bb.207:
	ds_read2_b64 v[170:173], v131 offset0:19 offset1:20
	s_waitcnt vmcnt(12) lgkmcnt(1)
	v_mul_f32_e32 v174, v168, v101
	v_mov_b32_e32 v101, v174
	s_waitcnt vmcnt(10) lgkmcnt(0)
	v_pk_fma_f32 v[84:85], v[174:175], v[170:171], v[84:85] op_sel_hi:[0,1,1] neg_lo:[1,0,0] neg_hi:[1,0,0]
	s_waitcnt vmcnt(8)
	v_pk_fma_f32 v[116:117], v[174:175], v[172:173], v[116:117] op_sel_hi:[0,1,1] neg_lo:[1,0,0] neg_hi:[1,0,0]
.LBB83_208:
	s_or_b64 exec, exec, s[2:3]
	v_cmp_eq_u32_e32 vcc, 38, v127
	s_waitcnt lgkmcnt(0)
	s_barrier
	s_and_saveexec_b64 s[2:3], vcc
	s_cbranch_execz .LBB83_211
; %bb.209:
	s_waitcnt vmcnt(8)
	v_pk_mov_b32 v[170:171], v[84:85], v[116:117] op_sel:[1,0]
	ds_write_b32 v129, v84
	ds_write2_b32 v131, v170, v171 offset0:39 offset1:40
	ds_write_b32 v131, v117 offset:164
	ds_read_b32 v169, v129
	s_waitcnt lgkmcnt(0)
	v_cmp_neq_f32_e32 vcc, 0, v169
	s_and_b64 exec, exec, vcc
	s_cbranch_execz .LBB83_211
; %bb.210:
	v_div_scale_f32 v170, s[4:5], v169, v169, 1.0
	v_rcp_f32_e32 v171, v170
	v_div_scale_f32 v172, vcc, 1.0, v169, 1.0
	v_fma_f32 v173, -v170, v171, 1.0
	v_fmac_f32_e32 v171, v173, v171
	v_mul_f32_e32 v173, v172, v171
	v_fma_f32 v174, -v170, v173, v172
	v_fmac_f32_e32 v173, v174, v171
	v_fma_f32 v170, -v170, v173, v172
	v_div_fmas_f32 v170, v170, v171, v173
	v_div_fixup_f32 v169, v170, v169, 1.0
	ds_write_b32 v129, v169
.LBB83_211:
	s_or_b64 exec, exec, s[2:3]
	s_waitcnt lgkmcnt(0)
	s_barrier
	ds_read_b32 v169, v129
	v_cmp_lt_u32_e32 vcc, 38, v127
	s_and_saveexec_b64 s[2:3], vcc
	s_cbranch_execz .LBB83_213
; %bb.212:
	ds_read_b32 v172, v131 offset:156
	ds_read_b64 v[170:171], v131 offset:160
	s_waitcnt vmcnt(11) lgkmcnt(2)
	v_mul_f32_e32 v84, v169, v84
	s_waitcnt vmcnt(10) lgkmcnt(1)
	v_fma_f32 v85, -v84, v172, v85
	s_waitcnt vmcnt(8) lgkmcnt(0)
	v_pk_fma_f32 v[116:117], v[84:85], v[170:171], v[116:117] op_sel_hi:[0,1,1] neg_lo:[1,0,0] neg_hi:[1,0,0]
.LBB83_213:
	s_or_b64 exec, exec, s[2:3]
	v_cmp_ne_u32_e32 vcc, 39, v127
	s_waitcnt lgkmcnt(0)
	s_barrier
	s_and_saveexec_b64 s[2:3], vcc
	s_xor_b64 s[2:3], exec, s[2:3]
	s_andn2_saveexec_b64 s[2:3], s[2:3]
	s_cbranch_execz .LBB83_217
; %bb.214:
	s_waitcnt vmcnt(10)
	ds_write_b32 v129, v85
	s_waitcnt vmcnt(8)
	ds_write_b64 v131, v[116:117] offset:160
	ds_read_b32 v170, v129
	s_waitcnt lgkmcnt(0)
	v_cmp_neq_f32_e32 vcc, 0, v170
	s_and_saveexec_b64 s[4:5], vcc
	s_cbranch_execz .LBB83_216
; %bb.215:
	v_div_scale_f32 v171, s[10:11], v170, v170, 1.0
	v_rcp_f32_e32 v172, v171
	v_div_scale_f32 v173, vcc, 1.0, v170, 1.0
	v_fma_f32 v174, -v171, v172, 1.0
	v_fmac_f32_e32 v172, v174, v172
	v_mul_f32_e32 v174, v173, v172
	v_fma_f32 v175, -v171, v174, v173
	v_fmac_f32_e32 v174, v175, v172
	v_fma_f32 v171, -v171, v174, v173
	v_div_fmas_f32 v171, v171, v172, v174
	v_div_fixup_f32 v170, v171, v170, 1.0
	ds_write_b32 v129, v170
.LBB83_216:
	s_or_b64 exec, exec, s[4:5]
.LBB83_217:
	s_or_b64 exec, exec, s[2:3]
	s_waitcnt lgkmcnt(0)
	s_barrier
	ds_read_b32 v170, v129
	v_cmp_lt_u32_e32 vcc, 39, v127
	s_and_saveexec_b64 s[2:3], vcc
	s_cbranch_execz .LBB83_219
; %bb.218:
	ds_read_b64 v[172:173], v131 offset:160
	s_waitcnt vmcnt(10) lgkmcnt(1)
	v_mul_f32_e32 v174, v170, v85
	v_mov_b32_e32 v85, v174
	s_waitcnt vmcnt(8) lgkmcnt(0)
	v_pk_fma_f32 v[116:117], v[174:175], v[172:173], v[116:117] op_sel_hi:[0,1,1] neg_lo:[1,0,0] neg_hi:[1,0,0]
.LBB83_219:
	s_or_b64 exec, exec, s[2:3]
	v_cmp_eq_u32_e32 vcc, 40, v127
	s_waitcnt lgkmcnt(0)
	s_barrier
	s_and_saveexec_b64 s[2:3], vcc
	s_cbranch_execz .LBB83_222
; %bb.220:
	s_waitcnt vmcnt(9)
	ds_write_b32 v129, v116
	s_waitcnt vmcnt(8)
	ds_write_b32 v131, v117 offset:164
	ds_read_b32 v171, v129
	s_waitcnt lgkmcnt(0)
	v_cmp_neq_f32_e32 vcc, 0, v171
	s_and_b64 exec, exec, vcc
	s_cbranch_execz .LBB83_222
; %bb.221:
	v_div_scale_f32 v172, s[4:5], v171, v171, 1.0
	v_rcp_f32_e32 v173, v172
	v_div_scale_f32 v174, vcc, 1.0, v171, 1.0
	v_fma_f32 v175, -v172, v173, 1.0
	v_fmac_f32_e32 v173, v175, v173
	v_mul_f32_e32 v175, v174, v173
	v_fma_f32 v176, -v172, v175, v174
	v_fmac_f32_e32 v175, v176, v173
	v_fma_f32 v172, -v172, v175, v174
	v_div_fmas_f32 v172, v172, v173, v175
	v_div_fixup_f32 v171, v172, v171, 1.0
	ds_write_b32 v129, v171
.LBB83_222:
	s_or_b64 exec, exec, s[2:3]
	s_waitcnt lgkmcnt(0)
	s_barrier
	ds_read_b32 v171, v129
	v_cmp_lt_u32_e32 vcc, 40, v127
	s_and_saveexec_b64 s[2:3], vcc
	s_cbranch_execz .LBB83_224
; %bb.223:
	ds_read_b32 v131, v131 offset:164
	s_waitcnt vmcnt(9) lgkmcnt(1)
	v_mul_f32_e32 v116, v171, v116
	s_waitcnt vmcnt(8) lgkmcnt(0)
	v_fma_f32 v117, -v116, v131, v117
.LBB83_224:
	s_or_b64 exec, exec, s[2:3]
	v_cmp_ne_u32_e32 vcc, 41, v127
	s_waitcnt lgkmcnt(0)
	s_barrier
	s_and_saveexec_b64 s[2:3], vcc
	s_xor_b64 s[2:3], exec, s[2:3]
	s_andn2_saveexec_b64 s[2:3], s[2:3]
	s_cbranch_execz .LBB83_228
; %bb.225:
	s_waitcnt vmcnt(8)
	v_cmp_neq_f32_e32 vcc, 0, v117
	ds_write_b32 v129, v117
	s_and_saveexec_b64 s[4:5], vcc
	s_cbranch_execz .LBB83_227
; %bb.226:
	v_div_scale_f32 v131, s[10:11], v117, v117, 1.0
	v_rcp_f32_e32 v172, v131
	v_div_scale_f32 v173, vcc, 1.0, v117, 1.0
	v_fma_f32 v174, -v131, v172, 1.0
	v_fmac_f32_e32 v172, v174, v172
	v_mul_f32_e32 v174, v173, v172
	v_fma_f32 v175, -v131, v174, v173
	v_fmac_f32_e32 v174, v175, v172
	v_fma_f32 v131, -v131, v174, v173
	v_div_fmas_f32 v131, v131, v172, v174
	v_div_fixup_f32 v131, v131, v117, 1.0
	ds_write_b32 v129, v131
.LBB83_227:
	s_or_b64 exec, exec, s[4:5]
.LBB83_228:
	s_or_b64 exec, exec, s[2:3]
	s_waitcnt lgkmcnt(0)
	s_barrier
	ds_read_b32 v129, v129
	s_waitcnt lgkmcnt(0)
	s_barrier
	s_and_saveexec_b64 s[2:3], s[0:1]
	s_cbranch_execz .LBB83_231
; %bb.229:
	v_cmp_eq_f32_e32 vcc, 0, v130
	v_cmp_neq_f32_e64 s[0:1], 0, v132
	v_mov_b32_e32 v131, s7
	v_cndmask_b32_e64 v130, 0, 1, vcc
	s_or_b64 vcc, s[0:1], vcc
	v_cndmask_b32_e32 v130, 2, v130, vcc
	v_cmp_eq_f32_e32 vcc, 0, v133
	v_cmp_eq_u32_e64 s[0:1], 0, v130
	s_and_b64 s[0:1], vcc, s[0:1]
	v_cmp_eq_f32_e32 vcc, 0, v134
	v_cndmask_b32_e64 v130, v130, 3, s[0:1]
	v_cmp_eq_u32_e64 s[0:1], 0, v130
	s_and_b64 s[0:1], vcc, s[0:1]
	v_cmp_eq_f32_e32 vcc, 0, v135
	v_cndmask_b32_e64 v130, v130, 4, s[0:1]
	;; [unrolled: 4-line block ×20, first 2 shown]
	v_mov_b32_e32 v130, s6
	v_lshl_add_u64 v[24:25], v[24:25], 2, v[130:131]
	global_load_dword v131, v[24:25], off
	v_cmp_eq_u32_e64 s[0:1], 0, v132
	s_and_b64 s[0:1], vcc, s[0:1]
	v_cmp_eq_f32_e32 vcc, 0, v154
	v_cndmask_b32_e64 v130, v132, 23, s[0:1]
	v_cmp_eq_u32_e64 s[0:1], 0, v130
	s_and_b64 s[0:1], vcc, s[0:1]
	v_cmp_eq_f32_e32 vcc, 0, v155
	v_cndmask_b32_e64 v130, v130, 24, s[0:1]
	;; [unrolled: 4-line block ×19, first 2 shown]
	v_cmp_eq_u32_e64 s[0:1], 0, v130
	s_and_b64 s[0:1], vcc, s[0:1]
	s_waitcnt vmcnt(0)
	v_cmp_eq_u32_e32 vcc, 0, v131
	v_cndmask_b32_e64 v130, v130, 42, s[0:1]
	v_cmp_ne_u32_e64 s[0:1], 0, v130
	s_and_b64 s[0:1], vcc, s[0:1]
	s_and_b64 exec, exec, s[0:1]
	s_cbranch_execz .LBB83_231
; %bb.230:
	v_add_u32_e32 v130, s9, v130
	global_store_dword v[24:25], v130, off
.LBB83_231:
	s_or_b64 exec, exec, s[2:3]
	s_waitcnt vmcnt(8)
	v_mul_f32_e32 v24, v129, v117
	v_cmp_lt_u32_e32 vcc, 41, v127
	s_nop 1
	v_cndmask_b32_e32 v24, v117, v24, vcc
	s_waitcnt vmcnt(1)
	global_store_dword v[0:1], v126, off
	s_waitcnt vmcnt(1)
	global_store_dword v[124:125], v128, off
	global_store_dword v[2:3], v120, off
	global_store_dword v[4:5], v121, off
	global_store_dword v[6:7], v122, off
	global_store_dword v[8:9], v123, off
	global_store_dword v[10:11], v118, off
	global_store_dword v[12:13], v119, off
	global_store_dword v[14:15], v114, off
	global_store_dword v[16:17], v115, off
	global_store_dword v[18:19], v98, off
	global_store_dword v[20:21], v99, off
	global_store_dword v[22:23], v112, off
	global_store_dword v[26:27], v113, off
	global_store_dword v[28:29], v96, off
	global_store_dword v[30:31], v97, off
	global_store_dword v[32:33], v110, off
	global_store_dword v[34:35], v111, off
	global_store_dword v[36:37], v94, off
	global_store_dword v[38:39], v95, off
	global_store_dword v[40:41], v108, off
	global_store_dword v[42:43], v109, off
	global_store_dword v[44:45], v92, off
	global_store_dword v[46:47], v93, off
	global_store_dword v[48:49], v106, off
	global_store_dword v[50:51], v107, off
	global_store_dword v[52:53], v90, off
	global_store_dword v[54:55], v91, off
	global_store_dword v[56:57], v104, off
	global_store_dword v[58:59], v105, off
	global_store_dword v[60:61], v88, off
	global_store_dword v[62:63], v89, off
	global_store_dword v[64:65], v102, off
	global_store_dword v[66:67], v103, off
	global_store_dword v[68:69], v86, off
	global_store_dword v[70:71], v87, off
	global_store_dword v[72:73], v100, off
	global_store_dword v[74:75], v101, off
	global_store_dword v[76:77], v84, off
	global_store_dword v[78:79], v85, off
	global_store_dword v[80:81], v116, off
	global_store_dword v[82:83], v24, off
.LBB83_232:
	s_endpgm
	.section	.rodata,"a",@progbits
	.p2align	6, 0x0
	.amdhsa_kernel _ZN9rocsolver6v33100L23getf2_npvt_small_kernelILi42EfiiPfEEvT1_T3_lS3_lPT2_S3_S3_
		.amdhsa_group_segment_fixed_size 0
		.amdhsa_private_segment_fixed_size 0
		.amdhsa_kernarg_size 312
		.amdhsa_user_sgpr_count 2
		.amdhsa_user_sgpr_dispatch_ptr 0
		.amdhsa_user_sgpr_queue_ptr 0
		.amdhsa_user_sgpr_kernarg_segment_ptr 1
		.amdhsa_user_sgpr_dispatch_id 0
		.amdhsa_user_sgpr_kernarg_preload_length 0
		.amdhsa_user_sgpr_kernarg_preload_offset 0
		.amdhsa_user_sgpr_private_segment_size 0
		.amdhsa_uses_dynamic_stack 0
		.amdhsa_enable_private_segment 0
		.amdhsa_system_sgpr_workgroup_id_x 1
		.amdhsa_system_sgpr_workgroup_id_y 1
		.amdhsa_system_sgpr_workgroup_id_z 0
		.amdhsa_system_sgpr_workgroup_info 0
		.amdhsa_system_vgpr_workitem_id 1
		.amdhsa_next_free_vgpr 177
		.amdhsa_next_free_sgpr 16
		.amdhsa_accum_offset 180
		.amdhsa_reserve_vcc 1
		.amdhsa_float_round_mode_32 0
		.amdhsa_float_round_mode_16_64 0
		.amdhsa_float_denorm_mode_32 3
		.amdhsa_float_denorm_mode_16_64 3
		.amdhsa_dx10_clamp 1
		.amdhsa_ieee_mode 1
		.amdhsa_fp16_overflow 0
		.amdhsa_tg_split 0
		.amdhsa_exception_fp_ieee_invalid_op 0
		.amdhsa_exception_fp_denorm_src 0
		.amdhsa_exception_fp_ieee_div_zero 0
		.amdhsa_exception_fp_ieee_overflow 0
		.amdhsa_exception_fp_ieee_underflow 0
		.amdhsa_exception_fp_ieee_inexact 0
		.amdhsa_exception_int_div_zero 0
	.end_amdhsa_kernel
	.section	.text._ZN9rocsolver6v33100L23getf2_npvt_small_kernelILi42EfiiPfEEvT1_T3_lS3_lPT2_S3_S3_,"axG",@progbits,_ZN9rocsolver6v33100L23getf2_npvt_small_kernelILi42EfiiPfEEvT1_T3_lS3_lPT2_S3_S3_,comdat
.Lfunc_end83:
	.size	_ZN9rocsolver6v33100L23getf2_npvt_small_kernelILi42EfiiPfEEvT1_T3_lS3_lPT2_S3_S3_, .Lfunc_end83-_ZN9rocsolver6v33100L23getf2_npvt_small_kernelILi42EfiiPfEEvT1_T3_lS3_lPT2_S3_S3_
                                        ; -- End function
	.set _ZN9rocsolver6v33100L23getf2_npvt_small_kernelILi42EfiiPfEEvT1_T3_lS3_lPT2_S3_S3_.num_vgpr, 177
	.set _ZN9rocsolver6v33100L23getf2_npvt_small_kernelILi42EfiiPfEEvT1_T3_lS3_lPT2_S3_S3_.num_agpr, 0
	.set _ZN9rocsolver6v33100L23getf2_npvt_small_kernelILi42EfiiPfEEvT1_T3_lS3_lPT2_S3_S3_.numbered_sgpr, 16
	.set _ZN9rocsolver6v33100L23getf2_npvt_small_kernelILi42EfiiPfEEvT1_T3_lS3_lPT2_S3_S3_.num_named_barrier, 0
	.set _ZN9rocsolver6v33100L23getf2_npvt_small_kernelILi42EfiiPfEEvT1_T3_lS3_lPT2_S3_S3_.private_seg_size, 0
	.set _ZN9rocsolver6v33100L23getf2_npvt_small_kernelILi42EfiiPfEEvT1_T3_lS3_lPT2_S3_S3_.uses_vcc, 1
	.set _ZN9rocsolver6v33100L23getf2_npvt_small_kernelILi42EfiiPfEEvT1_T3_lS3_lPT2_S3_S3_.uses_flat_scratch, 0
	.set _ZN9rocsolver6v33100L23getf2_npvt_small_kernelILi42EfiiPfEEvT1_T3_lS3_lPT2_S3_S3_.has_dyn_sized_stack, 0
	.set _ZN9rocsolver6v33100L23getf2_npvt_small_kernelILi42EfiiPfEEvT1_T3_lS3_lPT2_S3_S3_.has_recursion, 0
	.set _ZN9rocsolver6v33100L23getf2_npvt_small_kernelILi42EfiiPfEEvT1_T3_lS3_lPT2_S3_S3_.has_indirect_call, 0
	.section	.AMDGPU.csdata,"",@progbits
; Kernel info:
; codeLenInByte = 23460
; TotalNumSgprs: 22
; NumVgprs: 177
; NumAgprs: 0
; TotalNumVgprs: 177
; ScratchSize: 0
; MemoryBound: 0
; FloatMode: 240
; IeeeMode: 1
; LDSByteSize: 0 bytes/workgroup (compile time only)
; SGPRBlocks: 2
; VGPRBlocks: 22
; NumSGPRsForWavesPerEU: 22
; NumVGPRsForWavesPerEU: 177
; AccumOffset: 180
; Occupancy: 2
; WaveLimiterHint : 0
; COMPUTE_PGM_RSRC2:SCRATCH_EN: 0
; COMPUTE_PGM_RSRC2:USER_SGPR: 2
; COMPUTE_PGM_RSRC2:TRAP_HANDLER: 0
; COMPUTE_PGM_RSRC2:TGID_X_EN: 1
; COMPUTE_PGM_RSRC2:TGID_Y_EN: 1
; COMPUTE_PGM_RSRC2:TGID_Z_EN: 0
; COMPUTE_PGM_RSRC2:TIDIG_COMP_CNT: 1
; COMPUTE_PGM_RSRC3_GFX90A:ACCUM_OFFSET: 44
; COMPUTE_PGM_RSRC3_GFX90A:TG_SPLIT: 0
	.section	.text._ZN9rocsolver6v33100L18getf2_small_kernelILi43EfiiPfEEvT1_T3_lS3_lPS3_llPT2_S3_S3_S5_l,"axG",@progbits,_ZN9rocsolver6v33100L18getf2_small_kernelILi43EfiiPfEEvT1_T3_lS3_lPS3_llPT2_S3_S3_S5_l,comdat
	.globl	_ZN9rocsolver6v33100L18getf2_small_kernelILi43EfiiPfEEvT1_T3_lS3_lPS3_llPT2_S3_S3_S5_l ; -- Begin function _ZN9rocsolver6v33100L18getf2_small_kernelILi43EfiiPfEEvT1_T3_lS3_lPS3_llPT2_S3_S3_S5_l
	.p2align	8
	.type	_ZN9rocsolver6v33100L18getf2_small_kernelILi43EfiiPfEEvT1_T3_lS3_lPS3_llPT2_S3_S3_S5_l,@function
_ZN9rocsolver6v33100L18getf2_small_kernelILi43EfiiPfEEvT1_T3_lS3_lPS3_llPT2_S3_S3_S5_l: ; @_ZN9rocsolver6v33100L18getf2_small_kernelILi43EfiiPfEEvT1_T3_lS3_lPS3_llPT2_S3_S3_S5_l
; %bb.0:
	s_load_dword s2, s[0:1], 0x6c
	s_load_dwordx2 s[14:15], s[0:1], 0x48
	v_bfe_u32 v21, v0, 10, 10
	s_waitcnt lgkmcnt(0)
	s_lshr_b32 s2, s2, 16
	s_mul_i32 s3, s3, s2
	v_add_u32_e32 v4, s3, v21
	v_cmp_gt_i32_e32 vcc, s14, v4
	s_and_saveexec_b64 s[2:3], vcc
	s_cbranch_execz .LBB84_728
; %bb.1:
	s_load_dwordx4 s[4:7], s[0:1], 0x50
	v_ashrrev_i32_e32 v5, 31, v4
	v_mov_b64_e32 v[22:23], 0
	s_waitcnt lgkmcnt(0)
	s_cmp_eq_u64 s[4:5], 0
	s_cselect_b64 s[16:17], -1, 0
	s_and_b64 vcc, exec, s[16:17]
	s_cbranch_vccnz .LBB84_3
; %bb.2:
	v_mul_lo_u32 v1, s7, v4
	v_mul_lo_u32 v6, s6, v5
	v_mad_u64_u32 v[2:3], s[2:3], s6, v4, 0
	v_add3_u32 v3, v3, v6, v1
	v_lshl_add_u64 v[22:23], v[2:3], 2, s[4:5]
.LBB84_3:
	s_load_dwordx4 s[20:23], s[0:1], 0x8
	s_load_dwordx8 s[4:11], s[0:1], 0x20
	s_load_dword s12, s[0:1], 0x18
	v_and_b32_e32 v54, 0x3ff, v0
	v_lshlrev_b32_e32 v50, 2, v54
	s_waitcnt lgkmcnt(0)
	v_mov_b32_e32 v2, s20
	v_mul_lo_u32 v1, s5, v4
	v_mul_lo_u32 v8, s4, v5
	v_mad_u64_u32 v[6:7], s[2:3], s4, v4, 0
	v_mov_b32_e32 v3, s21
	v_add3_u32 v7, v7, v8, v1
	s_add_i32 s14, s12, s12
	v_lshl_add_u64 v[2:3], v[6:7], 2, v[2:3]
	v_add_u32_e32 v0, s14, v54
	v_lshl_add_u64 v[2:3], s[22:23], 2, v[2:3]
	v_ashrrev_i32_e32 v1, 31, v0
	v_lshl_add_u64 v[16:17], v[0:1], 2, v[2:3]
	v_add_u32_e32 v0, s12, v0
	v_ashrrev_i32_e32 v1, 31, v0
	v_lshl_add_u64 v[18:19], v[0:1], 2, v[2:3]
	v_add_u32_e32 v0, s12, v0
	;; [unrolled: 3-line block ×4, first 2 shown]
	v_mov_b32_e32 v51, 0
	v_add_u32_e32 v30, s12, v0
	v_lshl_add_u64 v[8:9], v[2:3], 0, v[50:51]
	s_ashr_i32 s13, s12, 31
	v_ashrrev_i32_e32 v1, 31, v0
	v_ashrrev_i32_e32 v31, 31, v30
	v_lshl_add_u64 v[12:13], s[12:13], 2, v[8:9]
	v_lshl_add_u64 v[28:29], v[0:1], 2, v[2:3]
	;; [unrolled: 1-line block ×3, first 2 shown]
	global_load_dword v20, v[8:9], off
	global_load_dword v14, v[12:13], off
	global_load_dword v15, v[16:17], off
	global_load_dword v10, v[18:19], off
	global_load_dword v11, v[24:25], off
	global_load_dword v6, v[26:27], off
	global_load_dword v7, v[28:29], off
	global_load_dword v0, v[32:33], off
	v_add_u32_e32 v8, s12, v30
	v_ashrrev_i32_e32 v9, 31, v8
	v_lshl_add_u64 v[16:17], v[8:9], 2, v[2:3]
	v_add_u32_e32 v8, s12, v8
	v_ashrrev_i32_e32 v9, 31, v8
	v_lshl_add_u64 v[24:25], v[8:9], 2, v[2:3]
	v_add_u32_e32 v8, s12, v8
	v_ashrrev_i32_e32 v9, 31, v8
	v_lshl_add_u64 v[26:27], v[8:9], 2, v[2:3]
	v_add_u32_e32 v8, s12, v8
	v_ashrrev_i32_e32 v9, 31, v8
	v_lshl_add_u64 v[30:31], v[8:9], 2, v[2:3]
	v_add_u32_e32 v8, s12, v8
	v_ashrrev_i32_e32 v9, 31, v8
	v_lshl_add_u64 v[32:33], v[8:9], 2, v[2:3]
	v_add_u32_e32 v8, s12, v8
	v_ashrrev_i32_e32 v9, 31, v8
	v_lshl_add_u64 v[34:35], v[8:9], 2, v[2:3]
	v_add_u32_e32 v8, s12, v8
	v_add_u32_e32 v38, s12, v8
	v_ashrrev_i32_e32 v9, 31, v8
	v_ashrrev_i32_e32 v39, 31, v38
	v_lshl_add_u64 v[36:37], v[8:9], 2, v[2:3]
	v_lshl_add_u64 v[40:41], v[38:39], 2, v[2:3]
	global_load_dword v1, v[16:17], off
	global_load_dword v28, v[24:25], off
	global_load_dword v29, v[26:27], off
	global_load_dword v18, v[30:31], off
	global_load_dword v19, v[32:33], off
	global_load_dword v12, v[34:35], off
	global_load_dword v13, v[36:37], off
	global_load_dword v8, v[40:41], off
	v_add_u32_e32 v16, s12, v38
	v_ashrrev_i32_e32 v17, 31, v16
	v_lshl_add_u64 v[26:27], v[16:17], 2, v[2:3]
	v_add_u32_e32 v16, s12, v16
	v_ashrrev_i32_e32 v17, 31, v16
	v_lshl_add_u64 v[32:33], v[16:17], 2, v[2:3]
	v_add_u32_e32 v16, s12, v16
	v_ashrrev_i32_e32 v17, 31, v16
	v_lshl_add_u64 v[36:37], v[16:17], 2, v[2:3]
	v_add_u32_e32 v16, s12, v16
	v_ashrrev_i32_e32 v17, 31, v16
	v_lshl_add_u64 v[38:39], v[16:17], 2, v[2:3]
	v_add_u32_e32 v16, s12, v16
	v_ashrrev_i32_e32 v17, 31, v16
	v_lshl_add_u64 v[40:41], v[16:17], 2, v[2:3]
	v_add_u32_e32 v16, s12, v16
	v_ashrrev_i32_e32 v17, 31, v16
	v_lshl_add_u64 v[42:43], v[16:17], 2, v[2:3]
	v_add_u32_e32 v16, s12, v16
	v_add_u32_e32 v46, s12, v16
	v_ashrrev_i32_e32 v17, 31, v16
	v_ashrrev_i32_e32 v47, 31, v46
	v_lshl_add_u64 v[44:45], v[16:17], 2, v[2:3]
	v_lshl_add_u64 v[48:49], v[46:47], 2, v[2:3]
	;; [unrolled: 32-line block ×4, first 2 shown]
	global_load_dword v27, v[40:41], off
	global_load_dword v48, v[46:47], off
	;; [unrolled: 1-line block ×5, first 2 shown]
                                        ; kill: killed $vgpr46_vgpr47
                                        ; kill: killed $vgpr52_vgpr53
                                        ; kill: killed $vgpr56_vgpr57
                                        ; kill: killed $vgpr58_vgpr59
                                        ; kill: killed $vgpr40_vgpr41
	s_nop 0
	global_load_dword v40, v[60:61], off
	global_load_dword v41, v[62:63], off
	;; [unrolled: 1-line block ×3, first 2 shown]
	v_add_u32_e32 v46, s12, v64
	v_ashrrev_i32_e32 v47, 31, v46
	v_lshl_add_u64 v[52:53], v[46:47], 2, v[2:3]
	v_add_u32_e32 v46, s12, v46
	v_ashrrev_i32_e32 v47, 31, v46
	v_lshl_add_u64 v[56:57], v[46:47], 2, v[2:3]
	;; [unrolled: 3-line block ×3, first 2 shown]
	global_load_dword v39, v[52:53], off
	global_load_dword v46, v[56:57], off
	global_load_dword v47, v[58:59], off
	s_load_dword s22, s[0:1], 0x0
	s_load_dwordx2 s[4:5], s[0:1], 0x40
	s_waitcnt lgkmcnt(0)
	s_max_i32 s0, s22, 43
	v_mul_lo_u32 v52, s0, v21
	v_lshl_add_u32 v21, v52, 2, 0
	v_add_u32_e32 v50, v21, v50
	s_waitcnt vmcnt(42)
	ds_write_b32 v50, v20
	s_waitcnt lgkmcnt(0)
	s_barrier
	ds_read_b32 v50, v21
	s_cmp_lt_i32 s22, 2
	v_lshlrev_b32_e32 v52, 2, v52
	s_cbranch_scc1 .LBB84_6
; %bb.4:
	v_add3_u32 v53, v52, 0, 4
	v_mov_b32_e32 v51, 0
	s_mov_b32 s0, 1
.LBB84_5:                               ; =>This Inner Loop Header: Depth=1
	ds_read_b32 v55, v53
	v_mov_b32_e32 v56, s0
	s_add_i32 s0, s0, 1
	v_add_u32_e32 v53, 4, v53
	s_cmp_eq_u32 s22, s0
	s_waitcnt lgkmcnt(0)
	v_cmp_lt_f32_e64 vcc, |v50|, |v55|
	s_nop 1
	v_cndmask_b32_e32 v50, v50, v55, vcc
	v_cndmask_b32_e32 v51, v51, v56, vcc
	s_cbranch_scc0 .LBB84_5
.LBB84_6:
	v_cmp_ne_u32_e32 vcc, v54, v51
                                        ; implicit-def: $vgpr53
	s_and_saveexec_b64 s[0:1], vcc
	s_xor_b64 s[0:1], exec, s[0:1]
	s_cbranch_execz .LBB84_12
; %bb.7:
	v_cmp_eq_u32_e32 vcc, 0, v54
	s_and_saveexec_b64 s[2:3], vcc
	s_cbranch_execz .LBB84_11
; %bb.8:
	v_cmp_ne_u32_e32 vcc, 0, v51
	s_xor_b64 s[18:19], s[16:17], -1
	s_and_b64 s[20:21], s[18:19], vcc
	s_and_saveexec_b64 s[18:19], s[20:21]
	s_cbranch_execz .LBB84_10
; %bb.9:
	v_ashrrev_i32_e32 v55, 31, v51
	v_mov_b32_e32 v54, v51
	v_lshl_add_u64 v[54:55], v[54:55], 2, v[22:23]
	global_load_dword v53, v[54:55], off
	global_load_dword v56, v[22:23], off
	s_waitcnt vmcnt(1)
	global_store_dword v[22:23], v53, off
	s_waitcnt vmcnt(1)
	global_store_dword v[54:55], v56, off
.LBB84_10:
	s_or_b64 exec, exec, s[18:19]
	v_mov_b32_e32 v54, v51
.LBB84_11:
	s_or_b64 exec, exec, s[2:3]
	v_mov_b32_e32 v53, v54
                                        ; implicit-def: $vgpr54
.LBB84_12:
	s_or_saveexec_b64 s[0:1], s[0:1]
	v_mov_b32_e32 v51, v53
	s_xor_b64 exec, exec, s[0:1]
	s_cbranch_execz .LBB84_14
; %bb.13:
	v_mov_b32_e32 v53, 0
	v_mov_b32_e32 v51, v54
	s_waitcnt vmcnt(40)
	ds_write2_b32 v21, v14, v15 offset0:1 offset1:2
	s_waitcnt vmcnt(38)
	ds_write2_b32 v21, v10, v11 offset0:3 offset1:4
	;; [unrolled: 2-line block ×21, first 2 shown]
.LBB84_14:
	s_or_b64 exec, exec, s[0:1]
	s_waitcnt lgkmcnt(0)
	v_cmp_eq_f32_e64 s[0:1], 0, v50
	v_cmp_lt_i32_e32 vcc, 0, v53
	s_barrier
	s_and_saveexec_b64 s[2:3], vcc
	s_cbranch_execz .LBB84_16
; %bb.15:
	v_div_scale_f32 v54, s[18:19], v50, v50, 1.0
	v_rcp_f32_e32 v55, v54
	v_div_scale_f32 v56, vcc, 1.0, v50, 1.0
	v_fma_f32 v57, -v54, v55, 1.0
	v_fmac_f32_e32 v55, v57, v55
	v_mul_f32_e32 v57, v56, v55
	v_fma_f32 v58, -v54, v57, v56
	v_fmac_f32_e32 v57, v58, v55
	v_fma_f32 v54, -v54, v57, v56
	v_div_fmas_f32 v54, v54, v55, v57
	v_div_fixup_f32 v54, v54, v50, 1.0
	v_cndmask_b32_e64 v50, v54, v50, s[0:1]
	ds_read2_b32 v[54:55], v21 offset0:1 offset1:2
	ds_read2_b32 v[56:57], v21 offset0:3 offset1:4
	;; [unrolled: 1-line block ×3, first 2 shown]
	v_mul_f32_e32 v20, v50, v20
	ds_read2_b32 v[60:61], v21 offset0:7 offset1:8
	s_waitcnt vmcnt(40) lgkmcnt(3)
	v_pk_fma_f32 v[14:15], v[20:21], v[54:55], v[14:15] op_sel_hi:[0,1,1] neg_lo:[1,0,0] neg_hi:[1,0,0]
	s_waitcnt vmcnt(38) lgkmcnt(2)
	v_pk_fma_f32 v[10:11], v[20:21], v[56:57], v[10:11] op_sel_hi:[0,1,1] neg_lo:[1,0,0] neg_hi:[1,0,0]
	s_waitcnt vmcnt(36) lgkmcnt(1)
	v_pk_fma_f32 v[6:7], v[20:21], v[58:59], v[6:7] op_sel_hi:[0,1,1] neg_lo:[1,0,0] neg_hi:[1,0,0]
	ds_read2_b32 v[54:55], v21 offset0:9 offset1:10
	ds_read2_b32 v[56:57], v21 offset0:11 offset1:12
	;; [unrolled: 1-line block ×3, first 2 shown]
	s_waitcnt vmcnt(34) lgkmcnt(3)
	v_pk_fma_f32 v[0:1], v[20:21], v[60:61], v[0:1] op_sel_hi:[0,1,1] neg_lo:[1,0,0] neg_hi:[1,0,0]
	ds_read2_b32 v[60:61], v21 offset0:15 offset1:16
	s_waitcnt vmcnt(32) lgkmcnt(3)
	v_pk_fma_f32 v[28:29], v[20:21], v[54:55], v[28:29] op_sel_hi:[0,1,1] neg_lo:[1,0,0] neg_hi:[1,0,0]
	s_waitcnt vmcnt(30) lgkmcnt(2)
	v_pk_fma_f32 v[18:19], v[20:21], v[56:57], v[18:19] op_sel_hi:[0,1,1] neg_lo:[1,0,0] neg_hi:[1,0,0]
	;; [unrolled: 2-line block ×3, first 2 shown]
	ds_read2_b32 v[54:55], v21 offset0:17 offset1:18
	ds_read2_b32 v[56:57], v21 offset0:19 offset1:20
	;; [unrolled: 1-line block ×3, first 2 shown]
	s_waitcnt vmcnt(26) lgkmcnt(3)
	v_pk_fma_f32 v[8:9], v[20:21], v[60:61], v[8:9] op_sel_hi:[0,1,1] neg_lo:[1,0,0] neg_hi:[1,0,0]
	ds_read2_b32 v[60:61], v21 offset0:23 offset1:24
	s_waitcnt vmcnt(24) lgkmcnt(3)
	v_pk_fma_f32 v[34:35], v[20:21], v[54:55], v[34:35] op_sel_hi:[0,1,1] neg_lo:[1,0,0] neg_hi:[1,0,0]
	s_waitcnt vmcnt(22) lgkmcnt(2)
	v_pk_fma_f32 v[30:31], v[20:21], v[56:57], v[30:31] op_sel_hi:[0,1,1] neg_lo:[1,0,0] neg_hi:[1,0,0]
	;; [unrolled: 2-line block ×3, first 2 shown]
	ds_read2_b32 v[54:55], v21 offset0:25 offset1:26
	ds_read2_b32 v[56:57], v21 offset0:27 offset1:28
	;; [unrolled: 1-line block ×4, first 2 shown]
	s_waitcnt vmcnt(18) lgkmcnt(4)
	v_pk_fma_f32 v[16:17], v[20:21], v[60:61], v[16:17] op_sel_hi:[0,1,1] neg_lo:[1,0,0] neg_hi:[1,0,0]
	s_waitcnt vmcnt(16) lgkmcnt(3)
	v_pk_fma_f32 v[42:43], v[20:21], v[54:55], v[42:43] op_sel_hi:[0,1,1] neg_lo:[1,0,0] neg_hi:[1,0,0]
	;; [unrolled: 2-line block ×5, first 2 shown]
	ds_read2_b32 v[54:55], v21 offset0:33 offset1:34
	ds_read2_b32 v[56:57], v21 offset0:35 offset1:36
	;; [unrolled: 1-line block ×5, first 2 shown]
	s_waitcnt vmcnt(8) lgkmcnt(4)
	v_pk_fma_f32 v[48:49], v[20:21], v[54:55], v[48:49] op_sel_hi:[0,1,1] neg_lo:[1,0,0] neg_hi:[1,0,0]
	s_waitcnt vmcnt(6) lgkmcnt(3)
	v_pk_fma_f32 v[44:45], v[20:21], v[56:57], v[44:45] op_sel_hi:[0,1,1] neg_lo:[1,0,0] neg_hi:[1,0,0]
	;; [unrolled: 2-line block ×5, first 2 shown]
.LBB84_16:
	s_or_b64 exec, exec, s[2:3]
	v_lshl_add_u32 v50, v53, 2, v21
	s_barrier
	s_waitcnt vmcnt(41)
	ds_write_b32 v50, v14
	s_waitcnt lgkmcnt(0)
	s_barrier
	ds_read_b32 v54, v21 offset:4
	s_mov_b32 s2, 2
	s_cmp_lt_i32 s22, 3
	v_mov_b32_e32 v50, 1
	s_cbranch_scc1 .LBB84_19
; %bb.17:
	v_add3_u32 v55, v52, 0, 8
	v_mov_b32_e32 v50, 1
.LBB84_18:                              ; =>This Inner Loop Header: Depth=1
	ds_read_b32 v56, v55
	v_mov_b32_e32 v57, s2
	s_add_i32 s2, s2, 1
	v_add_u32_e32 v55, 4, v55
	s_cmp_lg_u32 s22, s2
	s_waitcnt lgkmcnt(0)
	v_cmp_lt_f32_e64 vcc, |v54|, |v56|
	s_nop 1
	v_cndmask_b32_e32 v54, v54, v56, vcc
	v_cndmask_b32_e32 v50, v50, v57, vcc
	s_cbranch_scc1 .LBB84_18
.LBB84_19:
	v_cmp_ne_u32_e32 vcc, v53, v50
	s_and_saveexec_b64 s[2:3], vcc
	s_xor_b64 s[2:3], exec, s[2:3]
	s_cbranch_execz .LBB84_25
; %bb.20:
	v_cmp_eq_u32_e32 vcc, 1, v53
	s_and_saveexec_b64 s[18:19], vcc
	s_cbranch_execz .LBB84_24
; %bb.21:
	v_cmp_ne_u32_e32 vcc, 1, v50
	s_xor_b64 s[20:21], s[16:17], -1
	s_and_b64 s[24:25], s[20:21], vcc
	s_and_saveexec_b64 s[20:21], s[24:25]
	s_cbranch_execz .LBB84_23
; %bb.22:
	v_ashrrev_i32_e32 v51, 31, v50
	v_lshl_add_u64 v[56:57], v[50:51], 2, v[22:23]
	global_load_dword v51, v[56:57], off
	global_load_dword v53, v[22:23], off offset:4
	s_waitcnt vmcnt(1)
	global_store_dword v[22:23], v51, off offset:4
	s_waitcnt vmcnt(1)
	global_store_dword v[56:57], v53, off
.LBB84_23:
	s_or_b64 exec, exec, s[20:21]
	v_mov_b32_e32 v51, v50
	v_mov_b32_e32 v53, v50
.LBB84_24:
	s_or_b64 exec, exec, s[18:19]
.LBB84_25:
	s_andn2_saveexec_b64 s[2:3], s[2:3]
	s_cbranch_execz .LBB84_27
; %bb.26:
	s_waitcnt vmcnt(38)
	v_pk_mov_b32 v[56:57], v[14:15], v[10:11] op_sel:[1,0]
	ds_write2_b32 v21, v56, v57 offset0:2 offset1:3
	s_waitcnt vmcnt(36)
	v_pk_mov_b32 v[56:57], v[10:11], v[6:7] op_sel:[1,0]
	ds_write2_b32 v21, v56, v57 offset0:4 offset1:5
	;; [unrolled: 3-line block ×19, first 2 shown]
	s_waitcnt vmcnt(0)
	v_pk_mov_b32 v[56:57], v[38:39], v[46:47] op_sel:[1,0]
	v_mov_b32_e32 v53, 1
	ds_write2_b32 v21, v56, v57 offset0:40 offset1:41
	ds_write_b32 v21, v47 offset:168
.LBB84_27:
	s_or_b64 exec, exec, s[2:3]
	s_waitcnt lgkmcnt(0)
	v_cmp_neq_f32_e64 s[2:3], 0, v54
	v_cmp_lt_i32_e32 vcc, 1, v53
	s_barrier
	s_and_saveexec_b64 s[18:19], vcc
	s_cbranch_execz .LBB84_29
; %bb.28:
	v_div_scale_f32 v50, s[20:21], v54, v54, 1.0
	v_rcp_f32_e32 v55, v50
	v_div_scale_f32 v56, vcc, 1.0, v54, 1.0
	v_fma_f32 v57, -v50, v55, 1.0
	v_fmac_f32_e32 v55, v57, v55
	v_mul_f32_e32 v57, v56, v55
	v_fma_f32 v58, -v50, v57, v56
	v_fmac_f32_e32 v57, v58, v55
	v_fma_f32 v50, -v50, v57, v56
	v_div_fmas_f32 v50, v50, v55, v57
	v_div_fixup_f32 v50, v50, v54, 1.0
	v_cndmask_b32_e64 v50, v54, v50, s[2:3]
	ds_read_b32 v60, v21 offset:8
	ds_read2_b32 v[54:55], v21 offset0:3 offset1:4
	ds_read2_b32 v[56:57], v21 offset0:5 offset1:6
	v_mul_f32_e32 v14, v50, v14
	ds_read2_b32 v[58:59], v21 offset0:7 offset1:8
	s_waitcnt vmcnt(40) lgkmcnt(3)
	v_fma_f32 v15, -v14, v60, v15
	s_waitcnt vmcnt(38) lgkmcnt(2)
	v_pk_fma_f32 v[10:11], v[14:15], v[54:55], v[10:11] op_sel_hi:[0,1,1] neg_lo:[1,0,0] neg_hi:[1,0,0]
	s_waitcnt vmcnt(36) lgkmcnt(1)
	v_pk_fma_f32 v[6:7], v[14:15], v[56:57], v[6:7] op_sel_hi:[0,1,1] neg_lo:[1,0,0] neg_hi:[1,0,0]
	ds_read2_b32 v[54:55], v21 offset0:9 offset1:10
	ds_read2_b32 v[56:57], v21 offset0:11 offset1:12
	;; [unrolled: 1-line block ×3, first 2 shown]
	s_waitcnt vmcnt(34) lgkmcnt(3)
	v_pk_fma_f32 v[0:1], v[14:15], v[58:59], v[0:1] op_sel_hi:[0,1,1] neg_lo:[1,0,0] neg_hi:[1,0,0]
	ds_read2_b32 v[58:59], v21 offset0:15 offset1:16
	s_waitcnt vmcnt(32) lgkmcnt(3)
	v_pk_fma_f32 v[28:29], v[14:15], v[54:55], v[28:29] op_sel_hi:[0,1,1] neg_lo:[1,0,0] neg_hi:[1,0,0]
	s_waitcnt vmcnt(30) lgkmcnt(2)
	v_pk_fma_f32 v[18:19], v[14:15], v[56:57], v[18:19] op_sel_hi:[0,1,1] neg_lo:[1,0,0] neg_hi:[1,0,0]
	;; [unrolled: 2-line block ×3, first 2 shown]
	ds_read2_b32 v[54:55], v21 offset0:17 offset1:18
	ds_read2_b32 v[56:57], v21 offset0:19 offset1:20
	ds_read2_b32 v[60:61], v21 offset0:21 offset1:22
	s_waitcnt vmcnt(26) lgkmcnt(3)
	v_pk_fma_f32 v[8:9], v[14:15], v[58:59], v[8:9] op_sel_hi:[0,1,1] neg_lo:[1,0,0] neg_hi:[1,0,0]
	ds_read2_b32 v[58:59], v21 offset0:23 offset1:24
	s_waitcnt vmcnt(24) lgkmcnt(3)
	v_pk_fma_f32 v[34:35], v[14:15], v[54:55], v[34:35] op_sel_hi:[0,1,1] neg_lo:[1,0,0] neg_hi:[1,0,0]
	s_waitcnt vmcnt(22) lgkmcnt(2)
	v_pk_fma_f32 v[30:31], v[14:15], v[56:57], v[30:31] op_sel_hi:[0,1,1] neg_lo:[1,0,0] neg_hi:[1,0,0]
	;; [unrolled: 2-line block ×3, first 2 shown]
	ds_read2_b32 v[54:55], v21 offset0:25 offset1:26
	ds_read2_b32 v[56:57], v21 offset0:27 offset1:28
	ds_read2_b32 v[60:61], v21 offset0:29 offset1:30
	ds_read2_b32 v[62:63], v21 offset0:31 offset1:32
	s_waitcnt vmcnt(18) lgkmcnt(4)
	v_pk_fma_f32 v[16:17], v[14:15], v[58:59], v[16:17] op_sel_hi:[0,1,1] neg_lo:[1,0,0] neg_hi:[1,0,0]
	s_waitcnt vmcnt(16) lgkmcnt(3)
	v_pk_fma_f32 v[42:43], v[14:15], v[54:55], v[42:43] op_sel_hi:[0,1,1] neg_lo:[1,0,0] neg_hi:[1,0,0]
	;; [unrolled: 2-line block ×5, first 2 shown]
	ds_read2_b32 v[54:55], v21 offset0:33 offset1:34
	ds_read2_b32 v[56:57], v21 offset0:35 offset1:36
	;; [unrolled: 1-line block ×5, first 2 shown]
	s_waitcnt vmcnt(8) lgkmcnt(4)
	v_pk_fma_f32 v[48:49], v[14:15], v[54:55], v[48:49] op_sel_hi:[0,1,1] neg_lo:[1,0,0] neg_hi:[1,0,0]
	s_waitcnt vmcnt(6) lgkmcnt(3)
	v_pk_fma_f32 v[44:45], v[14:15], v[56:57], v[44:45] op_sel_hi:[0,1,1] neg_lo:[1,0,0] neg_hi:[1,0,0]
	;; [unrolled: 2-line block ×5, first 2 shown]
.LBB84_29:
	s_or_b64 exec, exec, s[18:19]
	v_lshl_add_u32 v50, v53, 2, v21
	s_barrier
	s_waitcnt vmcnt(40)
	ds_write_b32 v50, v15
	s_waitcnt lgkmcnt(0)
	s_barrier
	ds_read_b32 v55, v21 offset:8
	s_cmp_lt_i32 s22, 4
	v_mov_b32_e32 v50, 2
	s_cbranch_scc1 .LBB84_32
; %bb.30:
	v_mov_b32_e32 v50, 2
	v_add3_u32 v54, v52, 0, 12
	s_mov_b32 s18, 3
.LBB84_31:                              ; =>This Inner Loop Header: Depth=1
	ds_read_b32 v56, v54
	v_mov_b32_e32 v57, s18
	s_add_i32 s18, s18, 1
	v_add_u32_e32 v54, 4, v54
	s_cmp_lg_u32 s22, s18
	s_waitcnt lgkmcnt(0)
	v_cmp_lt_f32_e64 vcc, |v55|, |v56|
	s_nop 1
	v_cndmask_b32_e32 v55, v55, v56, vcc
	v_cndmask_b32_e32 v50, v50, v57, vcc
	s_cbranch_scc1 .LBB84_31
.LBB84_32:
	v_cndmask_b32_e64 v54, 2, 1, s[0:1]
	v_cndmask_b32_e64 v56, 0, 1, s[0:1]
	;; [unrolled: 1-line block ×3, first 2 shown]
	s_waitcnt lgkmcnt(0)
	v_cmp_eq_f32_e32 vcc, 0, v55
	s_and_saveexec_b64 s[0:1], vcc
	s_xor_b64 s[0:1], exec, s[0:1]
; %bb.33:
	v_cmp_ne_u32_e32 vcc, 0, v54
	s_nop 1
	v_cndmask_b32_e32 v54, 3, v54, vcc
; %bb.34:
	s_andn2_saveexec_b64 s[0:1], s[0:1]
	s_cbranch_execz .LBB84_36
; %bb.35:
	v_div_scale_f32 v56, s[2:3], v55, v55, 1.0
	v_rcp_f32_e32 v57, v56
	v_div_scale_f32 v58, vcc, 1.0, v55, 1.0
	v_fma_f32 v59, -v56, v57, 1.0
	v_fmac_f32_e32 v57, v59, v57
	v_mul_f32_e32 v59, v58, v57
	v_fma_f32 v60, -v56, v59, v58
	v_fmac_f32_e32 v59, v60, v57
	v_fma_f32 v56, -v56, v59, v58
	v_div_fmas_f32 v56, v56, v57, v59
	v_div_fixup_f32 v55, v56, v55, 1.0
.LBB84_36:
	s_or_b64 exec, exec, s[0:1]
	v_cmp_ne_u32_e32 vcc, v53, v50
	s_and_saveexec_b64 s[0:1], vcc
	s_xor_b64 s[0:1], exec, s[0:1]
	s_cbranch_execz .LBB84_42
; %bb.37:
	v_cmp_eq_u32_e32 vcc, 2, v53
	s_and_saveexec_b64 s[2:3], vcc
	s_cbranch_execz .LBB84_41
; %bb.38:
	v_cmp_ne_u32_e32 vcc, 2, v50
	s_xor_b64 s[18:19], s[16:17], -1
	s_and_b64 s[20:21], s[18:19], vcc
	s_and_saveexec_b64 s[18:19], s[20:21]
	s_cbranch_execz .LBB84_40
; %bb.39:
	v_ashrrev_i32_e32 v51, 31, v50
	v_lshl_add_u64 v[56:57], v[50:51], 2, v[22:23]
	global_load_dword v51, v[56:57], off
	global_load_dword v53, v[22:23], off offset:8
	s_waitcnt vmcnt(1)
	global_store_dword v[22:23], v51, off offset:8
	s_waitcnt vmcnt(1)
	global_store_dword v[56:57], v53, off
.LBB84_40:
	s_or_b64 exec, exec, s[18:19]
	v_mov_b32_e32 v51, v50
	v_mov_b32_e32 v53, v50
.LBB84_41:
	s_or_b64 exec, exec, s[2:3]
.LBB84_42:
	s_andn2_saveexec_b64 s[0:1], s[0:1]
	s_cbranch_execz .LBB84_44
; %bb.43:
	v_mov_b32_e32 v53, 2
	s_waitcnt vmcnt(38)
	ds_write2_b32 v21, v10, v11 offset0:3 offset1:4
	s_waitcnt vmcnt(36)
	ds_write2_b32 v21, v6, v7 offset0:5 offset1:6
	;; [unrolled: 2-line block ×20, first 2 shown]
.LBB84_44:
	s_or_b64 exec, exec, s[0:1]
	v_cmp_lt_i32_e32 vcc, 2, v53
	s_waitcnt lgkmcnt(0)
	s_barrier
	s_and_saveexec_b64 s[0:1], vcc
	s_cbranch_execz .LBB84_46
; %bb.45:
	ds_read2_b32 v[56:57], v21 offset0:3 offset1:4
	ds_read2_b32 v[58:59], v21 offset0:5 offset1:6
	;; [unrolled: 1-line block ×3, first 2 shown]
	v_mul_f32_e32 v50, v55, v15
	ds_read2_b32 v[62:63], v21 offset0:9 offset1:10
	s_waitcnt vmcnt(38) lgkmcnt(3)
	v_pk_fma_f32 v[10:11], v[50:51], v[56:57], v[10:11] op_sel_hi:[0,1,1] neg_lo:[1,0,0] neg_hi:[1,0,0]
	s_waitcnt vmcnt(36) lgkmcnt(2)
	v_pk_fma_f32 v[6:7], v[50:51], v[58:59], v[6:7] op_sel_hi:[0,1,1] neg_lo:[1,0,0] neg_hi:[1,0,0]
	s_waitcnt vmcnt(34) lgkmcnt(1)
	v_pk_fma_f32 v[0:1], v[50:51], v[60:61], v[0:1] op_sel_hi:[0,1,1] neg_lo:[1,0,0] neg_hi:[1,0,0]
	ds_read2_b32 v[56:57], v21 offset0:11 offset1:12
	ds_read2_b32 v[58:59], v21 offset0:13 offset1:14
	ds_read2_b32 v[60:61], v21 offset0:15 offset1:16
	s_waitcnt vmcnt(32) lgkmcnt(3)
	v_pk_fma_f32 v[28:29], v[50:51], v[62:63], v[28:29] op_sel_hi:[0,1,1] neg_lo:[1,0,0] neg_hi:[1,0,0]
	ds_read2_b32 v[62:63], v21 offset0:17 offset1:18
	s_waitcnt vmcnt(30) lgkmcnt(3)
	v_pk_fma_f32 v[18:19], v[50:51], v[56:57], v[18:19] op_sel_hi:[0,1,1] neg_lo:[1,0,0] neg_hi:[1,0,0]
	s_waitcnt vmcnt(28) lgkmcnt(2)
	v_pk_fma_f32 v[12:13], v[50:51], v[58:59], v[12:13] op_sel_hi:[0,1,1] neg_lo:[1,0,0] neg_hi:[1,0,0]
	s_waitcnt vmcnt(26) lgkmcnt(1)
	v_pk_fma_f32 v[8:9], v[50:51], v[60:61], v[8:9] op_sel_hi:[0,1,1] neg_lo:[1,0,0] neg_hi:[1,0,0]
	ds_read2_b32 v[56:57], v21 offset0:19 offset1:20
	ds_read2_b32 v[58:59], v21 offset0:21 offset1:22
	ds_read2_b32 v[60:61], v21 offset0:23 offset1:24
	s_waitcnt vmcnt(24) lgkmcnt(3)
	v_pk_fma_f32 v[34:35], v[50:51], v[62:63], v[34:35] op_sel_hi:[0,1,1] neg_lo:[1,0,0] neg_hi:[1,0,0]
	;; [unrolled: 12-line block ×3, first 2 shown]
	ds_read2_b32 v[62:63], v21 offset0:33 offset1:34
	s_waitcnt vmcnt(14) lgkmcnt(3)
	v_pk_fma_f32 v[36:37], v[50:51], v[56:57], v[36:37] op_sel_hi:[0,1,1] neg_lo:[1,0,0] neg_hi:[1,0,0]
	s_waitcnt vmcnt(12) lgkmcnt(2)
	v_pk_fma_f32 v[32:33], v[50:51], v[58:59], v[32:33] op_sel_hi:[0,1,1] neg_lo:[1,0,0] neg_hi:[1,0,0]
	;; [unrolled: 2-line block ×3, first 2 shown]
	ds_read2_b32 v[56:57], v21 offset0:35 offset1:36
	ds_read2_b32 v[58:59], v21 offset0:37 offset1:38
	;; [unrolled: 1-line block ×4, first 2 shown]
	s_waitcnt vmcnt(8) lgkmcnt(4)
	v_pk_fma_f32 v[48:49], v[50:51], v[62:63], v[48:49] op_sel_hi:[0,1,1] neg_lo:[1,0,0] neg_hi:[1,0,0]
	s_waitcnt vmcnt(6) lgkmcnt(3)
	v_pk_fma_f32 v[44:45], v[50:51], v[56:57], v[44:45] op_sel_hi:[0,1,1] neg_lo:[1,0,0] neg_hi:[1,0,0]
	;; [unrolled: 2-line block ×5, first 2 shown]
	v_mov_b32_e32 v15, v50
.LBB84_46:
	s_or_b64 exec, exec, s[0:1]
	v_lshl_add_u32 v50, v53, 2, v21
	s_barrier
	s_waitcnt vmcnt(39)
	ds_write_b32 v50, v10
	s_waitcnt lgkmcnt(0)
	s_barrier
	ds_read_b32 v55, v21 offset:12
	s_cmp_lt_i32 s22, 5
	v_mov_b32_e32 v50, 3
	s_cbranch_scc1 .LBB84_49
; %bb.47:
	v_add3_u32 v56, v52, 0, 16
	v_mov_b32_e32 v50, 3
	s_mov_b32 s0, 4
.LBB84_48:                              ; =>This Inner Loop Header: Depth=1
	ds_read_b32 v57, v56
	v_mov_b32_e32 v58, s0
	s_add_i32 s0, s0, 1
	v_add_u32_e32 v56, 4, v56
	s_cmp_lg_u32 s22, s0
	s_waitcnt lgkmcnt(0)
	v_cmp_lt_f32_e64 vcc, |v55|, |v57|
	s_nop 1
	v_cndmask_b32_e32 v55, v55, v57, vcc
	v_cndmask_b32_e32 v50, v50, v58, vcc
	s_cbranch_scc1 .LBB84_48
.LBB84_49:
	s_waitcnt lgkmcnt(0)
	v_cmp_eq_f32_e32 vcc, 0, v55
	s_and_saveexec_b64 s[0:1], vcc
	s_xor_b64 s[0:1], exec, s[0:1]
; %bb.50:
	v_cmp_ne_u32_e32 vcc, 0, v54
	s_nop 1
	v_cndmask_b32_e32 v54, 4, v54, vcc
; %bb.51:
	s_andn2_saveexec_b64 s[0:1], s[0:1]
	s_cbranch_execz .LBB84_53
; %bb.52:
	v_div_scale_f32 v56, s[2:3], v55, v55, 1.0
	v_rcp_f32_e32 v57, v56
	v_div_scale_f32 v58, vcc, 1.0, v55, 1.0
	v_fma_f32 v59, -v56, v57, 1.0
	v_fmac_f32_e32 v57, v59, v57
	v_mul_f32_e32 v59, v58, v57
	v_fma_f32 v60, -v56, v59, v58
	v_fmac_f32_e32 v59, v60, v57
	v_fma_f32 v56, -v56, v59, v58
	v_div_fmas_f32 v56, v56, v57, v59
	v_div_fixup_f32 v55, v56, v55, 1.0
.LBB84_53:
	s_or_b64 exec, exec, s[0:1]
	v_cmp_ne_u32_e32 vcc, v53, v50
	s_and_saveexec_b64 s[0:1], vcc
	s_xor_b64 s[0:1], exec, s[0:1]
	s_cbranch_execz .LBB84_59
; %bb.54:
	v_cmp_eq_u32_e32 vcc, 3, v53
	s_and_saveexec_b64 s[2:3], vcc
	s_cbranch_execz .LBB84_58
; %bb.55:
	v_cmp_ne_u32_e32 vcc, 3, v50
	s_xor_b64 s[18:19], s[16:17], -1
	s_and_b64 s[20:21], s[18:19], vcc
	s_and_saveexec_b64 s[18:19], s[20:21]
	s_cbranch_execz .LBB84_57
; %bb.56:
	v_ashrrev_i32_e32 v51, 31, v50
	v_lshl_add_u64 v[56:57], v[50:51], 2, v[22:23]
	global_load_dword v51, v[56:57], off
	global_load_dword v53, v[22:23], off offset:12
	s_waitcnt vmcnt(1)
	global_store_dword v[22:23], v51, off offset:12
	s_waitcnt vmcnt(1)
	global_store_dword v[56:57], v53, off
.LBB84_57:
	s_or_b64 exec, exec, s[18:19]
	v_mov_b32_e32 v51, v50
	v_mov_b32_e32 v53, v50
.LBB84_58:
	s_or_b64 exec, exec, s[2:3]
.LBB84_59:
	s_andn2_saveexec_b64 s[0:1], s[0:1]
	s_cbranch_execz .LBB84_61
; %bb.60:
	s_waitcnt vmcnt(36)
	v_pk_mov_b32 v[56:57], v[10:11], v[6:7] op_sel:[1,0]
	ds_write2_b32 v21, v56, v57 offset0:4 offset1:5
	s_waitcnt vmcnt(34)
	v_pk_mov_b32 v[56:57], v[6:7], v[0:1] op_sel:[1,0]
	ds_write2_b32 v21, v56, v57 offset0:6 offset1:7
	;; [unrolled: 3-line block ×18, first 2 shown]
	s_waitcnt vmcnt(0)
	v_pk_mov_b32 v[56:57], v[38:39], v[46:47] op_sel:[1,0]
	v_mov_b32_e32 v53, 3
	ds_write2_b32 v21, v56, v57 offset0:40 offset1:41
	ds_write_b32 v21, v47 offset:168
.LBB84_61:
	s_or_b64 exec, exec, s[0:1]
	v_cmp_lt_i32_e32 vcc, 3, v53
	s_waitcnt lgkmcnt(0)
	s_barrier
	s_and_saveexec_b64 s[0:1], vcc
	s_cbranch_execz .LBB84_63
; %bb.62:
	ds_read_b32 v50, v21 offset:16
	ds_read2_b32 v[56:57], v21 offset0:5 offset1:6
	ds_read2_b32 v[58:59], v21 offset0:7 offset1:8
	v_mul_f32_e32 v10, v55, v10
	ds_read2_b32 v[60:61], v21 offset0:9 offset1:10
	s_waitcnt vmcnt(38) lgkmcnt(3)
	v_fma_f32 v11, -v10, v50, v11
	s_waitcnt vmcnt(36) lgkmcnt(2)
	v_pk_fma_f32 v[6:7], v[10:11], v[56:57], v[6:7] op_sel_hi:[0,1,1] neg_lo:[1,0,0] neg_hi:[1,0,0]
	s_waitcnt vmcnt(34) lgkmcnt(1)
	v_pk_fma_f32 v[0:1], v[10:11], v[58:59], v[0:1] op_sel_hi:[0,1,1] neg_lo:[1,0,0] neg_hi:[1,0,0]
	ds_read2_b32 v[56:57], v21 offset0:11 offset1:12
	ds_read2_b32 v[58:59], v21 offset0:13 offset1:14
	ds_read2_b32 v[62:63], v21 offset0:15 offset1:16
	s_waitcnt vmcnt(32) lgkmcnt(3)
	v_pk_fma_f32 v[28:29], v[10:11], v[60:61], v[28:29] op_sel_hi:[0,1,1] neg_lo:[1,0,0] neg_hi:[1,0,0]
	ds_read2_b32 v[60:61], v21 offset0:17 offset1:18
	s_waitcnt vmcnt(30) lgkmcnt(3)
	v_pk_fma_f32 v[18:19], v[10:11], v[56:57], v[18:19] op_sel_hi:[0,1,1] neg_lo:[1,0,0] neg_hi:[1,0,0]
	s_waitcnt vmcnt(28) lgkmcnt(2)
	v_pk_fma_f32 v[12:13], v[10:11], v[58:59], v[12:13] op_sel_hi:[0,1,1] neg_lo:[1,0,0] neg_hi:[1,0,0]
	s_waitcnt vmcnt(26) lgkmcnt(1)
	v_pk_fma_f32 v[8:9], v[10:11], v[62:63], v[8:9] op_sel_hi:[0,1,1] neg_lo:[1,0,0] neg_hi:[1,0,0]
	ds_read2_b32 v[56:57], v21 offset0:19 offset1:20
	ds_read2_b32 v[58:59], v21 offset0:21 offset1:22
	ds_read2_b32 v[62:63], v21 offset0:23 offset1:24
	s_waitcnt vmcnt(24) lgkmcnt(3)
	v_pk_fma_f32 v[34:35], v[10:11], v[60:61], v[34:35] op_sel_hi:[0,1,1] neg_lo:[1,0,0] neg_hi:[1,0,0]
	ds_read2_b32 v[60:61], v21 offset0:25 offset1:26
	s_waitcnt vmcnt(22) lgkmcnt(3)
	v_pk_fma_f32 v[30:31], v[10:11], v[56:57], v[30:31] op_sel_hi:[0,1,1] neg_lo:[1,0,0] neg_hi:[1,0,0]
	;; [unrolled: 12-line block ×3, first 2 shown]
	s_waitcnt vmcnt(12) lgkmcnt(2)
	v_pk_fma_f32 v[32:33], v[10:11], v[58:59], v[32:33] op_sel_hi:[0,1,1] neg_lo:[1,0,0] neg_hi:[1,0,0]
	s_waitcnt vmcnt(10) lgkmcnt(1)
	v_pk_fma_f32 v[26:27], v[10:11], v[62:63], v[26:27] op_sel_hi:[0,1,1] neg_lo:[1,0,0] neg_hi:[1,0,0]
	ds_read2_b32 v[56:57], v21 offset0:35 offset1:36
	ds_read2_b32 v[58:59], v21 offset0:37 offset1:38
	;; [unrolled: 1-line block ×4, first 2 shown]
	s_waitcnt vmcnt(8) lgkmcnt(4)
	v_pk_fma_f32 v[48:49], v[10:11], v[60:61], v[48:49] op_sel_hi:[0,1,1] neg_lo:[1,0,0] neg_hi:[1,0,0]
	s_waitcnt vmcnt(6) lgkmcnt(3)
	v_pk_fma_f32 v[44:45], v[10:11], v[56:57], v[44:45] op_sel_hi:[0,1,1] neg_lo:[1,0,0] neg_hi:[1,0,0]
	;; [unrolled: 2-line block ×5, first 2 shown]
.LBB84_63:
	s_or_b64 exec, exec, s[0:1]
	v_lshl_add_u32 v50, v53, 2, v21
	s_barrier
	s_waitcnt vmcnt(38)
	ds_write_b32 v50, v11
	s_waitcnt lgkmcnt(0)
	s_barrier
	ds_read_b32 v55, v21 offset:16
	s_cmp_lt_i32 s22, 6
	v_mov_b32_e32 v50, 4
	s_cbranch_scc1 .LBB84_66
; %bb.64:
	v_add3_u32 v56, v52, 0, 20
	v_mov_b32_e32 v50, 4
	s_mov_b32 s0, 5
.LBB84_65:                              ; =>This Inner Loop Header: Depth=1
	ds_read_b32 v57, v56
	v_mov_b32_e32 v58, s0
	s_add_i32 s0, s0, 1
	v_add_u32_e32 v56, 4, v56
	s_cmp_lg_u32 s22, s0
	s_waitcnt lgkmcnt(0)
	v_cmp_lt_f32_e64 vcc, |v55|, |v57|
	s_nop 1
	v_cndmask_b32_e32 v55, v55, v57, vcc
	v_cndmask_b32_e32 v50, v50, v58, vcc
	s_cbranch_scc1 .LBB84_65
.LBB84_66:
	s_waitcnt lgkmcnt(0)
	v_cmp_eq_f32_e32 vcc, 0, v55
	s_and_saveexec_b64 s[0:1], vcc
	s_xor_b64 s[0:1], exec, s[0:1]
; %bb.67:
	v_cmp_ne_u32_e32 vcc, 0, v54
	s_nop 1
	v_cndmask_b32_e32 v54, 5, v54, vcc
; %bb.68:
	s_andn2_saveexec_b64 s[0:1], s[0:1]
	s_cbranch_execz .LBB84_70
; %bb.69:
	v_div_scale_f32 v56, s[2:3], v55, v55, 1.0
	v_rcp_f32_e32 v57, v56
	v_div_scale_f32 v58, vcc, 1.0, v55, 1.0
	v_fma_f32 v59, -v56, v57, 1.0
	v_fmac_f32_e32 v57, v59, v57
	v_mul_f32_e32 v59, v58, v57
	v_fma_f32 v60, -v56, v59, v58
	v_fmac_f32_e32 v59, v60, v57
	v_fma_f32 v56, -v56, v59, v58
	v_div_fmas_f32 v56, v56, v57, v59
	v_div_fixup_f32 v55, v56, v55, 1.0
.LBB84_70:
	s_or_b64 exec, exec, s[0:1]
	v_cmp_ne_u32_e32 vcc, v53, v50
	s_and_saveexec_b64 s[0:1], vcc
	s_xor_b64 s[0:1], exec, s[0:1]
	s_cbranch_execz .LBB84_76
; %bb.71:
	v_cmp_eq_u32_e32 vcc, 4, v53
	s_and_saveexec_b64 s[2:3], vcc
	s_cbranch_execz .LBB84_75
; %bb.72:
	v_cmp_ne_u32_e32 vcc, 4, v50
	s_xor_b64 s[18:19], s[16:17], -1
	s_and_b64 s[20:21], s[18:19], vcc
	s_and_saveexec_b64 s[18:19], s[20:21]
	s_cbranch_execz .LBB84_74
; %bb.73:
	v_ashrrev_i32_e32 v51, 31, v50
	v_lshl_add_u64 v[56:57], v[50:51], 2, v[22:23]
	global_load_dword v51, v[56:57], off
	global_load_dword v53, v[22:23], off offset:16
	s_waitcnt vmcnt(1)
	global_store_dword v[22:23], v51, off offset:16
	s_waitcnt vmcnt(1)
	global_store_dword v[56:57], v53, off
.LBB84_74:
	s_or_b64 exec, exec, s[18:19]
	v_mov_b32_e32 v51, v50
	v_mov_b32_e32 v53, v50
.LBB84_75:
	s_or_b64 exec, exec, s[2:3]
.LBB84_76:
	s_andn2_saveexec_b64 s[0:1], s[0:1]
	s_cbranch_execz .LBB84_78
; %bb.77:
	v_mov_b32_e32 v53, 4
	s_waitcnt vmcnt(36)
	ds_write2_b32 v21, v6, v7 offset0:5 offset1:6
	s_waitcnt vmcnt(34)
	ds_write2_b32 v21, v0, v1 offset0:7 offset1:8
	;; [unrolled: 2-line block ×19, first 2 shown]
.LBB84_78:
	s_or_b64 exec, exec, s[0:1]
	v_cmp_lt_i32_e32 vcc, 4, v53
	s_waitcnt lgkmcnt(0)
	s_barrier
	s_and_saveexec_b64 s[0:1], vcc
	s_cbranch_execz .LBB84_80
; %bb.79:
	ds_read2_b32 v[56:57], v21 offset0:5 offset1:6
	ds_read2_b32 v[58:59], v21 offset0:7 offset1:8
	;; [unrolled: 1-line block ×3, first 2 shown]
	v_mul_f32_e32 v50, v55, v11
	ds_read2_b32 v[62:63], v21 offset0:11 offset1:12
	s_waitcnt vmcnt(36) lgkmcnt(3)
	v_pk_fma_f32 v[6:7], v[50:51], v[56:57], v[6:7] op_sel_hi:[0,1,1] neg_lo:[1,0,0] neg_hi:[1,0,0]
	s_waitcnt vmcnt(34) lgkmcnt(2)
	v_pk_fma_f32 v[0:1], v[50:51], v[58:59], v[0:1] op_sel_hi:[0,1,1] neg_lo:[1,0,0] neg_hi:[1,0,0]
	;; [unrolled: 2-line block ×3, first 2 shown]
	ds_read2_b32 v[56:57], v21 offset0:13 offset1:14
	ds_read2_b32 v[58:59], v21 offset0:15 offset1:16
	;; [unrolled: 1-line block ×3, first 2 shown]
	s_waitcnt vmcnt(30) lgkmcnt(3)
	v_pk_fma_f32 v[18:19], v[50:51], v[62:63], v[18:19] op_sel_hi:[0,1,1] neg_lo:[1,0,0] neg_hi:[1,0,0]
	ds_read2_b32 v[62:63], v21 offset0:19 offset1:20
	s_waitcnt vmcnt(28) lgkmcnt(3)
	v_pk_fma_f32 v[12:13], v[50:51], v[56:57], v[12:13] op_sel_hi:[0,1,1] neg_lo:[1,0,0] neg_hi:[1,0,0]
	s_waitcnt vmcnt(26) lgkmcnt(2)
	v_pk_fma_f32 v[8:9], v[50:51], v[58:59], v[8:9] op_sel_hi:[0,1,1] neg_lo:[1,0,0] neg_hi:[1,0,0]
	;; [unrolled: 2-line block ×3, first 2 shown]
	ds_read2_b32 v[56:57], v21 offset0:21 offset1:22
	ds_read2_b32 v[58:59], v21 offset0:23 offset1:24
	;; [unrolled: 1-line block ×3, first 2 shown]
	s_waitcnt vmcnt(22) lgkmcnt(3)
	v_pk_fma_f32 v[30:31], v[50:51], v[62:63], v[30:31] op_sel_hi:[0,1,1] neg_lo:[1,0,0] neg_hi:[1,0,0]
	ds_read2_b32 v[62:63], v21 offset0:27 offset1:28
	s_waitcnt vmcnt(20) lgkmcnt(3)
	v_pk_fma_f32 v[24:25], v[50:51], v[56:57], v[24:25] op_sel_hi:[0,1,1] neg_lo:[1,0,0] neg_hi:[1,0,0]
	s_waitcnt vmcnt(18) lgkmcnt(2)
	v_pk_fma_f32 v[16:17], v[50:51], v[58:59], v[16:17] op_sel_hi:[0,1,1] neg_lo:[1,0,0] neg_hi:[1,0,0]
	ds_read2_b32 v[56:57], v21 offset0:29 offset1:30
	ds_read2_b32 v[58:59], v21 offset0:31 offset1:32
	s_waitcnt vmcnt(16) lgkmcnt(3)
	v_pk_fma_f32 v[42:43], v[50:51], v[60:61], v[42:43] op_sel_hi:[0,1,1] neg_lo:[1,0,0] neg_hi:[1,0,0]
	s_waitcnt vmcnt(14) lgkmcnt(2)
	v_pk_fma_f32 v[36:37], v[50:51], v[62:63], v[36:37] op_sel_hi:[0,1,1] neg_lo:[1,0,0] neg_hi:[1,0,0]
	ds_read2_b32 v[60:61], v21 offset0:33 offset1:34
	;; [unrolled: 6-line block ×3, first 2 shown]
	ds_read2_b32 v[58:59], v21 offset0:39 offset1:40
	ds_read2_b32 v[64:65], v21 offset0:41 offset1:42
	s_waitcnt vmcnt(8) lgkmcnt(4)
	v_pk_fma_f32 v[48:49], v[50:51], v[60:61], v[48:49] op_sel_hi:[0,1,1] neg_lo:[1,0,0] neg_hi:[1,0,0]
	s_waitcnt vmcnt(6) lgkmcnt(3)
	v_pk_fma_f32 v[44:45], v[50:51], v[62:63], v[44:45] op_sel_hi:[0,1,1] neg_lo:[1,0,0] neg_hi:[1,0,0]
	;; [unrolled: 2-line block ×5, first 2 shown]
	v_mov_b32_e32 v11, v50
.LBB84_80:
	s_or_b64 exec, exec, s[0:1]
	v_lshl_add_u32 v50, v53, 2, v21
	s_barrier
	s_waitcnt vmcnt(37)
	ds_write_b32 v50, v6
	s_waitcnt lgkmcnt(0)
	s_barrier
	ds_read_b32 v55, v21 offset:20
	s_cmp_lt_i32 s22, 7
	v_mov_b32_e32 v50, 5
	s_cbranch_scc1 .LBB84_83
; %bb.81:
	v_add3_u32 v56, v52, 0, 24
	v_mov_b32_e32 v50, 5
	s_mov_b32 s0, 6
.LBB84_82:                              ; =>This Inner Loop Header: Depth=1
	ds_read_b32 v57, v56
	v_mov_b32_e32 v58, s0
	s_add_i32 s0, s0, 1
	v_add_u32_e32 v56, 4, v56
	s_cmp_lg_u32 s22, s0
	s_waitcnt lgkmcnt(0)
	v_cmp_lt_f32_e64 vcc, |v55|, |v57|
	s_nop 1
	v_cndmask_b32_e32 v55, v55, v57, vcc
	v_cndmask_b32_e32 v50, v50, v58, vcc
	s_cbranch_scc1 .LBB84_82
.LBB84_83:
	s_waitcnt lgkmcnt(0)
	v_cmp_eq_f32_e32 vcc, 0, v55
	s_and_saveexec_b64 s[0:1], vcc
	s_xor_b64 s[0:1], exec, s[0:1]
; %bb.84:
	v_cmp_ne_u32_e32 vcc, 0, v54
	s_nop 1
	v_cndmask_b32_e32 v54, 6, v54, vcc
; %bb.85:
	s_andn2_saveexec_b64 s[0:1], s[0:1]
	s_cbranch_execz .LBB84_87
; %bb.86:
	v_div_scale_f32 v56, s[2:3], v55, v55, 1.0
	v_rcp_f32_e32 v57, v56
	v_div_scale_f32 v58, vcc, 1.0, v55, 1.0
	v_fma_f32 v59, -v56, v57, 1.0
	v_fmac_f32_e32 v57, v59, v57
	v_mul_f32_e32 v59, v58, v57
	v_fma_f32 v60, -v56, v59, v58
	v_fmac_f32_e32 v59, v60, v57
	v_fma_f32 v56, -v56, v59, v58
	v_div_fmas_f32 v56, v56, v57, v59
	v_div_fixup_f32 v55, v56, v55, 1.0
.LBB84_87:
	s_or_b64 exec, exec, s[0:1]
	v_cmp_ne_u32_e32 vcc, v53, v50
	s_and_saveexec_b64 s[0:1], vcc
	s_xor_b64 s[0:1], exec, s[0:1]
	s_cbranch_execz .LBB84_93
; %bb.88:
	v_cmp_eq_u32_e32 vcc, 5, v53
	s_and_saveexec_b64 s[2:3], vcc
	s_cbranch_execz .LBB84_92
; %bb.89:
	v_cmp_ne_u32_e32 vcc, 5, v50
	s_xor_b64 s[18:19], s[16:17], -1
	s_and_b64 s[20:21], s[18:19], vcc
	s_and_saveexec_b64 s[18:19], s[20:21]
	s_cbranch_execz .LBB84_91
; %bb.90:
	v_ashrrev_i32_e32 v51, 31, v50
	v_lshl_add_u64 v[56:57], v[50:51], 2, v[22:23]
	global_load_dword v51, v[56:57], off
	global_load_dword v53, v[22:23], off offset:20
	s_waitcnt vmcnt(1)
	global_store_dword v[22:23], v51, off offset:20
	s_waitcnt vmcnt(1)
	global_store_dword v[56:57], v53, off
.LBB84_91:
	s_or_b64 exec, exec, s[18:19]
	v_mov_b32_e32 v51, v50
	v_mov_b32_e32 v53, v50
.LBB84_92:
	s_or_b64 exec, exec, s[2:3]
.LBB84_93:
	s_andn2_saveexec_b64 s[0:1], s[0:1]
	s_cbranch_execz .LBB84_95
; %bb.94:
	s_waitcnt vmcnt(34)
	v_pk_mov_b32 v[56:57], v[6:7], v[0:1] op_sel:[1,0]
	ds_write2_b32 v21, v56, v57 offset0:6 offset1:7
	s_waitcnt vmcnt(32)
	v_pk_mov_b32 v[56:57], v[0:1], v[28:29] op_sel:[1,0]
	ds_write2_b32 v21, v56, v57 offset0:8 offset1:9
	;; [unrolled: 3-line block ×17, first 2 shown]
	s_waitcnt vmcnt(0)
	v_pk_mov_b32 v[56:57], v[38:39], v[46:47] op_sel:[1,0]
	v_mov_b32_e32 v53, 5
	ds_write2_b32 v21, v56, v57 offset0:40 offset1:41
	ds_write_b32 v21, v47 offset:168
.LBB84_95:
	s_or_b64 exec, exec, s[0:1]
	v_cmp_lt_i32_e32 vcc, 5, v53
	s_waitcnt lgkmcnt(0)
	s_barrier
	s_and_saveexec_b64 s[0:1], vcc
	s_cbranch_execz .LBB84_97
; %bb.96:
	ds_read_b32 v50, v21 offset:24
	ds_read2_b32 v[56:57], v21 offset0:7 offset1:8
	ds_read2_b32 v[58:59], v21 offset0:9 offset1:10
	v_mul_f32_e32 v6, v55, v6
	ds_read2_b32 v[60:61], v21 offset0:11 offset1:12
	s_waitcnt vmcnt(36) lgkmcnt(3)
	v_fma_f32 v7, -v6, v50, v7
	s_waitcnt vmcnt(34) lgkmcnt(2)
	v_pk_fma_f32 v[0:1], v[6:7], v[56:57], v[0:1] op_sel_hi:[0,1,1] neg_lo:[1,0,0] neg_hi:[1,0,0]
	s_waitcnt vmcnt(32) lgkmcnt(1)
	v_pk_fma_f32 v[28:29], v[6:7], v[58:59], v[28:29] op_sel_hi:[0,1,1] neg_lo:[1,0,0] neg_hi:[1,0,0]
	ds_read2_b32 v[56:57], v21 offset0:13 offset1:14
	ds_read2_b32 v[58:59], v21 offset0:15 offset1:16
	;; [unrolled: 1-line block ×3, first 2 shown]
	s_waitcnt vmcnt(30) lgkmcnt(3)
	v_pk_fma_f32 v[18:19], v[6:7], v[60:61], v[18:19] op_sel_hi:[0,1,1] neg_lo:[1,0,0] neg_hi:[1,0,0]
	ds_read2_b32 v[60:61], v21 offset0:19 offset1:20
	s_waitcnt vmcnt(28) lgkmcnt(3)
	v_pk_fma_f32 v[12:13], v[6:7], v[56:57], v[12:13] op_sel_hi:[0,1,1] neg_lo:[1,0,0] neg_hi:[1,0,0]
	s_waitcnt vmcnt(26) lgkmcnt(2)
	v_pk_fma_f32 v[8:9], v[6:7], v[58:59], v[8:9] op_sel_hi:[0,1,1] neg_lo:[1,0,0] neg_hi:[1,0,0]
	s_waitcnt vmcnt(24) lgkmcnt(1)
	v_pk_fma_f32 v[34:35], v[6:7], v[62:63], v[34:35] op_sel_hi:[0,1,1] neg_lo:[1,0,0] neg_hi:[1,0,0]
	ds_read2_b32 v[56:57], v21 offset0:21 offset1:22
	ds_read2_b32 v[58:59], v21 offset0:23 offset1:24
	;; [unrolled: 1-line block ×3, first 2 shown]
	s_waitcnt vmcnt(22) lgkmcnt(3)
	v_pk_fma_f32 v[30:31], v[6:7], v[60:61], v[30:31] op_sel_hi:[0,1,1] neg_lo:[1,0,0] neg_hi:[1,0,0]
	ds_read2_b32 v[60:61], v21 offset0:27 offset1:28
	s_waitcnt vmcnt(20) lgkmcnt(3)
	v_pk_fma_f32 v[24:25], v[6:7], v[56:57], v[24:25] op_sel_hi:[0,1,1] neg_lo:[1,0,0] neg_hi:[1,0,0]
	s_waitcnt vmcnt(18) lgkmcnt(2)
	v_pk_fma_f32 v[16:17], v[6:7], v[58:59], v[16:17] op_sel_hi:[0,1,1] neg_lo:[1,0,0] neg_hi:[1,0,0]
	ds_read2_b32 v[56:57], v21 offset0:29 offset1:30
	ds_read2_b32 v[58:59], v21 offset0:31 offset1:32
	s_waitcnt vmcnt(16) lgkmcnt(3)
	v_pk_fma_f32 v[42:43], v[6:7], v[62:63], v[42:43] op_sel_hi:[0,1,1] neg_lo:[1,0,0] neg_hi:[1,0,0]
	s_waitcnt vmcnt(14) lgkmcnt(2)
	v_pk_fma_f32 v[36:37], v[6:7], v[60:61], v[36:37] op_sel_hi:[0,1,1] neg_lo:[1,0,0] neg_hi:[1,0,0]
	ds_read2_b32 v[60:61], v21 offset0:33 offset1:34
	;; [unrolled: 6-line block ×3, first 2 shown]
	ds_read2_b32 v[58:59], v21 offset0:39 offset1:40
	ds_read2_b32 v[64:65], v21 offset0:41 offset1:42
	s_waitcnt vmcnt(8) lgkmcnt(4)
	v_pk_fma_f32 v[48:49], v[6:7], v[60:61], v[48:49] op_sel_hi:[0,1,1] neg_lo:[1,0,0] neg_hi:[1,0,0]
	s_waitcnt vmcnt(6) lgkmcnt(3)
	v_pk_fma_f32 v[44:45], v[6:7], v[62:63], v[44:45] op_sel_hi:[0,1,1] neg_lo:[1,0,0] neg_hi:[1,0,0]
	;; [unrolled: 2-line block ×5, first 2 shown]
.LBB84_97:
	s_or_b64 exec, exec, s[0:1]
	v_lshl_add_u32 v50, v53, 2, v21
	s_barrier
	s_waitcnt vmcnt(36)
	ds_write_b32 v50, v7
	s_waitcnt lgkmcnt(0)
	s_barrier
	ds_read_b32 v55, v21 offset:24
	s_cmp_lt_i32 s22, 8
	v_mov_b32_e32 v50, 6
	s_cbranch_scc1 .LBB84_100
; %bb.98:
	v_add3_u32 v56, v52, 0, 28
	v_mov_b32_e32 v50, 6
	s_mov_b32 s0, 7
.LBB84_99:                              ; =>This Inner Loop Header: Depth=1
	ds_read_b32 v57, v56
	v_mov_b32_e32 v58, s0
	s_add_i32 s0, s0, 1
	v_add_u32_e32 v56, 4, v56
	s_cmp_lg_u32 s22, s0
	s_waitcnt lgkmcnt(0)
	v_cmp_lt_f32_e64 vcc, |v55|, |v57|
	s_nop 1
	v_cndmask_b32_e32 v55, v55, v57, vcc
	v_cndmask_b32_e32 v50, v50, v58, vcc
	s_cbranch_scc1 .LBB84_99
.LBB84_100:
	s_waitcnt lgkmcnt(0)
	v_cmp_eq_f32_e32 vcc, 0, v55
	s_and_saveexec_b64 s[0:1], vcc
	s_xor_b64 s[0:1], exec, s[0:1]
; %bb.101:
	v_cmp_ne_u32_e32 vcc, 0, v54
	s_nop 1
	v_cndmask_b32_e32 v54, 7, v54, vcc
; %bb.102:
	s_andn2_saveexec_b64 s[0:1], s[0:1]
	s_cbranch_execz .LBB84_104
; %bb.103:
	v_div_scale_f32 v56, s[2:3], v55, v55, 1.0
	v_rcp_f32_e32 v57, v56
	v_div_scale_f32 v58, vcc, 1.0, v55, 1.0
	v_fma_f32 v59, -v56, v57, 1.0
	v_fmac_f32_e32 v57, v59, v57
	v_mul_f32_e32 v59, v58, v57
	v_fma_f32 v60, -v56, v59, v58
	v_fmac_f32_e32 v59, v60, v57
	v_fma_f32 v56, -v56, v59, v58
	v_div_fmas_f32 v56, v56, v57, v59
	v_div_fixup_f32 v55, v56, v55, 1.0
.LBB84_104:
	s_or_b64 exec, exec, s[0:1]
	v_cmp_ne_u32_e32 vcc, v53, v50
	s_and_saveexec_b64 s[0:1], vcc
	s_xor_b64 s[0:1], exec, s[0:1]
	s_cbranch_execz .LBB84_110
; %bb.105:
	v_cmp_eq_u32_e32 vcc, 6, v53
	s_and_saveexec_b64 s[2:3], vcc
	s_cbranch_execz .LBB84_109
; %bb.106:
	v_cmp_ne_u32_e32 vcc, 6, v50
	s_xor_b64 s[18:19], s[16:17], -1
	s_and_b64 s[20:21], s[18:19], vcc
	s_and_saveexec_b64 s[18:19], s[20:21]
	s_cbranch_execz .LBB84_108
; %bb.107:
	v_ashrrev_i32_e32 v51, 31, v50
	v_lshl_add_u64 v[56:57], v[50:51], 2, v[22:23]
	global_load_dword v51, v[56:57], off
	global_load_dword v53, v[22:23], off offset:24
	s_waitcnt vmcnt(1)
	global_store_dword v[22:23], v51, off offset:24
	s_waitcnt vmcnt(1)
	global_store_dword v[56:57], v53, off
.LBB84_108:
	s_or_b64 exec, exec, s[18:19]
	v_mov_b32_e32 v51, v50
	v_mov_b32_e32 v53, v50
.LBB84_109:
	s_or_b64 exec, exec, s[2:3]
.LBB84_110:
	s_andn2_saveexec_b64 s[0:1], s[0:1]
	s_cbranch_execz .LBB84_112
; %bb.111:
	v_mov_b32_e32 v53, 6
	s_waitcnt vmcnt(34)
	ds_write2_b32 v21, v0, v1 offset0:7 offset1:8
	s_waitcnt vmcnt(32)
	ds_write2_b32 v21, v28, v29 offset0:9 offset1:10
	;; [unrolled: 2-line block ×18, first 2 shown]
.LBB84_112:
	s_or_b64 exec, exec, s[0:1]
	v_cmp_lt_i32_e32 vcc, 6, v53
	s_waitcnt lgkmcnt(0)
	s_barrier
	s_and_saveexec_b64 s[0:1], vcc
	s_cbranch_execz .LBB84_114
; %bb.113:
	ds_read2_b32 v[56:57], v21 offset0:7 offset1:8
	ds_read2_b32 v[58:59], v21 offset0:9 offset1:10
	;; [unrolled: 1-line block ×4, first 2 shown]
	v_mul_f32_e32 v50, v55, v7
	s_waitcnt vmcnt(34) lgkmcnt(3)
	v_pk_fma_f32 v[0:1], v[50:51], v[56:57], v[0:1] op_sel_hi:[0,1,1] neg_lo:[1,0,0] neg_hi:[1,0,0]
	s_waitcnt vmcnt(32) lgkmcnt(2)
	v_pk_fma_f32 v[28:29], v[50:51], v[58:59], v[28:29] op_sel_hi:[0,1,1] neg_lo:[1,0,0] neg_hi:[1,0,0]
	;; [unrolled: 2-line block ×3, first 2 shown]
	ds_read2_b32 v[56:57], v21 offset0:15 offset1:16
	ds_read2_b32 v[58:59], v21 offset0:17 offset1:18
	;; [unrolled: 1-line block ×3, first 2 shown]
	s_waitcnt vmcnt(28) lgkmcnt(3)
	v_pk_fma_f32 v[12:13], v[50:51], v[62:63], v[12:13] op_sel_hi:[0,1,1] neg_lo:[1,0,0] neg_hi:[1,0,0]
	ds_read2_b32 v[62:63], v21 offset0:21 offset1:22
	s_waitcnt vmcnt(26) lgkmcnt(3)
	v_pk_fma_f32 v[8:9], v[50:51], v[56:57], v[8:9] op_sel_hi:[0,1,1] neg_lo:[1,0,0] neg_hi:[1,0,0]
	s_waitcnt vmcnt(24) lgkmcnt(2)
	v_pk_fma_f32 v[34:35], v[50:51], v[58:59], v[34:35] op_sel_hi:[0,1,1] neg_lo:[1,0,0] neg_hi:[1,0,0]
	s_waitcnt vmcnt(22) lgkmcnt(1)
	v_pk_fma_f32 v[30:31], v[50:51], v[60:61], v[30:31] op_sel_hi:[0,1,1] neg_lo:[1,0,0] neg_hi:[1,0,0]
	ds_read2_b32 v[56:57], v21 offset0:23 offset1:24
	ds_read2_b32 v[58:59], v21 offset0:25 offset1:26
	;; [unrolled: 1-line block ×3, first 2 shown]
	s_waitcnt vmcnt(20) lgkmcnt(3)
	v_pk_fma_f32 v[24:25], v[50:51], v[62:63], v[24:25] op_sel_hi:[0,1,1] neg_lo:[1,0,0] neg_hi:[1,0,0]
	ds_read2_b32 v[62:63], v21 offset0:29 offset1:30
	s_waitcnt vmcnt(18) lgkmcnt(3)
	v_pk_fma_f32 v[16:17], v[50:51], v[56:57], v[16:17] op_sel_hi:[0,1,1] neg_lo:[1,0,0] neg_hi:[1,0,0]
	ds_read2_b32 v[56:57], v21 offset0:31 offset1:32
	s_waitcnt vmcnt(16) lgkmcnt(3)
	v_pk_fma_f32 v[42:43], v[50:51], v[58:59], v[42:43] op_sel_hi:[0,1,1] neg_lo:[1,0,0] neg_hi:[1,0,0]
	s_waitcnt vmcnt(14) lgkmcnt(2)
	v_pk_fma_f32 v[36:37], v[50:51], v[60:61], v[36:37] op_sel_hi:[0,1,1] neg_lo:[1,0,0] neg_hi:[1,0,0]
	;; [unrolled: 2-line block ×3, first 2 shown]
	ds_read2_b32 v[58:59], v21 offset0:33 offset1:34
	ds_read2_b32 v[60:61], v21 offset0:35 offset1:36
	;; [unrolled: 1-line block ×3, first 2 shown]
	s_waitcnt vmcnt(10) lgkmcnt(3)
	v_pk_fma_f32 v[26:27], v[50:51], v[56:57], v[26:27] op_sel_hi:[0,1,1] neg_lo:[1,0,0] neg_hi:[1,0,0]
	ds_read2_b32 v[56:57], v21 offset0:39 offset1:40
	ds_read2_b32 v[64:65], v21 offset0:41 offset1:42
	s_waitcnt vmcnt(8) lgkmcnt(4)
	v_pk_fma_f32 v[48:49], v[50:51], v[58:59], v[48:49] op_sel_hi:[0,1,1] neg_lo:[1,0,0] neg_hi:[1,0,0]
	s_waitcnt vmcnt(6) lgkmcnt(3)
	v_pk_fma_f32 v[44:45], v[50:51], v[60:61], v[44:45] op_sel_hi:[0,1,1] neg_lo:[1,0,0] neg_hi:[1,0,0]
	;; [unrolled: 2-line block ×5, first 2 shown]
	v_mov_b32_e32 v7, v50
.LBB84_114:
	s_or_b64 exec, exec, s[0:1]
	v_lshl_add_u32 v50, v53, 2, v21
	s_barrier
	s_waitcnt vmcnt(35)
	ds_write_b32 v50, v0
	s_waitcnt lgkmcnt(0)
	s_barrier
	ds_read_b32 v55, v21 offset:28
	s_cmp_lt_i32 s22, 9
	v_mov_b32_e32 v50, 7
	s_cbranch_scc1 .LBB84_117
; %bb.115:
	v_add3_u32 v56, v52, 0, 32
	v_mov_b32_e32 v50, 7
	s_mov_b32 s0, 8
.LBB84_116:                             ; =>This Inner Loop Header: Depth=1
	ds_read_b32 v57, v56
	v_mov_b32_e32 v58, s0
	s_add_i32 s0, s0, 1
	v_add_u32_e32 v56, 4, v56
	s_cmp_lg_u32 s22, s0
	s_waitcnt lgkmcnt(0)
	v_cmp_lt_f32_e64 vcc, |v55|, |v57|
	s_nop 1
	v_cndmask_b32_e32 v55, v55, v57, vcc
	v_cndmask_b32_e32 v50, v50, v58, vcc
	s_cbranch_scc1 .LBB84_116
.LBB84_117:
	s_waitcnt lgkmcnt(0)
	v_cmp_eq_f32_e32 vcc, 0, v55
	s_and_saveexec_b64 s[0:1], vcc
	s_xor_b64 s[0:1], exec, s[0:1]
; %bb.118:
	v_cmp_ne_u32_e32 vcc, 0, v54
	s_nop 1
	v_cndmask_b32_e32 v54, 8, v54, vcc
; %bb.119:
	s_andn2_saveexec_b64 s[0:1], s[0:1]
	s_cbranch_execz .LBB84_121
; %bb.120:
	v_div_scale_f32 v56, s[2:3], v55, v55, 1.0
	v_rcp_f32_e32 v57, v56
	v_div_scale_f32 v58, vcc, 1.0, v55, 1.0
	v_fma_f32 v59, -v56, v57, 1.0
	v_fmac_f32_e32 v57, v59, v57
	v_mul_f32_e32 v59, v58, v57
	v_fma_f32 v60, -v56, v59, v58
	v_fmac_f32_e32 v59, v60, v57
	v_fma_f32 v56, -v56, v59, v58
	v_div_fmas_f32 v56, v56, v57, v59
	v_div_fixup_f32 v55, v56, v55, 1.0
.LBB84_121:
	s_or_b64 exec, exec, s[0:1]
	v_cmp_ne_u32_e32 vcc, v53, v50
	s_and_saveexec_b64 s[0:1], vcc
	s_xor_b64 s[0:1], exec, s[0:1]
	s_cbranch_execz .LBB84_127
; %bb.122:
	v_cmp_eq_u32_e32 vcc, 7, v53
	s_and_saveexec_b64 s[2:3], vcc
	s_cbranch_execz .LBB84_126
; %bb.123:
	v_cmp_ne_u32_e32 vcc, 7, v50
	s_xor_b64 s[18:19], s[16:17], -1
	s_and_b64 s[20:21], s[18:19], vcc
	s_and_saveexec_b64 s[18:19], s[20:21]
	s_cbranch_execz .LBB84_125
; %bb.124:
	v_ashrrev_i32_e32 v51, 31, v50
	v_lshl_add_u64 v[56:57], v[50:51], 2, v[22:23]
	global_load_dword v51, v[56:57], off
	global_load_dword v53, v[22:23], off offset:28
	s_waitcnt vmcnt(1)
	global_store_dword v[22:23], v51, off offset:28
	s_waitcnt vmcnt(1)
	global_store_dword v[56:57], v53, off
.LBB84_125:
	s_or_b64 exec, exec, s[18:19]
	v_mov_b32_e32 v51, v50
	v_mov_b32_e32 v53, v50
.LBB84_126:
	s_or_b64 exec, exec, s[2:3]
.LBB84_127:
	s_andn2_saveexec_b64 s[0:1], s[0:1]
	s_cbranch_execz .LBB84_129
; %bb.128:
	s_waitcnt vmcnt(32)
	v_pk_mov_b32 v[56:57], v[0:1], v[28:29] op_sel:[1,0]
	ds_write2_b32 v21, v56, v57 offset0:8 offset1:9
	s_waitcnt vmcnt(30)
	v_pk_mov_b32 v[56:57], v[28:29], v[18:19] op_sel:[1,0]
	ds_write2_b32 v21, v56, v57 offset0:10 offset1:11
	;; [unrolled: 3-line block ×16, first 2 shown]
	s_waitcnt vmcnt(0)
	v_pk_mov_b32 v[56:57], v[38:39], v[46:47] op_sel:[1,0]
	v_mov_b32_e32 v53, 7
	ds_write2_b32 v21, v56, v57 offset0:40 offset1:41
	ds_write_b32 v21, v47 offset:168
.LBB84_129:
	s_or_b64 exec, exec, s[0:1]
	v_cmp_lt_i32_e32 vcc, 7, v53
	s_waitcnt lgkmcnt(0)
	s_barrier
	s_and_saveexec_b64 s[0:1], vcc
	s_cbranch_execz .LBB84_131
; %bb.130:
	ds_read_b32 v50, v21 offset:32
	ds_read2_b32 v[56:57], v21 offset0:9 offset1:10
	ds_read2_b32 v[58:59], v21 offset0:11 offset1:12
	v_mul_f32_e32 v0, v55, v0
	ds_read2_b32 v[60:61], v21 offset0:13 offset1:14
	s_waitcnt vmcnt(34) lgkmcnt(3)
	v_fma_f32 v1, -v0, v50, v1
	s_waitcnt vmcnt(32) lgkmcnt(2)
	v_pk_fma_f32 v[28:29], v[0:1], v[56:57], v[28:29] op_sel_hi:[0,1,1] neg_lo:[1,0,0] neg_hi:[1,0,0]
	s_waitcnt vmcnt(30) lgkmcnt(1)
	v_pk_fma_f32 v[18:19], v[0:1], v[58:59], v[18:19] op_sel_hi:[0,1,1] neg_lo:[1,0,0] neg_hi:[1,0,0]
	ds_read2_b32 v[56:57], v21 offset0:15 offset1:16
	ds_read2_b32 v[58:59], v21 offset0:17 offset1:18
	;; [unrolled: 1-line block ×3, first 2 shown]
	s_waitcnt vmcnt(28) lgkmcnt(3)
	v_pk_fma_f32 v[12:13], v[0:1], v[60:61], v[12:13] op_sel_hi:[0,1,1] neg_lo:[1,0,0] neg_hi:[1,0,0]
	ds_read2_b32 v[60:61], v21 offset0:21 offset1:22
	s_waitcnt vmcnt(26) lgkmcnt(3)
	v_pk_fma_f32 v[8:9], v[0:1], v[56:57], v[8:9] op_sel_hi:[0,1,1] neg_lo:[1,0,0] neg_hi:[1,0,0]
	s_waitcnt vmcnt(24) lgkmcnt(2)
	v_pk_fma_f32 v[34:35], v[0:1], v[58:59], v[34:35] op_sel_hi:[0,1,1] neg_lo:[1,0,0] neg_hi:[1,0,0]
	s_waitcnt vmcnt(22) lgkmcnt(1)
	v_pk_fma_f32 v[30:31], v[0:1], v[62:63], v[30:31] op_sel_hi:[0,1,1] neg_lo:[1,0,0] neg_hi:[1,0,0]
	ds_read2_b32 v[56:57], v21 offset0:23 offset1:24
	ds_read2_b32 v[58:59], v21 offset0:25 offset1:26
	;; [unrolled: 1-line block ×3, first 2 shown]
	s_waitcnt vmcnt(20) lgkmcnt(3)
	v_pk_fma_f32 v[24:25], v[0:1], v[60:61], v[24:25] op_sel_hi:[0,1,1] neg_lo:[1,0,0] neg_hi:[1,0,0]
	ds_read2_b32 v[60:61], v21 offset0:29 offset1:30
	s_waitcnt vmcnt(18) lgkmcnt(3)
	v_pk_fma_f32 v[16:17], v[0:1], v[56:57], v[16:17] op_sel_hi:[0,1,1] neg_lo:[1,0,0] neg_hi:[1,0,0]
	ds_read2_b32 v[56:57], v21 offset0:31 offset1:32
	s_waitcnt vmcnt(16) lgkmcnt(3)
	v_pk_fma_f32 v[42:43], v[0:1], v[58:59], v[42:43] op_sel_hi:[0,1,1] neg_lo:[1,0,0] neg_hi:[1,0,0]
	s_waitcnt vmcnt(14) lgkmcnt(2)
	v_pk_fma_f32 v[36:37], v[0:1], v[62:63], v[36:37] op_sel_hi:[0,1,1] neg_lo:[1,0,0] neg_hi:[1,0,0]
	;; [unrolled: 2-line block ×3, first 2 shown]
	ds_read2_b32 v[58:59], v21 offset0:33 offset1:34
	ds_read2_b32 v[60:61], v21 offset0:35 offset1:36
	;; [unrolled: 1-line block ×3, first 2 shown]
	s_waitcnt vmcnt(10) lgkmcnt(3)
	v_pk_fma_f32 v[26:27], v[0:1], v[56:57], v[26:27] op_sel_hi:[0,1,1] neg_lo:[1,0,0] neg_hi:[1,0,0]
	ds_read2_b32 v[56:57], v21 offset0:39 offset1:40
	ds_read2_b32 v[64:65], v21 offset0:41 offset1:42
	s_waitcnt vmcnt(8) lgkmcnt(4)
	v_pk_fma_f32 v[48:49], v[0:1], v[58:59], v[48:49] op_sel_hi:[0,1,1] neg_lo:[1,0,0] neg_hi:[1,0,0]
	s_waitcnt vmcnt(6) lgkmcnt(3)
	v_pk_fma_f32 v[44:45], v[0:1], v[60:61], v[44:45] op_sel_hi:[0,1,1] neg_lo:[1,0,0] neg_hi:[1,0,0]
	;; [unrolled: 2-line block ×5, first 2 shown]
.LBB84_131:
	s_or_b64 exec, exec, s[0:1]
	v_lshl_add_u32 v50, v53, 2, v21
	s_barrier
	s_waitcnt vmcnt(34)
	ds_write_b32 v50, v1
	s_waitcnt lgkmcnt(0)
	s_barrier
	ds_read_b32 v55, v21 offset:32
	s_cmp_lt_i32 s22, 10
	v_mov_b32_e32 v50, 8
	s_cbranch_scc1 .LBB84_134
; %bb.132:
	v_add3_u32 v56, v52, 0, 36
	v_mov_b32_e32 v50, 8
	s_mov_b32 s0, 9
.LBB84_133:                             ; =>This Inner Loop Header: Depth=1
	ds_read_b32 v57, v56
	v_mov_b32_e32 v58, s0
	s_add_i32 s0, s0, 1
	v_add_u32_e32 v56, 4, v56
	s_cmp_lg_u32 s22, s0
	s_waitcnt lgkmcnt(0)
	v_cmp_lt_f32_e64 vcc, |v55|, |v57|
	s_nop 1
	v_cndmask_b32_e32 v55, v55, v57, vcc
	v_cndmask_b32_e32 v50, v50, v58, vcc
	s_cbranch_scc1 .LBB84_133
.LBB84_134:
	s_waitcnt lgkmcnt(0)
	v_cmp_eq_f32_e32 vcc, 0, v55
	s_and_saveexec_b64 s[0:1], vcc
	s_xor_b64 s[0:1], exec, s[0:1]
; %bb.135:
	v_cmp_ne_u32_e32 vcc, 0, v54
	s_nop 1
	v_cndmask_b32_e32 v54, 9, v54, vcc
; %bb.136:
	s_andn2_saveexec_b64 s[0:1], s[0:1]
	s_cbranch_execz .LBB84_138
; %bb.137:
	v_div_scale_f32 v56, s[2:3], v55, v55, 1.0
	v_rcp_f32_e32 v57, v56
	v_div_scale_f32 v58, vcc, 1.0, v55, 1.0
	v_fma_f32 v59, -v56, v57, 1.0
	v_fmac_f32_e32 v57, v59, v57
	v_mul_f32_e32 v59, v58, v57
	v_fma_f32 v60, -v56, v59, v58
	v_fmac_f32_e32 v59, v60, v57
	v_fma_f32 v56, -v56, v59, v58
	v_div_fmas_f32 v56, v56, v57, v59
	v_div_fixup_f32 v55, v56, v55, 1.0
.LBB84_138:
	s_or_b64 exec, exec, s[0:1]
	v_cmp_ne_u32_e32 vcc, v53, v50
	s_and_saveexec_b64 s[0:1], vcc
	s_xor_b64 s[0:1], exec, s[0:1]
	s_cbranch_execz .LBB84_144
; %bb.139:
	v_cmp_eq_u32_e32 vcc, 8, v53
	s_and_saveexec_b64 s[2:3], vcc
	s_cbranch_execz .LBB84_143
; %bb.140:
	v_cmp_ne_u32_e32 vcc, 8, v50
	s_xor_b64 s[18:19], s[16:17], -1
	s_and_b64 s[20:21], s[18:19], vcc
	s_and_saveexec_b64 s[18:19], s[20:21]
	s_cbranch_execz .LBB84_142
; %bb.141:
	v_ashrrev_i32_e32 v51, 31, v50
	v_lshl_add_u64 v[56:57], v[50:51], 2, v[22:23]
	global_load_dword v51, v[56:57], off
	global_load_dword v53, v[22:23], off offset:32
	s_waitcnt vmcnt(1)
	global_store_dword v[22:23], v51, off offset:32
	s_waitcnt vmcnt(1)
	global_store_dword v[56:57], v53, off
.LBB84_142:
	s_or_b64 exec, exec, s[18:19]
	v_mov_b32_e32 v51, v50
	v_mov_b32_e32 v53, v50
.LBB84_143:
	s_or_b64 exec, exec, s[2:3]
.LBB84_144:
	s_andn2_saveexec_b64 s[0:1], s[0:1]
	s_cbranch_execz .LBB84_146
; %bb.145:
	v_mov_b32_e32 v53, 8
	s_waitcnt vmcnt(32)
	ds_write2_b32 v21, v28, v29 offset0:9 offset1:10
	s_waitcnt vmcnt(30)
	ds_write2_b32 v21, v18, v19 offset0:11 offset1:12
	;; [unrolled: 2-line block ×17, first 2 shown]
.LBB84_146:
	s_or_b64 exec, exec, s[0:1]
	v_cmp_lt_i32_e32 vcc, 8, v53
	s_waitcnt lgkmcnt(0)
	s_barrier
	s_and_saveexec_b64 s[0:1], vcc
	s_cbranch_execz .LBB84_148
; %bb.147:
	ds_read2_b32 v[56:57], v21 offset0:9 offset1:10
	ds_read2_b32 v[58:59], v21 offset0:11 offset1:12
	;; [unrolled: 1-line block ×3, first 2 shown]
	v_mul_f32_e32 v50, v55, v1
	ds_read2_b32 v[62:63], v21 offset0:15 offset1:16
	s_waitcnt vmcnt(32) lgkmcnt(3)
	v_pk_fma_f32 v[28:29], v[50:51], v[56:57], v[28:29] op_sel_hi:[0,1,1] neg_lo:[1,0,0] neg_hi:[1,0,0]
	s_waitcnt vmcnt(30) lgkmcnt(2)
	v_pk_fma_f32 v[18:19], v[50:51], v[58:59], v[18:19] op_sel_hi:[0,1,1] neg_lo:[1,0,0] neg_hi:[1,0,0]
	;; [unrolled: 2-line block ×3, first 2 shown]
	ds_read2_b32 v[56:57], v21 offset0:17 offset1:18
	ds_read2_b32 v[58:59], v21 offset0:19 offset1:20
	;; [unrolled: 1-line block ×3, first 2 shown]
	s_waitcnt vmcnt(26) lgkmcnt(3)
	v_pk_fma_f32 v[8:9], v[50:51], v[62:63], v[8:9] op_sel_hi:[0,1,1] neg_lo:[1,0,0] neg_hi:[1,0,0]
	ds_read2_b32 v[62:63], v21 offset0:23 offset1:24
	s_waitcnt vmcnt(24) lgkmcnt(3)
	v_pk_fma_f32 v[34:35], v[50:51], v[56:57], v[34:35] op_sel_hi:[0,1,1] neg_lo:[1,0,0] neg_hi:[1,0,0]
	s_waitcnt vmcnt(22) lgkmcnt(2)
	v_pk_fma_f32 v[30:31], v[50:51], v[58:59], v[30:31] op_sel_hi:[0,1,1] neg_lo:[1,0,0] neg_hi:[1,0,0]
	;; [unrolled: 2-line block ×3, first 2 shown]
	ds_read2_b32 v[56:57], v21 offset0:25 offset1:26
	ds_read2_b32 v[58:59], v21 offset0:27 offset1:28
	;; [unrolled: 1-line block ×4, first 2 shown]
	s_waitcnt vmcnt(18) lgkmcnt(4)
	v_pk_fma_f32 v[16:17], v[50:51], v[62:63], v[16:17] op_sel_hi:[0,1,1] neg_lo:[1,0,0] neg_hi:[1,0,0]
	s_waitcnt vmcnt(16) lgkmcnt(3)
	v_pk_fma_f32 v[42:43], v[50:51], v[56:57], v[42:43] op_sel_hi:[0,1,1] neg_lo:[1,0,0] neg_hi:[1,0,0]
	;; [unrolled: 2-line block ×5, first 2 shown]
	ds_read2_b32 v[56:57], v21 offset0:33 offset1:34
	ds_read2_b32 v[58:59], v21 offset0:35 offset1:36
	;; [unrolled: 1-line block ×5, first 2 shown]
	s_waitcnt vmcnt(8) lgkmcnt(4)
	v_pk_fma_f32 v[48:49], v[50:51], v[56:57], v[48:49] op_sel_hi:[0,1,1] neg_lo:[1,0,0] neg_hi:[1,0,0]
	s_waitcnt vmcnt(6) lgkmcnt(3)
	v_pk_fma_f32 v[44:45], v[50:51], v[58:59], v[44:45] op_sel_hi:[0,1,1] neg_lo:[1,0,0] neg_hi:[1,0,0]
	;; [unrolled: 2-line block ×5, first 2 shown]
	v_mov_b32_e32 v1, v50
.LBB84_148:
	s_or_b64 exec, exec, s[0:1]
	v_lshl_add_u32 v50, v53, 2, v21
	s_barrier
	s_waitcnt vmcnt(33)
	ds_write_b32 v50, v28
	s_waitcnt lgkmcnt(0)
	s_barrier
	ds_read_b32 v55, v21 offset:36
	s_cmp_lt_i32 s22, 11
	v_mov_b32_e32 v50, 9
	s_cbranch_scc1 .LBB84_151
; %bb.149:
	v_add3_u32 v56, v52, 0, 40
	v_mov_b32_e32 v50, 9
	s_mov_b32 s0, 10
.LBB84_150:                             ; =>This Inner Loop Header: Depth=1
	ds_read_b32 v57, v56
	v_mov_b32_e32 v58, s0
	s_add_i32 s0, s0, 1
	v_add_u32_e32 v56, 4, v56
	s_cmp_lg_u32 s22, s0
	s_waitcnt lgkmcnt(0)
	v_cmp_lt_f32_e64 vcc, |v55|, |v57|
	s_nop 1
	v_cndmask_b32_e32 v55, v55, v57, vcc
	v_cndmask_b32_e32 v50, v50, v58, vcc
	s_cbranch_scc1 .LBB84_150
.LBB84_151:
	s_waitcnt lgkmcnt(0)
	v_cmp_eq_f32_e32 vcc, 0, v55
	s_and_saveexec_b64 s[0:1], vcc
	s_xor_b64 s[0:1], exec, s[0:1]
; %bb.152:
	v_cmp_ne_u32_e32 vcc, 0, v54
	s_nop 1
	v_cndmask_b32_e32 v54, 10, v54, vcc
; %bb.153:
	s_andn2_saveexec_b64 s[0:1], s[0:1]
	s_cbranch_execz .LBB84_155
; %bb.154:
	v_div_scale_f32 v56, s[2:3], v55, v55, 1.0
	v_rcp_f32_e32 v57, v56
	v_div_scale_f32 v58, vcc, 1.0, v55, 1.0
	v_fma_f32 v59, -v56, v57, 1.0
	v_fmac_f32_e32 v57, v59, v57
	v_mul_f32_e32 v59, v58, v57
	v_fma_f32 v60, -v56, v59, v58
	v_fmac_f32_e32 v59, v60, v57
	v_fma_f32 v56, -v56, v59, v58
	v_div_fmas_f32 v56, v56, v57, v59
	v_div_fixup_f32 v55, v56, v55, 1.0
.LBB84_155:
	s_or_b64 exec, exec, s[0:1]
	v_cmp_ne_u32_e32 vcc, v53, v50
	s_and_saveexec_b64 s[0:1], vcc
	s_xor_b64 s[0:1], exec, s[0:1]
	s_cbranch_execz .LBB84_161
; %bb.156:
	v_cmp_eq_u32_e32 vcc, 9, v53
	s_and_saveexec_b64 s[2:3], vcc
	s_cbranch_execz .LBB84_160
; %bb.157:
	v_cmp_ne_u32_e32 vcc, 9, v50
	s_xor_b64 s[18:19], s[16:17], -1
	s_and_b64 s[20:21], s[18:19], vcc
	s_and_saveexec_b64 s[18:19], s[20:21]
	s_cbranch_execz .LBB84_159
; %bb.158:
	v_ashrrev_i32_e32 v51, 31, v50
	v_lshl_add_u64 v[56:57], v[50:51], 2, v[22:23]
	global_load_dword v51, v[56:57], off
	global_load_dword v53, v[22:23], off offset:36
	s_waitcnt vmcnt(1)
	global_store_dword v[22:23], v51, off offset:36
	s_waitcnt vmcnt(1)
	global_store_dword v[56:57], v53, off
.LBB84_159:
	s_or_b64 exec, exec, s[18:19]
	v_mov_b32_e32 v51, v50
	v_mov_b32_e32 v53, v50
.LBB84_160:
	s_or_b64 exec, exec, s[2:3]
.LBB84_161:
	s_andn2_saveexec_b64 s[0:1], s[0:1]
	s_cbranch_execz .LBB84_163
; %bb.162:
	s_waitcnt vmcnt(30)
	v_pk_mov_b32 v[56:57], v[28:29], v[18:19] op_sel:[1,0]
	ds_write2_b32 v21, v56, v57 offset0:10 offset1:11
	s_waitcnt vmcnt(28)
	v_pk_mov_b32 v[56:57], v[18:19], v[12:13] op_sel:[1,0]
	ds_write2_b32 v21, v56, v57 offset0:12 offset1:13
	;; [unrolled: 3-line block ×15, first 2 shown]
	s_waitcnt vmcnt(0)
	v_pk_mov_b32 v[56:57], v[38:39], v[46:47] op_sel:[1,0]
	v_mov_b32_e32 v53, 9
	ds_write2_b32 v21, v56, v57 offset0:40 offset1:41
	ds_write_b32 v21, v47 offset:168
.LBB84_163:
	s_or_b64 exec, exec, s[0:1]
	v_cmp_lt_i32_e32 vcc, 9, v53
	s_waitcnt lgkmcnt(0)
	s_barrier
	s_and_saveexec_b64 s[0:1], vcc
	s_cbranch_execz .LBB84_165
; %bb.164:
	ds_read_b32 v50, v21 offset:40
	ds_read2_b32 v[56:57], v21 offset0:11 offset1:12
	ds_read2_b32 v[58:59], v21 offset0:13 offset1:14
	v_mul_f32_e32 v28, v55, v28
	ds_read2_b32 v[60:61], v21 offset0:15 offset1:16
	s_waitcnt vmcnt(32) lgkmcnt(3)
	v_fma_f32 v29, -v28, v50, v29
	s_waitcnt vmcnt(30) lgkmcnt(2)
	v_pk_fma_f32 v[18:19], v[28:29], v[56:57], v[18:19] op_sel_hi:[0,1,1] neg_lo:[1,0,0] neg_hi:[1,0,0]
	s_waitcnt vmcnt(28) lgkmcnt(1)
	v_pk_fma_f32 v[12:13], v[28:29], v[58:59], v[12:13] op_sel_hi:[0,1,1] neg_lo:[1,0,0] neg_hi:[1,0,0]
	ds_read2_b32 v[56:57], v21 offset0:17 offset1:18
	ds_read2_b32 v[58:59], v21 offset0:19 offset1:20
	;; [unrolled: 1-line block ×3, first 2 shown]
	s_waitcnt vmcnt(26) lgkmcnt(3)
	v_pk_fma_f32 v[8:9], v[28:29], v[60:61], v[8:9] op_sel_hi:[0,1,1] neg_lo:[1,0,0] neg_hi:[1,0,0]
	ds_read2_b32 v[60:61], v21 offset0:23 offset1:24
	s_waitcnt vmcnt(24) lgkmcnt(3)
	v_pk_fma_f32 v[34:35], v[28:29], v[56:57], v[34:35] op_sel_hi:[0,1,1] neg_lo:[1,0,0] neg_hi:[1,0,0]
	s_waitcnt vmcnt(22) lgkmcnt(2)
	v_pk_fma_f32 v[30:31], v[28:29], v[58:59], v[30:31] op_sel_hi:[0,1,1] neg_lo:[1,0,0] neg_hi:[1,0,0]
	;; [unrolled: 2-line block ×3, first 2 shown]
	ds_read2_b32 v[56:57], v21 offset0:25 offset1:26
	ds_read2_b32 v[58:59], v21 offset0:27 offset1:28
	;; [unrolled: 1-line block ×4, first 2 shown]
	s_waitcnt vmcnt(18) lgkmcnt(4)
	v_pk_fma_f32 v[16:17], v[28:29], v[60:61], v[16:17] op_sel_hi:[0,1,1] neg_lo:[1,0,0] neg_hi:[1,0,0]
	s_waitcnt vmcnt(16) lgkmcnt(3)
	v_pk_fma_f32 v[42:43], v[28:29], v[56:57], v[42:43] op_sel_hi:[0,1,1] neg_lo:[1,0,0] neg_hi:[1,0,0]
	;; [unrolled: 2-line block ×5, first 2 shown]
	ds_read2_b32 v[56:57], v21 offset0:33 offset1:34
	ds_read2_b32 v[58:59], v21 offset0:35 offset1:36
	;; [unrolled: 1-line block ×5, first 2 shown]
	s_waitcnt vmcnt(8) lgkmcnt(4)
	v_pk_fma_f32 v[48:49], v[28:29], v[56:57], v[48:49] op_sel_hi:[0,1,1] neg_lo:[1,0,0] neg_hi:[1,0,0]
	s_waitcnt vmcnt(6) lgkmcnt(3)
	v_pk_fma_f32 v[44:45], v[28:29], v[58:59], v[44:45] op_sel_hi:[0,1,1] neg_lo:[1,0,0] neg_hi:[1,0,0]
	;; [unrolled: 2-line block ×5, first 2 shown]
.LBB84_165:
	s_or_b64 exec, exec, s[0:1]
	v_lshl_add_u32 v50, v53, 2, v21
	s_barrier
	s_waitcnt vmcnt(32)
	ds_write_b32 v50, v29
	s_waitcnt lgkmcnt(0)
	s_barrier
	ds_read_b32 v55, v21 offset:40
	s_cmp_lt_i32 s22, 12
	v_mov_b32_e32 v50, 10
	s_cbranch_scc1 .LBB84_168
; %bb.166:
	v_add3_u32 v56, v52, 0, 44
	v_mov_b32_e32 v50, 10
	s_mov_b32 s0, 11
.LBB84_167:                             ; =>This Inner Loop Header: Depth=1
	ds_read_b32 v57, v56
	v_mov_b32_e32 v58, s0
	s_add_i32 s0, s0, 1
	v_add_u32_e32 v56, 4, v56
	s_cmp_lg_u32 s22, s0
	s_waitcnt lgkmcnt(0)
	v_cmp_lt_f32_e64 vcc, |v55|, |v57|
	s_nop 1
	v_cndmask_b32_e32 v55, v55, v57, vcc
	v_cndmask_b32_e32 v50, v50, v58, vcc
	s_cbranch_scc1 .LBB84_167
.LBB84_168:
	s_waitcnt lgkmcnt(0)
	v_cmp_eq_f32_e32 vcc, 0, v55
	s_and_saveexec_b64 s[0:1], vcc
	s_xor_b64 s[0:1], exec, s[0:1]
; %bb.169:
	v_cmp_ne_u32_e32 vcc, 0, v54
	s_nop 1
	v_cndmask_b32_e32 v54, 11, v54, vcc
; %bb.170:
	s_andn2_saveexec_b64 s[0:1], s[0:1]
	s_cbranch_execz .LBB84_172
; %bb.171:
	v_div_scale_f32 v56, s[2:3], v55, v55, 1.0
	v_rcp_f32_e32 v57, v56
	v_div_scale_f32 v58, vcc, 1.0, v55, 1.0
	v_fma_f32 v59, -v56, v57, 1.0
	v_fmac_f32_e32 v57, v59, v57
	v_mul_f32_e32 v59, v58, v57
	v_fma_f32 v60, -v56, v59, v58
	v_fmac_f32_e32 v59, v60, v57
	v_fma_f32 v56, -v56, v59, v58
	v_div_fmas_f32 v56, v56, v57, v59
	v_div_fixup_f32 v55, v56, v55, 1.0
.LBB84_172:
	s_or_b64 exec, exec, s[0:1]
	v_cmp_ne_u32_e32 vcc, v53, v50
	s_and_saveexec_b64 s[0:1], vcc
	s_xor_b64 s[0:1], exec, s[0:1]
	s_cbranch_execz .LBB84_178
; %bb.173:
	v_cmp_eq_u32_e32 vcc, 10, v53
	s_and_saveexec_b64 s[2:3], vcc
	s_cbranch_execz .LBB84_177
; %bb.174:
	v_cmp_ne_u32_e32 vcc, 10, v50
	s_xor_b64 s[18:19], s[16:17], -1
	s_and_b64 s[20:21], s[18:19], vcc
	s_and_saveexec_b64 s[18:19], s[20:21]
	s_cbranch_execz .LBB84_176
; %bb.175:
	v_ashrrev_i32_e32 v51, 31, v50
	v_lshl_add_u64 v[56:57], v[50:51], 2, v[22:23]
	global_load_dword v51, v[56:57], off
	global_load_dword v53, v[22:23], off offset:40
	s_waitcnt vmcnt(1)
	global_store_dword v[22:23], v51, off offset:40
	s_waitcnt vmcnt(1)
	global_store_dword v[56:57], v53, off
.LBB84_176:
	s_or_b64 exec, exec, s[18:19]
	v_mov_b32_e32 v51, v50
	v_mov_b32_e32 v53, v50
.LBB84_177:
	s_or_b64 exec, exec, s[2:3]
.LBB84_178:
	s_andn2_saveexec_b64 s[0:1], s[0:1]
	s_cbranch_execz .LBB84_180
; %bb.179:
	v_mov_b32_e32 v53, 10
	s_waitcnt vmcnt(30)
	ds_write2_b32 v21, v18, v19 offset0:11 offset1:12
	s_waitcnt vmcnt(28)
	ds_write2_b32 v21, v12, v13 offset0:13 offset1:14
	;; [unrolled: 2-line block ×16, first 2 shown]
.LBB84_180:
	s_or_b64 exec, exec, s[0:1]
	v_cmp_lt_i32_e32 vcc, 10, v53
	s_waitcnt lgkmcnt(0)
	s_barrier
	s_and_saveexec_b64 s[0:1], vcc
	s_cbranch_execz .LBB84_182
; %bb.181:
	ds_read2_b32 v[56:57], v21 offset0:11 offset1:12
	ds_read2_b32 v[58:59], v21 offset0:13 offset1:14
	;; [unrolled: 1-line block ×3, first 2 shown]
	v_mul_f32_e32 v50, v55, v29
	ds_read2_b32 v[62:63], v21 offset0:17 offset1:18
	s_waitcnt vmcnt(30) lgkmcnt(3)
	v_pk_fma_f32 v[18:19], v[50:51], v[56:57], v[18:19] op_sel_hi:[0,1,1] neg_lo:[1,0,0] neg_hi:[1,0,0]
	s_waitcnt vmcnt(28) lgkmcnt(2)
	v_pk_fma_f32 v[12:13], v[50:51], v[58:59], v[12:13] op_sel_hi:[0,1,1] neg_lo:[1,0,0] neg_hi:[1,0,0]
	;; [unrolled: 2-line block ×3, first 2 shown]
	ds_read2_b32 v[56:57], v21 offset0:19 offset1:20
	ds_read2_b32 v[58:59], v21 offset0:21 offset1:22
	;; [unrolled: 1-line block ×3, first 2 shown]
	s_waitcnt vmcnt(24) lgkmcnt(3)
	v_pk_fma_f32 v[34:35], v[50:51], v[62:63], v[34:35] op_sel_hi:[0,1,1] neg_lo:[1,0,0] neg_hi:[1,0,0]
	ds_read2_b32 v[62:63], v21 offset0:25 offset1:26
	s_waitcnt vmcnt(22) lgkmcnt(3)
	v_pk_fma_f32 v[30:31], v[50:51], v[56:57], v[30:31] op_sel_hi:[0,1,1] neg_lo:[1,0,0] neg_hi:[1,0,0]
	s_waitcnt vmcnt(20) lgkmcnt(2)
	v_pk_fma_f32 v[24:25], v[50:51], v[58:59], v[24:25] op_sel_hi:[0,1,1] neg_lo:[1,0,0] neg_hi:[1,0,0]
	;; [unrolled: 2-line block ×3, first 2 shown]
	ds_read2_b32 v[56:57], v21 offset0:27 offset1:28
	ds_read2_b32 v[58:59], v21 offset0:29 offset1:30
	;; [unrolled: 1-line block ×3, first 2 shown]
	s_waitcnt vmcnt(16) lgkmcnt(3)
	v_pk_fma_f32 v[42:43], v[50:51], v[62:63], v[42:43] op_sel_hi:[0,1,1] neg_lo:[1,0,0] neg_hi:[1,0,0]
	ds_read2_b32 v[62:63], v21 offset0:33 offset1:34
	s_waitcnt vmcnt(14) lgkmcnt(3)
	v_pk_fma_f32 v[36:37], v[50:51], v[56:57], v[36:37] op_sel_hi:[0,1,1] neg_lo:[1,0,0] neg_hi:[1,0,0]
	s_waitcnt vmcnt(12) lgkmcnt(2)
	v_pk_fma_f32 v[32:33], v[50:51], v[58:59], v[32:33] op_sel_hi:[0,1,1] neg_lo:[1,0,0] neg_hi:[1,0,0]
	s_waitcnt vmcnt(10) lgkmcnt(1)
	v_pk_fma_f32 v[26:27], v[50:51], v[60:61], v[26:27] op_sel_hi:[0,1,1] neg_lo:[1,0,0] neg_hi:[1,0,0]
	ds_read2_b32 v[56:57], v21 offset0:35 offset1:36
	ds_read2_b32 v[58:59], v21 offset0:37 offset1:38
	;; [unrolled: 1-line block ×4, first 2 shown]
	s_waitcnt vmcnt(8) lgkmcnt(4)
	v_pk_fma_f32 v[48:49], v[50:51], v[62:63], v[48:49] op_sel_hi:[0,1,1] neg_lo:[1,0,0] neg_hi:[1,0,0]
	s_waitcnt vmcnt(6) lgkmcnt(3)
	v_pk_fma_f32 v[44:45], v[50:51], v[56:57], v[44:45] op_sel_hi:[0,1,1] neg_lo:[1,0,0] neg_hi:[1,0,0]
	;; [unrolled: 2-line block ×5, first 2 shown]
	v_mov_b32_e32 v29, v50
.LBB84_182:
	s_or_b64 exec, exec, s[0:1]
	v_lshl_add_u32 v50, v53, 2, v21
	s_barrier
	s_waitcnt vmcnt(31)
	ds_write_b32 v50, v18
	s_waitcnt lgkmcnt(0)
	s_barrier
	ds_read_b32 v55, v21 offset:44
	s_cmp_lt_i32 s22, 13
	v_mov_b32_e32 v50, 11
	s_cbranch_scc1 .LBB84_185
; %bb.183:
	v_add3_u32 v56, v52, 0, 48
	v_mov_b32_e32 v50, 11
	s_mov_b32 s0, 12
.LBB84_184:                             ; =>This Inner Loop Header: Depth=1
	ds_read_b32 v57, v56
	v_mov_b32_e32 v58, s0
	s_add_i32 s0, s0, 1
	v_add_u32_e32 v56, 4, v56
	s_cmp_lg_u32 s22, s0
	s_waitcnt lgkmcnt(0)
	v_cmp_lt_f32_e64 vcc, |v55|, |v57|
	s_nop 1
	v_cndmask_b32_e32 v55, v55, v57, vcc
	v_cndmask_b32_e32 v50, v50, v58, vcc
	s_cbranch_scc1 .LBB84_184
.LBB84_185:
	s_waitcnt lgkmcnt(0)
	v_cmp_eq_f32_e32 vcc, 0, v55
	s_and_saveexec_b64 s[0:1], vcc
	s_xor_b64 s[0:1], exec, s[0:1]
; %bb.186:
	v_cmp_ne_u32_e32 vcc, 0, v54
	s_nop 1
	v_cndmask_b32_e32 v54, 12, v54, vcc
; %bb.187:
	s_andn2_saveexec_b64 s[0:1], s[0:1]
	s_cbranch_execz .LBB84_189
; %bb.188:
	v_div_scale_f32 v56, s[2:3], v55, v55, 1.0
	v_rcp_f32_e32 v57, v56
	v_div_scale_f32 v58, vcc, 1.0, v55, 1.0
	v_fma_f32 v59, -v56, v57, 1.0
	v_fmac_f32_e32 v57, v59, v57
	v_mul_f32_e32 v59, v58, v57
	v_fma_f32 v60, -v56, v59, v58
	v_fmac_f32_e32 v59, v60, v57
	v_fma_f32 v56, -v56, v59, v58
	v_div_fmas_f32 v56, v56, v57, v59
	v_div_fixup_f32 v55, v56, v55, 1.0
.LBB84_189:
	s_or_b64 exec, exec, s[0:1]
	v_cmp_ne_u32_e32 vcc, v53, v50
	s_and_saveexec_b64 s[0:1], vcc
	s_xor_b64 s[0:1], exec, s[0:1]
	s_cbranch_execz .LBB84_195
; %bb.190:
	v_cmp_eq_u32_e32 vcc, 11, v53
	s_and_saveexec_b64 s[2:3], vcc
	s_cbranch_execz .LBB84_194
; %bb.191:
	v_cmp_ne_u32_e32 vcc, 11, v50
	s_xor_b64 s[18:19], s[16:17], -1
	s_and_b64 s[20:21], s[18:19], vcc
	s_and_saveexec_b64 s[18:19], s[20:21]
	s_cbranch_execz .LBB84_193
; %bb.192:
	v_ashrrev_i32_e32 v51, 31, v50
	v_lshl_add_u64 v[56:57], v[50:51], 2, v[22:23]
	global_load_dword v51, v[56:57], off
	global_load_dword v53, v[22:23], off offset:44
	s_waitcnt vmcnt(1)
	global_store_dword v[22:23], v51, off offset:44
	s_waitcnt vmcnt(1)
	global_store_dword v[56:57], v53, off
.LBB84_193:
	s_or_b64 exec, exec, s[18:19]
	v_mov_b32_e32 v51, v50
	v_mov_b32_e32 v53, v50
.LBB84_194:
	s_or_b64 exec, exec, s[2:3]
.LBB84_195:
	s_andn2_saveexec_b64 s[0:1], s[0:1]
	s_cbranch_execz .LBB84_197
; %bb.196:
	s_waitcnt vmcnt(28)
	v_pk_mov_b32 v[56:57], v[18:19], v[12:13] op_sel:[1,0]
	ds_write2_b32 v21, v56, v57 offset0:12 offset1:13
	s_waitcnt vmcnt(26)
	v_pk_mov_b32 v[56:57], v[12:13], v[8:9] op_sel:[1,0]
	ds_write2_b32 v21, v56, v57 offset0:14 offset1:15
	s_waitcnt vmcnt(24)
	v_pk_mov_b32 v[56:57], v[8:9], v[34:35] op_sel:[1,0]
	ds_write2_b32 v21, v56, v57 offset0:16 offset1:17
	s_waitcnt vmcnt(22)
	v_pk_mov_b32 v[56:57], v[34:35], v[30:31] op_sel:[1,0]
	ds_write2_b32 v21, v56, v57 offset0:18 offset1:19
	s_waitcnt vmcnt(20)
	v_pk_mov_b32 v[56:57], v[30:31], v[24:25] op_sel:[1,0]
	ds_write2_b32 v21, v56, v57 offset0:20 offset1:21
	s_waitcnt vmcnt(18)
	v_pk_mov_b32 v[56:57], v[24:25], v[16:17] op_sel:[1,0]
	ds_write2_b32 v21, v56, v57 offset0:22 offset1:23
	s_waitcnt vmcnt(16)
	v_pk_mov_b32 v[56:57], v[16:17], v[42:43] op_sel:[1,0]
	ds_write2_b32 v21, v56, v57 offset0:24 offset1:25
	s_waitcnt vmcnt(14)
	v_pk_mov_b32 v[56:57], v[42:43], v[36:37] op_sel:[1,0]
	ds_write2_b32 v21, v56, v57 offset0:26 offset1:27
	s_waitcnt vmcnt(12)
	v_pk_mov_b32 v[56:57], v[36:37], v[32:33] op_sel:[1,0]
	ds_write2_b32 v21, v56, v57 offset0:28 offset1:29
	s_waitcnt vmcnt(10)
	v_pk_mov_b32 v[56:57], v[32:33], v[26:27] op_sel:[1,0]
	ds_write2_b32 v21, v56, v57 offset0:30 offset1:31
	s_waitcnt vmcnt(8)
	v_pk_mov_b32 v[56:57], v[26:27], v[48:49] op_sel:[1,0]
	ds_write2_b32 v21, v56, v57 offset0:32 offset1:33
	s_waitcnt vmcnt(6)
	v_pk_mov_b32 v[56:57], v[48:49], v[44:45] op_sel:[1,0]
	ds_write2_b32 v21, v56, v57 offset0:34 offset1:35
	s_waitcnt vmcnt(4)
	v_pk_mov_b32 v[56:57], v[44:45], v[40:41] op_sel:[1,0]
	ds_write2_b32 v21, v56, v57 offset0:36 offset1:37
	s_waitcnt vmcnt(2)
	v_pk_mov_b32 v[56:57], v[40:41], v[38:39] op_sel:[1,0]
	ds_write2_b32 v21, v56, v57 offset0:38 offset1:39
	s_waitcnt vmcnt(0)
	v_pk_mov_b32 v[56:57], v[38:39], v[46:47] op_sel:[1,0]
	v_mov_b32_e32 v53, 11
	ds_write2_b32 v21, v56, v57 offset0:40 offset1:41
	ds_write_b32 v21, v47 offset:168
.LBB84_197:
	s_or_b64 exec, exec, s[0:1]
	v_cmp_lt_i32_e32 vcc, 11, v53
	s_waitcnt lgkmcnt(0)
	s_barrier
	s_and_saveexec_b64 s[0:1], vcc
	s_cbranch_execz .LBB84_199
; %bb.198:
	ds_read_b32 v50, v21 offset:48
	ds_read2_b32 v[56:57], v21 offset0:13 offset1:14
	ds_read2_b32 v[58:59], v21 offset0:15 offset1:16
	v_mul_f32_e32 v18, v55, v18
	ds_read2_b32 v[60:61], v21 offset0:17 offset1:18
	s_waitcnt vmcnt(30) lgkmcnt(3)
	v_fma_f32 v19, -v18, v50, v19
	s_waitcnt vmcnt(28) lgkmcnt(2)
	v_pk_fma_f32 v[12:13], v[18:19], v[56:57], v[12:13] op_sel_hi:[0,1,1] neg_lo:[1,0,0] neg_hi:[1,0,0]
	s_waitcnt vmcnt(26) lgkmcnt(1)
	v_pk_fma_f32 v[8:9], v[18:19], v[58:59], v[8:9] op_sel_hi:[0,1,1] neg_lo:[1,0,0] neg_hi:[1,0,0]
	ds_read2_b32 v[56:57], v21 offset0:19 offset1:20
	ds_read2_b32 v[58:59], v21 offset0:21 offset1:22
	;; [unrolled: 1-line block ×3, first 2 shown]
	s_waitcnt vmcnt(24) lgkmcnt(3)
	v_pk_fma_f32 v[34:35], v[18:19], v[60:61], v[34:35] op_sel_hi:[0,1,1] neg_lo:[1,0,0] neg_hi:[1,0,0]
	ds_read2_b32 v[60:61], v21 offset0:25 offset1:26
	s_waitcnt vmcnt(22) lgkmcnt(3)
	v_pk_fma_f32 v[30:31], v[18:19], v[56:57], v[30:31] op_sel_hi:[0,1,1] neg_lo:[1,0,0] neg_hi:[1,0,0]
	s_waitcnt vmcnt(20) lgkmcnt(2)
	v_pk_fma_f32 v[24:25], v[18:19], v[58:59], v[24:25] op_sel_hi:[0,1,1] neg_lo:[1,0,0] neg_hi:[1,0,0]
	;; [unrolled: 2-line block ×3, first 2 shown]
	ds_read2_b32 v[56:57], v21 offset0:27 offset1:28
	ds_read2_b32 v[58:59], v21 offset0:29 offset1:30
	;; [unrolled: 1-line block ×3, first 2 shown]
	s_waitcnt vmcnt(16) lgkmcnt(3)
	v_pk_fma_f32 v[42:43], v[18:19], v[60:61], v[42:43] op_sel_hi:[0,1,1] neg_lo:[1,0,0] neg_hi:[1,0,0]
	ds_read2_b32 v[60:61], v21 offset0:33 offset1:34
	s_waitcnt vmcnt(14) lgkmcnt(3)
	v_pk_fma_f32 v[36:37], v[18:19], v[56:57], v[36:37] op_sel_hi:[0,1,1] neg_lo:[1,0,0] neg_hi:[1,0,0]
	s_waitcnt vmcnt(12) lgkmcnt(2)
	v_pk_fma_f32 v[32:33], v[18:19], v[58:59], v[32:33] op_sel_hi:[0,1,1] neg_lo:[1,0,0] neg_hi:[1,0,0]
	;; [unrolled: 2-line block ×3, first 2 shown]
	ds_read2_b32 v[56:57], v21 offset0:35 offset1:36
	ds_read2_b32 v[58:59], v21 offset0:37 offset1:38
	;; [unrolled: 1-line block ×4, first 2 shown]
	s_waitcnt vmcnt(8) lgkmcnt(4)
	v_pk_fma_f32 v[48:49], v[18:19], v[60:61], v[48:49] op_sel_hi:[0,1,1] neg_lo:[1,0,0] neg_hi:[1,0,0]
	s_waitcnt vmcnt(6) lgkmcnt(3)
	v_pk_fma_f32 v[44:45], v[18:19], v[56:57], v[44:45] op_sel_hi:[0,1,1] neg_lo:[1,0,0] neg_hi:[1,0,0]
	;; [unrolled: 2-line block ×5, first 2 shown]
.LBB84_199:
	s_or_b64 exec, exec, s[0:1]
	v_lshl_add_u32 v50, v53, 2, v21
	s_barrier
	s_waitcnt vmcnt(30)
	ds_write_b32 v50, v19
	s_waitcnt lgkmcnt(0)
	s_barrier
	ds_read_b32 v55, v21 offset:48
	s_cmp_lt_i32 s22, 14
	v_mov_b32_e32 v50, 12
	s_cbranch_scc1 .LBB84_202
; %bb.200:
	v_add3_u32 v56, v52, 0, 52
	v_mov_b32_e32 v50, 12
	s_mov_b32 s0, 13
.LBB84_201:                             ; =>This Inner Loop Header: Depth=1
	ds_read_b32 v57, v56
	v_mov_b32_e32 v58, s0
	s_add_i32 s0, s0, 1
	v_add_u32_e32 v56, 4, v56
	s_cmp_lg_u32 s22, s0
	s_waitcnt lgkmcnt(0)
	v_cmp_lt_f32_e64 vcc, |v55|, |v57|
	s_nop 1
	v_cndmask_b32_e32 v55, v55, v57, vcc
	v_cndmask_b32_e32 v50, v50, v58, vcc
	s_cbranch_scc1 .LBB84_201
.LBB84_202:
	s_waitcnt lgkmcnt(0)
	v_cmp_eq_f32_e32 vcc, 0, v55
	s_and_saveexec_b64 s[0:1], vcc
	s_xor_b64 s[0:1], exec, s[0:1]
; %bb.203:
	v_cmp_ne_u32_e32 vcc, 0, v54
	s_nop 1
	v_cndmask_b32_e32 v54, 13, v54, vcc
; %bb.204:
	s_andn2_saveexec_b64 s[0:1], s[0:1]
	s_cbranch_execz .LBB84_206
; %bb.205:
	v_div_scale_f32 v56, s[2:3], v55, v55, 1.0
	v_rcp_f32_e32 v57, v56
	v_div_scale_f32 v58, vcc, 1.0, v55, 1.0
	v_fma_f32 v59, -v56, v57, 1.0
	v_fmac_f32_e32 v57, v59, v57
	v_mul_f32_e32 v59, v58, v57
	v_fma_f32 v60, -v56, v59, v58
	v_fmac_f32_e32 v59, v60, v57
	v_fma_f32 v56, -v56, v59, v58
	v_div_fmas_f32 v56, v56, v57, v59
	v_div_fixup_f32 v55, v56, v55, 1.0
.LBB84_206:
	s_or_b64 exec, exec, s[0:1]
	v_cmp_ne_u32_e32 vcc, v53, v50
	s_and_saveexec_b64 s[0:1], vcc
	s_xor_b64 s[0:1], exec, s[0:1]
	s_cbranch_execz .LBB84_212
; %bb.207:
	v_cmp_eq_u32_e32 vcc, 12, v53
	s_and_saveexec_b64 s[2:3], vcc
	s_cbranch_execz .LBB84_211
; %bb.208:
	v_cmp_ne_u32_e32 vcc, 12, v50
	s_xor_b64 s[18:19], s[16:17], -1
	s_and_b64 s[20:21], s[18:19], vcc
	s_and_saveexec_b64 s[18:19], s[20:21]
	s_cbranch_execz .LBB84_210
; %bb.209:
	v_ashrrev_i32_e32 v51, 31, v50
	v_lshl_add_u64 v[56:57], v[50:51], 2, v[22:23]
	global_load_dword v51, v[56:57], off
	global_load_dword v53, v[22:23], off offset:48
	s_waitcnt vmcnt(1)
	global_store_dword v[22:23], v51, off offset:48
	s_waitcnt vmcnt(1)
	global_store_dword v[56:57], v53, off
.LBB84_210:
	s_or_b64 exec, exec, s[18:19]
	v_mov_b32_e32 v51, v50
	v_mov_b32_e32 v53, v50
.LBB84_211:
	s_or_b64 exec, exec, s[2:3]
.LBB84_212:
	s_andn2_saveexec_b64 s[0:1], s[0:1]
	s_cbranch_execz .LBB84_214
; %bb.213:
	v_mov_b32_e32 v53, 12
	s_waitcnt vmcnt(28)
	ds_write2_b32 v21, v12, v13 offset0:13 offset1:14
	s_waitcnt vmcnt(26)
	ds_write2_b32 v21, v8, v9 offset0:15 offset1:16
	;; [unrolled: 2-line block ×15, first 2 shown]
.LBB84_214:
	s_or_b64 exec, exec, s[0:1]
	v_cmp_lt_i32_e32 vcc, 12, v53
	s_waitcnt lgkmcnt(0)
	s_barrier
	s_and_saveexec_b64 s[0:1], vcc
	s_cbranch_execz .LBB84_216
; %bb.215:
	ds_read2_b32 v[56:57], v21 offset0:13 offset1:14
	ds_read2_b32 v[58:59], v21 offset0:15 offset1:16
	;; [unrolled: 1-line block ×3, first 2 shown]
	v_mul_f32_e32 v50, v55, v19
	ds_read2_b32 v[62:63], v21 offset0:19 offset1:20
	s_waitcnt vmcnt(28) lgkmcnt(3)
	v_pk_fma_f32 v[12:13], v[50:51], v[56:57], v[12:13] op_sel_hi:[0,1,1] neg_lo:[1,0,0] neg_hi:[1,0,0]
	s_waitcnt vmcnt(26) lgkmcnt(2)
	v_pk_fma_f32 v[8:9], v[50:51], v[58:59], v[8:9] op_sel_hi:[0,1,1] neg_lo:[1,0,0] neg_hi:[1,0,0]
	;; [unrolled: 2-line block ×3, first 2 shown]
	ds_read2_b32 v[56:57], v21 offset0:21 offset1:22
	ds_read2_b32 v[58:59], v21 offset0:23 offset1:24
	;; [unrolled: 1-line block ×3, first 2 shown]
	s_waitcnt vmcnt(22) lgkmcnt(3)
	v_pk_fma_f32 v[30:31], v[50:51], v[62:63], v[30:31] op_sel_hi:[0,1,1] neg_lo:[1,0,0] neg_hi:[1,0,0]
	ds_read2_b32 v[62:63], v21 offset0:27 offset1:28
	s_waitcnt vmcnt(20) lgkmcnt(3)
	v_pk_fma_f32 v[24:25], v[50:51], v[56:57], v[24:25] op_sel_hi:[0,1,1] neg_lo:[1,0,0] neg_hi:[1,0,0]
	s_waitcnt vmcnt(18) lgkmcnt(2)
	v_pk_fma_f32 v[16:17], v[50:51], v[58:59], v[16:17] op_sel_hi:[0,1,1] neg_lo:[1,0,0] neg_hi:[1,0,0]
	ds_read2_b32 v[56:57], v21 offset0:29 offset1:30
	ds_read2_b32 v[58:59], v21 offset0:31 offset1:32
	s_waitcnt vmcnt(16) lgkmcnt(3)
	v_pk_fma_f32 v[42:43], v[50:51], v[60:61], v[42:43] op_sel_hi:[0,1,1] neg_lo:[1,0,0] neg_hi:[1,0,0]
	s_waitcnt vmcnt(14) lgkmcnt(2)
	v_pk_fma_f32 v[36:37], v[50:51], v[62:63], v[36:37] op_sel_hi:[0,1,1] neg_lo:[1,0,0] neg_hi:[1,0,0]
	ds_read2_b32 v[60:61], v21 offset0:33 offset1:34
	;; [unrolled: 6-line block ×3, first 2 shown]
	ds_read2_b32 v[58:59], v21 offset0:39 offset1:40
	ds_read2_b32 v[64:65], v21 offset0:41 offset1:42
	s_waitcnt vmcnt(8) lgkmcnt(4)
	v_pk_fma_f32 v[48:49], v[50:51], v[60:61], v[48:49] op_sel_hi:[0,1,1] neg_lo:[1,0,0] neg_hi:[1,0,0]
	s_waitcnt vmcnt(6) lgkmcnt(3)
	v_pk_fma_f32 v[44:45], v[50:51], v[62:63], v[44:45] op_sel_hi:[0,1,1] neg_lo:[1,0,0] neg_hi:[1,0,0]
	;; [unrolled: 2-line block ×5, first 2 shown]
	v_mov_b32_e32 v19, v50
.LBB84_216:
	s_or_b64 exec, exec, s[0:1]
	v_lshl_add_u32 v50, v53, 2, v21
	s_barrier
	s_waitcnt vmcnt(29)
	ds_write_b32 v50, v12
	s_waitcnt lgkmcnt(0)
	s_barrier
	ds_read_b32 v55, v21 offset:52
	s_cmp_lt_i32 s22, 15
	v_mov_b32_e32 v50, 13
	s_cbranch_scc1 .LBB84_219
; %bb.217:
	v_add3_u32 v56, v52, 0, 56
	v_mov_b32_e32 v50, 13
	s_mov_b32 s0, 14
.LBB84_218:                             ; =>This Inner Loop Header: Depth=1
	ds_read_b32 v57, v56
	v_mov_b32_e32 v58, s0
	s_add_i32 s0, s0, 1
	v_add_u32_e32 v56, 4, v56
	s_cmp_lg_u32 s22, s0
	s_waitcnt lgkmcnt(0)
	v_cmp_lt_f32_e64 vcc, |v55|, |v57|
	s_nop 1
	v_cndmask_b32_e32 v55, v55, v57, vcc
	v_cndmask_b32_e32 v50, v50, v58, vcc
	s_cbranch_scc1 .LBB84_218
.LBB84_219:
	s_waitcnt lgkmcnt(0)
	v_cmp_eq_f32_e32 vcc, 0, v55
	s_and_saveexec_b64 s[0:1], vcc
	s_xor_b64 s[0:1], exec, s[0:1]
; %bb.220:
	v_cmp_ne_u32_e32 vcc, 0, v54
	s_nop 1
	v_cndmask_b32_e32 v54, 14, v54, vcc
; %bb.221:
	s_andn2_saveexec_b64 s[0:1], s[0:1]
	s_cbranch_execz .LBB84_223
; %bb.222:
	v_div_scale_f32 v56, s[2:3], v55, v55, 1.0
	v_rcp_f32_e32 v57, v56
	v_div_scale_f32 v58, vcc, 1.0, v55, 1.0
	v_fma_f32 v59, -v56, v57, 1.0
	v_fmac_f32_e32 v57, v59, v57
	v_mul_f32_e32 v59, v58, v57
	v_fma_f32 v60, -v56, v59, v58
	v_fmac_f32_e32 v59, v60, v57
	v_fma_f32 v56, -v56, v59, v58
	v_div_fmas_f32 v56, v56, v57, v59
	v_div_fixup_f32 v55, v56, v55, 1.0
.LBB84_223:
	s_or_b64 exec, exec, s[0:1]
	v_cmp_ne_u32_e32 vcc, v53, v50
	s_and_saveexec_b64 s[0:1], vcc
	s_xor_b64 s[0:1], exec, s[0:1]
	s_cbranch_execz .LBB84_229
; %bb.224:
	v_cmp_eq_u32_e32 vcc, 13, v53
	s_and_saveexec_b64 s[2:3], vcc
	s_cbranch_execz .LBB84_228
; %bb.225:
	v_cmp_ne_u32_e32 vcc, 13, v50
	s_xor_b64 s[18:19], s[16:17], -1
	s_and_b64 s[20:21], s[18:19], vcc
	s_and_saveexec_b64 s[18:19], s[20:21]
	s_cbranch_execz .LBB84_227
; %bb.226:
	v_ashrrev_i32_e32 v51, 31, v50
	v_lshl_add_u64 v[56:57], v[50:51], 2, v[22:23]
	global_load_dword v51, v[56:57], off
	global_load_dword v53, v[22:23], off offset:52
	s_waitcnt vmcnt(1)
	global_store_dword v[22:23], v51, off offset:52
	s_waitcnt vmcnt(1)
	global_store_dword v[56:57], v53, off
.LBB84_227:
	s_or_b64 exec, exec, s[18:19]
	v_mov_b32_e32 v51, v50
	v_mov_b32_e32 v53, v50
.LBB84_228:
	s_or_b64 exec, exec, s[2:3]
.LBB84_229:
	s_andn2_saveexec_b64 s[0:1], s[0:1]
	s_cbranch_execz .LBB84_231
; %bb.230:
	s_waitcnt vmcnt(26)
	v_pk_mov_b32 v[56:57], v[12:13], v[8:9] op_sel:[1,0]
	ds_write2_b32 v21, v56, v57 offset0:14 offset1:15
	s_waitcnt vmcnt(24)
	v_pk_mov_b32 v[56:57], v[8:9], v[34:35] op_sel:[1,0]
	ds_write2_b32 v21, v56, v57 offset0:16 offset1:17
	;; [unrolled: 3-line block ×13, first 2 shown]
	s_waitcnt vmcnt(0)
	v_pk_mov_b32 v[56:57], v[38:39], v[46:47] op_sel:[1,0]
	v_mov_b32_e32 v53, 13
	ds_write2_b32 v21, v56, v57 offset0:40 offset1:41
	ds_write_b32 v21, v47 offset:168
.LBB84_231:
	s_or_b64 exec, exec, s[0:1]
	v_cmp_lt_i32_e32 vcc, 13, v53
	s_waitcnt lgkmcnt(0)
	s_barrier
	s_and_saveexec_b64 s[0:1], vcc
	s_cbranch_execz .LBB84_233
; %bb.232:
	ds_read_b32 v50, v21 offset:56
	ds_read2_b32 v[56:57], v21 offset0:15 offset1:16
	ds_read2_b32 v[58:59], v21 offset0:17 offset1:18
	v_mul_f32_e32 v12, v55, v12
	ds_read2_b32 v[60:61], v21 offset0:19 offset1:20
	s_waitcnt vmcnt(28) lgkmcnt(3)
	v_fma_f32 v13, -v12, v50, v13
	s_waitcnt vmcnt(26) lgkmcnt(2)
	v_pk_fma_f32 v[8:9], v[12:13], v[56:57], v[8:9] op_sel_hi:[0,1,1] neg_lo:[1,0,0] neg_hi:[1,0,0]
	s_waitcnt vmcnt(24) lgkmcnt(1)
	v_pk_fma_f32 v[34:35], v[12:13], v[58:59], v[34:35] op_sel_hi:[0,1,1] neg_lo:[1,0,0] neg_hi:[1,0,0]
	ds_read2_b32 v[56:57], v21 offset0:21 offset1:22
	ds_read2_b32 v[58:59], v21 offset0:23 offset1:24
	;; [unrolled: 1-line block ×3, first 2 shown]
	s_waitcnt vmcnt(22) lgkmcnt(3)
	v_pk_fma_f32 v[30:31], v[12:13], v[60:61], v[30:31] op_sel_hi:[0,1,1] neg_lo:[1,0,0] neg_hi:[1,0,0]
	ds_read2_b32 v[60:61], v21 offset0:27 offset1:28
	s_waitcnt vmcnt(20) lgkmcnt(3)
	v_pk_fma_f32 v[24:25], v[12:13], v[56:57], v[24:25] op_sel_hi:[0,1,1] neg_lo:[1,0,0] neg_hi:[1,0,0]
	s_waitcnt vmcnt(18) lgkmcnt(2)
	v_pk_fma_f32 v[16:17], v[12:13], v[58:59], v[16:17] op_sel_hi:[0,1,1] neg_lo:[1,0,0] neg_hi:[1,0,0]
	ds_read2_b32 v[56:57], v21 offset0:29 offset1:30
	ds_read2_b32 v[58:59], v21 offset0:31 offset1:32
	s_waitcnt vmcnt(16) lgkmcnt(3)
	v_pk_fma_f32 v[42:43], v[12:13], v[62:63], v[42:43] op_sel_hi:[0,1,1] neg_lo:[1,0,0] neg_hi:[1,0,0]
	s_waitcnt vmcnt(14) lgkmcnt(2)
	v_pk_fma_f32 v[36:37], v[12:13], v[60:61], v[36:37] op_sel_hi:[0,1,1] neg_lo:[1,0,0] neg_hi:[1,0,0]
	ds_read2_b32 v[60:61], v21 offset0:33 offset1:34
	;; [unrolled: 6-line block ×3, first 2 shown]
	ds_read2_b32 v[58:59], v21 offset0:39 offset1:40
	ds_read2_b32 v[64:65], v21 offset0:41 offset1:42
	s_waitcnt vmcnt(8) lgkmcnt(4)
	v_pk_fma_f32 v[48:49], v[12:13], v[60:61], v[48:49] op_sel_hi:[0,1,1] neg_lo:[1,0,0] neg_hi:[1,0,0]
	s_waitcnt vmcnt(6) lgkmcnt(3)
	v_pk_fma_f32 v[44:45], v[12:13], v[62:63], v[44:45] op_sel_hi:[0,1,1] neg_lo:[1,0,0] neg_hi:[1,0,0]
	;; [unrolled: 2-line block ×5, first 2 shown]
.LBB84_233:
	s_or_b64 exec, exec, s[0:1]
	v_lshl_add_u32 v50, v53, 2, v21
	s_barrier
	s_waitcnt vmcnt(28)
	ds_write_b32 v50, v13
	s_waitcnt lgkmcnt(0)
	s_barrier
	ds_read_b32 v55, v21 offset:56
	s_cmp_lt_i32 s22, 16
	v_mov_b32_e32 v50, 14
	s_cbranch_scc1 .LBB84_236
; %bb.234:
	v_add3_u32 v56, v52, 0, 60
	v_mov_b32_e32 v50, 14
	s_mov_b32 s0, 15
.LBB84_235:                             ; =>This Inner Loop Header: Depth=1
	ds_read_b32 v57, v56
	v_mov_b32_e32 v58, s0
	s_add_i32 s0, s0, 1
	v_add_u32_e32 v56, 4, v56
	s_cmp_lg_u32 s22, s0
	s_waitcnt lgkmcnt(0)
	v_cmp_lt_f32_e64 vcc, |v55|, |v57|
	s_nop 1
	v_cndmask_b32_e32 v55, v55, v57, vcc
	v_cndmask_b32_e32 v50, v50, v58, vcc
	s_cbranch_scc1 .LBB84_235
.LBB84_236:
	s_waitcnt lgkmcnt(0)
	v_cmp_eq_f32_e32 vcc, 0, v55
	s_and_saveexec_b64 s[0:1], vcc
	s_xor_b64 s[0:1], exec, s[0:1]
; %bb.237:
	v_cmp_ne_u32_e32 vcc, 0, v54
	s_nop 1
	v_cndmask_b32_e32 v54, 15, v54, vcc
; %bb.238:
	s_andn2_saveexec_b64 s[0:1], s[0:1]
	s_cbranch_execz .LBB84_240
; %bb.239:
	v_div_scale_f32 v56, s[2:3], v55, v55, 1.0
	v_rcp_f32_e32 v57, v56
	v_div_scale_f32 v58, vcc, 1.0, v55, 1.0
	v_fma_f32 v59, -v56, v57, 1.0
	v_fmac_f32_e32 v57, v59, v57
	v_mul_f32_e32 v59, v58, v57
	v_fma_f32 v60, -v56, v59, v58
	v_fmac_f32_e32 v59, v60, v57
	v_fma_f32 v56, -v56, v59, v58
	v_div_fmas_f32 v56, v56, v57, v59
	v_div_fixup_f32 v55, v56, v55, 1.0
.LBB84_240:
	s_or_b64 exec, exec, s[0:1]
	v_cmp_ne_u32_e32 vcc, v53, v50
	s_and_saveexec_b64 s[0:1], vcc
	s_xor_b64 s[0:1], exec, s[0:1]
	s_cbranch_execz .LBB84_246
; %bb.241:
	v_cmp_eq_u32_e32 vcc, 14, v53
	s_and_saveexec_b64 s[2:3], vcc
	s_cbranch_execz .LBB84_245
; %bb.242:
	v_cmp_ne_u32_e32 vcc, 14, v50
	s_xor_b64 s[18:19], s[16:17], -1
	s_and_b64 s[20:21], s[18:19], vcc
	s_and_saveexec_b64 s[18:19], s[20:21]
	s_cbranch_execz .LBB84_244
; %bb.243:
	v_ashrrev_i32_e32 v51, 31, v50
	v_lshl_add_u64 v[56:57], v[50:51], 2, v[22:23]
	global_load_dword v51, v[56:57], off
	global_load_dword v53, v[22:23], off offset:56
	s_waitcnt vmcnt(1)
	global_store_dword v[22:23], v51, off offset:56
	s_waitcnt vmcnt(1)
	global_store_dword v[56:57], v53, off
.LBB84_244:
	s_or_b64 exec, exec, s[18:19]
	v_mov_b32_e32 v51, v50
	v_mov_b32_e32 v53, v50
.LBB84_245:
	s_or_b64 exec, exec, s[2:3]
.LBB84_246:
	s_andn2_saveexec_b64 s[0:1], s[0:1]
	s_cbranch_execz .LBB84_248
; %bb.247:
	v_mov_b32_e32 v53, 14
	s_waitcnt vmcnt(26)
	ds_write2_b32 v21, v8, v9 offset0:15 offset1:16
	s_waitcnt vmcnt(24)
	ds_write2_b32 v21, v34, v35 offset0:17 offset1:18
	;; [unrolled: 2-line block ×14, first 2 shown]
.LBB84_248:
	s_or_b64 exec, exec, s[0:1]
	v_cmp_lt_i32_e32 vcc, 14, v53
	s_waitcnt lgkmcnt(0)
	s_barrier
	s_and_saveexec_b64 s[0:1], vcc
	s_cbranch_execz .LBB84_250
; %bb.249:
	ds_read2_b32 v[56:57], v21 offset0:15 offset1:16
	ds_read2_b32 v[58:59], v21 offset0:17 offset1:18
	;; [unrolled: 1-line block ×4, first 2 shown]
	v_mul_f32_e32 v50, v55, v13
	s_waitcnt vmcnt(26) lgkmcnt(3)
	v_pk_fma_f32 v[8:9], v[50:51], v[56:57], v[8:9] op_sel_hi:[0,1,1] neg_lo:[1,0,0] neg_hi:[1,0,0]
	s_waitcnt vmcnt(24) lgkmcnt(2)
	v_pk_fma_f32 v[34:35], v[50:51], v[58:59], v[34:35] op_sel_hi:[0,1,1] neg_lo:[1,0,0] neg_hi:[1,0,0]
	;; [unrolled: 2-line block ×3, first 2 shown]
	ds_read2_b32 v[56:57], v21 offset0:23 offset1:24
	ds_read2_b32 v[58:59], v21 offset0:25 offset1:26
	;; [unrolled: 1-line block ×3, first 2 shown]
	s_waitcnt vmcnt(20) lgkmcnt(3)
	v_pk_fma_f32 v[24:25], v[50:51], v[62:63], v[24:25] op_sel_hi:[0,1,1] neg_lo:[1,0,0] neg_hi:[1,0,0]
	ds_read2_b32 v[62:63], v21 offset0:29 offset1:30
	s_waitcnt vmcnt(18) lgkmcnt(3)
	v_pk_fma_f32 v[16:17], v[50:51], v[56:57], v[16:17] op_sel_hi:[0,1,1] neg_lo:[1,0,0] neg_hi:[1,0,0]
	ds_read2_b32 v[56:57], v21 offset0:31 offset1:32
	s_waitcnt vmcnt(16) lgkmcnt(3)
	v_pk_fma_f32 v[42:43], v[50:51], v[58:59], v[42:43] op_sel_hi:[0,1,1] neg_lo:[1,0,0] neg_hi:[1,0,0]
	s_waitcnt vmcnt(14) lgkmcnt(2)
	v_pk_fma_f32 v[36:37], v[50:51], v[60:61], v[36:37] op_sel_hi:[0,1,1] neg_lo:[1,0,0] neg_hi:[1,0,0]
	;; [unrolled: 2-line block ×3, first 2 shown]
	ds_read2_b32 v[58:59], v21 offset0:33 offset1:34
	ds_read2_b32 v[60:61], v21 offset0:35 offset1:36
	;; [unrolled: 1-line block ×3, first 2 shown]
	s_waitcnt vmcnt(10) lgkmcnt(3)
	v_pk_fma_f32 v[26:27], v[50:51], v[56:57], v[26:27] op_sel_hi:[0,1,1] neg_lo:[1,0,0] neg_hi:[1,0,0]
	ds_read2_b32 v[56:57], v21 offset0:39 offset1:40
	ds_read2_b32 v[64:65], v21 offset0:41 offset1:42
	s_waitcnt vmcnt(8) lgkmcnt(4)
	v_pk_fma_f32 v[48:49], v[50:51], v[58:59], v[48:49] op_sel_hi:[0,1,1] neg_lo:[1,0,0] neg_hi:[1,0,0]
	s_waitcnt vmcnt(6) lgkmcnt(3)
	v_pk_fma_f32 v[44:45], v[50:51], v[60:61], v[44:45] op_sel_hi:[0,1,1] neg_lo:[1,0,0] neg_hi:[1,0,0]
	;; [unrolled: 2-line block ×5, first 2 shown]
	v_mov_b32_e32 v13, v50
.LBB84_250:
	s_or_b64 exec, exec, s[0:1]
	v_lshl_add_u32 v50, v53, 2, v21
	s_barrier
	s_waitcnt vmcnt(27)
	ds_write_b32 v50, v8
	s_waitcnt lgkmcnt(0)
	s_barrier
	ds_read_b32 v55, v21 offset:60
	s_cmp_lt_i32 s22, 17
	v_mov_b32_e32 v50, 15
	s_cbranch_scc1 .LBB84_253
; %bb.251:
	v_add3_u32 v52, v52, 0, 64
	v_mov_b32_e32 v50, 15
	s_mov_b32 s0, 16
.LBB84_252:                             ; =>This Inner Loop Header: Depth=1
	ds_read_b32 v56, v52
	v_mov_b32_e32 v57, s0
	s_add_i32 s0, s0, 1
	v_add_u32_e32 v52, 4, v52
	s_cmp_lg_u32 s22, s0
	s_waitcnt lgkmcnt(0)
	v_cmp_lt_f32_e64 vcc, |v55|, |v56|
	s_nop 1
	v_cndmask_b32_e32 v55, v55, v56, vcc
	v_cndmask_b32_e32 v50, v50, v57, vcc
	s_cbranch_scc1 .LBB84_252
.LBB84_253:
	s_waitcnt lgkmcnt(0)
	v_cmp_eq_f32_e32 vcc, 0, v55
	s_and_saveexec_b64 s[0:1], vcc
	s_xor_b64 s[0:1], exec, s[0:1]
; %bb.254:
	v_cmp_ne_u32_e32 vcc, 0, v54
	s_nop 1
	v_cndmask_b32_e32 v54, 16, v54, vcc
; %bb.255:
	s_andn2_saveexec_b64 s[0:1], s[0:1]
	s_cbranch_execz .LBB84_257
; %bb.256:
	v_div_scale_f32 v52, s[2:3], v55, v55, 1.0
	v_rcp_f32_e32 v56, v52
	v_div_scale_f32 v57, vcc, 1.0, v55, 1.0
	v_fma_f32 v58, -v52, v56, 1.0
	v_fmac_f32_e32 v56, v58, v56
	v_mul_f32_e32 v58, v57, v56
	v_fma_f32 v59, -v52, v58, v57
	v_fmac_f32_e32 v58, v59, v56
	v_fma_f32 v52, -v52, v58, v57
	v_div_fmas_f32 v52, v52, v56, v58
	v_div_fixup_f32 v55, v52, v55, 1.0
.LBB84_257:
	s_or_b64 exec, exec, s[0:1]
	v_cmp_ne_u32_e32 vcc, v53, v50
	s_and_saveexec_b64 s[0:1], vcc
	s_xor_b64 s[0:1], exec, s[0:1]
	s_cbranch_execz .LBB84_263
; %bb.258:
	v_cmp_eq_u32_e32 vcc, 15, v53
	s_and_saveexec_b64 s[2:3], vcc
	s_cbranch_execz .LBB84_262
; %bb.259:
	v_cmp_ne_u32_e32 vcc, 15, v50
	s_xor_b64 s[18:19], s[16:17], -1
	s_and_b64 s[20:21], s[18:19], vcc
	s_and_saveexec_b64 s[18:19], s[20:21]
	s_cbranch_execz .LBB84_261
; %bb.260:
	v_ashrrev_i32_e32 v51, 31, v50
	v_lshl_add_u64 v[52:53], v[50:51], 2, v[22:23]
	global_load_dword v51, v[52:53], off
	global_load_dword v56, v[22:23], off offset:60
	s_waitcnt vmcnt(1)
	global_store_dword v[22:23], v51, off offset:60
	s_waitcnt vmcnt(1)
	global_store_dword v[52:53], v56, off
.LBB84_261:
	s_or_b64 exec, exec, s[18:19]
	v_mov_b32_e32 v51, v50
	v_mov_b32_e32 v53, v50
.LBB84_262:
	s_or_b64 exec, exec, s[2:3]
.LBB84_263:
	s_andn2_saveexec_b64 s[0:1], s[0:1]
	s_cbranch_execz .LBB84_265
; %bb.264:
	s_waitcnt vmcnt(24)
	v_pk_mov_b32 v[52:53], v[8:9], v[34:35] op_sel:[1,0]
	ds_write2_b32 v21, v52, v53 offset0:16 offset1:17
	s_waitcnt vmcnt(22)
	v_pk_mov_b32 v[52:53], v[34:35], v[30:31] op_sel:[1,0]
	ds_write2_b32 v21, v52, v53 offset0:18 offset1:19
	;; [unrolled: 3-line block ×13, first 2 shown]
	ds_write_b32 v21, v47 offset:168
	v_mov_b32_e32 v53, 15
.LBB84_265:
	s_or_b64 exec, exec, s[0:1]
	v_cmp_lt_i32_e32 vcc, 15, v53
	s_waitcnt lgkmcnt(0)
	s_barrier
	s_and_saveexec_b64 s[0:1], vcc
	s_cbranch_execz .LBB84_267
; %bb.266:
	ds_read_b32 v50, v21 offset:64
	ds_read2_b32 v[56:57], v21 offset0:17 offset1:18
	ds_read2_b32 v[58:59], v21 offset0:19 offset1:20
	v_mul_f32_e32 v8, v55, v8
	ds_read2_b32 v[60:61], v21 offset0:21 offset1:22
	s_waitcnt vmcnt(26) lgkmcnt(3)
	v_fma_f32 v9, -v8, v50, v9
	s_waitcnt vmcnt(24) lgkmcnt(2)
	v_pk_fma_f32 v[34:35], v[8:9], v[56:57], v[34:35] op_sel_hi:[0,1,1] neg_lo:[1,0,0] neg_hi:[1,0,0]
	s_waitcnt vmcnt(22) lgkmcnt(1)
	v_pk_fma_f32 v[30:31], v[8:9], v[58:59], v[30:31] op_sel_hi:[0,1,1] neg_lo:[1,0,0] neg_hi:[1,0,0]
	ds_read2_b32 v[56:57], v21 offset0:23 offset1:24
	ds_read2_b32 v[58:59], v21 offset0:25 offset1:26
	;; [unrolled: 1-line block ×3, first 2 shown]
	s_waitcnt vmcnt(20) lgkmcnt(3)
	v_pk_fma_f32 v[24:25], v[8:9], v[60:61], v[24:25] op_sel_hi:[0,1,1] neg_lo:[1,0,0] neg_hi:[1,0,0]
	ds_read2_b32 v[60:61], v21 offset0:29 offset1:30
	s_waitcnt vmcnt(18) lgkmcnt(3)
	v_pk_fma_f32 v[16:17], v[8:9], v[56:57], v[16:17] op_sel_hi:[0,1,1] neg_lo:[1,0,0] neg_hi:[1,0,0]
	ds_read2_b32 v[56:57], v21 offset0:31 offset1:32
	s_waitcnt vmcnt(16) lgkmcnt(3)
	v_pk_fma_f32 v[42:43], v[8:9], v[58:59], v[42:43] op_sel_hi:[0,1,1] neg_lo:[1,0,0] neg_hi:[1,0,0]
	s_waitcnt vmcnt(14) lgkmcnt(2)
	v_pk_fma_f32 v[36:37], v[8:9], v[62:63], v[36:37] op_sel_hi:[0,1,1] neg_lo:[1,0,0] neg_hi:[1,0,0]
	;; [unrolled: 2-line block ×3, first 2 shown]
	ds_read2_b32 v[58:59], v21 offset0:33 offset1:34
	ds_read2_b32 v[60:61], v21 offset0:35 offset1:36
	;; [unrolled: 1-line block ×3, first 2 shown]
	s_waitcnt vmcnt(10) lgkmcnt(3)
	v_pk_fma_f32 v[26:27], v[8:9], v[56:57], v[26:27] op_sel_hi:[0,1,1] neg_lo:[1,0,0] neg_hi:[1,0,0]
	ds_read2_b32 v[56:57], v21 offset0:39 offset1:40
	ds_read2_b32 v[64:65], v21 offset0:41 offset1:42
	s_waitcnt vmcnt(8) lgkmcnt(4)
	v_pk_fma_f32 v[48:49], v[8:9], v[58:59], v[48:49] op_sel_hi:[0,1,1] neg_lo:[1,0,0] neg_hi:[1,0,0]
	s_waitcnt vmcnt(6) lgkmcnt(3)
	v_pk_fma_f32 v[44:45], v[8:9], v[60:61], v[44:45] op_sel_hi:[0,1,1] neg_lo:[1,0,0] neg_hi:[1,0,0]
	;; [unrolled: 2-line block ×5, first 2 shown]
.LBB84_267:
	s_or_b64 exec, exec, s[0:1]
	v_lshl_add_u32 v50, v53, 2, v21
	s_barrier
	s_waitcnt vmcnt(26)
	ds_write_b32 v50, v9
	s_waitcnt lgkmcnt(0)
	s_barrier
	ds_read_b32 v52, v21 offset:64
	s_cmp_lt_i32 s22, 18
	v_mov_b32_e32 v50, 16
	s_cbranch_scc1 .LBB84_270
; %bb.268:
	v_add_u32_e32 v55, 0x44, v21
	v_mov_b32_e32 v50, 16
	s_mov_b32 s0, 17
.LBB84_269:                             ; =>This Inner Loop Header: Depth=1
	ds_read_b32 v56, v55
	v_mov_b32_e32 v57, s0
	s_add_i32 s0, s0, 1
	v_add_u32_e32 v55, 4, v55
	s_cmp_lg_u32 s22, s0
	s_waitcnt lgkmcnt(0)
	v_cmp_lt_f32_e64 vcc, |v52|, |v56|
	s_nop 1
	v_cndmask_b32_e32 v52, v52, v56, vcc
	v_cndmask_b32_e32 v50, v50, v57, vcc
	s_cbranch_scc1 .LBB84_269
.LBB84_270:
	s_waitcnt lgkmcnt(0)
	v_cmp_eq_f32_e32 vcc, 0, v52
	s_and_saveexec_b64 s[0:1], vcc
	s_xor_b64 s[0:1], exec, s[0:1]
; %bb.271:
	v_cmp_ne_u32_e32 vcc, 0, v54
	s_nop 1
	v_cndmask_b32_e32 v54, 17, v54, vcc
; %bb.272:
	s_andn2_saveexec_b64 s[0:1], s[0:1]
	s_cbranch_execz .LBB84_274
; %bb.273:
	v_div_scale_f32 v55, s[2:3], v52, v52, 1.0
	v_rcp_f32_e32 v56, v55
	v_div_scale_f32 v57, vcc, 1.0, v52, 1.0
	v_fma_f32 v58, -v55, v56, 1.0
	v_fmac_f32_e32 v56, v58, v56
	v_mul_f32_e32 v58, v57, v56
	v_fma_f32 v59, -v55, v58, v57
	v_fmac_f32_e32 v58, v59, v56
	v_fma_f32 v55, -v55, v58, v57
	v_div_fmas_f32 v55, v55, v56, v58
	v_div_fixup_f32 v52, v55, v52, 1.0
.LBB84_274:
	s_or_b64 exec, exec, s[0:1]
	v_cmp_ne_u32_e32 vcc, v53, v50
	s_and_saveexec_b64 s[0:1], vcc
	s_xor_b64 s[0:1], exec, s[0:1]
	s_cbranch_execz .LBB84_280
; %bb.275:
	v_cmp_eq_u32_e32 vcc, 16, v53
	s_and_saveexec_b64 s[2:3], vcc
	s_cbranch_execz .LBB84_279
; %bb.276:
	v_cmp_ne_u32_e32 vcc, 16, v50
	s_xor_b64 s[18:19], s[16:17], -1
	s_and_b64 s[20:21], s[18:19], vcc
	s_and_saveexec_b64 s[18:19], s[20:21]
	s_cbranch_execz .LBB84_278
; %bb.277:
	v_ashrrev_i32_e32 v51, 31, v50
	v_lshl_add_u64 v[56:57], v[50:51], 2, v[22:23]
	global_load_dword v51, v[56:57], off
	global_load_dword v53, v[22:23], off offset:64
	s_waitcnt vmcnt(1)
	global_store_dword v[22:23], v51, off offset:64
	s_waitcnt vmcnt(1)
	global_store_dword v[56:57], v53, off
.LBB84_278:
	s_or_b64 exec, exec, s[18:19]
	v_mov_b32_e32 v51, v50
	v_mov_b32_e32 v53, v50
.LBB84_279:
	s_or_b64 exec, exec, s[2:3]
.LBB84_280:
	s_andn2_saveexec_b64 s[0:1], s[0:1]
	s_cbranch_execz .LBB84_282
; %bb.281:
	v_mov_b32_e32 v53, 16
	s_waitcnt vmcnt(24)
	ds_write2_b32 v21, v34, v35 offset0:17 offset1:18
	s_waitcnt vmcnt(22)
	ds_write2_b32 v21, v30, v31 offset0:19 offset1:20
	;; [unrolled: 2-line block ×13, first 2 shown]
.LBB84_282:
	s_or_b64 exec, exec, s[0:1]
	v_cmp_lt_i32_e32 vcc, 16, v53
	s_waitcnt lgkmcnt(0)
	s_barrier
	s_and_saveexec_b64 s[0:1], vcc
	s_cbranch_execz .LBB84_284
; %bb.283:
	ds_read2_b32 v[56:57], v21 offset0:17 offset1:18
	ds_read2_b32 v[58:59], v21 offset0:19 offset1:20
	;; [unrolled: 1-line block ×3, first 2 shown]
	v_mul_f32_e32 v50, v52, v9
	ds_read2_b32 v[62:63], v21 offset0:23 offset1:24
	s_waitcnt vmcnt(24) lgkmcnt(3)
	v_pk_fma_f32 v[34:35], v[50:51], v[56:57], v[34:35] op_sel_hi:[0,1,1] neg_lo:[1,0,0] neg_hi:[1,0,0]
	s_waitcnt vmcnt(22) lgkmcnt(2)
	v_pk_fma_f32 v[30:31], v[50:51], v[58:59], v[30:31] op_sel_hi:[0,1,1] neg_lo:[1,0,0] neg_hi:[1,0,0]
	;; [unrolled: 2-line block ×3, first 2 shown]
	ds_read2_b32 v[56:57], v21 offset0:25 offset1:26
	ds_read2_b32 v[58:59], v21 offset0:27 offset1:28
	;; [unrolled: 1-line block ×4, first 2 shown]
	s_waitcnt vmcnt(18) lgkmcnt(4)
	v_pk_fma_f32 v[16:17], v[50:51], v[62:63], v[16:17] op_sel_hi:[0,1,1] neg_lo:[1,0,0] neg_hi:[1,0,0]
	s_waitcnt vmcnt(16) lgkmcnt(3)
	v_pk_fma_f32 v[42:43], v[50:51], v[56:57], v[42:43] op_sel_hi:[0,1,1] neg_lo:[1,0,0] neg_hi:[1,0,0]
	;; [unrolled: 2-line block ×5, first 2 shown]
	ds_read2_b32 v[56:57], v21 offset0:33 offset1:34
	ds_read2_b32 v[58:59], v21 offset0:35 offset1:36
	;; [unrolled: 1-line block ×5, first 2 shown]
	s_waitcnt vmcnt(8) lgkmcnt(4)
	v_pk_fma_f32 v[48:49], v[50:51], v[56:57], v[48:49] op_sel_hi:[0,1,1] neg_lo:[1,0,0] neg_hi:[1,0,0]
	s_waitcnt vmcnt(6) lgkmcnt(3)
	v_pk_fma_f32 v[44:45], v[50:51], v[58:59], v[44:45] op_sel_hi:[0,1,1] neg_lo:[1,0,0] neg_hi:[1,0,0]
	;; [unrolled: 2-line block ×5, first 2 shown]
	v_mov_b32_e32 v9, v50
.LBB84_284:
	s_or_b64 exec, exec, s[0:1]
	v_lshl_add_u32 v50, v53, 2, v21
	s_barrier
	s_waitcnt vmcnt(25)
	ds_write_b32 v50, v34
	s_waitcnt lgkmcnt(0)
	s_barrier
	ds_read_b32 v52, v21 offset:68
	s_cmp_lt_i32 s22, 19
	v_mov_b32_e32 v50, 17
	s_cbranch_scc1 .LBB84_287
; %bb.285:
	v_add_u32_e32 v55, 0x48, v21
	v_mov_b32_e32 v50, 17
	s_mov_b32 s0, 18
.LBB84_286:                             ; =>This Inner Loop Header: Depth=1
	ds_read_b32 v56, v55
	v_mov_b32_e32 v57, s0
	s_add_i32 s0, s0, 1
	v_add_u32_e32 v55, 4, v55
	s_cmp_lg_u32 s22, s0
	s_waitcnt lgkmcnt(0)
	v_cmp_lt_f32_e64 vcc, |v52|, |v56|
	s_nop 1
	v_cndmask_b32_e32 v52, v52, v56, vcc
	v_cndmask_b32_e32 v50, v50, v57, vcc
	s_cbranch_scc1 .LBB84_286
.LBB84_287:
	s_waitcnt lgkmcnt(0)
	v_cmp_eq_f32_e32 vcc, 0, v52
	s_and_saveexec_b64 s[0:1], vcc
	s_xor_b64 s[0:1], exec, s[0:1]
; %bb.288:
	v_cmp_ne_u32_e32 vcc, 0, v54
	s_nop 1
	v_cndmask_b32_e32 v54, 18, v54, vcc
; %bb.289:
	s_andn2_saveexec_b64 s[0:1], s[0:1]
	s_cbranch_execz .LBB84_291
; %bb.290:
	v_div_scale_f32 v55, s[2:3], v52, v52, 1.0
	v_rcp_f32_e32 v56, v55
	v_div_scale_f32 v57, vcc, 1.0, v52, 1.0
	v_fma_f32 v58, -v55, v56, 1.0
	v_fmac_f32_e32 v56, v58, v56
	v_mul_f32_e32 v58, v57, v56
	v_fma_f32 v59, -v55, v58, v57
	v_fmac_f32_e32 v58, v59, v56
	v_fma_f32 v55, -v55, v58, v57
	v_div_fmas_f32 v55, v55, v56, v58
	v_div_fixup_f32 v52, v55, v52, 1.0
.LBB84_291:
	s_or_b64 exec, exec, s[0:1]
	v_cmp_ne_u32_e32 vcc, v53, v50
	s_and_saveexec_b64 s[0:1], vcc
	s_xor_b64 s[0:1], exec, s[0:1]
	s_cbranch_execz .LBB84_297
; %bb.292:
	v_cmp_eq_u32_e32 vcc, 17, v53
	s_and_saveexec_b64 s[2:3], vcc
	s_cbranch_execz .LBB84_296
; %bb.293:
	v_cmp_ne_u32_e32 vcc, 17, v50
	s_xor_b64 s[18:19], s[16:17], -1
	s_and_b64 s[20:21], s[18:19], vcc
	s_and_saveexec_b64 s[18:19], s[20:21]
	s_cbranch_execz .LBB84_295
; %bb.294:
	v_ashrrev_i32_e32 v51, 31, v50
	v_lshl_add_u64 v[56:57], v[50:51], 2, v[22:23]
	global_load_dword v51, v[56:57], off
	global_load_dword v53, v[22:23], off offset:68
	s_waitcnt vmcnt(1)
	global_store_dword v[22:23], v51, off offset:68
	s_waitcnt vmcnt(1)
	global_store_dword v[56:57], v53, off
.LBB84_295:
	s_or_b64 exec, exec, s[18:19]
	v_mov_b32_e32 v51, v50
	v_mov_b32_e32 v53, v50
.LBB84_296:
	s_or_b64 exec, exec, s[2:3]
.LBB84_297:
	s_andn2_saveexec_b64 s[0:1], s[0:1]
	s_cbranch_execz .LBB84_299
; %bb.298:
	s_waitcnt vmcnt(22)
	v_pk_mov_b32 v[56:57], v[34:35], v[30:31] op_sel:[1,0]
	ds_write2_b32 v21, v56, v57 offset0:18 offset1:19
	s_waitcnt vmcnt(20)
	v_pk_mov_b32 v[56:57], v[30:31], v[24:25] op_sel:[1,0]
	ds_write2_b32 v21, v56, v57 offset0:20 offset1:21
	;; [unrolled: 3-line block ×11, first 2 shown]
	s_waitcnt vmcnt(0)
	v_pk_mov_b32 v[56:57], v[38:39], v[46:47] op_sel:[1,0]
	v_mov_b32_e32 v53, 17
	ds_write2_b32 v21, v56, v57 offset0:40 offset1:41
	ds_write_b32 v21, v47 offset:168
.LBB84_299:
	s_or_b64 exec, exec, s[0:1]
	v_cmp_lt_i32_e32 vcc, 17, v53
	s_waitcnt lgkmcnt(0)
	s_barrier
	s_and_saveexec_b64 s[0:1], vcc
	s_cbranch_execz .LBB84_301
; %bb.300:
	ds_read_b32 v50, v21 offset:72
	ds_read2_b32 v[56:57], v21 offset0:19 offset1:20
	ds_read2_b32 v[58:59], v21 offset0:21 offset1:22
	v_mul_f32_e32 v34, v52, v34
	ds_read2_b32 v[60:61], v21 offset0:23 offset1:24
	s_waitcnt vmcnt(24) lgkmcnt(3)
	v_fma_f32 v35, -v34, v50, v35
	s_waitcnt vmcnt(22) lgkmcnt(2)
	v_pk_fma_f32 v[30:31], v[34:35], v[56:57], v[30:31] op_sel_hi:[0,1,1] neg_lo:[1,0,0] neg_hi:[1,0,0]
	s_waitcnt vmcnt(20) lgkmcnt(1)
	v_pk_fma_f32 v[24:25], v[34:35], v[58:59], v[24:25] op_sel_hi:[0,1,1] neg_lo:[1,0,0] neg_hi:[1,0,0]
	ds_read2_b32 v[56:57], v21 offset0:25 offset1:26
	ds_read2_b32 v[58:59], v21 offset0:27 offset1:28
	;; [unrolled: 1-line block ×4, first 2 shown]
	s_waitcnt vmcnt(18) lgkmcnt(4)
	v_pk_fma_f32 v[16:17], v[34:35], v[60:61], v[16:17] op_sel_hi:[0,1,1] neg_lo:[1,0,0] neg_hi:[1,0,0]
	s_waitcnt vmcnt(16) lgkmcnt(3)
	v_pk_fma_f32 v[42:43], v[34:35], v[56:57], v[42:43] op_sel_hi:[0,1,1] neg_lo:[1,0,0] neg_hi:[1,0,0]
	;; [unrolled: 2-line block ×5, first 2 shown]
	ds_read2_b32 v[56:57], v21 offset0:33 offset1:34
	ds_read2_b32 v[58:59], v21 offset0:35 offset1:36
	ds_read2_b32 v[60:61], v21 offset0:37 offset1:38
	ds_read2_b32 v[62:63], v21 offset0:39 offset1:40
	ds_read2_b32 v[64:65], v21 offset0:41 offset1:42
	s_waitcnt vmcnt(8) lgkmcnt(4)
	v_pk_fma_f32 v[48:49], v[34:35], v[56:57], v[48:49] op_sel_hi:[0,1,1] neg_lo:[1,0,0] neg_hi:[1,0,0]
	s_waitcnt vmcnt(6) lgkmcnt(3)
	v_pk_fma_f32 v[44:45], v[34:35], v[58:59], v[44:45] op_sel_hi:[0,1,1] neg_lo:[1,0,0] neg_hi:[1,0,0]
	;; [unrolled: 2-line block ×5, first 2 shown]
.LBB84_301:
	s_or_b64 exec, exec, s[0:1]
	v_lshl_add_u32 v50, v53, 2, v21
	s_barrier
	s_waitcnt vmcnt(24)
	ds_write_b32 v50, v35
	s_waitcnt lgkmcnt(0)
	s_barrier
	ds_read_b32 v52, v21 offset:72
	s_cmp_lt_i32 s22, 20
	v_mov_b32_e32 v50, 18
	s_cbranch_scc1 .LBB84_304
; %bb.302:
	v_add_u32_e32 v55, 0x4c, v21
	v_mov_b32_e32 v50, 18
	s_mov_b32 s0, 19
.LBB84_303:                             ; =>This Inner Loop Header: Depth=1
	ds_read_b32 v56, v55
	v_mov_b32_e32 v57, s0
	s_add_i32 s0, s0, 1
	v_add_u32_e32 v55, 4, v55
	s_cmp_lg_u32 s22, s0
	s_waitcnt lgkmcnt(0)
	v_cmp_lt_f32_e64 vcc, |v52|, |v56|
	s_nop 1
	v_cndmask_b32_e32 v52, v52, v56, vcc
	v_cndmask_b32_e32 v50, v50, v57, vcc
	s_cbranch_scc1 .LBB84_303
.LBB84_304:
	s_waitcnt lgkmcnt(0)
	v_cmp_eq_f32_e32 vcc, 0, v52
	s_and_saveexec_b64 s[0:1], vcc
	s_xor_b64 s[0:1], exec, s[0:1]
; %bb.305:
	v_cmp_ne_u32_e32 vcc, 0, v54
	s_nop 1
	v_cndmask_b32_e32 v54, 19, v54, vcc
; %bb.306:
	s_andn2_saveexec_b64 s[0:1], s[0:1]
	s_cbranch_execz .LBB84_308
; %bb.307:
	v_div_scale_f32 v55, s[2:3], v52, v52, 1.0
	v_rcp_f32_e32 v56, v55
	v_div_scale_f32 v57, vcc, 1.0, v52, 1.0
	v_fma_f32 v58, -v55, v56, 1.0
	v_fmac_f32_e32 v56, v58, v56
	v_mul_f32_e32 v58, v57, v56
	v_fma_f32 v59, -v55, v58, v57
	v_fmac_f32_e32 v58, v59, v56
	v_fma_f32 v55, -v55, v58, v57
	v_div_fmas_f32 v55, v55, v56, v58
	v_div_fixup_f32 v52, v55, v52, 1.0
.LBB84_308:
	s_or_b64 exec, exec, s[0:1]
	v_cmp_ne_u32_e32 vcc, v53, v50
	s_and_saveexec_b64 s[0:1], vcc
	s_xor_b64 s[0:1], exec, s[0:1]
	s_cbranch_execz .LBB84_314
; %bb.309:
	v_cmp_eq_u32_e32 vcc, 18, v53
	s_and_saveexec_b64 s[2:3], vcc
	s_cbranch_execz .LBB84_313
; %bb.310:
	v_cmp_ne_u32_e32 vcc, 18, v50
	s_xor_b64 s[18:19], s[16:17], -1
	s_and_b64 s[20:21], s[18:19], vcc
	s_and_saveexec_b64 s[18:19], s[20:21]
	s_cbranch_execz .LBB84_312
; %bb.311:
	v_ashrrev_i32_e32 v51, 31, v50
	v_lshl_add_u64 v[56:57], v[50:51], 2, v[22:23]
	global_load_dword v51, v[56:57], off
	global_load_dword v53, v[22:23], off offset:72
	s_waitcnt vmcnt(1)
	global_store_dword v[22:23], v51, off offset:72
	s_waitcnt vmcnt(1)
	global_store_dword v[56:57], v53, off
.LBB84_312:
	s_or_b64 exec, exec, s[18:19]
	v_mov_b32_e32 v51, v50
	v_mov_b32_e32 v53, v50
.LBB84_313:
	s_or_b64 exec, exec, s[2:3]
.LBB84_314:
	s_andn2_saveexec_b64 s[0:1], s[0:1]
	s_cbranch_execz .LBB84_316
; %bb.315:
	v_mov_b32_e32 v53, 18
	s_waitcnt vmcnt(22)
	ds_write2_b32 v21, v30, v31 offset0:19 offset1:20
	s_waitcnt vmcnt(20)
	ds_write2_b32 v21, v24, v25 offset0:21 offset1:22
	;; [unrolled: 2-line block ×12, first 2 shown]
.LBB84_316:
	s_or_b64 exec, exec, s[0:1]
	v_cmp_lt_i32_e32 vcc, 18, v53
	s_waitcnt lgkmcnt(0)
	s_barrier
	s_and_saveexec_b64 s[0:1], vcc
	s_cbranch_execz .LBB84_318
; %bb.317:
	ds_read2_b32 v[56:57], v21 offset0:19 offset1:20
	ds_read2_b32 v[58:59], v21 offset0:21 offset1:22
	;; [unrolled: 1-line block ×3, first 2 shown]
	v_mul_f32_e32 v50, v52, v35
	ds_read2_b32 v[62:63], v21 offset0:25 offset1:26
	s_waitcnt vmcnt(22) lgkmcnt(3)
	v_pk_fma_f32 v[30:31], v[50:51], v[56:57], v[30:31] op_sel_hi:[0,1,1] neg_lo:[1,0,0] neg_hi:[1,0,0]
	s_waitcnt vmcnt(20) lgkmcnt(2)
	v_pk_fma_f32 v[24:25], v[50:51], v[58:59], v[24:25] op_sel_hi:[0,1,1] neg_lo:[1,0,0] neg_hi:[1,0,0]
	;; [unrolled: 2-line block ×3, first 2 shown]
	ds_read2_b32 v[56:57], v21 offset0:27 offset1:28
	ds_read2_b32 v[58:59], v21 offset0:29 offset1:30
	;; [unrolled: 1-line block ×3, first 2 shown]
	s_waitcnt vmcnt(16) lgkmcnt(3)
	v_pk_fma_f32 v[42:43], v[50:51], v[62:63], v[42:43] op_sel_hi:[0,1,1] neg_lo:[1,0,0] neg_hi:[1,0,0]
	ds_read2_b32 v[62:63], v21 offset0:33 offset1:34
	s_waitcnt vmcnt(14) lgkmcnt(3)
	v_pk_fma_f32 v[36:37], v[50:51], v[56:57], v[36:37] op_sel_hi:[0,1,1] neg_lo:[1,0,0] neg_hi:[1,0,0]
	s_waitcnt vmcnt(12) lgkmcnt(2)
	v_pk_fma_f32 v[32:33], v[50:51], v[58:59], v[32:33] op_sel_hi:[0,1,1] neg_lo:[1,0,0] neg_hi:[1,0,0]
	;; [unrolled: 2-line block ×3, first 2 shown]
	ds_read2_b32 v[56:57], v21 offset0:35 offset1:36
	ds_read2_b32 v[58:59], v21 offset0:37 offset1:38
	;; [unrolled: 1-line block ×4, first 2 shown]
	s_waitcnt vmcnt(8) lgkmcnt(4)
	v_pk_fma_f32 v[48:49], v[50:51], v[62:63], v[48:49] op_sel_hi:[0,1,1] neg_lo:[1,0,0] neg_hi:[1,0,0]
	s_waitcnt vmcnt(6) lgkmcnt(3)
	v_pk_fma_f32 v[44:45], v[50:51], v[56:57], v[44:45] op_sel_hi:[0,1,1] neg_lo:[1,0,0] neg_hi:[1,0,0]
	;; [unrolled: 2-line block ×5, first 2 shown]
	v_mov_b32_e32 v35, v50
.LBB84_318:
	s_or_b64 exec, exec, s[0:1]
	v_lshl_add_u32 v50, v53, 2, v21
	s_barrier
	s_waitcnt vmcnt(23)
	ds_write_b32 v50, v30
	s_waitcnt lgkmcnt(0)
	s_barrier
	ds_read_b32 v52, v21 offset:76
	s_cmp_lt_i32 s22, 21
	v_mov_b32_e32 v50, 19
	s_cbranch_scc1 .LBB84_321
; %bb.319:
	v_add_u32_e32 v55, 0x50, v21
	v_mov_b32_e32 v50, 19
	s_mov_b32 s0, 20
.LBB84_320:                             ; =>This Inner Loop Header: Depth=1
	ds_read_b32 v56, v55
	v_mov_b32_e32 v57, s0
	s_add_i32 s0, s0, 1
	v_add_u32_e32 v55, 4, v55
	s_cmp_lg_u32 s22, s0
	s_waitcnt lgkmcnt(0)
	v_cmp_lt_f32_e64 vcc, |v52|, |v56|
	s_nop 1
	v_cndmask_b32_e32 v52, v52, v56, vcc
	v_cndmask_b32_e32 v50, v50, v57, vcc
	s_cbranch_scc1 .LBB84_320
.LBB84_321:
	s_waitcnt lgkmcnt(0)
	v_cmp_eq_f32_e32 vcc, 0, v52
	s_and_saveexec_b64 s[0:1], vcc
	s_xor_b64 s[0:1], exec, s[0:1]
; %bb.322:
	v_cmp_ne_u32_e32 vcc, 0, v54
	s_nop 1
	v_cndmask_b32_e32 v54, 20, v54, vcc
; %bb.323:
	s_andn2_saveexec_b64 s[0:1], s[0:1]
	s_cbranch_execz .LBB84_325
; %bb.324:
	v_div_scale_f32 v55, s[2:3], v52, v52, 1.0
	v_rcp_f32_e32 v56, v55
	v_div_scale_f32 v57, vcc, 1.0, v52, 1.0
	v_fma_f32 v58, -v55, v56, 1.0
	v_fmac_f32_e32 v56, v58, v56
	v_mul_f32_e32 v58, v57, v56
	v_fma_f32 v59, -v55, v58, v57
	v_fmac_f32_e32 v58, v59, v56
	v_fma_f32 v55, -v55, v58, v57
	v_div_fmas_f32 v55, v55, v56, v58
	v_div_fixup_f32 v52, v55, v52, 1.0
.LBB84_325:
	s_or_b64 exec, exec, s[0:1]
	v_cmp_ne_u32_e32 vcc, v53, v50
	s_and_saveexec_b64 s[0:1], vcc
	s_xor_b64 s[0:1], exec, s[0:1]
	s_cbranch_execz .LBB84_331
; %bb.326:
	v_cmp_eq_u32_e32 vcc, 19, v53
	s_and_saveexec_b64 s[2:3], vcc
	s_cbranch_execz .LBB84_330
; %bb.327:
	v_cmp_ne_u32_e32 vcc, 19, v50
	s_xor_b64 s[18:19], s[16:17], -1
	s_and_b64 s[20:21], s[18:19], vcc
	s_and_saveexec_b64 s[18:19], s[20:21]
	s_cbranch_execz .LBB84_329
; %bb.328:
	v_ashrrev_i32_e32 v51, 31, v50
	v_lshl_add_u64 v[56:57], v[50:51], 2, v[22:23]
	global_load_dword v51, v[56:57], off
	global_load_dword v53, v[22:23], off offset:76
	s_waitcnt vmcnt(1)
	global_store_dword v[22:23], v51, off offset:76
	s_waitcnt vmcnt(1)
	global_store_dword v[56:57], v53, off
.LBB84_329:
	s_or_b64 exec, exec, s[18:19]
	v_mov_b32_e32 v51, v50
	v_mov_b32_e32 v53, v50
.LBB84_330:
	s_or_b64 exec, exec, s[2:3]
.LBB84_331:
	s_andn2_saveexec_b64 s[0:1], s[0:1]
	s_cbranch_execz .LBB84_333
; %bb.332:
	s_waitcnt vmcnt(20)
	v_pk_mov_b32 v[56:57], v[30:31], v[24:25] op_sel:[1,0]
	ds_write2_b32 v21, v56, v57 offset0:20 offset1:21
	s_waitcnt vmcnt(18)
	v_pk_mov_b32 v[56:57], v[24:25], v[16:17] op_sel:[1,0]
	ds_write2_b32 v21, v56, v57 offset0:22 offset1:23
	;; [unrolled: 3-line block ×10, first 2 shown]
	s_waitcnt vmcnt(0)
	v_pk_mov_b32 v[56:57], v[38:39], v[46:47] op_sel:[1,0]
	v_mov_b32_e32 v53, 19
	ds_write2_b32 v21, v56, v57 offset0:40 offset1:41
	ds_write_b32 v21, v47 offset:168
.LBB84_333:
	s_or_b64 exec, exec, s[0:1]
	v_cmp_lt_i32_e32 vcc, 19, v53
	s_waitcnt lgkmcnt(0)
	s_barrier
	s_and_saveexec_b64 s[0:1], vcc
	s_cbranch_execz .LBB84_335
; %bb.334:
	ds_read_b32 v50, v21 offset:80
	ds_read2_b32 v[56:57], v21 offset0:21 offset1:22
	ds_read2_b32 v[58:59], v21 offset0:23 offset1:24
	v_mul_f32_e32 v30, v52, v30
	ds_read2_b32 v[60:61], v21 offset0:25 offset1:26
	s_waitcnt vmcnt(22) lgkmcnt(3)
	v_fma_f32 v31, -v30, v50, v31
	s_waitcnt vmcnt(20) lgkmcnt(2)
	v_pk_fma_f32 v[24:25], v[30:31], v[56:57], v[24:25] op_sel_hi:[0,1,1] neg_lo:[1,0,0] neg_hi:[1,0,0]
	s_waitcnt vmcnt(18) lgkmcnt(1)
	v_pk_fma_f32 v[16:17], v[30:31], v[58:59], v[16:17] op_sel_hi:[0,1,1] neg_lo:[1,0,0] neg_hi:[1,0,0]
	ds_read2_b32 v[56:57], v21 offset0:27 offset1:28
	ds_read2_b32 v[58:59], v21 offset0:29 offset1:30
	;; [unrolled: 1-line block ×3, first 2 shown]
	s_waitcnt vmcnt(16) lgkmcnt(3)
	v_pk_fma_f32 v[42:43], v[30:31], v[60:61], v[42:43] op_sel_hi:[0,1,1] neg_lo:[1,0,0] neg_hi:[1,0,0]
	ds_read2_b32 v[60:61], v21 offset0:33 offset1:34
	s_waitcnt vmcnt(14) lgkmcnt(3)
	v_pk_fma_f32 v[36:37], v[30:31], v[56:57], v[36:37] op_sel_hi:[0,1,1] neg_lo:[1,0,0] neg_hi:[1,0,0]
	s_waitcnt vmcnt(12) lgkmcnt(2)
	v_pk_fma_f32 v[32:33], v[30:31], v[58:59], v[32:33] op_sel_hi:[0,1,1] neg_lo:[1,0,0] neg_hi:[1,0,0]
	;; [unrolled: 2-line block ×3, first 2 shown]
	ds_read2_b32 v[56:57], v21 offset0:35 offset1:36
	ds_read2_b32 v[58:59], v21 offset0:37 offset1:38
	;; [unrolled: 1-line block ×4, first 2 shown]
	s_waitcnt vmcnt(8) lgkmcnt(4)
	v_pk_fma_f32 v[48:49], v[30:31], v[60:61], v[48:49] op_sel_hi:[0,1,1] neg_lo:[1,0,0] neg_hi:[1,0,0]
	s_waitcnt vmcnt(6) lgkmcnt(3)
	v_pk_fma_f32 v[44:45], v[30:31], v[56:57], v[44:45] op_sel_hi:[0,1,1] neg_lo:[1,0,0] neg_hi:[1,0,0]
	;; [unrolled: 2-line block ×5, first 2 shown]
.LBB84_335:
	s_or_b64 exec, exec, s[0:1]
	v_lshl_add_u32 v50, v53, 2, v21
	s_barrier
	s_waitcnt vmcnt(22)
	ds_write_b32 v50, v31
	s_waitcnt lgkmcnt(0)
	s_barrier
	ds_read_b32 v52, v21 offset:80
	s_cmp_lt_i32 s22, 22
	v_mov_b32_e32 v50, 20
	s_cbranch_scc1 .LBB84_338
; %bb.336:
	v_add_u32_e32 v55, 0x54, v21
	v_mov_b32_e32 v50, 20
	s_mov_b32 s0, 21
.LBB84_337:                             ; =>This Inner Loop Header: Depth=1
	ds_read_b32 v56, v55
	v_mov_b32_e32 v57, s0
	s_add_i32 s0, s0, 1
	v_add_u32_e32 v55, 4, v55
	s_cmp_lg_u32 s22, s0
	s_waitcnt lgkmcnt(0)
	v_cmp_lt_f32_e64 vcc, |v52|, |v56|
	s_nop 1
	v_cndmask_b32_e32 v52, v52, v56, vcc
	v_cndmask_b32_e32 v50, v50, v57, vcc
	s_cbranch_scc1 .LBB84_337
.LBB84_338:
	s_waitcnt lgkmcnt(0)
	v_cmp_eq_f32_e32 vcc, 0, v52
	s_and_saveexec_b64 s[0:1], vcc
	s_xor_b64 s[0:1], exec, s[0:1]
; %bb.339:
	v_cmp_ne_u32_e32 vcc, 0, v54
	s_nop 1
	v_cndmask_b32_e32 v54, 21, v54, vcc
; %bb.340:
	s_andn2_saveexec_b64 s[0:1], s[0:1]
	s_cbranch_execz .LBB84_342
; %bb.341:
	v_div_scale_f32 v55, s[2:3], v52, v52, 1.0
	v_rcp_f32_e32 v56, v55
	v_div_scale_f32 v57, vcc, 1.0, v52, 1.0
	v_fma_f32 v58, -v55, v56, 1.0
	v_fmac_f32_e32 v56, v58, v56
	v_mul_f32_e32 v58, v57, v56
	v_fma_f32 v59, -v55, v58, v57
	v_fmac_f32_e32 v58, v59, v56
	v_fma_f32 v55, -v55, v58, v57
	v_div_fmas_f32 v55, v55, v56, v58
	v_div_fixup_f32 v52, v55, v52, 1.0
.LBB84_342:
	s_or_b64 exec, exec, s[0:1]
	v_cmp_ne_u32_e32 vcc, v53, v50
	s_and_saveexec_b64 s[0:1], vcc
	s_xor_b64 s[0:1], exec, s[0:1]
	s_cbranch_execz .LBB84_348
; %bb.343:
	v_cmp_eq_u32_e32 vcc, 20, v53
	s_and_saveexec_b64 s[2:3], vcc
	s_cbranch_execz .LBB84_347
; %bb.344:
	v_cmp_ne_u32_e32 vcc, 20, v50
	s_xor_b64 s[18:19], s[16:17], -1
	s_and_b64 s[20:21], s[18:19], vcc
	s_and_saveexec_b64 s[18:19], s[20:21]
	s_cbranch_execz .LBB84_346
; %bb.345:
	v_ashrrev_i32_e32 v51, 31, v50
	v_lshl_add_u64 v[56:57], v[50:51], 2, v[22:23]
	global_load_dword v51, v[56:57], off
	global_load_dword v53, v[22:23], off offset:80
	s_waitcnt vmcnt(1)
	global_store_dword v[22:23], v51, off offset:80
	s_waitcnt vmcnt(1)
	global_store_dword v[56:57], v53, off
.LBB84_346:
	s_or_b64 exec, exec, s[18:19]
	v_mov_b32_e32 v51, v50
	v_mov_b32_e32 v53, v50
.LBB84_347:
	s_or_b64 exec, exec, s[2:3]
.LBB84_348:
	s_andn2_saveexec_b64 s[0:1], s[0:1]
	s_cbranch_execz .LBB84_350
; %bb.349:
	v_mov_b32_e32 v53, 20
	s_waitcnt vmcnt(20)
	ds_write2_b32 v21, v24, v25 offset0:21 offset1:22
	s_waitcnt vmcnt(18)
	ds_write2_b32 v21, v16, v17 offset0:23 offset1:24
	;; [unrolled: 2-line block ×11, first 2 shown]
.LBB84_350:
	s_or_b64 exec, exec, s[0:1]
	v_cmp_lt_i32_e32 vcc, 20, v53
	s_waitcnt lgkmcnt(0)
	s_barrier
	s_and_saveexec_b64 s[0:1], vcc
	s_cbranch_execz .LBB84_352
; %bb.351:
	ds_read2_b32 v[56:57], v21 offset0:21 offset1:22
	ds_read2_b32 v[58:59], v21 offset0:23 offset1:24
	;; [unrolled: 1-line block ×3, first 2 shown]
	v_mul_f32_e32 v50, v52, v31
	ds_read2_b32 v[62:63], v21 offset0:27 offset1:28
	s_waitcnt vmcnt(20) lgkmcnt(3)
	v_pk_fma_f32 v[24:25], v[50:51], v[56:57], v[24:25] op_sel_hi:[0,1,1] neg_lo:[1,0,0] neg_hi:[1,0,0]
	s_waitcnt vmcnt(18) lgkmcnt(2)
	v_pk_fma_f32 v[16:17], v[50:51], v[58:59], v[16:17] op_sel_hi:[0,1,1] neg_lo:[1,0,0] neg_hi:[1,0,0]
	ds_read2_b32 v[56:57], v21 offset0:29 offset1:30
	ds_read2_b32 v[58:59], v21 offset0:31 offset1:32
	s_waitcnt vmcnt(16) lgkmcnt(3)
	v_pk_fma_f32 v[42:43], v[50:51], v[60:61], v[42:43] op_sel_hi:[0,1,1] neg_lo:[1,0,0] neg_hi:[1,0,0]
	s_waitcnt vmcnt(14) lgkmcnt(2)
	v_pk_fma_f32 v[36:37], v[50:51], v[62:63], v[36:37] op_sel_hi:[0,1,1] neg_lo:[1,0,0] neg_hi:[1,0,0]
	ds_read2_b32 v[60:61], v21 offset0:33 offset1:34
	;; [unrolled: 6-line block ×3, first 2 shown]
	ds_read2_b32 v[58:59], v21 offset0:39 offset1:40
	ds_read2_b32 v[64:65], v21 offset0:41 offset1:42
	s_waitcnt vmcnt(8) lgkmcnt(4)
	v_pk_fma_f32 v[48:49], v[50:51], v[60:61], v[48:49] op_sel_hi:[0,1,1] neg_lo:[1,0,0] neg_hi:[1,0,0]
	s_waitcnt vmcnt(6) lgkmcnt(3)
	v_pk_fma_f32 v[44:45], v[50:51], v[62:63], v[44:45] op_sel_hi:[0,1,1] neg_lo:[1,0,0] neg_hi:[1,0,0]
	;; [unrolled: 2-line block ×5, first 2 shown]
	v_mov_b32_e32 v31, v50
.LBB84_352:
	s_or_b64 exec, exec, s[0:1]
	v_lshl_add_u32 v50, v53, 2, v21
	s_barrier
	s_waitcnt vmcnt(21)
	ds_write_b32 v50, v24
	s_waitcnt lgkmcnt(0)
	s_barrier
	ds_read_b32 v52, v21 offset:84
	s_cmp_lt_i32 s22, 23
	v_mov_b32_e32 v50, 21
	s_cbranch_scc1 .LBB84_355
; %bb.353:
	v_add_u32_e32 v55, 0x58, v21
	v_mov_b32_e32 v50, 21
	s_mov_b32 s0, 22
.LBB84_354:                             ; =>This Inner Loop Header: Depth=1
	ds_read_b32 v56, v55
	v_mov_b32_e32 v57, s0
	s_add_i32 s0, s0, 1
	v_add_u32_e32 v55, 4, v55
	s_cmp_lg_u32 s22, s0
	s_waitcnt lgkmcnt(0)
	v_cmp_lt_f32_e64 vcc, |v52|, |v56|
	s_nop 1
	v_cndmask_b32_e32 v52, v52, v56, vcc
	v_cndmask_b32_e32 v50, v50, v57, vcc
	s_cbranch_scc1 .LBB84_354
.LBB84_355:
	s_waitcnt lgkmcnt(0)
	v_cmp_eq_f32_e32 vcc, 0, v52
	s_and_saveexec_b64 s[0:1], vcc
	s_xor_b64 s[0:1], exec, s[0:1]
; %bb.356:
	v_cmp_ne_u32_e32 vcc, 0, v54
	s_nop 1
	v_cndmask_b32_e32 v54, 22, v54, vcc
; %bb.357:
	s_andn2_saveexec_b64 s[0:1], s[0:1]
	s_cbranch_execz .LBB84_359
; %bb.358:
	v_div_scale_f32 v55, s[2:3], v52, v52, 1.0
	v_rcp_f32_e32 v56, v55
	v_div_scale_f32 v57, vcc, 1.0, v52, 1.0
	v_fma_f32 v58, -v55, v56, 1.0
	v_fmac_f32_e32 v56, v58, v56
	v_mul_f32_e32 v58, v57, v56
	v_fma_f32 v59, -v55, v58, v57
	v_fmac_f32_e32 v58, v59, v56
	v_fma_f32 v55, -v55, v58, v57
	v_div_fmas_f32 v55, v55, v56, v58
	v_div_fixup_f32 v52, v55, v52, 1.0
.LBB84_359:
	s_or_b64 exec, exec, s[0:1]
	v_cmp_ne_u32_e32 vcc, v53, v50
	s_and_saveexec_b64 s[0:1], vcc
	s_xor_b64 s[0:1], exec, s[0:1]
	s_cbranch_execz .LBB84_365
; %bb.360:
	v_cmp_eq_u32_e32 vcc, 21, v53
	s_and_saveexec_b64 s[2:3], vcc
	s_cbranch_execz .LBB84_364
; %bb.361:
	v_cmp_ne_u32_e32 vcc, 21, v50
	s_xor_b64 s[18:19], s[16:17], -1
	s_and_b64 s[20:21], s[18:19], vcc
	s_and_saveexec_b64 s[18:19], s[20:21]
	s_cbranch_execz .LBB84_363
; %bb.362:
	v_ashrrev_i32_e32 v51, 31, v50
	v_lshl_add_u64 v[56:57], v[50:51], 2, v[22:23]
	global_load_dword v51, v[56:57], off
	global_load_dword v53, v[22:23], off offset:84
	s_waitcnt vmcnt(1)
	global_store_dword v[22:23], v51, off offset:84
	s_waitcnt vmcnt(1)
	global_store_dword v[56:57], v53, off
.LBB84_363:
	s_or_b64 exec, exec, s[18:19]
	v_mov_b32_e32 v51, v50
	v_mov_b32_e32 v53, v50
.LBB84_364:
	s_or_b64 exec, exec, s[2:3]
.LBB84_365:
	s_andn2_saveexec_b64 s[0:1], s[0:1]
	s_cbranch_execz .LBB84_367
; %bb.366:
	s_waitcnt vmcnt(18)
	v_pk_mov_b32 v[56:57], v[24:25], v[16:17] op_sel:[1,0]
	ds_write2_b32 v21, v56, v57 offset0:22 offset1:23
	s_waitcnt vmcnt(16)
	v_pk_mov_b32 v[56:57], v[16:17], v[42:43] op_sel:[1,0]
	ds_write2_b32 v21, v56, v57 offset0:24 offset1:25
	;; [unrolled: 3-line block ×9, first 2 shown]
	s_waitcnt vmcnt(0)
	v_pk_mov_b32 v[56:57], v[38:39], v[46:47] op_sel:[1,0]
	v_mov_b32_e32 v53, 21
	ds_write2_b32 v21, v56, v57 offset0:40 offset1:41
	ds_write_b32 v21, v47 offset:168
.LBB84_367:
	s_or_b64 exec, exec, s[0:1]
	v_cmp_lt_i32_e32 vcc, 21, v53
	s_waitcnt lgkmcnt(0)
	s_barrier
	s_and_saveexec_b64 s[0:1], vcc
	s_cbranch_execz .LBB84_369
; %bb.368:
	ds_read_b32 v50, v21 offset:88
	ds_read2_b32 v[56:57], v21 offset0:23 offset1:24
	ds_read2_b32 v[58:59], v21 offset0:25 offset1:26
	v_mul_f32_e32 v24, v52, v24
	ds_read2_b32 v[60:61], v21 offset0:27 offset1:28
	s_waitcnt vmcnt(20) lgkmcnt(3)
	v_fma_f32 v25, -v24, v50, v25
	s_waitcnt vmcnt(18) lgkmcnt(2)
	v_pk_fma_f32 v[16:17], v[24:25], v[56:57], v[16:17] op_sel_hi:[0,1,1] neg_lo:[1,0,0] neg_hi:[1,0,0]
	s_waitcnt vmcnt(16) lgkmcnt(1)
	v_pk_fma_f32 v[42:43], v[24:25], v[58:59], v[42:43] op_sel_hi:[0,1,1] neg_lo:[1,0,0] neg_hi:[1,0,0]
	ds_read2_b32 v[56:57], v21 offset0:29 offset1:30
	ds_read2_b32 v[58:59], v21 offset0:31 offset1:32
	s_waitcnt vmcnt(14) lgkmcnt(2)
	v_pk_fma_f32 v[36:37], v[24:25], v[60:61], v[36:37] op_sel_hi:[0,1,1] neg_lo:[1,0,0] neg_hi:[1,0,0]
	ds_read2_b32 v[60:61], v21 offset0:33 offset1:34
	ds_read2_b32 v[62:63], v21 offset0:35 offset1:36
	s_waitcnt vmcnt(12) lgkmcnt(3)
	v_pk_fma_f32 v[32:33], v[24:25], v[56:57], v[32:33] op_sel_hi:[0,1,1] neg_lo:[1,0,0] neg_hi:[1,0,0]
	s_waitcnt vmcnt(10) lgkmcnt(2)
	v_pk_fma_f32 v[26:27], v[24:25], v[58:59], v[26:27] op_sel_hi:[0,1,1] neg_lo:[1,0,0] neg_hi:[1,0,0]
	ds_read2_b32 v[56:57], v21 offset0:37 offset1:38
	ds_read2_b32 v[58:59], v21 offset0:39 offset1:40
	;; [unrolled: 1-line block ×3, first 2 shown]
	s_waitcnt vmcnt(8) lgkmcnt(4)
	v_pk_fma_f32 v[48:49], v[24:25], v[60:61], v[48:49] op_sel_hi:[0,1,1] neg_lo:[1,0,0] neg_hi:[1,0,0]
	s_waitcnt vmcnt(6) lgkmcnt(3)
	v_pk_fma_f32 v[44:45], v[24:25], v[62:63], v[44:45] op_sel_hi:[0,1,1] neg_lo:[1,0,0] neg_hi:[1,0,0]
	;; [unrolled: 2-line block ×5, first 2 shown]
.LBB84_369:
	s_or_b64 exec, exec, s[0:1]
	v_lshl_add_u32 v50, v53, 2, v21
	s_barrier
	s_waitcnt vmcnt(20)
	ds_write_b32 v50, v25
	s_waitcnt lgkmcnt(0)
	s_barrier
	ds_read_b32 v52, v21 offset:88
	s_cmp_lt_i32 s22, 24
	v_mov_b32_e32 v50, 22
	s_cbranch_scc1 .LBB84_372
; %bb.370:
	v_add_u32_e32 v55, 0x5c, v21
	v_mov_b32_e32 v50, 22
	s_mov_b32 s0, 23
.LBB84_371:                             ; =>This Inner Loop Header: Depth=1
	ds_read_b32 v56, v55
	v_mov_b32_e32 v57, s0
	s_add_i32 s0, s0, 1
	v_add_u32_e32 v55, 4, v55
	s_cmp_lg_u32 s22, s0
	s_waitcnt lgkmcnt(0)
	v_cmp_lt_f32_e64 vcc, |v52|, |v56|
	s_nop 1
	v_cndmask_b32_e32 v52, v52, v56, vcc
	v_cndmask_b32_e32 v50, v50, v57, vcc
	s_cbranch_scc1 .LBB84_371
.LBB84_372:
	s_waitcnt lgkmcnt(0)
	v_cmp_eq_f32_e32 vcc, 0, v52
	s_and_saveexec_b64 s[0:1], vcc
	s_xor_b64 s[0:1], exec, s[0:1]
; %bb.373:
	v_cmp_ne_u32_e32 vcc, 0, v54
	s_nop 1
	v_cndmask_b32_e32 v54, 23, v54, vcc
; %bb.374:
	s_andn2_saveexec_b64 s[0:1], s[0:1]
	s_cbranch_execz .LBB84_376
; %bb.375:
	v_div_scale_f32 v55, s[2:3], v52, v52, 1.0
	v_rcp_f32_e32 v56, v55
	v_div_scale_f32 v57, vcc, 1.0, v52, 1.0
	v_fma_f32 v58, -v55, v56, 1.0
	v_fmac_f32_e32 v56, v58, v56
	v_mul_f32_e32 v58, v57, v56
	v_fma_f32 v59, -v55, v58, v57
	v_fmac_f32_e32 v58, v59, v56
	v_fma_f32 v55, -v55, v58, v57
	v_div_fmas_f32 v55, v55, v56, v58
	v_div_fixup_f32 v52, v55, v52, 1.0
.LBB84_376:
	s_or_b64 exec, exec, s[0:1]
	v_cmp_ne_u32_e32 vcc, v53, v50
	s_and_saveexec_b64 s[0:1], vcc
	s_xor_b64 s[0:1], exec, s[0:1]
	s_cbranch_execz .LBB84_382
; %bb.377:
	v_cmp_eq_u32_e32 vcc, 22, v53
	s_and_saveexec_b64 s[2:3], vcc
	s_cbranch_execz .LBB84_381
; %bb.378:
	v_cmp_ne_u32_e32 vcc, 22, v50
	s_xor_b64 s[18:19], s[16:17], -1
	s_and_b64 s[20:21], s[18:19], vcc
	s_and_saveexec_b64 s[18:19], s[20:21]
	s_cbranch_execz .LBB84_380
; %bb.379:
	v_ashrrev_i32_e32 v51, 31, v50
	v_lshl_add_u64 v[56:57], v[50:51], 2, v[22:23]
	global_load_dword v51, v[56:57], off
	global_load_dword v53, v[22:23], off offset:88
	s_waitcnt vmcnt(1)
	global_store_dword v[22:23], v51, off offset:88
	s_waitcnt vmcnt(1)
	global_store_dword v[56:57], v53, off
.LBB84_380:
	s_or_b64 exec, exec, s[18:19]
	v_mov_b32_e32 v51, v50
	v_mov_b32_e32 v53, v50
.LBB84_381:
	s_or_b64 exec, exec, s[2:3]
.LBB84_382:
	s_andn2_saveexec_b64 s[0:1], s[0:1]
	s_cbranch_execz .LBB84_384
; %bb.383:
	v_mov_b32_e32 v53, 22
	s_waitcnt vmcnt(18)
	ds_write2_b32 v21, v16, v17 offset0:23 offset1:24
	s_waitcnt vmcnt(16)
	ds_write2_b32 v21, v42, v43 offset0:25 offset1:26
	;; [unrolled: 2-line block ×10, first 2 shown]
.LBB84_384:
	s_or_b64 exec, exec, s[0:1]
	v_cmp_lt_i32_e32 vcc, 22, v53
	s_waitcnt lgkmcnt(0)
	s_barrier
	s_and_saveexec_b64 s[0:1], vcc
	s_cbranch_execz .LBB84_386
; %bb.385:
	ds_read2_b32 v[56:57], v21 offset0:23 offset1:24
	ds_read2_b32 v[58:59], v21 offset0:25 offset1:26
	;; [unrolled: 1-line block ×3, first 2 shown]
	v_mul_f32_e32 v50, v52, v25
	ds_read2_b32 v[62:63], v21 offset0:29 offset1:30
	s_waitcnt vmcnt(18) lgkmcnt(3)
	v_pk_fma_f32 v[16:17], v[50:51], v[56:57], v[16:17] op_sel_hi:[0,1,1] neg_lo:[1,0,0] neg_hi:[1,0,0]
	ds_read2_b32 v[56:57], v21 offset0:31 offset1:32
	s_waitcnt vmcnt(16) lgkmcnt(3)
	v_pk_fma_f32 v[42:43], v[50:51], v[58:59], v[42:43] op_sel_hi:[0,1,1] neg_lo:[1,0,0] neg_hi:[1,0,0]
	s_waitcnt vmcnt(14) lgkmcnt(2)
	v_pk_fma_f32 v[36:37], v[50:51], v[60:61], v[36:37] op_sel_hi:[0,1,1] neg_lo:[1,0,0] neg_hi:[1,0,0]
	;; [unrolled: 2-line block ×3, first 2 shown]
	ds_read2_b32 v[58:59], v21 offset0:33 offset1:34
	ds_read2_b32 v[60:61], v21 offset0:35 offset1:36
	;; [unrolled: 1-line block ×3, first 2 shown]
	s_waitcnt vmcnt(10) lgkmcnt(3)
	v_pk_fma_f32 v[26:27], v[50:51], v[56:57], v[26:27] op_sel_hi:[0,1,1] neg_lo:[1,0,0] neg_hi:[1,0,0]
	ds_read2_b32 v[56:57], v21 offset0:39 offset1:40
	ds_read2_b32 v[64:65], v21 offset0:41 offset1:42
	s_waitcnt vmcnt(8) lgkmcnt(4)
	v_pk_fma_f32 v[48:49], v[50:51], v[58:59], v[48:49] op_sel_hi:[0,1,1] neg_lo:[1,0,0] neg_hi:[1,0,0]
	s_waitcnt vmcnt(6) lgkmcnt(3)
	v_pk_fma_f32 v[44:45], v[50:51], v[60:61], v[44:45] op_sel_hi:[0,1,1] neg_lo:[1,0,0] neg_hi:[1,0,0]
	;; [unrolled: 2-line block ×5, first 2 shown]
	v_mov_b32_e32 v25, v50
.LBB84_386:
	s_or_b64 exec, exec, s[0:1]
	v_lshl_add_u32 v50, v53, 2, v21
	s_barrier
	s_waitcnt vmcnt(19)
	ds_write_b32 v50, v16
	s_waitcnt lgkmcnt(0)
	s_barrier
	ds_read_b32 v52, v21 offset:92
	s_cmp_lt_i32 s22, 25
	v_mov_b32_e32 v50, 23
	s_cbranch_scc1 .LBB84_389
; %bb.387:
	v_add_u32_e32 v55, 0x60, v21
	v_mov_b32_e32 v50, 23
	s_mov_b32 s0, 24
.LBB84_388:                             ; =>This Inner Loop Header: Depth=1
	ds_read_b32 v56, v55
	v_mov_b32_e32 v57, s0
	s_add_i32 s0, s0, 1
	v_add_u32_e32 v55, 4, v55
	s_cmp_lg_u32 s22, s0
	s_waitcnt lgkmcnt(0)
	v_cmp_lt_f32_e64 vcc, |v52|, |v56|
	s_nop 1
	v_cndmask_b32_e32 v52, v52, v56, vcc
	v_cndmask_b32_e32 v50, v50, v57, vcc
	s_cbranch_scc1 .LBB84_388
.LBB84_389:
	s_waitcnt lgkmcnt(0)
	v_cmp_eq_f32_e32 vcc, 0, v52
	s_and_saveexec_b64 s[0:1], vcc
	s_xor_b64 s[0:1], exec, s[0:1]
; %bb.390:
	v_cmp_ne_u32_e32 vcc, 0, v54
	s_nop 1
	v_cndmask_b32_e32 v54, 24, v54, vcc
; %bb.391:
	s_andn2_saveexec_b64 s[0:1], s[0:1]
	s_cbranch_execz .LBB84_393
; %bb.392:
	v_div_scale_f32 v55, s[2:3], v52, v52, 1.0
	v_rcp_f32_e32 v56, v55
	v_div_scale_f32 v57, vcc, 1.0, v52, 1.0
	v_fma_f32 v58, -v55, v56, 1.0
	v_fmac_f32_e32 v56, v58, v56
	v_mul_f32_e32 v58, v57, v56
	v_fma_f32 v59, -v55, v58, v57
	v_fmac_f32_e32 v58, v59, v56
	v_fma_f32 v55, -v55, v58, v57
	v_div_fmas_f32 v55, v55, v56, v58
	v_div_fixup_f32 v52, v55, v52, 1.0
.LBB84_393:
	s_or_b64 exec, exec, s[0:1]
	v_cmp_ne_u32_e32 vcc, v53, v50
	s_and_saveexec_b64 s[0:1], vcc
	s_xor_b64 s[0:1], exec, s[0:1]
	s_cbranch_execz .LBB84_399
; %bb.394:
	v_cmp_eq_u32_e32 vcc, 23, v53
	s_and_saveexec_b64 s[2:3], vcc
	s_cbranch_execz .LBB84_398
; %bb.395:
	v_cmp_ne_u32_e32 vcc, 23, v50
	s_xor_b64 s[18:19], s[16:17], -1
	s_and_b64 s[20:21], s[18:19], vcc
	s_and_saveexec_b64 s[18:19], s[20:21]
	s_cbranch_execz .LBB84_397
; %bb.396:
	v_ashrrev_i32_e32 v51, 31, v50
	v_lshl_add_u64 v[56:57], v[50:51], 2, v[22:23]
	global_load_dword v51, v[56:57], off
	global_load_dword v53, v[22:23], off offset:92
	s_waitcnt vmcnt(1)
	global_store_dword v[22:23], v51, off offset:92
	s_waitcnt vmcnt(1)
	global_store_dword v[56:57], v53, off
.LBB84_397:
	s_or_b64 exec, exec, s[18:19]
	v_mov_b32_e32 v51, v50
	v_mov_b32_e32 v53, v50
.LBB84_398:
	s_or_b64 exec, exec, s[2:3]
.LBB84_399:
	s_andn2_saveexec_b64 s[0:1], s[0:1]
	s_cbranch_execz .LBB84_401
; %bb.400:
	s_waitcnt vmcnt(16)
	v_pk_mov_b32 v[56:57], v[16:17], v[42:43] op_sel:[1,0]
	ds_write2_b32 v21, v56, v57 offset0:24 offset1:25
	s_waitcnt vmcnt(14)
	v_pk_mov_b32 v[56:57], v[42:43], v[36:37] op_sel:[1,0]
	ds_write2_b32 v21, v56, v57 offset0:26 offset1:27
	;; [unrolled: 3-line block ×8, first 2 shown]
	s_waitcnt vmcnt(0)
	v_pk_mov_b32 v[56:57], v[38:39], v[46:47] op_sel:[1,0]
	v_mov_b32_e32 v53, 23
	ds_write2_b32 v21, v56, v57 offset0:40 offset1:41
	ds_write_b32 v21, v47 offset:168
.LBB84_401:
	s_or_b64 exec, exec, s[0:1]
	v_cmp_lt_i32_e32 vcc, 23, v53
	s_waitcnt lgkmcnt(0)
	s_barrier
	s_and_saveexec_b64 s[0:1], vcc
	s_cbranch_execz .LBB84_403
; %bb.402:
	ds_read_b32 v50, v21 offset:96
	ds_read2_b32 v[56:57], v21 offset0:25 offset1:26
	ds_read2_b32 v[58:59], v21 offset0:27 offset1:28
	v_mul_f32_e32 v16, v52, v16
	ds_read2_b32 v[60:61], v21 offset0:29 offset1:30
	s_waitcnt vmcnt(18) lgkmcnt(3)
	v_fma_f32 v17, -v16, v50, v17
	s_waitcnt vmcnt(16) lgkmcnt(2)
	v_pk_fma_f32 v[42:43], v[16:17], v[56:57], v[42:43] op_sel_hi:[0,1,1] neg_lo:[1,0,0] neg_hi:[1,0,0]
	ds_read2_b32 v[56:57], v21 offset0:31 offset1:32
	s_waitcnt vmcnt(14) lgkmcnt(2)
	v_pk_fma_f32 v[36:37], v[16:17], v[58:59], v[36:37] op_sel_hi:[0,1,1] neg_lo:[1,0,0] neg_hi:[1,0,0]
	s_waitcnt vmcnt(12) lgkmcnt(1)
	v_pk_fma_f32 v[32:33], v[16:17], v[60:61], v[32:33] op_sel_hi:[0,1,1] neg_lo:[1,0,0] neg_hi:[1,0,0]
	ds_read2_b32 v[58:59], v21 offset0:33 offset1:34
	ds_read2_b32 v[60:61], v21 offset0:35 offset1:36
	;; [unrolled: 1-line block ×3, first 2 shown]
	s_waitcnt vmcnt(10) lgkmcnt(3)
	v_pk_fma_f32 v[26:27], v[16:17], v[56:57], v[26:27] op_sel_hi:[0,1,1] neg_lo:[1,0,0] neg_hi:[1,0,0]
	ds_read2_b32 v[56:57], v21 offset0:39 offset1:40
	ds_read2_b32 v[64:65], v21 offset0:41 offset1:42
	s_waitcnt vmcnt(8) lgkmcnt(4)
	v_pk_fma_f32 v[48:49], v[16:17], v[58:59], v[48:49] op_sel_hi:[0,1,1] neg_lo:[1,0,0] neg_hi:[1,0,0]
	s_waitcnt vmcnt(6) lgkmcnt(3)
	v_pk_fma_f32 v[44:45], v[16:17], v[60:61], v[44:45] op_sel_hi:[0,1,1] neg_lo:[1,0,0] neg_hi:[1,0,0]
	;; [unrolled: 2-line block ×5, first 2 shown]
.LBB84_403:
	s_or_b64 exec, exec, s[0:1]
	v_lshl_add_u32 v50, v53, 2, v21
	s_barrier
	s_waitcnt vmcnt(18)
	ds_write_b32 v50, v17
	s_waitcnt lgkmcnt(0)
	s_barrier
	ds_read_b32 v52, v21 offset:96
	s_cmp_lt_i32 s22, 26
	v_mov_b32_e32 v50, 24
	s_cbranch_scc1 .LBB84_406
; %bb.404:
	v_add_u32_e32 v55, 0x64, v21
	v_mov_b32_e32 v50, 24
	s_mov_b32 s0, 25
.LBB84_405:                             ; =>This Inner Loop Header: Depth=1
	ds_read_b32 v56, v55
	v_mov_b32_e32 v57, s0
	s_add_i32 s0, s0, 1
	v_add_u32_e32 v55, 4, v55
	s_cmp_lg_u32 s22, s0
	s_waitcnt lgkmcnt(0)
	v_cmp_lt_f32_e64 vcc, |v52|, |v56|
	s_nop 1
	v_cndmask_b32_e32 v52, v52, v56, vcc
	v_cndmask_b32_e32 v50, v50, v57, vcc
	s_cbranch_scc1 .LBB84_405
.LBB84_406:
	s_waitcnt lgkmcnt(0)
	v_cmp_eq_f32_e32 vcc, 0, v52
	s_and_saveexec_b64 s[0:1], vcc
	s_xor_b64 s[0:1], exec, s[0:1]
; %bb.407:
	v_cmp_ne_u32_e32 vcc, 0, v54
	s_nop 1
	v_cndmask_b32_e32 v54, 25, v54, vcc
; %bb.408:
	s_andn2_saveexec_b64 s[0:1], s[0:1]
	s_cbranch_execz .LBB84_410
; %bb.409:
	v_div_scale_f32 v55, s[2:3], v52, v52, 1.0
	v_rcp_f32_e32 v56, v55
	v_div_scale_f32 v57, vcc, 1.0, v52, 1.0
	v_fma_f32 v58, -v55, v56, 1.0
	v_fmac_f32_e32 v56, v58, v56
	v_mul_f32_e32 v58, v57, v56
	v_fma_f32 v59, -v55, v58, v57
	v_fmac_f32_e32 v58, v59, v56
	v_fma_f32 v55, -v55, v58, v57
	v_div_fmas_f32 v55, v55, v56, v58
	v_div_fixup_f32 v52, v55, v52, 1.0
.LBB84_410:
	s_or_b64 exec, exec, s[0:1]
	v_cmp_ne_u32_e32 vcc, v53, v50
	s_and_saveexec_b64 s[0:1], vcc
	s_xor_b64 s[0:1], exec, s[0:1]
	s_cbranch_execz .LBB84_416
; %bb.411:
	v_cmp_eq_u32_e32 vcc, 24, v53
	s_and_saveexec_b64 s[2:3], vcc
	s_cbranch_execz .LBB84_415
; %bb.412:
	v_cmp_ne_u32_e32 vcc, 24, v50
	s_xor_b64 s[18:19], s[16:17], -1
	s_and_b64 s[20:21], s[18:19], vcc
	s_and_saveexec_b64 s[18:19], s[20:21]
	s_cbranch_execz .LBB84_414
; %bb.413:
	v_ashrrev_i32_e32 v51, 31, v50
	v_lshl_add_u64 v[56:57], v[50:51], 2, v[22:23]
	global_load_dword v51, v[56:57], off
	global_load_dword v53, v[22:23], off offset:96
	s_waitcnt vmcnt(1)
	global_store_dword v[22:23], v51, off offset:96
	s_waitcnt vmcnt(1)
	global_store_dword v[56:57], v53, off
.LBB84_414:
	s_or_b64 exec, exec, s[18:19]
	v_mov_b32_e32 v51, v50
	v_mov_b32_e32 v53, v50
.LBB84_415:
	s_or_b64 exec, exec, s[2:3]
.LBB84_416:
	s_andn2_saveexec_b64 s[0:1], s[0:1]
	s_cbranch_execz .LBB84_418
; %bb.417:
	v_mov_b32_e32 v53, 24
	s_waitcnt vmcnt(16)
	ds_write2_b32 v21, v42, v43 offset0:25 offset1:26
	s_waitcnt vmcnt(14)
	ds_write2_b32 v21, v36, v37 offset0:27 offset1:28
	;; [unrolled: 2-line block ×9, first 2 shown]
.LBB84_418:
	s_or_b64 exec, exec, s[0:1]
	v_cmp_lt_i32_e32 vcc, 24, v53
	s_waitcnt lgkmcnt(0)
	s_barrier
	s_and_saveexec_b64 s[0:1], vcc
	s_cbranch_execz .LBB84_420
; %bb.419:
	ds_read2_b32 v[56:57], v21 offset0:25 offset1:26
	ds_read2_b32 v[58:59], v21 offset0:27 offset1:28
	;; [unrolled: 1-line block ×4, first 2 shown]
	v_mul_f32_e32 v50, v52, v17
	s_waitcnt vmcnt(16) lgkmcnt(3)
	v_pk_fma_f32 v[42:43], v[50:51], v[56:57], v[42:43] op_sel_hi:[0,1,1] neg_lo:[1,0,0] neg_hi:[1,0,0]
	s_waitcnt vmcnt(14) lgkmcnt(2)
	v_pk_fma_f32 v[36:37], v[50:51], v[58:59], v[36:37] op_sel_hi:[0,1,1] neg_lo:[1,0,0] neg_hi:[1,0,0]
	;; [unrolled: 2-line block ×4, first 2 shown]
	ds_read2_b32 v[56:57], v21 offset0:33 offset1:34
	ds_read2_b32 v[58:59], v21 offset0:35 offset1:36
	;; [unrolled: 1-line block ×5, first 2 shown]
	s_waitcnt vmcnt(8) lgkmcnt(4)
	v_pk_fma_f32 v[48:49], v[50:51], v[56:57], v[48:49] op_sel_hi:[0,1,1] neg_lo:[1,0,0] neg_hi:[1,0,0]
	s_waitcnt vmcnt(6) lgkmcnt(3)
	v_pk_fma_f32 v[44:45], v[50:51], v[58:59], v[44:45] op_sel_hi:[0,1,1] neg_lo:[1,0,0] neg_hi:[1,0,0]
	;; [unrolled: 2-line block ×5, first 2 shown]
	v_mov_b32_e32 v17, v50
.LBB84_420:
	s_or_b64 exec, exec, s[0:1]
	v_lshl_add_u32 v50, v53, 2, v21
	s_barrier
	s_waitcnt vmcnt(17)
	ds_write_b32 v50, v42
	s_waitcnt lgkmcnt(0)
	s_barrier
	ds_read_b32 v52, v21 offset:100
	s_cmp_lt_i32 s22, 27
	v_mov_b32_e32 v50, 25
	s_cbranch_scc1 .LBB84_423
; %bb.421:
	v_add_u32_e32 v55, 0x68, v21
	v_mov_b32_e32 v50, 25
	s_mov_b32 s0, 26
.LBB84_422:                             ; =>This Inner Loop Header: Depth=1
	ds_read_b32 v56, v55
	v_mov_b32_e32 v57, s0
	s_add_i32 s0, s0, 1
	v_add_u32_e32 v55, 4, v55
	s_cmp_lg_u32 s22, s0
	s_waitcnt lgkmcnt(0)
	v_cmp_lt_f32_e64 vcc, |v52|, |v56|
	s_nop 1
	v_cndmask_b32_e32 v52, v52, v56, vcc
	v_cndmask_b32_e32 v50, v50, v57, vcc
	s_cbranch_scc1 .LBB84_422
.LBB84_423:
	s_waitcnt lgkmcnt(0)
	v_cmp_eq_f32_e32 vcc, 0, v52
	s_and_saveexec_b64 s[0:1], vcc
	s_xor_b64 s[0:1], exec, s[0:1]
; %bb.424:
	v_cmp_ne_u32_e32 vcc, 0, v54
	s_nop 1
	v_cndmask_b32_e32 v54, 26, v54, vcc
; %bb.425:
	s_andn2_saveexec_b64 s[0:1], s[0:1]
	s_cbranch_execz .LBB84_427
; %bb.426:
	v_div_scale_f32 v55, s[2:3], v52, v52, 1.0
	v_rcp_f32_e32 v56, v55
	v_div_scale_f32 v57, vcc, 1.0, v52, 1.0
	v_fma_f32 v58, -v55, v56, 1.0
	v_fmac_f32_e32 v56, v58, v56
	v_mul_f32_e32 v58, v57, v56
	v_fma_f32 v59, -v55, v58, v57
	v_fmac_f32_e32 v58, v59, v56
	v_fma_f32 v55, -v55, v58, v57
	v_div_fmas_f32 v55, v55, v56, v58
	v_div_fixup_f32 v52, v55, v52, 1.0
.LBB84_427:
	s_or_b64 exec, exec, s[0:1]
	v_cmp_ne_u32_e32 vcc, v53, v50
	s_and_saveexec_b64 s[0:1], vcc
	s_xor_b64 s[0:1], exec, s[0:1]
	s_cbranch_execz .LBB84_433
; %bb.428:
	v_cmp_eq_u32_e32 vcc, 25, v53
	s_and_saveexec_b64 s[2:3], vcc
	s_cbranch_execz .LBB84_432
; %bb.429:
	v_cmp_ne_u32_e32 vcc, 25, v50
	s_xor_b64 s[18:19], s[16:17], -1
	s_and_b64 s[20:21], s[18:19], vcc
	s_and_saveexec_b64 s[18:19], s[20:21]
	s_cbranch_execz .LBB84_431
; %bb.430:
	v_ashrrev_i32_e32 v51, 31, v50
	v_lshl_add_u64 v[56:57], v[50:51], 2, v[22:23]
	global_load_dword v51, v[56:57], off
	global_load_dword v53, v[22:23], off offset:100
	s_waitcnt vmcnt(1)
	global_store_dword v[22:23], v51, off offset:100
	s_waitcnt vmcnt(1)
	global_store_dword v[56:57], v53, off
.LBB84_431:
	s_or_b64 exec, exec, s[18:19]
	v_mov_b32_e32 v51, v50
	v_mov_b32_e32 v53, v50
.LBB84_432:
	s_or_b64 exec, exec, s[2:3]
.LBB84_433:
	s_andn2_saveexec_b64 s[0:1], s[0:1]
	s_cbranch_execz .LBB84_435
; %bb.434:
	s_waitcnt vmcnt(14)
	v_pk_mov_b32 v[56:57], v[42:43], v[36:37] op_sel:[1,0]
	ds_write2_b32 v21, v56, v57 offset0:26 offset1:27
	s_waitcnt vmcnt(12)
	v_pk_mov_b32 v[56:57], v[36:37], v[32:33] op_sel:[1,0]
	ds_write2_b32 v21, v56, v57 offset0:28 offset1:29
	;; [unrolled: 3-line block ×7, first 2 shown]
	s_waitcnt vmcnt(0)
	v_pk_mov_b32 v[56:57], v[38:39], v[46:47] op_sel:[1,0]
	v_mov_b32_e32 v53, 25
	ds_write2_b32 v21, v56, v57 offset0:40 offset1:41
	ds_write_b32 v21, v47 offset:168
.LBB84_435:
	s_or_b64 exec, exec, s[0:1]
	v_cmp_lt_i32_e32 vcc, 25, v53
	s_waitcnt lgkmcnt(0)
	s_barrier
	s_and_saveexec_b64 s[0:1], vcc
	s_cbranch_execz .LBB84_437
; %bb.436:
	ds_read_b32 v50, v21 offset:104
	ds_read2_b32 v[56:57], v21 offset0:27 offset1:28
	ds_read2_b32 v[58:59], v21 offset0:29 offset1:30
	;; [unrolled: 1-line block ×3, first 2 shown]
	v_mul_f32_e32 v42, v52, v42
	s_waitcnt vmcnt(16) lgkmcnt(3)
	v_fma_f32 v43, -v42, v50, v43
	s_waitcnt vmcnt(14) lgkmcnt(2)
	v_pk_fma_f32 v[36:37], v[42:43], v[56:57], v[36:37] op_sel_hi:[0,1,1] neg_lo:[1,0,0] neg_hi:[1,0,0]
	s_waitcnt vmcnt(12) lgkmcnt(1)
	v_pk_fma_f32 v[32:33], v[42:43], v[58:59], v[32:33] op_sel_hi:[0,1,1] neg_lo:[1,0,0] neg_hi:[1,0,0]
	;; [unrolled: 2-line block ×3, first 2 shown]
	ds_read2_b32 v[56:57], v21 offset0:33 offset1:34
	ds_read2_b32 v[58:59], v21 offset0:35 offset1:36
	;; [unrolled: 1-line block ×5, first 2 shown]
	s_waitcnt vmcnt(8) lgkmcnt(4)
	v_pk_fma_f32 v[48:49], v[42:43], v[56:57], v[48:49] op_sel_hi:[0,1,1] neg_lo:[1,0,0] neg_hi:[1,0,0]
	s_waitcnt vmcnt(6) lgkmcnt(3)
	v_pk_fma_f32 v[44:45], v[42:43], v[58:59], v[44:45] op_sel_hi:[0,1,1] neg_lo:[1,0,0] neg_hi:[1,0,0]
	;; [unrolled: 2-line block ×5, first 2 shown]
.LBB84_437:
	s_or_b64 exec, exec, s[0:1]
	v_lshl_add_u32 v50, v53, 2, v21
	s_barrier
	s_waitcnt vmcnt(16)
	ds_write_b32 v50, v43
	s_waitcnt lgkmcnt(0)
	s_barrier
	ds_read_b32 v52, v21 offset:104
	s_cmp_lt_i32 s22, 28
	v_mov_b32_e32 v50, 26
	s_cbranch_scc1 .LBB84_440
; %bb.438:
	v_add_u32_e32 v55, 0x6c, v21
	v_mov_b32_e32 v50, 26
	s_mov_b32 s0, 27
.LBB84_439:                             ; =>This Inner Loop Header: Depth=1
	ds_read_b32 v56, v55
	v_mov_b32_e32 v57, s0
	s_add_i32 s0, s0, 1
	v_add_u32_e32 v55, 4, v55
	s_cmp_lg_u32 s22, s0
	s_waitcnt lgkmcnt(0)
	v_cmp_lt_f32_e64 vcc, |v52|, |v56|
	s_nop 1
	v_cndmask_b32_e32 v52, v52, v56, vcc
	v_cndmask_b32_e32 v50, v50, v57, vcc
	s_cbranch_scc1 .LBB84_439
.LBB84_440:
	s_waitcnt lgkmcnt(0)
	v_cmp_eq_f32_e32 vcc, 0, v52
	s_and_saveexec_b64 s[0:1], vcc
	s_xor_b64 s[0:1], exec, s[0:1]
; %bb.441:
	v_cmp_ne_u32_e32 vcc, 0, v54
	s_nop 1
	v_cndmask_b32_e32 v54, 27, v54, vcc
; %bb.442:
	s_andn2_saveexec_b64 s[0:1], s[0:1]
	s_cbranch_execz .LBB84_444
; %bb.443:
	v_div_scale_f32 v55, s[2:3], v52, v52, 1.0
	v_rcp_f32_e32 v56, v55
	v_div_scale_f32 v57, vcc, 1.0, v52, 1.0
	v_fma_f32 v58, -v55, v56, 1.0
	v_fmac_f32_e32 v56, v58, v56
	v_mul_f32_e32 v58, v57, v56
	v_fma_f32 v59, -v55, v58, v57
	v_fmac_f32_e32 v58, v59, v56
	v_fma_f32 v55, -v55, v58, v57
	v_div_fmas_f32 v55, v55, v56, v58
	v_div_fixup_f32 v52, v55, v52, 1.0
.LBB84_444:
	s_or_b64 exec, exec, s[0:1]
	v_cmp_ne_u32_e32 vcc, v53, v50
	s_and_saveexec_b64 s[0:1], vcc
	s_xor_b64 s[0:1], exec, s[0:1]
	s_cbranch_execz .LBB84_450
; %bb.445:
	v_cmp_eq_u32_e32 vcc, 26, v53
	s_and_saveexec_b64 s[2:3], vcc
	s_cbranch_execz .LBB84_449
; %bb.446:
	v_cmp_ne_u32_e32 vcc, 26, v50
	s_xor_b64 s[18:19], s[16:17], -1
	s_and_b64 s[20:21], s[18:19], vcc
	s_and_saveexec_b64 s[18:19], s[20:21]
	s_cbranch_execz .LBB84_448
; %bb.447:
	v_ashrrev_i32_e32 v51, 31, v50
	v_lshl_add_u64 v[56:57], v[50:51], 2, v[22:23]
	global_load_dword v51, v[56:57], off
	global_load_dword v53, v[22:23], off offset:104
	s_waitcnt vmcnt(1)
	global_store_dword v[22:23], v51, off offset:104
	s_waitcnt vmcnt(1)
	global_store_dword v[56:57], v53, off
.LBB84_448:
	s_or_b64 exec, exec, s[18:19]
	v_mov_b32_e32 v51, v50
	v_mov_b32_e32 v53, v50
.LBB84_449:
	s_or_b64 exec, exec, s[2:3]
.LBB84_450:
	s_andn2_saveexec_b64 s[0:1], s[0:1]
	s_cbranch_execz .LBB84_452
; %bb.451:
	v_mov_b32_e32 v53, 26
	s_waitcnt vmcnt(14)
	ds_write2_b32 v21, v36, v37 offset0:27 offset1:28
	s_waitcnt vmcnt(12)
	ds_write2_b32 v21, v32, v33 offset0:29 offset1:30
	;; [unrolled: 2-line block ×8, first 2 shown]
.LBB84_452:
	s_or_b64 exec, exec, s[0:1]
	v_cmp_lt_i32_e32 vcc, 26, v53
	s_waitcnt lgkmcnt(0)
	s_barrier
	s_and_saveexec_b64 s[0:1], vcc
	s_cbranch_execz .LBB84_454
; %bb.453:
	ds_read2_b32 v[56:57], v21 offset0:27 offset1:28
	ds_read2_b32 v[58:59], v21 offset0:29 offset1:30
	;; [unrolled: 1-line block ×3, first 2 shown]
	v_mul_f32_e32 v50, v52, v43
	ds_read2_b32 v[62:63], v21 offset0:33 offset1:34
	s_waitcnt vmcnt(14) lgkmcnt(3)
	v_pk_fma_f32 v[36:37], v[50:51], v[56:57], v[36:37] op_sel_hi:[0,1,1] neg_lo:[1,0,0] neg_hi:[1,0,0]
	s_waitcnt vmcnt(12) lgkmcnt(2)
	v_pk_fma_f32 v[32:33], v[50:51], v[58:59], v[32:33] op_sel_hi:[0,1,1] neg_lo:[1,0,0] neg_hi:[1,0,0]
	;; [unrolled: 2-line block ×3, first 2 shown]
	ds_read2_b32 v[56:57], v21 offset0:35 offset1:36
	ds_read2_b32 v[58:59], v21 offset0:37 offset1:38
	;; [unrolled: 1-line block ×4, first 2 shown]
	s_waitcnt vmcnt(8) lgkmcnt(4)
	v_pk_fma_f32 v[48:49], v[50:51], v[62:63], v[48:49] op_sel_hi:[0,1,1] neg_lo:[1,0,0] neg_hi:[1,0,0]
	s_waitcnt vmcnt(6) lgkmcnt(3)
	v_pk_fma_f32 v[44:45], v[50:51], v[56:57], v[44:45] op_sel_hi:[0,1,1] neg_lo:[1,0,0] neg_hi:[1,0,0]
	;; [unrolled: 2-line block ×5, first 2 shown]
	v_mov_b32_e32 v43, v50
.LBB84_454:
	s_or_b64 exec, exec, s[0:1]
	v_lshl_add_u32 v50, v53, 2, v21
	s_barrier
	s_waitcnt vmcnt(15)
	ds_write_b32 v50, v36
	s_waitcnt lgkmcnt(0)
	s_barrier
	ds_read_b32 v52, v21 offset:108
	s_cmp_lt_i32 s22, 29
	v_mov_b32_e32 v50, 27
	s_cbranch_scc1 .LBB84_457
; %bb.455:
	v_add_u32_e32 v55, 0x70, v21
	v_mov_b32_e32 v50, 27
	s_mov_b32 s0, 28
.LBB84_456:                             ; =>This Inner Loop Header: Depth=1
	ds_read_b32 v56, v55
	v_mov_b32_e32 v57, s0
	s_add_i32 s0, s0, 1
	v_add_u32_e32 v55, 4, v55
	s_cmp_lg_u32 s22, s0
	s_waitcnt lgkmcnt(0)
	v_cmp_lt_f32_e64 vcc, |v52|, |v56|
	s_nop 1
	v_cndmask_b32_e32 v52, v52, v56, vcc
	v_cndmask_b32_e32 v50, v50, v57, vcc
	s_cbranch_scc1 .LBB84_456
.LBB84_457:
	s_waitcnt lgkmcnt(0)
	v_cmp_eq_f32_e32 vcc, 0, v52
	s_and_saveexec_b64 s[0:1], vcc
	s_xor_b64 s[0:1], exec, s[0:1]
; %bb.458:
	v_cmp_ne_u32_e32 vcc, 0, v54
	s_nop 1
	v_cndmask_b32_e32 v54, 28, v54, vcc
; %bb.459:
	s_andn2_saveexec_b64 s[0:1], s[0:1]
	s_cbranch_execz .LBB84_461
; %bb.460:
	v_div_scale_f32 v55, s[2:3], v52, v52, 1.0
	v_rcp_f32_e32 v56, v55
	v_div_scale_f32 v57, vcc, 1.0, v52, 1.0
	v_fma_f32 v58, -v55, v56, 1.0
	v_fmac_f32_e32 v56, v58, v56
	v_mul_f32_e32 v58, v57, v56
	v_fma_f32 v59, -v55, v58, v57
	v_fmac_f32_e32 v58, v59, v56
	v_fma_f32 v55, -v55, v58, v57
	v_div_fmas_f32 v55, v55, v56, v58
	v_div_fixup_f32 v52, v55, v52, 1.0
.LBB84_461:
	s_or_b64 exec, exec, s[0:1]
	v_cmp_ne_u32_e32 vcc, v53, v50
	s_and_saveexec_b64 s[0:1], vcc
	s_xor_b64 s[0:1], exec, s[0:1]
	s_cbranch_execz .LBB84_467
; %bb.462:
	v_cmp_eq_u32_e32 vcc, 27, v53
	s_and_saveexec_b64 s[2:3], vcc
	s_cbranch_execz .LBB84_466
; %bb.463:
	v_cmp_ne_u32_e32 vcc, 27, v50
	s_xor_b64 s[18:19], s[16:17], -1
	s_and_b64 s[20:21], s[18:19], vcc
	s_and_saveexec_b64 s[18:19], s[20:21]
	s_cbranch_execz .LBB84_465
; %bb.464:
	v_ashrrev_i32_e32 v51, 31, v50
	v_lshl_add_u64 v[56:57], v[50:51], 2, v[22:23]
	global_load_dword v51, v[56:57], off
	global_load_dword v53, v[22:23], off offset:108
	s_waitcnt vmcnt(1)
	global_store_dword v[22:23], v51, off offset:108
	s_waitcnt vmcnt(1)
	global_store_dword v[56:57], v53, off
.LBB84_465:
	s_or_b64 exec, exec, s[18:19]
	v_mov_b32_e32 v51, v50
	v_mov_b32_e32 v53, v50
.LBB84_466:
	s_or_b64 exec, exec, s[2:3]
.LBB84_467:
	s_andn2_saveexec_b64 s[0:1], s[0:1]
	s_cbranch_execz .LBB84_469
; %bb.468:
	s_waitcnt vmcnt(12)
	v_pk_mov_b32 v[56:57], v[36:37], v[32:33] op_sel:[1,0]
	ds_write2_b32 v21, v56, v57 offset0:28 offset1:29
	s_waitcnt vmcnt(10)
	v_pk_mov_b32 v[56:57], v[32:33], v[26:27] op_sel:[1,0]
	ds_write2_b32 v21, v56, v57 offset0:30 offset1:31
	;; [unrolled: 3-line block ×6, first 2 shown]
	s_waitcnt vmcnt(0)
	v_pk_mov_b32 v[56:57], v[38:39], v[46:47] op_sel:[1,0]
	v_mov_b32_e32 v53, 27
	ds_write2_b32 v21, v56, v57 offset0:40 offset1:41
	ds_write_b32 v21, v47 offset:168
.LBB84_469:
	s_or_b64 exec, exec, s[0:1]
	v_cmp_lt_i32_e32 vcc, 27, v53
	s_waitcnt lgkmcnt(0)
	s_barrier
	s_and_saveexec_b64 s[0:1], vcc
	s_cbranch_execz .LBB84_471
; %bb.470:
	ds_read_b32 v50, v21 offset:112
	ds_read2_b32 v[56:57], v21 offset0:29 offset1:30
	ds_read2_b32 v[58:59], v21 offset0:31 offset1:32
	v_mul_f32_e32 v36, v52, v36
	ds_read2_b32 v[60:61], v21 offset0:33 offset1:34
	s_waitcnt vmcnt(14) lgkmcnt(3)
	v_fma_f32 v37, -v36, v50, v37
	s_waitcnt vmcnt(12) lgkmcnt(2)
	v_pk_fma_f32 v[32:33], v[36:37], v[56:57], v[32:33] op_sel_hi:[0,1,1] neg_lo:[1,0,0] neg_hi:[1,0,0]
	s_waitcnt vmcnt(10) lgkmcnt(1)
	v_pk_fma_f32 v[26:27], v[36:37], v[58:59], v[26:27] op_sel_hi:[0,1,1] neg_lo:[1,0,0] neg_hi:[1,0,0]
	ds_read2_b32 v[56:57], v21 offset0:35 offset1:36
	ds_read2_b32 v[58:59], v21 offset0:37 offset1:38
	;; [unrolled: 1-line block ×4, first 2 shown]
	s_waitcnt vmcnt(8) lgkmcnt(4)
	v_pk_fma_f32 v[48:49], v[36:37], v[60:61], v[48:49] op_sel_hi:[0,1,1] neg_lo:[1,0,0] neg_hi:[1,0,0]
	s_waitcnt vmcnt(6) lgkmcnt(3)
	v_pk_fma_f32 v[44:45], v[36:37], v[56:57], v[44:45] op_sel_hi:[0,1,1] neg_lo:[1,0,0] neg_hi:[1,0,0]
	;; [unrolled: 2-line block ×5, first 2 shown]
.LBB84_471:
	s_or_b64 exec, exec, s[0:1]
	v_lshl_add_u32 v50, v53, 2, v21
	s_barrier
	s_waitcnt vmcnt(14)
	ds_write_b32 v50, v37
	s_waitcnt lgkmcnt(0)
	s_barrier
	ds_read_b32 v52, v21 offset:112
	s_cmp_lt_i32 s22, 30
	v_mov_b32_e32 v50, 28
	s_cbranch_scc1 .LBB84_474
; %bb.472:
	v_add_u32_e32 v55, 0x74, v21
	v_mov_b32_e32 v50, 28
	s_mov_b32 s0, 29
.LBB84_473:                             ; =>This Inner Loop Header: Depth=1
	ds_read_b32 v56, v55
	v_mov_b32_e32 v57, s0
	s_add_i32 s0, s0, 1
	v_add_u32_e32 v55, 4, v55
	s_cmp_lg_u32 s22, s0
	s_waitcnt lgkmcnt(0)
	v_cmp_lt_f32_e64 vcc, |v52|, |v56|
	s_nop 1
	v_cndmask_b32_e32 v52, v52, v56, vcc
	v_cndmask_b32_e32 v50, v50, v57, vcc
	s_cbranch_scc1 .LBB84_473
.LBB84_474:
	s_waitcnt lgkmcnt(0)
	v_cmp_eq_f32_e32 vcc, 0, v52
	s_and_saveexec_b64 s[0:1], vcc
	s_xor_b64 s[0:1], exec, s[0:1]
; %bb.475:
	v_cmp_ne_u32_e32 vcc, 0, v54
	s_nop 1
	v_cndmask_b32_e32 v54, 29, v54, vcc
; %bb.476:
	s_andn2_saveexec_b64 s[0:1], s[0:1]
	s_cbranch_execz .LBB84_478
; %bb.477:
	v_div_scale_f32 v55, s[2:3], v52, v52, 1.0
	v_rcp_f32_e32 v56, v55
	v_div_scale_f32 v57, vcc, 1.0, v52, 1.0
	v_fma_f32 v58, -v55, v56, 1.0
	v_fmac_f32_e32 v56, v58, v56
	v_mul_f32_e32 v58, v57, v56
	v_fma_f32 v59, -v55, v58, v57
	v_fmac_f32_e32 v58, v59, v56
	v_fma_f32 v55, -v55, v58, v57
	v_div_fmas_f32 v55, v55, v56, v58
	v_div_fixup_f32 v52, v55, v52, 1.0
.LBB84_478:
	s_or_b64 exec, exec, s[0:1]
	v_cmp_ne_u32_e32 vcc, v53, v50
	s_and_saveexec_b64 s[0:1], vcc
	s_xor_b64 s[0:1], exec, s[0:1]
	s_cbranch_execz .LBB84_484
; %bb.479:
	v_cmp_eq_u32_e32 vcc, 28, v53
	s_and_saveexec_b64 s[2:3], vcc
	s_cbranch_execz .LBB84_483
; %bb.480:
	v_cmp_ne_u32_e32 vcc, 28, v50
	s_xor_b64 s[18:19], s[16:17], -1
	s_and_b64 s[20:21], s[18:19], vcc
	s_and_saveexec_b64 s[18:19], s[20:21]
	s_cbranch_execz .LBB84_482
; %bb.481:
	v_ashrrev_i32_e32 v51, 31, v50
	v_lshl_add_u64 v[56:57], v[50:51], 2, v[22:23]
	global_load_dword v51, v[56:57], off
	global_load_dword v53, v[22:23], off offset:112
	s_waitcnt vmcnt(1)
	global_store_dword v[22:23], v51, off offset:112
	s_waitcnt vmcnt(1)
	global_store_dword v[56:57], v53, off
.LBB84_482:
	s_or_b64 exec, exec, s[18:19]
	v_mov_b32_e32 v51, v50
	v_mov_b32_e32 v53, v50
.LBB84_483:
	s_or_b64 exec, exec, s[2:3]
.LBB84_484:
	s_andn2_saveexec_b64 s[0:1], s[0:1]
	s_cbranch_execz .LBB84_486
; %bb.485:
	v_mov_b32_e32 v53, 28
	s_waitcnt vmcnt(12)
	ds_write2_b32 v21, v32, v33 offset0:29 offset1:30
	s_waitcnt vmcnt(10)
	ds_write2_b32 v21, v26, v27 offset0:31 offset1:32
	;; [unrolled: 2-line block ×7, first 2 shown]
.LBB84_486:
	s_or_b64 exec, exec, s[0:1]
	v_cmp_lt_i32_e32 vcc, 28, v53
	s_waitcnt lgkmcnt(0)
	s_barrier
	s_and_saveexec_b64 s[0:1], vcc
	s_cbranch_execz .LBB84_488
; %bb.487:
	ds_read2_b32 v[56:57], v21 offset0:29 offset1:30
	ds_read2_b32 v[58:59], v21 offset0:31 offset1:32
	v_mul_f32_e32 v50, v52, v37
	ds_read2_b32 v[60:61], v21 offset0:33 offset1:34
	ds_read2_b32 v[62:63], v21 offset0:35 offset1:36
	v_mov_b32_e32 v37, v50
	s_waitcnt vmcnt(12) lgkmcnt(3)
	v_pk_fma_f32 v[32:33], v[50:51], v[56:57], v[32:33] op_sel_hi:[0,1,1] neg_lo:[1,0,0] neg_hi:[1,0,0]
	s_waitcnt vmcnt(10) lgkmcnt(2)
	v_pk_fma_f32 v[26:27], v[50:51], v[58:59], v[26:27] op_sel_hi:[0,1,1] neg_lo:[1,0,0] neg_hi:[1,0,0]
	ds_read2_b32 v[56:57], v21 offset0:37 offset1:38
	ds_read2_b32 v[58:59], v21 offset0:39 offset1:40
	;; [unrolled: 1-line block ×3, first 2 shown]
	s_waitcnt vmcnt(8) lgkmcnt(4)
	v_pk_fma_f32 v[48:49], v[50:51], v[60:61], v[48:49] op_sel_hi:[0,1,1] neg_lo:[1,0,0] neg_hi:[1,0,0]
	s_waitcnt vmcnt(6) lgkmcnt(3)
	v_pk_fma_f32 v[44:45], v[50:51], v[62:63], v[44:45] op_sel_hi:[0,1,1] neg_lo:[1,0,0] neg_hi:[1,0,0]
	;; [unrolled: 2-line block ×5, first 2 shown]
.LBB84_488:
	s_or_b64 exec, exec, s[0:1]
	v_lshl_add_u32 v50, v53, 2, v21
	s_barrier
	s_waitcnt vmcnt(13)
	ds_write_b32 v50, v32
	s_waitcnt lgkmcnt(0)
	s_barrier
	ds_read_b32 v52, v21 offset:116
	s_cmp_lt_i32 s22, 31
	v_mov_b32_e32 v50, 29
	s_cbranch_scc1 .LBB84_491
; %bb.489:
	v_add_u32_e32 v55, 0x78, v21
	v_mov_b32_e32 v50, 29
	s_mov_b32 s0, 30
.LBB84_490:                             ; =>This Inner Loop Header: Depth=1
	ds_read_b32 v56, v55
	v_mov_b32_e32 v57, s0
	s_add_i32 s0, s0, 1
	v_add_u32_e32 v55, 4, v55
	s_cmp_lg_u32 s22, s0
	s_waitcnt lgkmcnt(0)
	v_cmp_lt_f32_e64 vcc, |v52|, |v56|
	s_nop 1
	v_cndmask_b32_e32 v52, v52, v56, vcc
	v_cndmask_b32_e32 v50, v50, v57, vcc
	s_cbranch_scc1 .LBB84_490
.LBB84_491:
	s_waitcnt lgkmcnt(0)
	v_cmp_eq_f32_e32 vcc, 0, v52
	s_and_saveexec_b64 s[0:1], vcc
	s_xor_b64 s[0:1], exec, s[0:1]
; %bb.492:
	v_cmp_ne_u32_e32 vcc, 0, v54
	s_nop 1
	v_cndmask_b32_e32 v54, 30, v54, vcc
; %bb.493:
	s_andn2_saveexec_b64 s[0:1], s[0:1]
	s_cbranch_execz .LBB84_495
; %bb.494:
	v_div_scale_f32 v55, s[2:3], v52, v52, 1.0
	v_rcp_f32_e32 v56, v55
	v_div_scale_f32 v57, vcc, 1.0, v52, 1.0
	v_fma_f32 v58, -v55, v56, 1.0
	v_fmac_f32_e32 v56, v58, v56
	v_mul_f32_e32 v58, v57, v56
	v_fma_f32 v59, -v55, v58, v57
	v_fmac_f32_e32 v58, v59, v56
	v_fma_f32 v55, -v55, v58, v57
	v_div_fmas_f32 v55, v55, v56, v58
	v_div_fixup_f32 v52, v55, v52, 1.0
.LBB84_495:
	s_or_b64 exec, exec, s[0:1]
	v_cmp_ne_u32_e32 vcc, v53, v50
	s_and_saveexec_b64 s[0:1], vcc
	s_xor_b64 s[0:1], exec, s[0:1]
	s_cbranch_execz .LBB84_501
; %bb.496:
	v_cmp_eq_u32_e32 vcc, 29, v53
	s_and_saveexec_b64 s[2:3], vcc
	s_cbranch_execz .LBB84_500
; %bb.497:
	v_cmp_ne_u32_e32 vcc, 29, v50
	s_xor_b64 s[18:19], s[16:17], -1
	s_and_b64 s[20:21], s[18:19], vcc
	s_and_saveexec_b64 s[18:19], s[20:21]
	s_cbranch_execz .LBB84_499
; %bb.498:
	v_ashrrev_i32_e32 v51, 31, v50
	v_lshl_add_u64 v[56:57], v[50:51], 2, v[22:23]
	global_load_dword v51, v[56:57], off
	global_load_dword v53, v[22:23], off offset:116
	s_waitcnt vmcnt(1)
	global_store_dword v[22:23], v51, off offset:116
	s_waitcnt vmcnt(1)
	global_store_dword v[56:57], v53, off
.LBB84_499:
	s_or_b64 exec, exec, s[18:19]
	v_mov_b32_e32 v51, v50
	v_mov_b32_e32 v53, v50
.LBB84_500:
	s_or_b64 exec, exec, s[2:3]
.LBB84_501:
	s_andn2_saveexec_b64 s[0:1], s[0:1]
	s_cbranch_execz .LBB84_503
; %bb.502:
	s_waitcnt vmcnt(10)
	v_pk_mov_b32 v[56:57], v[32:33], v[26:27] op_sel:[1,0]
	ds_write2_b32 v21, v56, v57 offset0:30 offset1:31
	s_waitcnt vmcnt(8)
	v_pk_mov_b32 v[56:57], v[26:27], v[48:49] op_sel:[1,0]
	ds_write2_b32 v21, v56, v57 offset0:32 offset1:33
	;; [unrolled: 3-line block ×5, first 2 shown]
	s_waitcnt vmcnt(0)
	v_pk_mov_b32 v[56:57], v[38:39], v[46:47] op_sel:[1,0]
	v_mov_b32_e32 v53, 29
	ds_write2_b32 v21, v56, v57 offset0:40 offset1:41
	ds_write_b32 v21, v47 offset:168
.LBB84_503:
	s_or_b64 exec, exec, s[0:1]
	v_cmp_lt_i32_e32 vcc, 29, v53
	s_waitcnt lgkmcnt(0)
	s_barrier
	s_and_saveexec_b64 s[0:1], vcc
	s_cbranch_execz .LBB84_505
; %bb.504:
	ds_read_b32 v50, v21 offset:120
	ds_read2_b32 v[56:57], v21 offset0:31 offset1:32
	v_mul_f32_e32 v32, v52, v32
	ds_read2_b32 v[58:59], v21 offset0:33 offset1:34
	ds_read2_b32 v[60:61], v21 offset0:35 offset1:36
	s_waitcnt vmcnt(12) lgkmcnt(3)
	v_fma_f32 v33, -v32, v50, v33
	s_waitcnt vmcnt(10) lgkmcnt(2)
	v_pk_fma_f32 v[26:27], v[32:33], v[56:57], v[26:27] op_sel_hi:[0,1,1] neg_lo:[1,0,0] neg_hi:[1,0,0]
	ds_read2_b32 v[56:57], v21 offset0:37 offset1:38
	ds_read2_b32 v[62:63], v21 offset0:39 offset1:40
	;; [unrolled: 1-line block ×3, first 2 shown]
	s_waitcnt vmcnt(8) lgkmcnt(4)
	v_pk_fma_f32 v[48:49], v[32:33], v[58:59], v[48:49] op_sel_hi:[0,1,1] neg_lo:[1,0,0] neg_hi:[1,0,0]
	s_waitcnt vmcnt(6) lgkmcnt(3)
	v_pk_fma_f32 v[44:45], v[32:33], v[60:61], v[44:45] op_sel_hi:[0,1,1] neg_lo:[1,0,0] neg_hi:[1,0,0]
	;; [unrolled: 2-line block ×5, first 2 shown]
.LBB84_505:
	s_or_b64 exec, exec, s[0:1]
	v_lshl_add_u32 v50, v53, 2, v21
	s_barrier
	s_waitcnt vmcnt(12)
	ds_write_b32 v50, v33
	s_waitcnt lgkmcnt(0)
	s_barrier
	ds_read_b32 v52, v21 offset:120
	s_cmp_lt_i32 s22, 32
	v_mov_b32_e32 v50, 30
	s_cbranch_scc1 .LBB84_508
; %bb.506:
	v_add_u32_e32 v55, 0x7c, v21
	v_mov_b32_e32 v50, 30
	s_mov_b32 s0, 31
.LBB84_507:                             ; =>This Inner Loop Header: Depth=1
	ds_read_b32 v56, v55
	v_mov_b32_e32 v57, s0
	s_add_i32 s0, s0, 1
	v_add_u32_e32 v55, 4, v55
	s_cmp_lg_u32 s22, s0
	s_waitcnt lgkmcnt(0)
	v_cmp_lt_f32_e64 vcc, |v52|, |v56|
	s_nop 1
	v_cndmask_b32_e32 v52, v52, v56, vcc
	v_cndmask_b32_e32 v50, v50, v57, vcc
	s_cbranch_scc1 .LBB84_507
.LBB84_508:
	s_waitcnt lgkmcnt(0)
	v_cmp_eq_f32_e32 vcc, 0, v52
	s_and_saveexec_b64 s[0:1], vcc
	s_xor_b64 s[0:1], exec, s[0:1]
; %bb.509:
	v_cmp_ne_u32_e32 vcc, 0, v54
	s_nop 1
	v_cndmask_b32_e32 v54, 31, v54, vcc
; %bb.510:
	s_andn2_saveexec_b64 s[0:1], s[0:1]
	s_cbranch_execz .LBB84_512
; %bb.511:
	v_div_scale_f32 v55, s[2:3], v52, v52, 1.0
	v_rcp_f32_e32 v56, v55
	v_div_scale_f32 v57, vcc, 1.0, v52, 1.0
	v_fma_f32 v58, -v55, v56, 1.0
	v_fmac_f32_e32 v56, v58, v56
	v_mul_f32_e32 v58, v57, v56
	v_fma_f32 v59, -v55, v58, v57
	v_fmac_f32_e32 v58, v59, v56
	v_fma_f32 v55, -v55, v58, v57
	v_div_fmas_f32 v55, v55, v56, v58
	v_div_fixup_f32 v52, v55, v52, 1.0
.LBB84_512:
	s_or_b64 exec, exec, s[0:1]
	v_cmp_ne_u32_e32 vcc, v53, v50
	s_and_saveexec_b64 s[0:1], vcc
	s_xor_b64 s[0:1], exec, s[0:1]
	s_cbranch_execz .LBB84_518
; %bb.513:
	v_cmp_eq_u32_e32 vcc, 30, v53
	s_and_saveexec_b64 s[2:3], vcc
	s_cbranch_execz .LBB84_517
; %bb.514:
	v_cmp_ne_u32_e32 vcc, 30, v50
	s_xor_b64 s[18:19], s[16:17], -1
	s_and_b64 s[20:21], s[18:19], vcc
	s_and_saveexec_b64 s[18:19], s[20:21]
	s_cbranch_execz .LBB84_516
; %bb.515:
	v_ashrrev_i32_e32 v51, 31, v50
	v_lshl_add_u64 v[56:57], v[50:51], 2, v[22:23]
	global_load_dword v51, v[56:57], off
	global_load_dword v53, v[22:23], off offset:120
	s_waitcnt vmcnt(1)
	global_store_dword v[22:23], v51, off offset:120
	s_waitcnt vmcnt(1)
	global_store_dword v[56:57], v53, off
.LBB84_516:
	s_or_b64 exec, exec, s[18:19]
	v_mov_b32_e32 v51, v50
	v_mov_b32_e32 v53, v50
.LBB84_517:
	s_or_b64 exec, exec, s[2:3]
.LBB84_518:
	s_andn2_saveexec_b64 s[0:1], s[0:1]
	s_cbranch_execz .LBB84_520
; %bb.519:
	v_mov_b32_e32 v53, 30
	s_waitcnt vmcnt(10)
	ds_write2_b32 v21, v26, v27 offset0:31 offset1:32
	s_waitcnt vmcnt(8)
	ds_write2_b32 v21, v48, v49 offset0:33 offset1:34
	;; [unrolled: 2-line block ×6, first 2 shown]
.LBB84_520:
	s_or_b64 exec, exec, s[0:1]
	v_cmp_lt_i32_e32 vcc, 30, v53
	s_waitcnt lgkmcnt(0)
	s_barrier
	s_and_saveexec_b64 s[0:1], vcc
	s_cbranch_execz .LBB84_522
; %bb.521:
	ds_read2_b32 v[56:57], v21 offset0:31 offset1:32
	v_mul_f32_e32 v50, v52, v33
	ds_read2_b32 v[58:59], v21 offset0:33 offset1:34
	ds_read2_b32 v[60:61], v21 offset0:35 offset1:36
	;; [unrolled: 1-line block ×3, first 2 shown]
	v_mov_b32_e32 v33, v50
	s_waitcnt vmcnt(8) lgkmcnt(2)
	v_pk_fma_f32 v[48:49], v[50:51], v[58:59], v[48:49] op_sel_hi:[0,1,1] neg_lo:[1,0,0] neg_hi:[1,0,0]
	v_pk_fma_f32 v[26:27], v[50:51], v[56:57], v[26:27] op_sel_hi:[0,1,1] neg_lo:[1,0,0] neg_hi:[1,0,0]
	ds_read2_b32 v[56:57], v21 offset0:39 offset1:40
	ds_read2_b32 v[64:65], v21 offset0:41 offset1:42
	s_waitcnt vmcnt(6) lgkmcnt(3)
	v_pk_fma_f32 v[44:45], v[50:51], v[60:61], v[44:45] op_sel_hi:[0,1,1] neg_lo:[1,0,0] neg_hi:[1,0,0]
	s_waitcnt vmcnt(4) lgkmcnt(2)
	v_pk_fma_f32 v[40:41], v[50:51], v[62:63], v[40:41] op_sel_hi:[0,1,1] neg_lo:[1,0,0] neg_hi:[1,0,0]
	;; [unrolled: 2-line block ×4, first 2 shown]
.LBB84_522:
	s_or_b64 exec, exec, s[0:1]
	v_lshl_add_u32 v50, v53, 2, v21
	s_barrier
	s_waitcnt vmcnt(11)
	ds_write_b32 v50, v26
	s_waitcnt lgkmcnt(0)
	s_barrier
	ds_read_b32 v52, v21 offset:124
	s_cmp_lt_i32 s22, 33
	v_mov_b32_e32 v50, 31
	s_cbranch_scc1 .LBB84_525
; %bb.523:
	v_add_u32_e32 v55, 0x80, v21
	v_mov_b32_e32 v50, 31
	s_mov_b32 s0, 32
.LBB84_524:                             ; =>This Inner Loop Header: Depth=1
	ds_read_b32 v56, v55
	v_mov_b32_e32 v57, s0
	s_add_i32 s0, s0, 1
	v_add_u32_e32 v55, 4, v55
	s_cmp_lg_u32 s22, s0
	s_waitcnt lgkmcnt(0)
	v_cmp_lt_f32_e64 vcc, |v52|, |v56|
	s_nop 1
	v_cndmask_b32_e32 v52, v52, v56, vcc
	v_cndmask_b32_e32 v50, v50, v57, vcc
	s_cbranch_scc1 .LBB84_524
.LBB84_525:
	s_waitcnt lgkmcnt(0)
	v_cmp_eq_f32_e32 vcc, 0, v52
	s_and_saveexec_b64 s[0:1], vcc
	s_xor_b64 s[0:1], exec, s[0:1]
; %bb.526:
	v_cmp_ne_u32_e32 vcc, 0, v54
	s_nop 1
	v_cndmask_b32_e32 v54, 32, v54, vcc
; %bb.527:
	s_andn2_saveexec_b64 s[0:1], s[0:1]
	s_cbranch_execz .LBB84_529
; %bb.528:
	v_div_scale_f32 v55, s[2:3], v52, v52, 1.0
	v_rcp_f32_e32 v56, v55
	v_div_scale_f32 v57, vcc, 1.0, v52, 1.0
	v_fma_f32 v58, -v55, v56, 1.0
	v_fmac_f32_e32 v56, v58, v56
	v_mul_f32_e32 v58, v57, v56
	v_fma_f32 v59, -v55, v58, v57
	v_fmac_f32_e32 v58, v59, v56
	v_fma_f32 v55, -v55, v58, v57
	v_div_fmas_f32 v55, v55, v56, v58
	v_div_fixup_f32 v52, v55, v52, 1.0
.LBB84_529:
	s_or_b64 exec, exec, s[0:1]
	v_cmp_ne_u32_e32 vcc, v53, v50
	s_and_saveexec_b64 s[0:1], vcc
	s_xor_b64 s[0:1], exec, s[0:1]
	s_cbranch_execz .LBB84_535
; %bb.530:
	v_cmp_eq_u32_e32 vcc, 31, v53
	s_and_saveexec_b64 s[2:3], vcc
	s_cbranch_execz .LBB84_534
; %bb.531:
	v_cmp_ne_u32_e32 vcc, 31, v50
	s_xor_b64 s[18:19], s[16:17], -1
	s_and_b64 s[20:21], s[18:19], vcc
	s_and_saveexec_b64 s[18:19], s[20:21]
	s_cbranch_execz .LBB84_533
; %bb.532:
	v_ashrrev_i32_e32 v51, 31, v50
	v_lshl_add_u64 v[56:57], v[50:51], 2, v[22:23]
	global_load_dword v51, v[56:57], off
	global_load_dword v53, v[22:23], off offset:124
	s_waitcnt vmcnt(1)
	global_store_dword v[22:23], v51, off offset:124
	s_waitcnt vmcnt(1)
	global_store_dword v[56:57], v53, off
.LBB84_533:
	s_or_b64 exec, exec, s[18:19]
	v_mov_b32_e32 v51, v50
	v_mov_b32_e32 v53, v50
.LBB84_534:
	s_or_b64 exec, exec, s[2:3]
.LBB84_535:
	s_andn2_saveexec_b64 s[0:1], s[0:1]
	s_cbranch_execz .LBB84_537
; %bb.536:
	s_waitcnt vmcnt(8)
	v_pk_mov_b32 v[56:57], v[26:27], v[48:49] op_sel:[1,0]
	ds_write2_b32 v21, v56, v57 offset0:32 offset1:33
	s_waitcnt vmcnt(6)
	v_pk_mov_b32 v[56:57], v[48:49], v[44:45] op_sel:[1,0]
	ds_write2_b32 v21, v56, v57 offset0:34 offset1:35
	s_waitcnt vmcnt(4)
	v_pk_mov_b32 v[56:57], v[44:45], v[40:41] op_sel:[1,0]
	ds_write2_b32 v21, v56, v57 offset0:36 offset1:37
	s_waitcnt vmcnt(2)
	v_pk_mov_b32 v[56:57], v[40:41], v[38:39] op_sel:[1,0]
	ds_write2_b32 v21, v56, v57 offset0:38 offset1:39
	s_waitcnt vmcnt(0)
	v_pk_mov_b32 v[56:57], v[38:39], v[46:47] op_sel:[1,0]
	v_mov_b32_e32 v53, 31
	ds_write2_b32 v21, v56, v57 offset0:40 offset1:41
	ds_write_b32 v21, v47 offset:168
.LBB84_537:
	s_or_b64 exec, exec, s[0:1]
	v_cmp_lt_i32_e32 vcc, 31, v53
	s_waitcnt lgkmcnt(0)
	s_barrier
	s_and_saveexec_b64 s[0:1], vcc
	s_cbranch_execz .LBB84_539
; %bb.538:
	ds_read_b32 v50, v21 offset:128
	ds_read2_b32 v[56:57], v21 offset0:33 offset1:34
	ds_read2_b32 v[58:59], v21 offset0:35 offset1:36
	;; [unrolled: 1-line block ×5, first 2 shown]
	v_mul_f32_e32 v26, v52, v26
	s_waitcnt vmcnt(10) lgkmcnt(5)
	v_fma_f32 v27, -v26, v50, v27
	s_waitcnt vmcnt(8) lgkmcnt(4)
	v_pk_fma_f32 v[48:49], v[26:27], v[56:57], v[48:49] op_sel_hi:[0,1,1] neg_lo:[1,0,0] neg_hi:[1,0,0]
	s_waitcnt vmcnt(6) lgkmcnt(3)
	v_pk_fma_f32 v[44:45], v[26:27], v[58:59], v[44:45] op_sel_hi:[0,1,1] neg_lo:[1,0,0] neg_hi:[1,0,0]
	;; [unrolled: 2-line block ×5, first 2 shown]
.LBB84_539:
	s_or_b64 exec, exec, s[0:1]
	v_lshl_add_u32 v50, v53, 2, v21
	s_barrier
	s_waitcnt vmcnt(10)
	ds_write_b32 v50, v27
	s_waitcnt lgkmcnt(0)
	s_barrier
	ds_read_b32 v52, v21 offset:128
	s_cmp_lt_i32 s22, 34
	v_mov_b32_e32 v50, 32
	s_cbranch_scc1 .LBB84_542
; %bb.540:
	v_add_u32_e32 v55, 0x84, v21
	v_mov_b32_e32 v50, 32
	s_mov_b32 s0, 33
.LBB84_541:                             ; =>This Inner Loop Header: Depth=1
	ds_read_b32 v56, v55
	v_mov_b32_e32 v57, s0
	s_add_i32 s0, s0, 1
	v_add_u32_e32 v55, 4, v55
	s_cmp_lg_u32 s22, s0
	s_waitcnt lgkmcnt(0)
	v_cmp_lt_f32_e64 vcc, |v52|, |v56|
	s_nop 1
	v_cndmask_b32_e32 v52, v52, v56, vcc
	v_cndmask_b32_e32 v50, v50, v57, vcc
	s_cbranch_scc1 .LBB84_541
.LBB84_542:
	s_waitcnt lgkmcnt(0)
	v_cmp_eq_f32_e32 vcc, 0, v52
	s_and_saveexec_b64 s[0:1], vcc
	s_xor_b64 s[0:1], exec, s[0:1]
; %bb.543:
	v_cmp_ne_u32_e32 vcc, 0, v54
	s_nop 1
	v_cndmask_b32_e32 v54, 33, v54, vcc
; %bb.544:
	s_andn2_saveexec_b64 s[0:1], s[0:1]
	s_cbranch_execz .LBB84_546
; %bb.545:
	v_div_scale_f32 v55, s[2:3], v52, v52, 1.0
	v_rcp_f32_e32 v56, v55
	v_div_scale_f32 v57, vcc, 1.0, v52, 1.0
	v_fma_f32 v58, -v55, v56, 1.0
	v_fmac_f32_e32 v56, v58, v56
	v_mul_f32_e32 v58, v57, v56
	v_fma_f32 v59, -v55, v58, v57
	v_fmac_f32_e32 v58, v59, v56
	v_fma_f32 v55, -v55, v58, v57
	v_div_fmas_f32 v55, v55, v56, v58
	v_div_fixup_f32 v52, v55, v52, 1.0
.LBB84_546:
	s_or_b64 exec, exec, s[0:1]
	v_cmp_ne_u32_e32 vcc, v53, v50
	s_and_saveexec_b64 s[0:1], vcc
	s_xor_b64 s[0:1], exec, s[0:1]
	s_cbranch_execz .LBB84_552
; %bb.547:
	v_cmp_eq_u32_e32 vcc, 32, v53
	s_and_saveexec_b64 s[2:3], vcc
	s_cbranch_execz .LBB84_551
; %bb.548:
	v_cmp_ne_u32_e32 vcc, 32, v50
	s_xor_b64 s[18:19], s[16:17], -1
	s_and_b64 s[20:21], s[18:19], vcc
	s_and_saveexec_b64 s[18:19], s[20:21]
	s_cbranch_execz .LBB84_550
; %bb.549:
	v_ashrrev_i32_e32 v51, 31, v50
	v_lshl_add_u64 v[56:57], v[50:51], 2, v[22:23]
	global_load_dword v51, v[56:57], off
	global_load_dword v53, v[22:23], off offset:128
	s_waitcnt vmcnt(1)
	global_store_dword v[22:23], v51, off offset:128
	s_waitcnt vmcnt(1)
	global_store_dword v[56:57], v53, off
.LBB84_550:
	s_or_b64 exec, exec, s[18:19]
	v_mov_b32_e32 v51, v50
	v_mov_b32_e32 v53, v50
.LBB84_551:
	s_or_b64 exec, exec, s[2:3]
.LBB84_552:
	s_andn2_saveexec_b64 s[0:1], s[0:1]
	s_cbranch_execz .LBB84_554
; %bb.553:
	v_mov_b32_e32 v53, 32
	s_waitcnt vmcnt(8)
	ds_write2_b32 v21, v48, v49 offset0:33 offset1:34
	s_waitcnt vmcnt(6)
	ds_write2_b32 v21, v44, v45 offset0:35 offset1:36
	;; [unrolled: 2-line block ×5, first 2 shown]
.LBB84_554:
	s_or_b64 exec, exec, s[0:1]
	v_cmp_lt_i32_e32 vcc, 32, v53
	s_waitcnt lgkmcnt(0)
	s_barrier
	s_and_saveexec_b64 s[0:1], vcc
	s_cbranch_execz .LBB84_556
; %bb.555:
	ds_read2_b32 v[56:57], v21 offset0:33 offset1:34
	ds_read2_b32 v[58:59], v21 offset0:35 offset1:36
	;; [unrolled: 1-line block ×5, first 2 shown]
	v_mul_f32_e32 v50, v52, v27
	s_waitcnt vmcnt(8) lgkmcnt(4)
	v_pk_fma_f32 v[48:49], v[50:51], v[56:57], v[48:49] op_sel_hi:[0,1,1] neg_lo:[1,0,0] neg_hi:[1,0,0]
	s_waitcnt vmcnt(6) lgkmcnt(3)
	v_pk_fma_f32 v[44:45], v[50:51], v[58:59], v[44:45] op_sel_hi:[0,1,1] neg_lo:[1,0,0] neg_hi:[1,0,0]
	;; [unrolled: 2-line block ×5, first 2 shown]
	v_mov_b32_e32 v27, v50
.LBB84_556:
	s_or_b64 exec, exec, s[0:1]
	v_lshl_add_u32 v50, v53, 2, v21
	s_barrier
	s_waitcnt vmcnt(9)
	ds_write_b32 v50, v48
	s_waitcnt lgkmcnt(0)
	s_barrier
	ds_read_b32 v52, v21 offset:132
	s_cmp_lt_i32 s22, 35
	v_mov_b32_e32 v50, 33
	s_cbranch_scc1 .LBB84_559
; %bb.557:
	v_add_u32_e32 v55, 0x88, v21
	v_mov_b32_e32 v50, 33
	s_mov_b32 s0, 34
.LBB84_558:                             ; =>This Inner Loop Header: Depth=1
	ds_read_b32 v56, v55
	v_mov_b32_e32 v57, s0
	s_add_i32 s0, s0, 1
	v_add_u32_e32 v55, 4, v55
	s_cmp_lg_u32 s22, s0
	s_waitcnt lgkmcnt(0)
	v_cmp_lt_f32_e64 vcc, |v52|, |v56|
	s_nop 1
	v_cndmask_b32_e32 v52, v52, v56, vcc
	v_cndmask_b32_e32 v50, v50, v57, vcc
	s_cbranch_scc1 .LBB84_558
.LBB84_559:
	s_waitcnt lgkmcnt(0)
	v_cmp_eq_f32_e32 vcc, 0, v52
	s_and_saveexec_b64 s[0:1], vcc
	s_xor_b64 s[0:1], exec, s[0:1]
; %bb.560:
	v_cmp_ne_u32_e32 vcc, 0, v54
	s_nop 1
	v_cndmask_b32_e32 v54, 34, v54, vcc
; %bb.561:
	s_andn2_saveexec_b64 s[0:1], s[0:1]
	s_cbranch_execz .LBB84_563
; %bb.562:
	v_div_scale_f32 v55, s[2:3], v52, v52, 1.0
	v_rcp_f32_e32 v56, v55
	v_div_scale_f32 v57, vcc, 1.0, v52, 1.0
	v_fma_f32 v58, -v55, v56, 1.0
	v_fmac_f32_e32 v56, v58, v56
	v_mul_f32_e32 v58, v57, v56
	v_fma_f32 v59, -v55, v58, v57
	v_fmac_f32_e32 v58, v59, v56
	v_fma_f32 v55, -v55, v58, v57
	v_div_fmas_f32 v55, v55, v56, v58
	v_div_fixup_f32 v52, v55, v52, 1.0
.LBB84_563:
	s_or_b64 exec, exec, s[0:1]
	v_cmp_ne_u32_e32 vcc, v53, v50
	s_and_saveexec_b64 s[0:1], vcc
	s_xor_b64 s[0:1], exec, s[0:1]
	s_cbranch_execz .LBB84_569
; %bb.564:
	v_cmp_eq_u32_e32 vcc, 33, v53
	s_and_saveexec_b64 s[2:3], vcc
	s_cbranch_execz .LBB84_568
; %bb.565:
	v_cmp_ne_u32_e32 vcc, 33, v50
	s_xor_b64 s[18:19], s[16:17], -1
	s_and_b64 s[20:21], s[18:19], vcc
	s_and_saveexec_b64 s[18:19], s[20:21]
	s_cbranch_execz .LBB84_567
; %bb.566:
	v_ashrrev_i32_e32 v51, 31, v50
	v_lshl_add_u64 v[56:57], v[50:51], 2, v[22:23]
	global_load_dword v51, v[56:57], off
	global_load_dword v53, v[22:23], off offset:132
	s_waitcnt vmcnt(1)
	global_store_dword v[22:23], v51, off offset:132
	s_waitcnt vmcnt(1)
	global_store_dword v[56:57], v53, off
.LBB84_567:
	s_or_b64 exec, exec, s[18:19]
	v_mov_b32_e32 v51, v50
	v_mov_b32_e32 v53, v50
.LBB84_568:
	s_or_b64 exec, exec, s[2:3]
.LBB84_569:
	s_andn2_saveexec_b64 s[0:1], s[0:1]
	s_cbranch_execz .LBB84_571
; %bb.570:
	s_waitcnt vmcnt(6)
	v_pk_mov_b32 v[56:57], v[48:49], v[44:45] op_sel:[1,0]
	ds_write2_b32 v21, v56, v57 offset0:34 offset1:35
	s_waitcnt vmcnt(4)
	v_pk_mov_b32 v[56:57], v[44:45], v[40:41] op_sel:[1,0]
	ds_write2_b32 v21, v56, v57 offset0:36 offset1:37
	;; [unrolled: 3-line block ×3, first 2 shown]
	s_waitcnt vmcnt(0)
	v_pk_mov_b32 v[56:57], v[38:39], v[46:47] op_sel:[1,0]
	v_mov_b32_e32 v53, 33
	ds_write2_b32 v21, v56, v57 offset0:40 offset1:41
	ds_write_b32 v21, v47 offset:168
.LBB84_571:
	s_or_b64 exec, exec, s[0:1]
	v_cmp_lt_i32_e32 vcc, 33, v53
	s_waitcnt lgkmcnt(0)
	s_barrier
	s_and_saveexec_b64 s[0:1], vcc
	s_cbranch_execz .LBB84_573
; %bb.572:
	ds_read_b32 v50, v21 offset:136
	ds_read2_b32 v[56:57], v21 offset0:35 offset1:36
	ds_read2_b32 v[58:59], v21 offset0:37 offset1:38
	;; [unrolled: 1-line block ×4, first 2 shown]
	v_mul_f32_e32 v48, v52, v48
	s_waitcnt vmcnt(8) lgkmcnt(4)
	v_fma_f32 v49, -v48, v50, v49
	s_waitcnt vmcnt(6) lgkmcnt(3)
	v_pk_fma_f32 v[44:45], v[48:49], v[56:57], v[44:45] op_sel_hi:[0,1,1] neg_lo:[1,0,0] neg_hi:[1,0,0]
	s_waitcnt vmcnt(4) lgkmcnt(2)
	v_pk_fma_f32 v[40:41], v[48:49], v[58:59], v[40:41] op_sel_hi:[0,1,1] neg_lo:[1,0,0] neg_hi:[1,0,0]
	;; [unrolled: 2-line block ×4, first 2 shown]
.LBB84_573:
	s_or_b64 exec, exec, s[0:1]
	v_lshl_add_u32 v50, v53, 2, v21
	s_barrier
	s_waitcnt vmcnt(8)
	ds_write_b32 v50, v49
	s_waitcnt lgkmcnt(0)
	s_barrier
	ds_read_b32 v52, v21 offset:136
	s_cmp_lt_i32 s22, 36
	v_mov_b32_e32 v50, 34
	s_cbranch_scc1 .LBB84_576
; %bb.574:
	v_add_u32_e32 v55, 0x8c, v21
	v_mov_b32_e32 v50, 34
	s_mov_b32 s0, 35
.LBB84_575:                             ; =>This Inner Loop Header: Depth=1
	ds_read_b32 v56, v55
	v_mov_b32_e32 v57, s0
	s_add_i32 s0, s0, 1
	v_add_u32_e32 v55, 4, v55
	s_cmp_lg_u32 s22, s0
	s_waitcnt lgkmcnt(0)
	v_cmp_lt_f32_e64 vcc, |v52|, |v56|
	s_nop 1
	v_cndmask_b32_e32 v52, v52, v56, vcc
	v_cndmask_b32_e32 v50, v50, v57, vcc
	s_cbranch_scc1 .LBB84_575
.LBB84_576:
	s_waitcnt lgkmcnt(0)
	v_cmp_eq_f32_e32 vcc, 0, v52
	s_and_saveexec_b64 s[0:1], vcc
	s_xor_b64 s[0:1], exec, s[0:1]
; %bb.577:
	v_cmp_ne_u32_e32 vcc, 0, v54
	s_nop 1
	v_cndmask_b32_e32 v54, 35, v54, vcc
; %bb.578:
	s_andn2_saveexec_b64 s[0:1], s[0:1]
	s_cbranch_execz .LBB84_580
; %bb.579:
	v_div_scale_f32 v55, s[2:3], v52, v52, 1.0
	v_rcp_f32_e32 v56, v55
	v_div_scale_f32 v57, vcc, 1.0, v52, 1.0
	v_fma_f32 v58, -v55, v56, 1.0
	v_fmac_f32_e32 v56, v58, v56
	v_mul_f32_e32 v58, v57, v56
	v_fma_f32 v59, -v55, v58, v57
	v_fmac_f32_e32 v58, v59, v56
	v_fma_f32 v55, -v55, v58, v57
	v_div_fmas_f32 v55, v55, v56, v58
	v_div_fixup_f32 v52, v55, v52, 1.0
.LBB84_580:
	s_or_b64 exec, exec, s[0:1]
	v_cmp_ne_u32_e32 vcc, v53, v50
	s_and_saveexec_b64 s[0:1], vcc
	s_xor_b64 s[0:1], exec, s[0:1]
	s_cbranch_execz .LBB84_586
; %bb.581:
	v_cmp_eq_u32_e32 vcc, 34, v53
	s_and_saveexec_b64 s[2:3], vcc
	s_cbranch_execz .LBB84_585
; %bb.582:
	v_cmp_ne_u32_e32 vcc, 34, v50
	s_xor_b64 s[18:19], s[16:17], -1
	s_and_b64 s[20:21], s[18:19], vcc
	s_and_saveexec_b64 s[18:19], s[20:21]
	s_cbranch_execz .LBB84_584
; %bb.583:
	v_ashrrev_i32_e32 v51, 31, v50
	v_lshl_add_u64 v[56:57], v[50:51], 2, v[22:23]
	global_load_dword v51, v[56:57], off
	global_load_dword v53, v[22:23], off offset:136
	s_waitcnt vmcnt(1)
	global_store_dword v[22:23], v51, off offset:136
	s_waitcnt vmcnt(1)
	global_store_dword v[56:57], v53, off
.LBB84_584:
	s_or_b64 exec, exec, s[18:19]
	v_mov_b32_e32 v51, v50
	v_mov_b32_e32 v53, v50
.LBB84_585:
	s_or_b64 exec, exec, s[2:3]
.LBB84_586:
	s_andn2_saveexec_b64 s[0:1], s[0:1]
	s_cbranch_execz .LBB84_588
; %bb.587:
	v_mov_b32_e32 v53, 34
	s_waitcnt vmcnt(6)
	ds_write2_b32 v21, v44, v45 offset0:35 offset1:36
	s_waitcnt vmcnt(4)
	ds_write2_b32 v21, v40, v41 offset0:37 offset1:38
	;; [unrolled: 2-line block ×4, first 2 shown]
.LBB84_588:
	s_or_b64 exec, exec, s[0:1]
	v_cmp_lt_i32_e32 vcc, 34, v53
	s_waitcnt lgkmcnt(0)
	s_barrier
	s_and_saveexec_b64 s[0:1], vcc
	s_cbranch_execz .LBB84_590
; %bb.589:
	ds_read2_b32 v[56:57], v21 offset0:35 offset1:36
	ds_read2_b32 v[58:59], v21 offset0:37 offset1:38
	;; [unrolled: 1-line block ×4, first 2 shown]
	v_mul_f32_e32 v50, v52, v49
	s_waitcnt vmcnt(6) lgkmcnt(3)
	v_pk_fma_f32 v[44:45], v[50:51], v[56:57], v[44:45] op_sel_hi:[0,1,1] neg_lo:[1,0,0] neg_hi:[1,0,0]
	s_waitcnt vmcnt(4) lgkmcnt(2)
	v_pk_fma_f32 v[40:41], v[50:51], v[58:59], v[40:41] op_sel_hi:[0,1,1] neg_lo:[1,0,0] neg_hi:[1,0,0]
	;; [unrolled: 2-line block ×4, first 2 shown]
	v_mov_b32_e32 v49, v50
.LBB84_590:
	s_or_b64 exec, exec, s[0:1]
	v_lshl_add_u32 v50, v53, 2, v21
	s_barrier
	s_waitcnt vmcnt(7)
	ds_write_b32 v50, v44
	s_waitcnt lgkmcnt(0)
	s_barrier
	ds_read_b32 v52, v21 offset:140
	s_cmp_lt_i32 s22, 37
	v_mov_b32_e32 v50, 35
	s_cbranch_scc1 .LBB84_593
; %bb.591:
	v_add_u32_e32 v55, 0x90, v21
	v_mov_b32_e32 v50, 35
	s_mov_b32 s0, 36
.LBB84_592:                             ; =>This Inner Loop Header: Depth=1
	ds_read_b32 v56, v55
	v_mov_b32_e32 v57, s0
	s_add_i32 s0, s0, 1
	v_add_u32_e32 v55, 4, v55
	s_cmp_lg_u32 s22, s0
	s_waitcnt lgkmcnt(0)
	v_cmp_lt_f32_e64 vcc, |v52|, |v56|
	s_nop 1
	v_cndmask_b32_e32 v52, v52, v56, vcc
	v_cndmask_b32_e32 v50, v50, v57, vcc
	s_cbranch_scc1 .LBB84_592
.LBB84_593:
	s_waitcnt lgkmcnt(0)
	v_cmp_eq_f32_e32 vcc, 0, v52
	s_and_saveexec_b64 s[0:1], vcc
	s_xor_b64 s[0:1], exec, s[0:1]
; %bb.594:
	v_cmp_ne_u32_e32 vcc, 0, v54
	s_nop 1
	v_cndmask_b32_e32 v54, 36, v54, vcc
; %bb.595:
	s_andn2_saveexec_b64 s[0:1], s[0:1]
	s_cbranch_execz .LBB84_597
; %bb.596:
	v_div_scale_f32 v55, s[2:3], v52, v52, 1.0
	v_rcp_f32_e32 v56, v55
	v_div_scale_f32 v57, vcc, 1.0, v52, 1.0
	v_fma_f32 v58, -v55, v56, 1.0
	v_fmac_f32_e32 v56, v58, v56
	v_mul_f32_e32 v58, v57, v56
	v_fma_f32 v59, -v55, v58, v57
	v_fmac_f32_e32 v58, v59, v56
	v_fma_f32 v55, -v55, v58, v57
	v_div_fmas_f32 v55, v55, v56, v58
	v_div_fixup_f32 v52, v55, v52, 1.0
.LBB84_597:
	s_or_b64 exec, exec, s[0:1]
	v_cmp_ne_u32_e32 vcc, v53, v50
	s_and_saveexec_b64 s[0:1], vcc
	s_xor_b64 s[0:1], exec, s[0:1]
	s_cbranch_execz .LBB84_603
; %bb.598:
	v_cmp_eq_u32_e32 vcc, 35, v53
	s_and_saveexec_b64 s[2:3], vcc
	s_cbranch_execz .LBB84_602
; %bb.599:
	v_cmp_ne_u32_e32 vcc, 35, v50
	s_xor_b64 s[18:19], s[16:17], -1
	s_and_b64 s[20:21], s[18:19], vcc
	s_and_saveexec_b64 s[18:19], s[20:21]
	s_cbranch_execz .LBB84_601
; %bb.600:
	v_ashrrev_i32_e32 v51, 31, v50
	v_lshl_add_u64 v[56:57], v[50:51], 2, v[22:23]
	global_load_dword v51, v[56:57], off
	global_load_dword v53, v[22:23], off offset:140
	s_waitcnt vmcnt(1)
	global_store_dword v[22:23], v51, off offset:140
	s_waitcnt vmcnt(1)
	global_store_dword v[56:57], v53, off
.LBB84_601:
	s_or_b64 exec, exec, s[18:19]
	v_mov_b32_e32 v51, v50
	v_mov_b32_e32 v53, v50
.LBB84_602:
	s_or_b64 exec, exec, s[2:3]
.LBB84_603:
	s_andn2_saveexec_b64 s[0:1], s[0:1]
	s_cbranch_execz .LBB84_605
; %bb.604:
	s_waitcnt vmcnt(4)
	v_pk_mov_b32 v[56:57], v[44:45], v[40:41] op_sel:[1,0]
	ds_write2_b32 v21, v56, v57 offset0:36 offset1:37
	s_waitcnt vmcnt(2)
	v_pk_mov_b32 v[56:57], v[40:41], v[38:39] op_sel:[1,0]
	ds_write2_b32 v21, v56, v57 offset0:38 offset1:39
	s_waitcnt vmcnt(0)
	v_pk_mov_b32 v[56:57], v[38:39], v[46:47] op_sel:[1,0]
	v_mov_b32_e32 v53, 35
	ds_write2_b32 v21, v56, v57 offset0:40 offset1:41
	ds_write_b32 v21, v47 offset:168
.LBB84_605:
	s_or_b64 exec, exec, s[0:1]
	v_cmp_lt_i32_e32 vcc, 35, v53
	s_waitcnt lgkmcnt(0)
	s_barrier
	s_and_saveexec_b64 s[0:1], vcc
	s_cbranch_execz .LBB84_607
; %bb.606:
	ds_read_b32 v50, v21 offset:144
	ds_read2_b32 v[56:57], v21 offset0:37 offset1:38
	ds_read2_b32 v[58:59], v21 offset0:39 offset1:40
	;; [unrolled: 1-line block ×3, first 2 shown]
	v_mul_f32_e32 v44, v52, v44
	s_waitcnt vmcnt(6) lgkmcnt(3)
	v_fma_f32 v45, -v44, v50, v45
	s_waitcnt vmcnt(4) lgkmcnt(2)
	v_pk_fma_f32 v[40:41], v[44:45], v[56:57], v[40:41] op_sel_hi:[0,1,1] neg_lo:[1,0,0] neg_hi:[1,0,0]
	s_waitcnt vmcnt(2) lgkmcnt(1)
	v_pk_fma_f32 v[38:39], v[44:45], v[58:59], v[38:39] op_sel_hi:[0,1,1] neg_lo:[1,0,0] neg_hi:[1,0,0]
	;; [unrolled: 2-line block ×3, first 2 shown]
.LBB84_607:
	s_or_b64 exec, exec, s[0:1]
	v_lshl_add_u32 v50, v53, 2, v21
	s_barrier
	s_waitcnt vmcnt(6)
	ds_write_b32 v50, v45
	s_waitcnt lgkmcnt(0)
	s_barrier
	ds_read_b32 v52, v21 offset:144
	s_cmp_lt_i32 s22, 38
	v_mov_b32_e32 v50, 36
	s_cbranch_scc1 .LBB84_610
; %bb.608:
	v_add_u32_e32 v55, 0x94, v21
	v_mov_b32_e32 v50, 36
	s_mov_b32 s0, 37
.LBB84_609:                             ; =>This Inner Loop Header: Depth=1
	ds_read_b32 v56, v55
	v_mov_b32_e32 v57, s0
	s_add_i32 s0, s0, 1
	v_add_u32_e32 v55, 4, v55
	s_cmp_lg_u32 s22, s0
	s_waitcnt lgkmcnt(0)
	v_cmp_lt_f32_e64 vcc, |v52|, |v56|
	s_nop 1
	v_cndmask_b32_e32 v52, v52, v56, vcc
	v_cndmask_b32_e32 v50, v50, v57, vcc
	s_cbranch_scc1 .LBB84_609
.LBB84_610:
	s_waitcnt lgkmcnt(0)
	v_cmp_eq_f32_e32 vcc, 0, v52
	s_and_saveexec_b64 s[0:1], vcc
	s_xor_b64 s[0:1], exec, s[0:1]
; %bb.611:
	v_cmp_ne_u32_e32 vcc, 0, v54
	s_nop 1
	v_cndmask_b32_e32 v54, 37, v54, vcc
; %bb.612:
	s_andn2_saveexec_b64 s[0:1], s[0:1]
	s_cbranch_execz .LBB84_614
; %bb.613:
	v_div_scale_f32 v55, s[2:3], v52, v52, 1.0
	v_rcp_f32_e32 v56, v55
	v_div_scale_f32 v57, vcc, 1.0, v52, 1.0
	v_fma_f32 v58, -v55, v56, 1.0
	v_fmac_f32_e32 v56, v58, v56
	v_mul_f32_e32 v58, v57, v56
	v_fma_f32 v59, -v55, v58, v57
	v_fmac_f32_e32 v58, v59, v56
	v_fma_f32 v55, -v55, v58, v57
	v_div_fmas_f32 v55, v55, v56, v58
	v_div_fixup_f32 v52, v55, v52, 1.0
.LBB84_614:
	s_or_b64 exec, exec, s[0:1]
	v_cmp_ne_u32_e32 vcc, v53, v50
	s_and_saveexec_b64 s[0:1], vcc
	s_xor_b64 s[0:1], exec, s[0:1]
	s_cbranch_execz .LBB84_620
; %bb.615:
	v_cmp_eq_u32_e32 vcc, 36, v53
	s_and_saveexec_b64 s[2:3], vcc
	s_cbranch_execz .LBB84_619
; %bb.616:
	v_cmp_ne_u32_e32 vcc, 36, v50
	s_xor_b64 s[18:19], s[16:17], -1
	s_and_b64 s[20:21], s[18:19], vcc
	s_and_saveexec_b64 s[18:19], s[20:21]
	s_cbranch_execz .LBB84_618
; %bb.617:
	v_ashrrev_i32_e32 v51, 31, v50
	v_lshl_add_u64 v[56:57], v[50:51], 2, v[22:23]
	global_load_dword v51, v[56:57], off
	global_load_dword v53, v[22:23], off offset:144
	s_waitcnt vmcnt(1)
	global_store_dword v[22:23], v51, off offset:144
	s_waitcnt vmcnt(1)
	global_store_dword v[56:57], v53, off
.LBB84_618:
	s_or_b64 exec, exec, s[18:19]
	v_mov_b32_e32 v51, v50
	v_mov_b32_e32 v53, v50
.LBB84_619:
	s_or_b64 exec, exec, s[2:3]
.LBB84_620:
	s_andn2_saveexec_b64 s[0:1], s[0:1]
	s_cbranch_execz .LBB84_622
; %bb.621:
	v_mov_b32_e32 v53, 36
	s_waitcnt vmcnt(4)
	ds_write2_b32 v21, v40, v41 offset0:37 offset1:38
	s_waitcnt vmcnt(2)
	ds_write2_b32 v21, v38, v39 offset0:39 offset1:40
	;; [unrolled: 2-line block ×3, first 2 shown]
.LBB84_622:
	s_or_b64 exec, exec, s[0:1]
	v_cmp_lt_i32_e32 vcc, 36, v53
	s_waitcnt lgkmcnt(0)
	s_barrier
	s_and_saveexec_b64 s[0:1], vcc
	s_cbranch_execz .LBB84_624
; %bb.623:
	ds_read2_b32 v[56:57], v21 offset0:37 offset1:38
	ds_read2_b32 v[58:59], v21 offset0:39 offset1:40
	;; [unrolled: 1-line block ×3, first 2 shown]
	v_mul_f32_e32 v50, v52, v45
	v_mov_b32_e32 v45, v50
	s_waitcnt vmcnt(4) lgkmcnt(2)
	v_pk_fma_f32 v[40:41], v[50:51], v[56:57], v[40:41] op_sel_hi:[0,1,1] neg_lo:[1,0,0] neg_hi:[1,0,0]
	s_waitcnt vmcnt(2) lgkmcnt(1)
	v_pk_fma_f32 v[38:39], v[50:51], v[58:59], v[38:39] op_sel_hi:[0,1,1] neg_lo:[1,0,0] neg_hi:[1,0,0]
	;; [unrolled: 2-line block ×3, first 2 shown]
.LBB84_624:
	s_or_b64 exec, exec, s[0:1]
	v_lshl_add_u32 v50, v53, 2, v21
	s_barrier
	s_waitcnt vmcnt(5)
	ds_write_b32 v50, v40
	s_waitcnt lgkmcnt(0)
	s_barrier
	ds_read_b32 v52, v21 offset:148
	s_cmp_lt_i32 s22, 39
	v_mov_b32_e32 v50, 37
	s_cbranch_scc1 .LBB84_627
; %bb.625:
	v_add_u32_e32 v55, 0x98, v21
	v_mov_b32_e32 v50, 37
	s_mov_b32 s0, 38
.LBB84_626:                             ; =>This Inner Loop Header: Depth=1
	ds_read_b32 v56, v55
	v_mov_b32_e32 v57, s0
	s_add_i32 s0, s0, 1
	v_add_u32_e32 v55, 4, v55
	s_cmp_lg_u32 s22, s0
	s_waitcnt lgkmcnt(0)
	v_cmp_lt_f32_e64 vcc, |v52|, |v56|
	s_nop 1
	v_cndmask_b32_e32 v52, v52, v56, vcc
	v_cndmask_b32_e32 v50, v50, v57, vcc
	s_cbranch_scc1 .LBB84_626
.LBB84_627:
	s_waitcnt lgkmcnt(0)
	v_cmp_eq_f32_e32 vcc, 0, v52
	s_and_saveexec_b64 s[0:1], vcc
	s_xor_b64 s[0:1], exec, s[0:1]
; %bb.628:
	v_cmp_ne_u32_e32 vcc, 0, v54
	s_nop 1
	v_cndmask_b32_e32 v54, 38, v54, vcc
; %bb.629:
	s_andn2_saveexec_b64 s[0:1], s[0:1]
	s_cbranch_execz .LBB84_631
; %bb.630:
	v_div_scale_f32 v55, s[2:3], v52, v52, 1.0
	v_rcp_f32_e32 v56, v55
	v_div_scale_f32 v57, vcc, 1.0, v52, 1.0
	v_fma_f32 v58, -v55, v56, 1.0
	v_fmac_f32_e32 v56, v58, v56
	v_mul_f32_e32 v58, v57, v56
	v_fma_f32 v59, -v55, v58, v57
	v_fmac_f32_e32 v58, v59, v56
	v_fma_f32 v55, -v55, v58, v57
	v_div_fmas_f32 v55, v55, v56, v58
	v_div_fixup_f32 v52, v55, v52, 1.0
.LBB84_631:
	s_or_b64 exec, exec, s[0:1]
	v_cmp_ne_u32_e32 vcc, v53, v50
	s_and_saveexec_b64 s[0:1], vcc
	s_xor_b64 s[0:1], exec, s[0:1]
	s_cbranch_execz .LBB84_637
; %bb.632:
	v_cmp_eq_u32_e32 vcc, 37, v53
	s_and_saveexec_b64 s[2:3], vcc
	s_cbranch_execz .LBB84_636
; %bb.633:
	v_cmp_ne_u32_e32 vcc, 37, v50
	s_xor_b64 s[18:19], s[16:17], -1
	s_and_b64 s[20:21], s[18:19], vcc
	s_and_saveexec_b64 s[18:19], s[20:21]
	s_cbranch_execz .LBB84_635
; %bb.634:
	v_ashrrev_i32_e32 v51, 31, v50
	v_lshl_add_u64 v[56:57], v[50:51], 2, v[22:23]
	global_load_dword v51, v[56:57], off
	global_load_dword v53, v[22:23], off offset:148
	s_waitcnt vmcnt(1)
	global_store_dword v[22:23], v51, off offset:148
	s_waitcnt vmcnt(1)
	global_store_dword v[56:57], v53, off
.LBB84_635:
	s_or_b64 exec, exec, s[18:19]
	v_mov_b32_e32 v51, v50
	v_mov_b32_e32 v53, v50
.LBB84_636:
	s_or_b64 exec, exec, s[2:3]
.LBB84_637:
	s_andn2_saveexec_b64 s[0:1], s[0:1]
	s_cbranch_execz .LBB84_639
; %bb.638:
	s_waitcnt vmcnt(2)
	v_pk_mov_b32 v[56:57], v[40:41], v[38:39] op_sel:[1,0]
	ds_write2_b32 v21, v56, v57 offset0:38 offset1:39
	s_waitcnt vmcnt(0)
	v_pk_mov_b32 v[56:57], v[38:39], v[46:47] op_sel:[1,0]
	v_mov_b32_e32 v53, 37
	ds_write2_b32 v21, v56, v57 offset0:40 offset1:41
	ds_write_b32 v21, v47 offset:168
.LBB84_639:
	s_or_b64 exec, exec, s[0:1]
	v_cmp_lt_i32_e32 vcc, 37, v53
	s_waitcnt lgkmcnt(0)
	s_barrier
	s_and_saveexec_b64 s[0:1], vcc
	s_cbranch_execz .LBB84_641
; %bb.640:
	ds_read_b32 v50, v21 offset:152
	ds_read2_b32 v[56:57], v21 offset0:39 offset1:40
	ds_read2_b32 v[58:59], v21 offset0:41 offset1:42
	v_mul_f32_e32 v40, v52, v40
	s_waitcnt vmcnt(4) lgkmcnt(2)
	v_fma_f32 v41, -v40, v50, v41
	s_waitcnt vmcnt(2) lgkmcnt(1)
	v_pk_fma_f32 v[38:39], v[40:41], v[56:57], v[38:39] op_sel_hi:[0,1,1] neg_lo:[1,0,0] neg_hi:[1,0,0]
	s_waitcnt vmcnt(0) lgkmcnt(0)
	v_pk_fma_f32 v[46:47], v[40:41], v[58:59], v[46:47] op_sel_hi:[0,1,1] neg_lo:[1,0,0] neg_hi:[1,0,0]
.LBB84_641:
	s_or_b64 exec, exec, s[0:1]
	v_lshl_add_u32 v50, v53, 2, v21
	s_barrier
	s_waitcnt vmcnt(4)
	ds_write_b32 v50, v41
	s_waitcnt lgkmcnt(0)
	s_barrier
	ds_read_b32 v52, v21 offset:152
	s_cmp_lt_i32 s22, 40
	v_mov_b32_e32 v50, 38
	s_cbranch_scc1 .LBB84_644
; %bb.642:
	v_add_u32_e32 v55, 0x9c, v21
	v_mov_b32_e32 v50, 38
	s_mov_b32 s0, 39
.LBB84_643:                             ; =>This Inner Loop Header: Depth=1
	ds_read_b32 v56, v55
	v_mov_b32_e32 v57, s0
	s_add_i32 s0, s0, 1
	v_add_u32_e32 v55, 4, v55
	s_cmp_lg_u32 s22, s0
	s_waitcnt lgkmcnt(0)
	v_cmp_lt_f32_e64 vcc, |v52|, |v56|
	s_nop 1
	v_cndmask_b32_e32 v52, v52, v56, vcc
	v_cndmask_b32_e32 v50, v50, v57, vcc
	s_cbranch_scc1 .LBB84_643
.LBB84_644:
	s_waitcnt lgkmcnt(0)
	v_cmp_eq_f32_e32 vcc, 0, v52
	s_and_saveexec_b64 s[0:1], vcc
	s_xor_b64 s[0:1], exec, s[0:1]
; %bb.645:
	v_cmp_ne_u32_e32 vcc, 0, v54
	s_nop 1
	v_cndmask_b32_e32 v54, 39, v54, vcc
; %bb.646:
	s_andn2_saveexec_b64 s[0:1], s[0:1]
	s_cbranch_execz .LBB84_648
; %bb.647:
	v_div_scale_f32 v55, s[2:3], v52, v52, 1.0
	v_rcp_f32_e32 v56, v55
	v_div_scale_f32 v57, vcc, 1.0, v52, 1.0
	v_fma_f32 v58, -v55, v56, 1.0
	v_fmac_f32_e32 v56, v58, v56
	v_mul_f32_e32 v58, v57, v56
	v_fma_f32 v59, -v55, v58, v57
	v_fmac_f32_e32 v58, v59, v56
	v_fma_f32 v55, -v55, v58, v57
	v_div_fmas_f32 v55, v55, v56, v58
	v_div_fixup_f32 v52, v55, v52, 1.0
.LBB84_648:
	s_or_b64 exec, exec, s[0:1]
	v_cmp_ne_u32_e32 vcc, v53, v50
	s_and_saveexec_b64 s[0:1], vcc
	s_xor_b64 s[0:1], exec, s[0:1]
	s_cbranch_execz .LBB84_654
; %bb.649:
	v_cmp_eq_u32_e32 vcc, 38, v53
	s_and_saveexec_b64 s[2:3], vcc
	s_cbranch_execz .LBB84_653
; %bb.650:
	v_cmp_ne_u32_e32 vcc, 38, v50
	s_xor_b64 s[18:19], s[16:17], -1
	s_and_b64 s[20:21], s[18:19], vcc
	s_and_saveexec_b64 s[18:19], s[20:21]
	s_cbranch_execz .LBB84_652
; %bb.651:
	v_ashrrev_i32_e32 v51, 31, v50
	v_lshl_add_u64 v[56:57], v[50:51], 2, v[22:23]
	global_load_dword v51, v[56:57], off
	global_load_dword v53, v[22:23], off offset:152
	s_waitcnt vmcnt(1)
	global_store_dword v[22:23], v51, off offset:152
	s_waitcnt vmcnt(1)
	global_store_dword v[56:57], v53, off
.LBB84_652:
	s_or_b64 exec, exec, s[18:19]
	v_mov_b32_e32 v51, v50
	v_mov_b32_e32 v53, v50
.LBB84_653:
	s_or_b64 exec, exec, s[2:3]
.LBB84_654:
	s_andn2_saveexec_b64 s[0:1], s[0:1]
	s_cbranch_execz .LBB84_656
; %bb.655:
	v_mov_b32_e32 v53, 38
	s_waitcnt vmcnt(2)
	ds_write2_b32 v21, v38, v39 offset0:39 offset1:40
	s_waitcnt vmcnt(0)
	ds_write2_b32 v21, v46, v47 offset0:41 offset1:42
.LBB84_656:
	s_or_b64 exec, exec, s[0:1]
	v_cmp_lt_i32_e32 vcc, 38, v53
	s_waitcnt lgkmcnt(0)
	s_barrier
	s_and_saveexec_b64 s[0:1], vcc
	s_cbranch_execz .LBB84_658
; %bb.657:
	ds_read2_b32 v[56:57], v21 offset0:39 offset1:40
	ds_read2_b32 v[58:59], v21 offset0:41 offset1:42
	v_mul_f32_e32 v50, v52, v41
	v_mov_b32_e32 v41, v50
	s_waitcnt vmcnt(2) lgkmcnt(1)
	v_pk_fma_f32 v[38:39], v[50:51], v[56:57], v[38:39] op_sel_hi:[0,1,1] neg_lo:[1,0,0] neg_hi:[1,0,0]
	s_waitcnt vmcnt(0) lgkmcnt(0)
	v_pk_fma_f32 v[46:47], v[50:51], v[58:59], v[46:47] op_sel_hi:[0,1,1] neg_lo:[1,0,0] neg_hi:[1,0,0]
.LBB84_658:
	s_or_b64 exec, exec, s[0:1]
	v_lshl_add_u32 v50, v53, 2, v21
	s_barrier
	s_waitcnt vmcnt(3)
	ds_write_b32 v50, v38
	s_waitcnt lgkmcnt(0)
	s_barrier
	ds_read_b32 v52, v21 offset:156
	s_cmp_lt_i32 s22, 41
	v_mov_b32_e32 v50, 39
	s_cbranch_scc1 .LBB84_661
; %bb.659:
	v_add_u32_e32 v55, 0xa0, v21
	v_mov_b32_e32 v50, 39
	s_mov_b32 s0, 40
.LBB84_660:                             ; =>This Inner Loop Header: Depth=1
	ds_read_b32 v56, v55
	v_mov_b32_e32 v57, s0
	s_add_i32 s0, s0, 1
	v_add_u32_e32 v55, 4, v55
	s_cmp_lg_u32 s22, s0
	s_waitcnt lgkmcnt(0)
	v_cmp_lt_f32_e64 vcc, |v52|, |v56|
	s_nop 1
	v_cndmask_b32_e32 v52, v52, v56, vcc
	v_cndmask_b32_e32 v50, v50, v57, vcc
	s_cbranch_scc1 .LBB84_660
.LBB84_661:
	s_waitcnt lgkmcnt(0)
	v_cmp_eq_f32_e32 vcc, 0, v52
	s_and_saveexec_b64 s[0:1], vcc
	s_xor_b64 s[0:1], exec, s[0:1]
; %bb.662:
	v_cmp_ne_u32_e32 vcc, 0, v54
	s_nop 1
	v_cndmask_b32_e32 v54, 40, v54, vcc
; %bb.663:
	s_andn2_saveexec_b64 s[0:1], s[0:1]
	s_cbranch_execz .LBB84_665
; %bb.664:
	v_div_scale_f32 v55, s[2:3], v52, v52, 1.0
	v_rcp_f32_e32 v56, v55
	v_div_scale_f32 v57, vcc, 1.0, v52, 1.0
	v_fma_f32 v58, -v55, v56, 1.0
	v_fmac_f32_e32 v56, v58, v56
	v_mul_f32_e32 v58, v57, v56
	v_fma_f32 v59, -v55, v58, v57
	v_fmac_f32_e32 v58, v59, v56
	v_fma_f32 v55, -v55, v58, v57
	v_div_fmas_f32 v55, v55, v56, v58
	v_div_fixup_f32 v52, v55, v52, 1.0
.LBB84_665:
	s_or_b64 exec, exec, s[0:1]
	v_cmp_ne_u32_e32 vcc, v53, v50
	s_and_saveexec_b64 s[0:1], vcc
	s_xor_b64 s[0:1], exec, s[0:1]
	s_cbranch_execz .LBB84_671
; %bb.666:
	v_cmp_eq_u32_e32 vcc, 39, v53
	s_and_saveexec_b64 s[2:3], vcc
	s_cbranch_execz .LBB84_670
; %bb.667:
	v_cmp_ne_u32_e32 vcc, 39, v50
	s_xor_b64 s[18:19], s[16:17], -1
	s_and_b64 s[20:21], s[18:19], vcc
	s_and_saveexec_b64 s[18:19], s[20:21]
	s_cbranch_execz .LBB84_669
; %bb.668:
	v_ashrrev_i32_e32 v51, 31, v50
	v_lshl_add_u64 v[56:57], v[50:51], 2, v[22:23]
	global_load_dword v51, v[56:57], off
	global_load_dword v53, v[22:23], off offset:156
	s_waitcnt vmcnt(1)
	global_store_dword v[22:23], v51, off offset:156
	s_waitcnt vmcnt(1)
	global_store_dword v[56:57], v53, off
.LBB84_669:
	s_or_b64 exec, exec, s[18:19]
	v_mov_b32_e32 v51, v50
	v_mov_b32_e32 v53, v50
.LBB84_670:
	s_or_b64 exec, exec, s[2:3]
.LBB84_671:
	s_andn2_saveexec_b64 s[0:1], s[0:1]
	s_cbranch_execz .LBB84_673
; %bb.672:
	s_waitcnt vmcnt(0)
	v_pk_mov_b32 v[56:57], v[38:39], v[46:47] op_sel:[1,0]
	v_mov_b32_e32 v53, 39
	ds_write2_b32 v21, v56, v57 offset0:40 offset1:41
	ds_write_b32 v21, v47 offset:168
.LBB84_673:
	s_or_b64 exec, exec, s[0:1]
	v_cmp_lt_i32_e32 vcc, 39, v53
	s_waitcnt lgkmcnt(0)
	s_barrier
	s_and_saveexec_b64 s[0:1], vcc
	s_cbranch_execz .LBB84_675
; %bb.674:
	ds_read_b32 v50, v21 offset:160
	ds_read2_b32 v[56:57], v21 offset0:41 offset1:42
	v_mul_f32_e32 v38, v52, v38
	s_waitcnt vmcnt(2) lgkmcnt(1)
	v_fma_f32 v39, -v38, v50, v39
	s_waitcnt vmcnt(0) lgkmcnt(0)
	v_pk_fma_f32 v[46:47], v[38:39], v[56:57], v[46:47] op_sel_hi:[0,1,1] neg_lo:[1,0,0] neg_hi:[1,0,0]
.LBB84_675:
	s_or_b64 exec, exec, s[0:1]
	v_lshl_add_u32 v50, v53, 2, v21
	s_barrier
	s_waitcnt vmcnt(2)
	ds_write_b32 v50, v39
	s_waitcnt lgkmcnt(0)
	s_barrier
	ds_read_b32 v52, v21 offset:160
	s_cmp_lt_i32 s22, 42
	v_mov_b32_e32 v50, 40
	s_cbranch_scc1 .LBB84_678
; %bb.676:
	v_add_u32_e32 v55, 0xa4, v21
	v_mov_b32_e32 v50, 40
	s_mov_b32 s0, 41
.LBB84_677:                             ; =>This Inner Loop Header: Depth=1
	ds_read_b32 v56, v55
	v_mov_b32_e32 v57, s0
	s_add_i32 s0, s0, 1
	v_add_u32_e32 v55, 4, v55
	s_cmp_lg_u32 s22, s0
	s_waitcnt lgkmcnt(0)
	v_cmp_lt_f32_e64 vcc, |v52|, |v56|
	s_nop 1
	v_cndmask_b32_e32 v52, v52, v56, vcc
	v_cndmask_b32_e32 v50, v50, v57, vcc
	s_cbranch_scc1 .LBB84_677
.LBB84_678:
	s_waitcnt lgkmcnt(0)
	v_cmp_eq_f32_e32 vcc, 0, v52
	s_and_saveexec_b64 s[0:1], vcc
	s_xor_b64 s[0:1], exec, s[0:1]
; %bb.679:
	v_cmp_ne_u32_e32 vcc, 0, v54
	s_nop 1
	v_cndmask_b32_e32 v54, 41, v54, vcc
; %bb.680:
	s_andn2_saveexec_b64 s[0:1], s[0:1]
	s_cbranch_execz .LBB84_682
; %bb.681:
	v_div_scale_f32 v55, s[2:3], v52, v52, 1.0
	v_rcp_f32_e32 v56, v55
	v_div_scale_f32 v57, vcc, 1.0, v52, 1.0
	v_fma_f32 v58, -v55, v56, 1.0
	v_fmac_f32_e32 v56, v58, v56
	v_mul_f32_e32 v58, v57, v56
	v_fma_f32 v59, -v55, v58, v57
	v_fmac_f32_e32 v58, v59, v56
	v_fma_f32 v55, -v55, v58, v57
	v_div_fmas_f32 v55, v55, v56, v58
	v_div_fixup_f32 v52, v55, v52, 1.0
.LBB84_682:
	s_or_b64 exec, exec, s[0:1]
	v_cmp_ne_u32_e32 vcc, v53, v50
	s_and_saveexec_b64 s[0:1], vcc
	s_xor_b64 s[0:1], exec, s[0:1]
	s_cbranch_execz .LBB84_688
; %bb.683:
	v_cmp_eq_u32_e32 vcc, 40, v53
	s_and_saveexec_b64 s[2:3], vcc
	s_cbranch_execz .LBB84_687
; %bb.684:
	v_cmp_ne_u32_e32 vcc, 40, v50
	s_xor_b64 s[18:19], s[16:17], -1
	s_and_b64 s[20:21], s[18:19], vcc
	s_and_saveexec_b64 s[18:19], s[20:21]
	s_cbranch_execz .LBB84_686
; %bb.685:
	v_ashrrev_i32_e32 v51, 31, v50
	v_lshl_add_u64 v[56:57], v[50:51], 2, v[22:23]
	global_load_dword v51, v[56:57], off
	global_load_dword v53, v[22:23], off offset:160
	s_waitcnt vmcnt(1)
	global_store_dword v[22:23], v51, off offset:160
	s_waitcnt vmcnt(1)
	global_store_dword v[56:57], v53, off
.LBB84_686:
	s_or_b64 exec, exec, s[18:19]
	v_mov_b32_e32 v51, v50
	v_mov_b32_e32 v53, v50
.LBB84_687:
	s_or_b64 exec, exec, s[2:3]
.LBB84_688:
	s_andn2_saveexec_b64 s[0:1], s[0:1]
	s_cbranch_execz .LBB84_690
; %bb.689:
	v_mov_b32_e32 v53, 40
	s_waitcnt vmcnt(0)
	ds_write2_b32 v21, v46, v47 offset0:41 offset1:42
.LBB84_690:
	s_or_b64 exec, exec, s[0:1]
	v_cmp_lt_i32_e32 vcc, 40, v53
	s_waitcnt lgkmcnt(0)
	s_barrier
	s_and_saveexec_b64 s[0:1], vcc
	s_cbranch_execz .LBB84_692
; %bb.691:
	ds_read2_b32 v[56:57], v21 offset0:41 offset1:42
	v_mul_f32_e32 v50, v52, v39
	v_mov_b32_e32 v39, v50
	s_waitcnt vmcnt(0) lgkmcnt(0)
	v_pk_fma_f32 v[46:47], v[50:51], v[56:57], v[46:47] op_sel_hi:[0,1,1] neg_lo:[1,0,0] neg_hi:[1,0,0]
.LBB84_692:
	s_or_b64 exec, exec, s[0:1]
	v_lshl_add_u32 v50, v53, 2, v21
	s_barrier
	s_waitcnt vmcnt(1)
	ds_write_b32 v50, v46
	s_waitcnt lgkmcnt(0)
	s_barrier
	ds_read_b32 v52, v21 offset:164
	s_cmp_lt_i32 s22, 43
	v_mov_b32_e32 v50, 41
	s_cbranch_scc1 .LBB84_695
; %bb.693:
	v_add_u32_e32 v55, 0xa8, v21
	v_mov_b32_e32 v50, 41
	s_mov_b32 s0, 42
.LBB84_694:                             ; =>This Inner Loop Header: Depth=1
	ds_read_b32 v56, v55
	v_mov_b32_e32 v57, s0
	s_add_i32 s0, s0, 1
	v_add_u32_e32 v55, 4, v55
	s_cmp_lg_u32 s22, s0
	s_waitcnt lgkmcnt(0)
	v_cmp_lt_f32_e64 vcc, |v52|, |v56|
	s_nop 1
	v_cndmask_b32_e32 v52, v52, v56, vcc
	v_cndmask_b32_e32 v50, v50, v57, vcc
	s_cbranch_scc1 .LBB84_694
.LBB84_695:
	s_waitcnt lgkmcnt(0)
	v_cmp_eq_f32_e32 vcc, 0, v52
	s_and_saveexec_b64 s[0:1], vcc
	s_xor_b64 s[0:1], exec, s[0:1]
; %bb.696:
	v_cmp_ne_u32_e32 vcc, 0, v54
	s_nop 1
	v_cndmask_b32_e32 v54, 42, v54, vcc
; %bb.697:
	s_andn2_saveexec_b64 s[0:1], s[0:1]
	s_cbranch_execz .LBB84_699
; %bb.698:
	v_div_scale_f32 v55, s[2:3], v52, v52, 1.0
	v_rcp_f32_e32 v56, v55
	v_div_scale_f32 v57, vcc, 1.0, v52, 1.0
	v_fma_f32 v58, -v55, v56, 1.0
	v_fmac_f32_e32 v56, v58, v56
	v_mul_f32_e32 v58, v57, v56
	v_fma_f32 v59, -v55, v58, v57
	v_fmac_f32_e32 v58, v59, v56
	v_fma_f32 v55, -v55, v58, v57
	v_div_fmas_f32 v55, v55, v56, v58
	v_div_fixup_f32 v52, v55, v52, 1.0
.LBB84_699:
	s_or_b64 exec, exec, s[0:1]
	v_cmp_ne_u32_e32 vcc, v53, v50
	s_and_saveexec_b64 s[0:1], vcc
	s_xor_b64 s[0:1], exec, s[0:1]
	s_cbranch_execz .LBB84_705
; %bb.700:
	v_cmp_eq_u32_e32 vcc, 41, v53
	s_and_saveexec_b64 s[2:3], vcc
	s_cbranch_execz .LBB84_704
; %bb.701:
	v_cmp_ne_u32_e32 vcc, 41, v50
	s_xor_b64 s[18:19], s[16:17], -1
	s_and_b64 s[20:21], s[18:19], vcc
	s_and_saveexec_b64 s[18:19], s[20:21]
	s_cbranch_execz .LBB84_703
; %bb.702:
	v_ashrrev_i32_e32 v51, 31, v50
	v_lshl_add_u64 v[56:57], v[50:51], 2, v[22:23]
	global_load_dword v51, v[56:57], off
	global_load_dword v53, v[22:23], off offset:164
	s_waitcnt vmcnt(1)
	global_store_dword v[22:23], v51, off offset:164
	s_waitcnt vmcnt(1)
	global_store_dword v[56:57], v53, off
.LBB84_703:
	s_or_b64 exec, exec, s[18:19]
	v_mov_b32_e32 v51, v50
	v_mov_b32_e32 v53, v50
.LBB84_704:
	s_or_b64 exec, exec, s[2:3]
.LBB84_705:
	s_andn2_saveexec_b64 s[0:1], s[0:1]
	s_cbranch_execz .LBB84_707
; %bb.706:
	v_mov_b32_e32 v53, 41
	s_waitcnt vmcnt(0)
	ds_write_b32 v21, v47 offset:168
.LBB84_707:
	s_or_b64 exec, exec, s[0:1]
	v_cmp_lt_i32_e32 vcc, 41, v53
	s_waitcnt lgkmcnt(0)
	s_barrier
	s_and_saveexec_b64 s[0:1], vcc
	s_cbranch_execz .LBB84_709
; %bb.708:
	ds_read_b32 v50, v21 offset:168
	v_mul_f32_e32 v46, v52, v46
	s_waitcnt vmcnt(0) lgkmcnt(0)
	v_fma_f32 v47, -v46, v50, v47
.LBB84_709:
	s_or_b64 exec, exec, s[0:1]
	v_lshl_add_u32 v50, v53, 2, v21
	s_barrier
	s_waitcnt vmcnt(0)
	ds_write_b32 v50, v47
	s_waitcnt lgkmcnt(0)
	s_barrier
	ds_read_b32 v55, v21 offset:168
	s_cmp_lt_i32 s22, 44
	v_mov_b32_e32 v50, 42
	s_cbranch_scc1 .LBB84_712
; %bb.710:
	v_add_u32_e32 v21, 0xac, v21
	v_mov_b32_e32 v50, 42
	s_mov_b32 s0, 43
.LBB84_711:                             ; =>This Inner Loop Header: Depth=1
	ds_read_b32 v52, v21
	v_mov_b32_e32 v56, s0
	s_add_i32 s0, s0, 1
	v_add_u32_e32 v21, 4, v21
	s_cmp_lg_u32 s22, s0
	s_waitcnt lgkmcnt(0)
	v_cmp_lt_f32_e64 vcc, |v55|, |v52|
	s_nop 1
	v_cndmask_b32_e32 v55, v55, v52, vcc
	v_cndmask_b32_e32 v50, v50, v56, vcc
	s_cbranch_scc1 .LBB84_711
.LBB84_712:
	s_waitcnt lgkmcnt(0)
	v_cmp_eq_f32_e32 vcc, 0, v55
	s_and_saveexec_b64 s[0:1], vcc
	s_xor_b64 s[0:1], exec, s[0:1]
; %bb.713:
	v_cmp_ne_u32_e32 vcc, 0, v54
	s_nop 1
	v_cndmask_b32_e32 v54, 43, v54, vcc
; %bb.714:
	s_andn2_saveexec_b64 s[0:1], s[0:1]
	s_cbranch_execz .LBB84_716
; %bb.715:
	v_div_scale_f32 v21, s[2:3], v55, v55, 1.0
	v_rcp_f32_e32 v52, v21
	v_div_scale_f32 v56, vcc, 1.0, v55, 1.0
	v_fma_f32 v57, -v21, v52, 1.0
	v_fmac_f32_e32 v52, v57, v52
	v_mul_f32_e32 v57, v56, v52
	v_fma_f32 v58, -v21, v57, v56
	v_fmac_f32_e32 v57, v58, v52
	v_fma_f32 v21, -v21, v57, v56
	v_div_fmas_f32 v21, v21, v52, v57
	v_div_fixup_f32 v55, v21, v55, 1.0
.LBB84_716:
	s_or_b64 exec, exec, s[0:1]
	v_cmp_ne_u32_e32 vcc, v53, v50
	v_mov_b32_e32 v52, 42
	s_and_saveexec_b64 s[0:1], vcc
	s_cbranch_execz .LBB84_722
; %bb.717:
	v_cmp_eq_u32_e32 vcc, 42, v53
	s_and_saveexec_b64 s[2:3], vcc
	s_cbranch_execz .LBB84_721
; %bb.718:
	v_cmp_ne_u32_e32 vcc, 42, v50
	s_xor_b64 s[16:17], s[16:17], -1
	s_and_b64 s[18:19], s[16:17], vcc
	s_and_saveexec_b64 s[16:17], s[18:19]
	s_cbranch_execz .LBB84_720
; %bb.719:
	v_ashrrev_i32_e32 v51, 31, v50
	v_lshl_add_u64 v[52:53], v[50:51], 2, v[22:23]
	global_load_dword v21, v[52:53], off
	global_load_dword v51, v[22:23], off offset:168
	s_waitcnt vmcnt(1)
	global_store_dword v[22:23], v21, off offset:168
	s_waitcnt vmcnt(1)
	global_store_dword v[52:53], v51, off
.LBB84_720:
	s_or_b64 exec, exec, s[16:17]
	v_mov_b32_e32 v51, v50
	v_mov_b32_e32 v53, v50
.LBB84_721:
	s_or_b64 exec, exec, s[2:3]
	v_mov_b32_e32 v52, v53
.LBB84_722:
	s_or_b64 exec, exec, s[0:1]
	v_cmp_gt_i32_e32 vcc, 43, v52
	v_ashrrev_i32_e32 v53, 31, v52
	s_barrier
	s_barrier
	s_and_saveexec_b64 s[0:1], vcc
	s_cbranch_execz .LBB84_724
; %bb.723:
	v_mul_lo_u32 v21, s11, v4
	v_mul_lo_u32 v50, s10, v5
	v_mad_u64_u32 v[56:57], s[2:3], s10, v4, 0
	v_mov_b32_e32 v22, s6
	v_mov_b32_e32 v23, s7
	v_add3_u32 v57, v57, v50, v21
	v_lshl_add_u64 v[22:23], v[56:57], 2, v[22:23]
	v_lshl_add_u64 v[22:23], s[8:9], 2, v[22:23]
	;; [unrolled: 1-line block ×3, first 2 shown]
	v_add3_u32 v21, v51, s15, 1
	global_store_dword v[22:23], v21, off
.LBB84_724:
	s_or_b64 exec, exec, s[0:1]
	v_cmp_eq_u32_e32 vcc, 0, v52
	s_and_saveexec_b64 s[2:3], vcc
	s_cbranch_execz .LBB84_727
; %bb.725:
	v_mov_b32_e32 v22, s4
	v_mov_b32_e32 v23, s5
	v_lshl_add_u64 v[4:5], v[4:5], 2, v[22:23]
	global_load_dword v21, v[4:5], off
	v_cmp_ne_u32_e64 s[0:1], 0, v54
	s_waitcnt vmcnt(0)
	v_cmp_eq_u32_e32 vcc, 0, v21
	s_and_b64 s[0:1], vcc, s[0:1]
	s_and_b64 exec, exec, s[0:1]
	s_cbranch_execz .LBB84_727
; %bb.726:
	v_add_u32_e32 v21, s15, v54
	global_store_dword v[4:5], v21, off
.LBB84_727:
	s_or_b64 exec, exec, s[2:3]
	v_mul_f32_e32 v4, v55, v47
	v_cmp_lt_i32_e32 vcc, 42, v52
	s_nop 1
	v_cndmask_b32_e32 v22, v47, v4, vcc
	v_lshl_add_u64 v[4:5], v[52:53], 2, v[2:3]
	global_store_dword v[4:5], v20, off
	v_lshl_add_u64 v[4:5], s[12:13], 2, v[4:5]
	global_store_dword v[4:5], v14, off
	v_add_u32_e32 v4, s14, v52
	v_ashrrev_i32_e32 v5, 31, v4
	v_lshl_add_u64 v[20:21], v[4:5], 2, v[2:3]
	v_add_u32_e32 v4, s12, v4
	v_ashrrev_i32_e32 v5, 31, v4
	global_store_dword v[20:21], v15, off
	v_lshl_add_u64 v[14:15], v[4:5], 2, v[2:3]
	v_add_u32_e32 v4, s12, v4
	v_ashrrev_i32_e32 v5, 31, v4
	global_store_dword v[14:15], v10, off
	;; [unrolled: 4-line block ×6, first 2 shown]
	v_lshl_add_u64 v[6:7], v[4:5], 2, v[2:3]
	v_add_u32_e32 v0, s12, v4
	global_store_dword v[6:7], v1, off
	v_ashrrev_i32_e32 v1, 31, v0
	v_lshl_add_u64 v[4:5], v[0:1], 2, v[2:3]
	v_add_u32_e32 v0, s12, v0
	v_ashrrev_i32_e32 v1, 31, v0
	global_store_dword v[4:5], v28, off
	v_lshl_add_u64 v[4:5], v[0:1], 2, v[2:3]
	v_add_u32_e32 v0, s12, v0
	v_ashrrev_i32_e32 v1, 31, v0
	global_store_dword v[4:5], v29, off
	v_lshl_add_u64 v[4:5], v[0:1], 2, v[2:3]
	v_add_u32_e32 v0, s12, v0
	v_ashrrev_i32_e32 v1, 31, v0
	global_store_dword v[4:5], v18, off
	v_lshl_add_u64 v[4:5], v[0:1], 2, v[2:3]
	v_add_u32_e32 v0, s12, v0
	v_ashrrev_i32_e32 v1, 31, v0
	global_store_dword v[4:5], v19, off
	v_lshl_add_u64 v[4:5], v[0:1], 2, v[2:3]
	v_add_u32_e32 v0, s12, v0
	v_ashrrev_i32_e32 v1, 31, v0
	global_store_dword v[4:5], v12, off
	v_lshl_add_u64 v[4:5], v[0:1], 2, v[2:3]
	v_add_u32_e32 v0, s12, v0
	v_ashrrev_i32_e32 v1, 31, v0
	global_store_dword v[4:5], v13, off
	v_lshl_add_u64 v[4:5], v[0:1], 2, v[2:3]
	v_add_u32_e32 v0, s12, v0
	v_ashrrev_i32_e32 v1, 31, v0
	global_store_dword v[4:5], v8, off
	v_lshl_add_u64 v[4:5], v[0:1], 2, v[2:3]
	v_add_u32_e32 v0, s12, v0
	v_ashrrev_i32_e32 v1, 31, v0
	global_store_dword v[4:5], v9, off
	v_lshl_add_u64 v[4:5], v[0:1], 2, v[2:3]
	v_add_u32_e32 v0, s12, v0
	v_ashrrev_i32_e32 v1, 31, v0
	global_store_dword v[4:5], v34, off
	v_lshl_add_u64 v[4:5], v[0:1], 2, v[2:3]
	v_add_u32_e32 v0, s12, v0
	v_ashrrev_i32_e32 v1, 31, v0
	global_store_dword v[4:5], v35, off
	v_lshl_add_u64 v[4:5], v[0:1], 2, v[2:3]
	v_add_u32_e32 v0, s12, v0
	v_ashrrev_i32_e32 v1, 31, v0
	global_store_dword v[4:5], v30, off
	v_lshl_add_u64 v[4:5], v[0:1], 2, v[2:3]
	v_add_u32_e32 v0, s12, v0
	v_ashrrev_i32_e32 v1, 31, v0
	global_store_dword v[4:5], v31, off
	v_lshl_add_u64 v[4:5], v[0:1], 2, v[2:3]
	v_add_u32_e32 v0, s12, v0
	v_ashrrev_i32_e32 v1, 31, v0
	global_store_dword v[4:5], v24, off
	v_lshl_add_u64 v[4:5], v[0:1], 2, v[2:3]
	v_add_u32_e32 v0, s12, v0
	v_ashrrev_i32_e32 v1, 31, v0
	global_store_dword v[4:5], v25, off
	v_lshl_add_u64 v[4:5], v[0:1], 2, v[2:3]
	v_add_u32_e32 v0, s12, v0
	v_ashrrev_i32_e32 v1, 31, v0
	global_store_dword v[4:5], v16, off
	v_lshl_add_u64 v[4:5], v[0:1], 2, v[2:3]
	v_add_u32_e32 v0, s12, v0
	v_ashrrev_i32_e32 v1, 31, v0
	global_store_dword v[4:5], v17, off
	v_lshl_add_u64 v[4:5], v[0:1], 2, v[2:3]
	v_add_u32_e32 v0, s12, v0
	v_ashrrev_i32_e32 v1, 31, v0
	global_store_dword v[4:5], v42, off
	v_lshl_add_u64 v[4:5], v[0:1], 2, v[2:3]
	v_add_u32_e32 v0, s12, v0
	v_ashrrev_i32_e32 v1, 31, v0
	global_store_dword v[4:5], v43, off
	v_lshl_add_u64 v[4:5], v[0:1], 2, v[2:3]
	v_add_u32_e32 v0, s12, v0
	v_ashrrev_i32_e32 v1, 31, v0
	global_store_dword v[4:5], v36, off
	v_lshl_add_u64 v[4:5], v[0:1], 2, v[2:3]
	v_add_u32_e32 v0, s12, v0
	v_ashrrev_i32_e32 v1, 31, v0
	global_store_dword v[4:5], v37, off
	v_lshl_add_u64 v[4:5], v[0:1], 2, v[2:3]
	v_add_u32_e32 v0, s12, v0
	v_ashrrev_i32_e32 v1, 31, v0
	global_store_dword v[4:5], v32, off
	v_lshl_add_u64 v[4:5], v[0:1], 2, v[2:3]
	v_add_u32_e32 v0, s12, v0
	v_ashrrev_i32_e32 v1, 31, v0
	global_store_dword v[4:5], v33, off
	v_lshl_add_u64 v[4:5], v[0:1], 2, v[2:3]
	v_add_u32_e32 v0, s12, v0
	v_ashrrev_i32_e32 v1, 31, v0
	global_store_dword v[4:5], v26, off
	v_lshl_add_u64 v[4:5], v[0:1], 2, v[2:3]
	v_add_u32_e32 v0, s12, v0
	v_ashrrev_i32_e32 v1, 31, v0
	global_store_dword v[4:5], v27, off
	v_lshl_add_u64 v[4:5], v[0:1], 2, v[2:3]
	v_add_u32_e32 v0, s12, v0
	v_ashrrev_i32_e32 v1, 31, v0
	global_store_dword v[4:5], v48, off
	v_lshl_add_u64 v[4:5], v[0:1], 2, v[2:3]
	v_add_u32_e32 v0, s12, v0
	v_ashrrev_i32_e32 v1, 31, v0
	global_store_dword v[4:5], v49, off
	v_lshl_add_u64 v[4:5], v[0:1], 2, v[2:3]
	v_add_u32_e32 v0, s12, v0
	v_ashrrev_i32_e32 v1, 31, v0
	global_store_dword v[4:5], v44, off
	v_lshl_add_u64 v[4:5], v[0:1], 2, v[2:3]
	v_add_u32_e32 v0, s12, v0
	v_ashrrev_i32_e32 v1, 31, v0
	global_store_dword v[4:5], v45, off
	v_lshl_add_u64 v[4:5], v[0:1], 2, v[2:3]
	v_add_u32_e32 v0, s12, v0
	v_ashrrev_i32_e32 v1, 31, v0
	global_store_dword v[4:5], v40, off
	v_lshl_add_u64 v[4:5], v[0:1], 2, v[2:3]
	v_add_u32_e32 v0, s12, v0
	v_ashrrev_i32_e32 v1, 31, v0
	global_store_dword v[4:5], v41, off
	v_lshl_add_u64 v[4:5], v[0:1], 2, v[2:3]
	v_add_u32_e32 v0, s12, v0
	v_ashrrev_i32_e32 v1, 31, v0
	global_store_dword v[4:5], v38, off
	v_lshl_add_u64 v[4:5], v[0:1], 2, v[2:3]
	v_add_u32_e32 v0, s12, v0
	v_ashrrev_i32_e32 v1, 31, v0
	global_store_dword v[4:5], v39, off
	v_lshl_add_u64 v[4:5], v[0:1], 2, v[2:3]
	v_add_u32_e32 v0, s12, v0
	v_ashrrev_i32_e32 v1, 31, v0
	v_lshl_add_u64 v[0:1], v[0:1], 2, v[2:3]
	global_store_dword v[4:5], v46, off
	global_store_dword v[0:1], v22, off
.LBB84_728:
	s_endpgm
	.section	.rodata,"a",@progbits
	.p2align	6, 0x0
	.amdhsa_kernel _ZN9rocsolver6v33100L18getf2_small_kernelILi43EfiiPfEEvT1_T3_lS3_lPS3_llPT2_S3_S3_S5_l
		.amdhsa_group_segment_fixed_size 0
		.amdhsa_private_segment_fixed_size 0
		.amdhsa_kernarg_size 352
		.amdhsa_user_sgpr_count 2
		.amdhsa_user_sgpr_dispatch_ptr 0
		.amdhsa_user_sgpr_queue_ptr 0
		.amdhsa_user_sgpr_kernarg_segment_ptr 1
		.amdhsa_user_sgpr_dispatch_id 0
		.amdhsa_user_sgpr_kernarg_preload_length 0
		.amdhsa_user_sgpr_kernarg_preload_offset 0
		.amdhsa_user_sgpr_private_segment_size 0
		.amdhsa_uses_dynamic_stack 0
		.amdhsa_enable_private_segment 0
		.amdhsa_system_sgpr_workgroup_id_x 1
		.amdhsa_system_sgpr_workgroup_id_y 1
		.amdhsa_system_sgpr_workgroup_id_z 0
		.amdhsa_system_sgpr_workgroup_info 0
		.amdhsa_system_vgpr_workitem_id 1
		.amdhsa_next_free_vgpr 68
		.amdhsa_next_free_sgpr 26
		.amdhsa_accum_offset 68
		.amdhsa_reserve_vcc 1
		.amdhsa_float_round_mode_32 0
		.amdhsa_float_round_mode_16_64 0
		.amdhsa_float_denorm_mode_32 3
		.amdhsa_float_denorm_mode_16_64 3
		.amdhsa_dx10_clamp 1
		.amdhsa_ieee_mode 1
		.amdhsa_fp16_overflow 0
		.amdhsa_tg_split 0
		.amdhsa_exception_fp_ieee_invalid_op 0
		.amdhsa_exception_fp_denorm_src 0
		.amdhsa_exception_fp_ieee_div_zero 0
		.amdhsa_exception_fp_ieee_overflow 0
		.amdhsa_exception_fp_ieee_underflow 0
		.amdhsa_exception_fp_ieee_inexact 0
		.amdhsa_exception_int_div_zero 0
	.end_amdhsa_kernel
	.section	.text._ZN9rocsolver6v33100L18getf2_small_kernelILi43EfiiPfEEvT1_T3_lS3_lPS3_llPT2_S3_S3_S5_l,"axG",@progbits,_ZN9rocsolver6v33100L18getf2_small_kernelILi43EfiiPfEEvT1_T3_lS3_lPS3_llPT2_S3_S3_S5_l,comdat
.Lfunc_end84:
	.size	_ZN9rocsolver6v33100L18getf2_small_kernelILi43EfiiPfEEvT1_T3_lS3_lPS3_llPT2_S3_S3_S5_l, .Lfunc_end84-_ZN9rocsolver6v33100L18getf2_small_kernelILi43EfiiPfEEvT1_T3_lS3_lPS3_llPT2_S3_S3_S5_l
                                        ; -- End function
	.set _ZN9rocsolver6v33100L18getf2_small_kernelILi43EfiiPfEEvT1_T3_lS3_lPS3_llPT2_S3_S3_S5_l.num_vgpr, 68
	.set _ZN9rocsolver6v33100L18getf2_small_kernelILi43EfiiPfEEvT1_T3_lS3_lPS3_llPT2_S3_S3_S5_l.num_agpr, 0
	.set _ZN9rocsolver6v33100L18getf2_small_kernelILi43EfiiPfEEvT1_T3_lS3_lPS3_llPT2_S3_S3_S5_l.numbered_sgpr, 26
	.set _ZN9rocsolver6v33100L18getf2_small_kernelILi43EfiiPfEEvT1_T3_lS3_lPS3_llPT2_S3_S3_S5_l.num_named_barrier, 0
	.set _ZN9rocsolver6v33100L18getf2_small_kernelILi43EfiiPfEEvT1_T3_lS3_lPS3_llPT2_S3_S3_S5_l.private_seg_size, 0
	.set _ZN9rocsolver6v33100L18getf2_small_kernelILi43EfiiPfEEvT1_T3_lS3_lPS3_llPT2_S3_S3_S5_l.uses_vcc, 1
	.set _ZN9rocsolver6v33100L18getf2_small_kernelILi43EfiiPfEEvT1_T3_lS3_lPS3_llPT2_S3_S3_S5_l.uses_flat_scratch, 0
	.set _ZN9rocsolver6v33100L18getf2_small_kernelILi43EfiiPfEEvT1_T3_lS3_lPS3_llPT2_S3_S3_S5_l.has_dyn_sized_stack, 0
	.set _ZN9rocsolver6v33100L18getf2_small_kernelILi43EfiiPfEEvT1_T3_lS3_lPS3_llPT2_S3_S3_S5_l.has_recursion, 0
	.set _ZN9rocsolver6v33100L18getf2_small_kernelILi43EfiiPfEEvT1_T3_lS3_lPS3_llPT2_S3_S3_S5_l.has_indirect_call, 0
	.section	.AMDGPU.csdata,"",@progbits
; Kernel info:
; codeLenInByte = 35784
; TotalNumSgprs: 32
; NumVgprs: 68
; NumAgprs: 0
; TotalNumVgprs: 68
; ScratchSize: 0
; MemoryBound: 0
; FloatMode: 240
; IeeeMode: 1
; LDSByteSize: 0 bytes/workgroup (compile time only)
; SGPRBlocks: 3
; VGPRBlocks: 8
; NumSGPRsForWavesPerEU: 32
; NumVGPRsForWavesPerEU: 68
; AccumOffset: 68
; Occupancy: 7
; WaveLimiterHint : 0
; COMPUTE_PGM_RSRC2:SCRATCH_EN: 0
; COMPUTE_PGM_RSRC2:USER_SGPR: 2
; COMPUTE_PGM_RSRC2:TRAP_HANDLER: 0
; COMPUTE_PGM_RSRC2:TGID_X_EN: 1
; COMPUTE_PGM_RSRC2:TGID_Y_EN: 1
; COMPUTE_PGM_RSRC2:TGID_Z_EN: 0
; COMPUTE_PGM_RSRC2:TIDIG_COMP_CNT: 1
; COMPUTE_PGM_RSRC3_GFX90A:ACCUM_OFFSET: 16
; COMPUTE_PGM_RSRC3_GFX90A:TG_SPLIT: 0
	.section	.text._ZN9rocsolver6v33100L23getf2_npvt_small_kernelILi43EfiiPfEEvT1_T3_lS3_lPT2_S3_S3_,"axG",@progbits,_ZN9rocsolver6v33100L23getf2_npvt_small_kernelILi43EfiiPfEEvT1_T3_lS3_lPT2_S3_S3_,comdat
	.globl	_ZN9rocsolver6v33100L23getf2_npvt_small_kernelILi43EfiiPfEEvT1_T3_lS3_lPT2_S3_S3_ ; -- Begin function _ZN9rocsolver6v33100L23getf2_npvt_small_kernelILi43EfiiPfEEvT1_T3_lS3_lPT2_S3_S3_
	.p2align	8
	.type	_ZN9rocsolver6v33100L23getf2_npvt_small_kernelILi43EfiiPfEEvT1_T3_lS3_lPT2_S3_S3_,@function
_ZN9rocsolver6v33100L23getf2_npvt_small_kernelILi43EfiiPfEEvT1_T3_lS3_lPT2_S3_S3_: ; @_ZN9rocsolver6v33100L23getf2_npvt_small_kernelILi43EfiiPfEEvT1_T3_lS3_lPT2_S3_S3_
; %bb.0:
	s_load_dword s2, s[0:1], 0x44
	s_load_dwordx2 s[8:9], s[0:1], 0x30
	v_bfe_u32 v132, v0, 10, 10
	s_waitcnt lgkmcnt(0)
	s_lshr_b32 s10, s2, 16
	s_mul_i32 s3, s3, s10
	v_add_u32_e32 v34, s3, v132
	v_cmp_gt_i32_e32 vcc, s8, v34
	s_and_saveexec_b64 s[2:3], vcc
	s_cbranch_execz .LBB85_239
; %bb.1:
	s_load_dwordx4 s[12:15], s[0:1], 0x8
	s_load_dword s2, s[0:1], 0x18
	s_load_dwordx4 s[4:7], s[0:1], 0x20
	v_and_b32_e32 v25, 0x3ff, v0
	v_ashrrev_i32_e32 v35, 31, v34
	s_waitcnt lgkmcnt(0)
	v_mov_b32_e32 v2, s12
	v_mov_b32_e32 v3, s13
	v_mad_u64_u32 v[0:1], s[0:1], s4, v34, 0
	s_add_i32 s0, s2, s2
	s_nop 0
	v_add_u32_e32 v6, s0, v25
	v_add_u32_e32 v8, s2, v6
	;; [unrolled: 1-line block ×34, first 2 shown]
	v_mul_lo_u32 v4, s5, v34
	v_mul_lo_u32 v5, s4, v35
	v_add_u32_e32 v110, s2, v108
	v_add3_u32 v1, v1, v5, v4
	v_add_u32_e32 v112, s2, v110
	v_lshl_add_u64 v[0:1], v[0:1], 2, v[2:3]
	v_add_u32_e32 v114, s2, v112
	v_lshl_add_u64 v[128:129], s[14:15], 2, v[0:1]
	v_lshlrev_b32_e32 v0, 2, v25
	v_mov_b32_e32 v1, 0
	v_ashrrev_i32_e32 v7, 31, v6
	v_ashrrev_i32_e32 v9, 31, v8
	;; [unrolled: 1-line block ×31, first 2 shown]
	v_add_u32_e32 v124, s2, v114
	s_ashr_i32 s3, s2, 31
	v_lshl_add_u64 v[0:1], v[128:129], 0, v[0:1]
	v_lshl_add_u64 v[4:5], v[6:7], 2, v[128:129]
	;; [unrolled: 1-line block ×32, first 2 shown]
	v_ashrrev_i32_e32 v105, 31, v104
	v_ashrrev_i32_e32 v107, 31, v106
	;; [unrolled: 1-line block ×7, first 2 shown]
	v_lshl_add_u64 v[2:3], s[2:3], 2, v[0:1]
	global_load_dword v24, v[0:1], off
	global_load_dword v18, v[2:3], off
	;; [unrolled: 1-line block ×32, first 2 shown]
	v_lshl_add_u64 v[102:103], v[104:105], 2, v[128:129]
	v_lshl_add_u64 v[104:105], v[106:107], 2, v[128:129]
	;; [unrolled: 1-line block ×7, first 2 shown]
	global_load_dword v93, v[100:101], off
	global_load_dword v118, v[102:103], off
	;; [unrolled: 1-line block ×8, first 2 shown]
	v_add_u32_e32 v126, s2, v124
	v_add_u32_e32 v130, s2, v126
	v_ashrrev_i32_e32 v127, 31, v126
	v_ashrrev_i32_e32 v131, 31, v130
	v_lshl_add_u64 v[124:125], v[126:127], 2, v[128:129]
	v_lshl_add_u64 v[126:127], v[130:131], 2, v[128:129]
	v_add_u32_e32 v130, s2, v130
	v_ashrrev_i32_e32 v131, 31, v130
	v_lshl_add_u64 v[128:129], v[130:131], 2, v[128:129]
	global_load_dword v121, v[124:125], off
	global_load_dword v130, v[126:127], off
	;; [unrolled: 1-line block ×3, first 2 shown]
	s_mulk_i32 s10, 0xac
	v_cmp_eq_u32_e64 s[0:1], 0, v25
	v_cmp_ne_u32_e64 s[2:3], 0, v25
	s_movk_i32 s11, 0xac
	s_add_i32 s8, s10, 0
	s_and_saveexec_b64 s[4:5], s[2:3]
	s_xor_b64 s[4:5], exec, s[4:5]
	s_or_saveexec_b64 s[4:5], s[4:5]
	v_mad_u32_u24 v133, v132, s11, 0
	v_lshl_add_u32 v132, v132, 2, s8
	s_xor_b64 exec, exec, s[4:5]
	s_cbranch_execz .LBB85_5
; %bb.2:
	s_waitcnt vmcnt(42)
	ds_write_b32 v132, v24
	s_waitcnt vmcnt(40)
	ds_write2_b32 v133, v18, v19 offset0:1 offset1:2
	s_waitcnt vmcnt(38)
	ds_write2_b32 v133, v20, v21 offset0:3 offset1:4
	s_waitcnt vmcnt(36)
	ds_write2_b32 v133, v22, v23 offset0:5 offset1:6
	s_waitcnt vmcnt(34)
	ds_write2_b32 v133, v16, v17 offset0:7 offset1:8
	s_waitcnt vmcnt(32)
	ds_write2_b32 v133, v46, v47 offset0:9 offset1:10
	s_waitcnt vmcnt(30)
	ds_write2_b32 v133, v50, v51 offset0:11 offset1:12
	s_waitcnt vmcnt(28)
	ds_write2_b32 v133, v44, v45 offset0:13 offset1:14
	s_waitcnt vmcnt(26)
	ds_write2_b32 v133, v48, v49 offset0:15 offset1:16
	s_waitcnt vmcnt(24)
	ds_write2_b32 v133, v74, v75 offset0:17 offset1:18
	s_waitcnt vmcnt(22)
	ds_write2_b32 v133, v68, v69 offset0:19 offset1:20
	s_waitcnt vmcnt(20)
	ds_write2_b32 v133, v70, v71 offset0:21 offset1:22
	s_waitcnt vmcnt(18)
	ds_write2_b32 v133, v72, v73 offset0:23 offset1:24
	s_waitcnt vmcnt(16)
	ds_write2_b32 v133, v94, v95 offset0:25 offset1:26
	s_waitcnt vmcnt(14)
	ds_write2_b32 v133, v96, v97 offset0:27 offset1:28
	s_waitcnt vmcnt(12)
	ds_write2_b32 v133, v98, v99 offset0:29 offset1:30
	s_waitcnt vmcnt(10)
	ds_write2_b32 v133, v92, v93 offset0:31 offset1:32
	s_waitcnt vmcnt(8)
	ds_write2_b32 v133, v118, v119 offset0:33 offset1:34
	s_waitcnt vmcnt(6)
	ds_write2_b32 v133, v122, v123 offset0:35 offset1:36
	s_waitcnt vmcnt(4)
	ds_write2_b32 v133, v116, v117 offset0:37 offset1:38
	s_waitcnt vmcnt(2)
	ds_write2_b32 v133, v120, v121 offset0:39 offset1:40
	s_waitcnt vmcnt(0)
	ds_write2_b32 v133, v130, v131 offset0:41 offset1:42
	ds_read_b32 v134, v132
	s_waitcnt lgkmcnt(0)
	v_cmp_neq_f32_e32 vcc, 0, v134
	s_and_saveexec_b64 s[10:11], vcc
	s_cbranch_execz .LBB85_4
; %bb.3:
	v_div_scale_f32 v135, s[12:13], v134, v134, 1.0
	v_rcp_f32_e32 v136, v135
	v_div_scale_f32 v137, vcc, 1.0, v134, 1.0
	v_fma_f32 v138, -v135, v136, 1.0
	v_fmac_f32_e32 v136, v138, v136
	v_mul_f32_e32 v138, v137, v136
	v_fma_f32 v139, -v135, v138, v137
	v_fmac_f32_e32 v138, v139, v136
	v_fma_f32 v135, -v135, v138, v137
	v_div_fmas_f32 v135, v135, v136, v138
	v_div_fixup_f32 v134, v135, v134, 1.0
	ds_write_b32 v132, v134
.LBB85_4:
	s_or_b64 exec, exec, s[10:11]
.LBB85_5:
	s_or_b64 exec, exec, s[4:5]
	s_waitcnt lgkmcnt(0)
	s_barrier
	ds_read_b32 v134, v132
	s_and_saveexec_b64 s[4:5], s[2:3]
	s_cbranch_execz .LBB85_7
; %bb.6:
	ds_read2_b32 v[136:137], v133 offset0:1 offset1:2
	ds_read2_b32 v[138:139], v133 offset0:3 offset1:4
	;; [unrolled: 1-line block ×3, first 2 shown]
	s_waitcnt vmcnt(42) lgkmcnt(3)
	v_mul_f32_e32 v24, v134, v24
	ds_read2_b32 v[142:143], v133 offset0:7 offset1:8
	s_waitcnt vmcnt(40) lgkmcnt(3)
	v_pk_fma_f32 v[18:19], v[24:25], v[136:137], v[18:19] op_sel_hi:[0,1,1] neg_lo:[1,0,0] neg_hi:[1,0,0]
	s_waitcnt vmcnt(38) lgkmcnt(2)
	v_pk_fma_f32 v[20:21], v[24:25], v[138:139], v[20:21] op_sel_hi:[0,1,1] neg_lo:[1,0,0] neg_hi:[1,0,0]
	s_waitcnt vmcnt(36) lgkmcnt(1)
	v_pk_fma_f32 v[22:23], v[24:25], v[140:141], v[22:23] op_sel_hi:[0,1,1] neg_lo:[1,0,0] neg_hi:[1,0,0]
	ds_read2_b32 v[136:137], v133 offset0:9 offset1:10
	ds_read2_b32 v[138:139], v133 offset0:11 offset1:12
	;; [unrolled: 1-line block ×3, first 2 shown]
	s_waitcnt vmcnt(34) lgkmcnt(3)
	v_pk_fma_f32 v[16:17], v[24:25], v[142:143], v[16:17] op_sel_hi:[0,1,1] neg_lo:[1,0,0] neg_hi:[1,0,0]
	ds_read2_b32 v[142:143], v133 offset0:15 offset1:16
	s_waitcnt vmcnt(32) lgkmcnt(3)
	v_pk_fma_f32 v[46:47], v[24:25], v[136:137], v[46:47] op_sel_hi:[0,1,1] neg_lo:[1,0,0] neg_hi:[1,0,0]
	s_waitcnt vmcnt(30) lgkmcnt(2)
	v_pk_fma_f32 v[50:51], v[24:25], v[138:139], v[50:51] op_sel_hi:[0,1,1] neg_lo:[1,0,0] neg_hi:[1,0,0]
	;; [unrolled: 2-line block ×3, first 2 shown]
	ds_read2_b32 v[136:137], v133 offset0:17 offset1:18
	ds_read2_b32 v[138:139], v133 offset0:19 offset1:20
	;; [unrolled: 1-line block ×3, first 2 shown]
	s_waitcnt vmcnt(26) lgkmcnt(3)
	v_pk_fma_f32 v[48:49], v[24:25], v[142:143], v[48:49] op_sel_hi:[0,1,1] neg_lo:[1,0,0] neg_hi:[1,0,0]
	ds_read2_b32 v[142:143], v133 offset0:23 offset1:24
	s_waitcnt vmcnt(24) lgkmcnt(3)
	v_pk_fma_f32 v[74:75], v[24:25], v[136:137], v[74:75] op_sel_hi:[0,1,1] neg_lo:[1,0,0] neg_hi:[1,0,0]
	s_waitcnt vmcnt(22) lgkmcnt(2)
	v_pk_fma_f32 v[68:69], v[24:25], v[138:139], v[68:69] op_sel_hi:[0,1,1] neg_lo:[1,0,0] neg_hi:[1,0,0]
	s_waitcnt vmcnt(20) lgkmcnt(1)
	v_pk_fma_f32 v[70:71], v[24:25], v[140:141], v[70:71] op_sel_hi:[0,1,1] neg_lo:[1,0,0] neg_hi:[1,0,0]
	ds_read2_b32 v[136:137], v133 offset0:25 offset1:26
	ds_read2_b32 v[138:139], v133 offset0:27 offset1:28
	;; [unrolled: 1-line block ×4, first 2 shown]
	s_waitcnt vmcnt(18) lgkmcnt(4)
	v_pk_fma_f32 v[72:73], v[24:25], v[142:143], v[72:73] op_sel_hi:[0,1,1] neg_lo:[1,0,0] neg_hi:[1,0,0]
	s_waitcnt vmcnt(16) lgkmcnt(3)
	v_pk_fma_f32 v[94:95], v[24:25], v[136:137], v[94:95] op_sel_hi:[0,1,1] neg_lo:[1,0,0] neg_hi:[1,0,0]
	s_waitcnt vmcnt(14) lgkmcnt(2)
	v_pk_fma_f32 v[96:97], v[24:25], v[138:139], v[96:97] op_sel_hi:[0,1,1] neg_lo:[1,0,0] neg_hi:[1,0,0]
	s_waitcnt vmcnt(12) lgkmcnt(1)
	v_pk_fma_f32 v[98:99], v[24:25], v[140:141], v[98:99] op_sel_hi:[0,1,1] neg_lo:[1,0,0] neg_hi:[1,0,0]
	s_waitcnt vmcnt(10) lgkmcnt(0)
	v_pk_fma_f32 v[92:93], v[24:25], v[144:145], v[92:93] op_sel_hi:[0,1,1] neg_lo:[1,0,0] neg_hi:[1,0,0]
	ds_read2_b32 v[136:137], v133 offset0:33 offset1:34
	ds_read2_b32 v[138:139], v133 offset0:35 offset1:36
	;; [unrolled: 1-line block ×5, first 2 shown]
	s_waitcnt vmcnt(8) lgkmcnt(4)
	v_pk_fma_f32 v[118:119], v[24:25], v[136:137], v[118:119] op_sel_hi:[0,1,1] neg_lo:[1,0,0] neg_hi:[1,0,0]
	s_waitcnt vmcnt(6) lgkmcnt(3)
	v_pk_fma_f32 v[122:123], v[24:25], v[138:139], v[122:123] op_sel_hi:[0,1,1] neg_lo:[1,0,0] neg_hi:[1,0,0]
	;; [unrolled: 2-line block ×5, first 2 shown]
.LBB85_7:
	s_or_b64 exec, exec, s[4:5]
	v_cmp_eq_u32_e32 vcc, 1, v25
	s_waitcnt lgkmcnt(0)
	s_barrier
	s_and_saveexec_b64 s[2:3], vcc
	s_cbranch_execz .LBB85_10
; %bb.8:
	s_waitcnt vmcnt(38)
	v_pk_mov_b32 v[136:137], v[18:19], v[20:21] op_sel:[1,0]
	ds_write_b32 v132, v18
	ds_write2_b32 v133, v136, v137 offset0:2 offset1:3
	s_waitcnt vmcnt(36)
	v_pk_mov_b32 v[136:137], v[20:21], v[22:23] op_sel:[1,0]
	ds_write2_b32 v133, v136, v137 offset0:4 offset1:5
	s_waitcnt vmcnt(34)
	v_pk_mov_b32 v[136:137], v[22:23], v[16:17] op_sel:[1,0]
	;; [unrolled: 3-line block ×19, first 2 shown]
	ds_write2_b32 v133, v136, v137 offset0:40 offset1:41
	ds_write_b32 v133, v131 offset:168
	ds_read_b32 v135, v132
	s_waitcnt lgkmcnt(0)
	v_cmp_neq_f32_e32 vcc, 0, v135
	s_and_b64 exec, exec, vcc
	s_cbranch_execz .LBB85_10
; %bb.9:
	v_div_scale_f32 v136, s[4:5], v135, v135, 1.0
	v_rcp_f32_e32 v137, v136
	v_div_scale_f32 v138, vcc, 1.0, v135, 1.0
	v_fma_f32 v139, -v136, v137, 1.0
	v_fmac_f32_e32 v137, v139, v137
	v_mul_f32_e32 v139, v138, v137
	v_fma_f32 v140, -v136, v139, v138
	v_fmac_f32_e32 v139, v140, v137
	v_fma_f32 v136, -v136, v139, v138
	v_div_fmas_f32 v136, v136, v137, v139
	v_div_fixup_f32 v135, v136, v135, 1.0
	ds_write_b32 v132, v135
.LBB85_10:
	s_or_b64 exec, exec, s[2:3]
	s_waitcnt lgkmcnt(0)
	s_barrier
	ds_read_b32 v135, v132
	v_cmp_lt_u32_e32 vcc, 1, v25
	s_and_saveexec_b64 s[2:3], vcc
	s_cbranch_execz .LBB85_12
; %bb.11:
	ds_read_b32 v142, v133 offset:8
	ds_read2_b32 v[136:137], v133 offset0:3 offset1:4
	ds_read2_b32 v[138:139], v133 offset0:5 offset1:6
	s_waitcnt vmcnt(41) lgkmcnt(3)
	v_mul_f32_e32 v18, v135, v18
	ds_read2_b32 v[140:141], v133 offset0:7 offset1:8
	s_waitcnt vmcnt(40) lgkmcnt(3)
	v_fma_f32 v19, -v18, v142, v19
	s_waitcnt vmcnt(38) lgkmcnt(2)
	v_pk_fma_f32 v[20:21], v[18:19], v[136:137], v[20:21] op_sel_hi:[0,1,1] neg_lo:[1,0,0] neg_hi:[1,0,0]
	s_waitcnt vmcnt(36) lgkmcnt(1)
	v_pk_fma_f32 v[22:23], v[18:19], v[138:139], v[22:23] op_sel_hi:[0,1,1] neg_lo:[1,0,0] neg_hi:[1,0,0]
	ds_read2_b32 v[136:137], v133 offset0:9 offset1:10
	ds_read2_b32 v[138:139], v133 offset0:11 offset1:12
	;; [unrolled: 1-line block ×3, first 2 shown]
	s_waitcnt vmcnt(34) lgkmcnt(3)
	v_pk_fma_f32 v[16:17], v[18:19], v[140:141], v[16:17] op_sel_hi:[0,1,1] neg_lo:[1,0,0] neg_hi:[1,0,0]
	ds_read2_b32 v[140:141], v133 offset0:15 offset1:16
	s_waitcnt vmcnt(32) lgkmcnt(3)
	v_pk_fma_f32 v[46:47], v[18:19], v[136:137], v[46:47] op_sel_hi:[0,1,1] neg_lo:[1,0,0] neg_hi:[1,0,0]
	s_waitcnt vmcnt(30) lgkmcnt(2)
	v_pk_fma_f32 v[50:51], v[18:19], v[138:139], v[50:51] op_sel_hi:[0,1,1] neg_lo:[1,0,0] neg_hi:[1,0,0]
	;; [unrolled: 2-line block ×3, first 2 shown]
	ds_read2_b32 v[136:137], v133 offset0:17 offset1:18
	ds_read2_b32 v[138:139], v133 offset0:19 offset1:20
	;; [unrolled: 1-line block ×3, first 2 shown]
	s_waitcnt vmcnt(26) lgkmcnt(3)
	v_pk_fma_f32 v[48:49], v[18:19], v[140:141], v[48:49] op_sel_hi:[0,1,1] neg_lo:[1,0,0] neg_hi:[1,0,0]
	ds_read2_b32 v[140:141], v133 offset0:23 offset1:24
	s_waitcnt vmcnt(24) lgkmcnt(3)
	v_pk_fma_f32 v[74:75], v[18:19], v[136:137], v[74:75] op_sel_hi:[0,1,1] neg_lo:[1,0,0] neg_hi:[1,0,0]
	s_waitcnt vmcnt(22) lgkmcnt(2)
	v_pk_fma_f32 v[68:69], v[18:19], v[138:139], v[68:69] op_sel_hi:[0,1,1] neg_lo:[1,0,0] neg_hi:[1,0,0]
	;; [unrolled: 2-line block ×3, first 2 shown]
	ds_read2_b32 v[136:137], v133 offset0:25 offset1:26
	ds_read2_b32 v[138:139], v133 offset0:27 offset1:28
	;; [unrolled: 1-line block ×4, first 2 shown]
	s_waitcnt vmcnt(18) lgkmcnt(4)
	v_pk_fma_f32 v[72:73], v[18:19], v[140:141], v[72:73] op_sel_hi:[0,1,1] neg_lo:[1,0,0] neg_hi:[1,0,0]
	s_waitcnt vmcnt(16) lgkmcnt(3)
	v_pk_fma_f32 v[94:95], v[18:19], v[136:137], v[94:95] op_sel_hi:[0,1,1] neg_lo:[1,0,0] neg_hi:[1,0,0]
	s_waitcnt vmcnt(14) lgkmcnt(2)
	v_pk_fma_f32 v[96:97], v[18:19], v[138:139], v[96:97] op_sel_hi:[0,1,1] neg_lo:[1,0,0] neg_hi:[1,0,0]
	s_waitcnt vmcnt(12) lgkmcnt(1)
	v_pk_fma_f32 v[98:99], v[18:19], v[142:143], v[98:99] op_sel_hi:[0,1,1] neg_lo:[1,0,0] neg_hi:[1,0,0]
	s_waitcnt vmcnt(10) lgkmcnt(0)
	v_pk_fma_f32 v[92:93], v[18:19], v[144:145], v[92:93] op_sel_hi:[0,1,1] neg_lo:[1,0,0] neg_hi:[1,0,0]
	ds_read2_b32 v[136:137], v133 offset0:33 offset1:34
	ds_read2_b32 v[138:139], v133 offset0:35 offset1:36
	ds_read2_b32 v[140:141], v133 offset0:37 offset1:38
	ds_read2_b32 v[142:143], v133 offset0:39 offset1:40
	ds_read2_b32 v[144:145], v133 offset0:41 offset1:42
	s_waitcnt vmcnt(8) lgkmcnt(4)
	v_pk_fma_f32 v[118:119], v[18:19], v[136:137], v[118:119] op_sel_hi:[0,1,1] neg_lo:[1,0,0] neg_hi:[1,0,0]
	s_waitcnt vmcnt(6) lgkmcnt(3)
	v_pk_fma_f32 v[122:123], v[18:19], v[138:139], v[122:123] op_sel_hi:[0,1,1] neg_lo:[1,0,0] neg_hi:[1,0,0]
	;; [unrolled: 2-line block ×5, first 2 shown]
.LBB85_12:
	s_or_b64 exec, exec, s[2:3]
	v_cmp_eq_u32_e32 vcc, 2, v25
	s_waitcnt lgkmcnt(0)
	s_barrier
	s_and_saveexec_b64 s[2:3], vcc
	s_cbranch_execz .LBB85_15
; %bb.13:
	s_waitcnt vmcnt(40)
	ds_write_b32 v132, v19
	s_waitcnt vmcnt(38)
	ds_write2_b32 v133, v20, v21 offset0:3 offset1:4
	s_waitcnt vmcnt(36)
	ds_write2_b32 v133, v22, v23 offset0:5 offset1:6
	;; [unrolled: 2-line block ×20, first 2 shown]
	ds_read_b32 v136, v132
	s_waitcnt lgkmcnt(0)
	v_cmp_neq_f32_e32 vcc, 0, v136
	s_and_b64 exec, exec, vcc
	s_cbranch_execz .LBB85_15
; %bb.14:
	v_div_scale_f32 v137, s[4:5], v136, v136, 1.0
	v_rcp_f32_e32 v138, v137
	v_div_scale_f32 v139, vcc, 1.0, v136, 1.0
	v_fma_f32 v140, -v137, v138, 1.0
	v_fmac_f32_e32 v138, v140, v138
	v_mul_f32_e32 v140, v139, v138
	v_fma_f32 v141, -v137, v140, v139
	v_fmac_f32_e32 v140, v141, v138
	v_fma_f32 v137, -v137, v140, v139
	v_div_fmas_f32 v137, v137, v138, v140
	v_div_fixup_f32 v136, v137, v136, 1.0
	ds_write_b32 v132, v136
.LBB85_15:
	s_or_b64 exec, exec, s[2:3]
	s_waitcnt lgkmcnt(0)
	s_barrier
	ds_read_b32 v136, v132
	v_cmp_lt_u32_e32 vcc, 2, v25
	s_and_saveexec_b64 s[2:3], vcc
	s_cbranch_execz .LBB85_17
; %bb.16:
	ds_read2_b32 v[138:139], v133 offset0:3 offset1:4
	ds_read2_b32 v[140:141], v133 offset0:5 offset1:6
	;; [unrolled: 1-line block ×3, first 2 shown]
	s_waitcnt vmcnt(40) lgkmcnt(3)
	v_mul_f32_e32 v144, v136, v19
	ds_read2_b32 v[146:147], v133 offset0:9 offset1:10
	s_waitcnt vmcnt(38) lgkmcnt(3)
	v_pk_fma_f32 v[20:21], v[144:145], v[138:139], v[20:21] op_sel_hi:[0,1,1] neg_lo:[1,0,0] neg_hi:[1,0,0]
	s_waitcnt vmcnt(36) lgkmcnt(2)
	v_pk_fma_f32 v[22:23], v[144:145], v[140:141], v[22:23] op_sel_hi:[0,1,1] neg_lo:[1,0,0] neg_hi:[1,0,0]
	s_waitcnt vmcnt(34) lgkmcnt(1)
	v_pk_fma_f32 v[16:17], v[144:145], v[142:143], v[16:17] op_sel_hi:[0,1,1] neg_lo:[1,0,0] neg_hi:[1,0,0]
	ds_read2_b32 v[138:139], v133 offset0:11 offset1:12
	ds_read2_b32 v[140:141], v133 offset0:13 offset1:14
	ds_read2_b32 v[142:143], v133 offset0:15 offset1:16
	s_waitcnt vmcnt(32) lgkmcnt(3)
	v_pk_fma_f32 v[46:47], v[144:145], v[146:147], v[46:47] op_sel_hi:[0,1,1] neg_lo:[1,0,0] neg_hi:[1,0,0]
	ds_read2_b32 v[146:147], v133 offset0:17 offset1:18
	s_waitcnt vmcnt(30) lgkmcnt(3)
	v_pk_fma_f32 v[50:51], v[144:145], v[138:139], v[50:51] op_sel_hi:[0,1,1] neg_lo:[1,0,0] neg_hi:[1,0,0]
	s_waitcnt vmcnt(28) lgkmcnt(2)
	v_pk_fma_f32 v[44:45], v[144:145], v[140:141], v[44:45] op_sel_hi:[0,1,1] neg_lo:[1,0,0] neg_hi:[1,0,0]
	s_waitcnt vmcnt(26) lgkmcnt(1)
	v_pk_fma_f32 v[48:49], v[144:145], v[142:143], v[48:49] op_sel_hi:[0,1,1] neg_lo:[1,0,0] neg_hi:[1,0,0]
	ds_read2_b32 v[138:139], v133 offset0:19 offset1:20
	ds_read2_b32 v[140:141], v133 offset0:21 offset1:22
	ds_read2_b32 v[142:143], v133 offset0:23 offset1:24
	s_waitcnt vmcnt(24) lgkmcnt(3)
	v_pk_fma_f32 v[74:75], v[144:145], v[146:147], v[74:75] op_sel_hi:[0,1,1] neg_lo:[1,0,0] neg_hi:[1,0,0]
	;; [unrolled: 12-line block ×3, first 2 shown]
	ds_read2_b32 v[146:147], v133 offset0:33 offset1:34
	s_waitcnt vmcnt(14) lgkmcnt(3)
	v_pk_fma_f32 v[96:97], v[144:145], v[138:139], v[96:97] op_sel_hi:[0,1,1] neg_lo:[1,0,0] neg_hi:[1,0,0]
	s_waitcnt vmcnt(12) lgkmcnt(2)
	v_pk_fma_f32 v[98:99], v[144:145], v[140:141], v[98:99] op_sel_hi:[0,1,1] neg_lo:[1,0,0] neg_hi:[1,0,0]
	;; [unrolled: 2-line block ×3, first 2 shown]
	ds_read2_b32 v[138:139], v133 offset0:35 offset1:36
	ds_read2_b32 v[140:141], v133 offset0:37 offset1:38
	;; [unrolled: 1-line block ×4, first 2 shown]
	s_waitcnt vmcnt(8) lgkmcnt(4)
	v_pk_fma_f32 v[118:119], v[144:145], v[146:147], v[118:119] op_sel_hi:[0,1,1] neg_lo:[1,0,0] neg_hi:[1,0,0]
	s_waitcnt vmcnt(6) lgkmcnt(3)
	v_pk_fma_f32 v[122:123], v[144:145], v[138:139], v[122:123] op_sel_hi:[0,1,1] neg_lo:[1,0,0] neg_hi:[1,0,0]
	s_waitcnt vmcnt(4) lgkmcnt(2)
	v_pk_fma_f32 v[116:117], v[144:145], v[140:141], v[116:117] op_sel_hi:[0,1,1] neg_lo:[1,0,0] neg_hi:[1,0,0]
	s_waitcnt vmcnt(2) lgkmcnt(1)
	v_pk_fma_f32 v[120:121], v[144:145], v[142:143], v[120:121] op_sel_hi:[0,1,1] neg_lo:[1,0,0] neg_hi:[1,0,0]
	s_waitcnt vmcnt(0) lgkmcnt(0)
	v_pk_fma_f32 v[130:131], v[144:145], v[148:149], v[130:131] op_sel_hi:[0,1,1] neg_lo:[1,0,0] neg_hi:[1,0,0]
	v_mov_b32_e32 v19, v144
.LBB85_17:
	s_or_b64 exec, exec, s[2:3]
	v_cmp_eq_u32_e32 vcc, 3, v25
	s_waitcnt lgkmcnt(0)
	s_barrier
	s_and_saveexec_b64 s[2:3], vcc
	s_cbranch_execz .LBB85_20
; %bb.18:
	s_waitcnt vmcnt(36)
	v_pk_mov_b32 v[138:139], v[20:21], v[22:23] op_sel:[1,0]
	ds_write_b32 v132, v20
	ds_write2_b32 v133, v138, v139 offset0:4 offset1:5
	s_waitcnt vmcnt(34)
	v_pk_mov_b32 v[138:139], v[22:23], v[16:17] op_sel:[1,0]
	ds_write2_b32 v133, v138, v139 offset0:6 offset1:7
	s_waitcnt vmcnt(32)
	v_pk_mov_b32 v[138:139], v[16:17], v[46:47] op_sel:[1,0]
	;; [unrolled: 3-line block ×18, first 2 shown]
	ds_write2_b32 v133, v138, v139 offset0:40 offset1:41
	ds_write_b32 v133, v131 offset:168
	ds_read_b32 v137, v132
	s_waitcnt lgkmcnt(0)
	v_cmp_neq_f32_e32 vcc, 0, v137
	s_and_b64 exec, exec, vcc
	s_cbranch_execz .LBB85_20
; %bb.19:
	v_div_scale_f32 v138, s[4:5], v137, v137, 1.0
	v_rcp_f32_e32 v139, v138
	v_div_scale_f32 v140, vcc, 1.0, v137, 1.0
	v_fma_f32 v141, -v138, v139, 1.0
	v_fmac_f32_e32 v139, v141, v139
	v_mul_f32_e32 v141, v140, v139
	v_fma_f32 v142, -v138, v141, v140
	v_fmac_f32_e32 v141, v142, v139
	v_fma_f32 v138, -v138, v141, v140
	v_div_fmas_f32 v138, v138, v139, v141
	v_div_fixup_f32 v137, v138, v137, 1.0
	ds_write_b32 v132, v137
.LBB85_20:
	s_or_b64 exec, exec, s[2:3]
	s_waitcnt lgkmcnt(0)
	s_barrier
	ds_read_b32 v137, v132
	v_cmp_lt_u32_e32 vcc, 3, v25
	s_and_saveexec_b64 s[2:3], vcc
	s_cbranch_execz .LBB85_22
; %bb.21:
	ds_read_b32 v144, v133 offset:16
	ds_read2_b32 v[138:139], v133 offset0:5 offset1:6
	ds_read2_b32 v[140:141], v133 offset0:7 offset1:8
	s_waitcnt vmcnt(39) lgkmcnt(3)
	v_mul_f32_e32 v20, v137, v20
	ds_read2_b32 v[142:143], v133 offset0:9 offset1:10
	s_waitcnt vmcnt(38) lgkmcnt(3)
	v_fma_f32 v21, -v20, v144, v21
	s_waitcnt vmcnt(36) lgkmcnt(2)
	v_pk_fma_f32 v[22:23], v[20:21], v[138:139], v[22:23] op_sel_hi:[0,1,1] neg_lo:[1,0,0] neg_hi:[1,0,0]
	s_waitcnt vmcnt(34) lgkmcnt(1)
	v_pk_fma_f32 v[16:17], v[20:21], v[140:141], v[16:17] op_sel_hi:[0,1,1] neg_lo:[1,0,0] neg_hi:[1,0,0]
	ds_read2_b32 v[138:139], v133 offset0:11 offset1:12
	ds_read2_b32 v[140:141], v133 offset0:13 offset1:14
	ds_read2_b32 v[144:145], v133 offset0:15 offset1:16
	s_waitcnt vmcnt(32) lgkmcnt(3)
	v_pk_fma_f32 v[46:47], v[20:21], v[142:143], v[46:47] op_sel_hi:[0,1,1] neg_lo:[1,0,0] neg_hi:[1,0,0]
	ds_read2_b32 v[142:143], v133 offset0:17 offset1:18
	s_waitcnt vmcnt(30) lgkmcnt(3)
	v_pk_fma_f32 v[50:51], v[20:21], v[138:139], v[50:51] op_sel_hi:[0,1,1] neg_lo:[1,0,0] neg_hi:[1,0,0]
	s_waitcnt vmcnt(28) lgkmcnt(2)
	v_pk_fma_f32 v[44:45], v[20:21], v[140:141], v[44:45] op_sel_hi:[0,1,1] neg_lo:[1,0,0] neg_hi:[1,0,0]
	s_waitcnt vmcnt(26) lgkmcnt(1)
	v_pk_fma_f32 v[48:49], v[20:21], v[144:145], v[48:49] op_sel_hi:[0,1,1] neg_lo:[1,0,0] neg_hi:[1,0,0]
	ds_read2_b32 v[138:139], v133 offset0:19 offset1:20
	ds_read2_b32 v[140:141], v133 offset0:21 offset1:22
	ds_read2_b32 v[144:145], v133 offset0:23 offset1:24
	s_waitcnt vmcnt(24) lgkmcnt(3)
	v_pk_fma_f32 v[74:75], v[20:21], v[142:143], v[74:75] op_sel_hi:[0,1,1] neg_lo:[1,0,0] neg_hi:[1,0,0]
	ds_read2_b32 v[142:143], v133 offset0:25 offset1:26
	s_waitcnt vmcnt(22) lgkmcnt(3)
	v_pk_fma_f32 v[68:69], v[20:21], v[138:139], v[68:69] op_sel_hi:[0,1,1] neg_lo:[1,0,0] neg_hi:[1,0,0]
	s_waitcnt vmcnt(20) lgkmcnt(2)
	v_pk_fma_f32 v[70:71], v[20:21], v[140:141], v[70:71] op_sel_hi:[0,1,1] neg_lo:[1,0,0] neg_hi:[1,0,0]
	s_waitcnt vmcnt(18) lgkmcnt(1)
	v_pk_fma_f32 v[72:73], v[20:21], v[144:145], v[72:73] op_sel_hi:[0,1,1] neg_lo:[1,0,0] neg_hi:[1,0,0]
	ds_read2_b32 v[138:139], v133 offset0:27 offset1:28
	ds_read2_b32 v[140:141], v133 offset0:29 offset1:30
	ds_read2_b32 v[144:145], v133 offset0:31 offset1:32
	s_waitcnt vmcnt(16) lgkmcnt(3)
	v_pk_fma_f32 v[94:95], v[20:21], v[142:143], v[94:95] op_sel_hi:[0,1,1] neg_lo:[1,0,0] neg_hi:[1,0,0]
	ds_read2_b32 v[142:143], v133 offset0:33 offset1:34
	s_waitcnt vmcnt(14) lgkmcnt(3)
	v_pk_fma_f32 v[96:97], v[20:21], v[138:139], v[96:97] op_sel_hi:[0,1,1] neg_lo:[1,0,0] neg_hi:[1,0,0]
	s_waitcnt vmcnt(12) lgkmcnt(2)
	v_pk_fma_f32 v[98:99], v[20:21], v[140:141], v[98:99] op_sel_hi:[0,1,1] neg_lo:[1,0,0] neg_hi:[1,0,0]
	s_waitcnt vmcnt(10) lgkmcnt(1)
	v_pk_fma_f32 v[92:93], v[20:21], v[144:145], v[92:93] op_sel_hi:[0,1,1] neg_lo:[1,0,0] neg_hi:[1,0,0]
	ds_read2_b32 v[138:139], v133 offset0:35 offset1:36
	ds_read2_b32 v[140:141], v133 offset0:37 offset1:38
	;; [unrolled: 1-line block ×4, first 2 shown]
	s_waitcnt vmcnt(8) lgkmcnt(4)
	v_pk_fma_f32 v[118:119], v[20:21], v[142:143], v[118:119] op_sel_hi:[0,1,1] neg_lo:[1,0,0] neg_hi:[1,0,0]
	s_waitcnt vmcnt(6) lgkmcnt(3)
	v_pk_fma_f32 v[122:123], v[20:21], v[138:139], v[122:123] op_sel_hi:[0,1,1] neg_lo:[1,0,0] neg_hi:[1,0,0]
	;; [unrolled: 2-line block ×5, first 2 shown]
.LBB85_22:
	s_or_b64 exec, exec, s[2:3]
	v_cmp_ne_u32_e32 vcc, 4, v25
	s_waitcnt lgkmcnt(0)
	s_barrier
	s_and_saveexec_b64 s[2:3], vcc
	s_xor_b64 s[2:3], exec, s[2:3]
	s_andn2_saveexec_b64 s[2:3], s[2:3]
	s_cbranch_execz .LBB85_26
; %bb.23:
	s_waitcnt vmcnt(38)
	ds_write_b32 v132, v21
	s_waitcnt vmcnt(36)
	ds_write2_b32 v133, v22, v23 offset0:5 offset1:6
	s_waitcnt vmcnt(34)
	ds_write2_b32 v133, v16, v17 offset0:7 offset1:8
	;; [unrolled: 2-line block ×19, first 2 shown]
	ds_read_b32 v138, v132
	s_waitcnt lgkmcnt(0)
	v_cmp_neq_f32_e32 vcc, 0, v138
	s_and_saveexec_b64 s[4:5], vcc
	s_cbranch_execz .LBB85_25
; %bb.24:
	v_div_scale_f32 v139, s[10:11], v138, v138, 1.0
	v_rcp_f32_e32 v140, v139
	v_div_scale_f32 v141, vcc, 1.0, v138, 1.0
	v_fma_f32 v142, -v139, v140, 1.0
	v_fmac_f32_e32 v140, v142, v140
	v_mul_f32_e32 v142, v141, v140
	v_fma_f32 v143, -v139, v142, v141
	v_fmac_f32_e32 v142, v143, v140
	v_fma_f32 v139, -v139, v142, v141
	v_div_fmas_f32 v139, v139, v140, v142
	v_div_fixup_f32 v138, v139, v138, 1.0
	ds_write_b32 v132, v138
.LBB85_25:
	s_or_b64 exec, exec, s[4:5]
.LBB85_26:
	s_or_b64 exec, exec, s[2:3]
	s_waitcnt lgkmcnt(0)
	s_barrier
	ds_read_b32 v138, v132
	v_cmp_lt_u32_e32 vcc, 4, v25
	s_and_saveexec_b64 s[2:3], vcc
	s_cbranch_execz .LBB85_28
; %bb.27:
	ds_read2_b32 v[140:141], v133 offset0:5 offset1:6
	ds_read2_b32 v[142:143], v133 offset0:7 offset1:8
	;; [unrolled: 1-line block ×3, first 2 shown]
	s_waitcnt vmcnt(38) lgkmcnt(3)
	v_mul_f32_e32 v146, v138, v21
	ds_read2_b32 v[148:149], v133 offset0:11 offset1:12
	s_waitcnt vmcnt(36) lgkmcnt(3)
	v_pk_fma_f32 v[22:23], v[146:147], v[140:141], v[22:23] op_sel_hi:[0,1,1] neg_lo:[1,0,0] neg_hi:[1,0,0]
	s_waitcnt vmcnt(34) lgkmcnt(2)
	v_pk_fma_f32 v[16:17], v[146:147], v[142:143], v[16:17] op_sel_hi:[0,1,1] neg_lo:[1,0,0] neg_hi:[1,0,0]
	;; [unrolled: 2-line block ×3, first 2 shown]
	ds_read2_b32 v[140:141], v133 offset0:13 offset1:14
	ds_read2_b32 v[142:143], v133 offset0:15 offset1:16
	;; [unrolled: 1-line block ×3, first 2 shown]
	s_waitcnt vmcnt(30) lgkmcnt(3)
	v_pk_fma_f32 v[50:51], v[146:147], v[148:149], v[50:51] op_sel_hi:[0,1,1] neg_lo:[1,0,0] neg_hi:[1,0,0]
	ds_read2_b32 v[148:149], v133 offset0:19 offset1:20
	s_waitcnt vmcnt(28) lgkmcnt(3)
	v_pk_fma_f32 v[44:45], v[146:147], v[140:141], v[44:45] op_sel_hi:[0,1,1] neg_lo:[1,0,0] neg_hi:[1,0,0]
	s_waitcnt vmcnt(26) lgkmcnt(2)
	v_pk_fma_f32 v[48:49], v[146:147], v[142:143], v[48:49] op_sel_hi:[0,1,1] neg_lo:[1,0,0] neg_hi:[1,0,0]
	;; [unrolled: 2-line block ×3, first 2 shown]
	ds_read2_b32 v[140:141], v133 offset0:21 offset1:22
	ds_read2_b32 v[142:143], v133 offset0:23 offset1:24
	;; [unrolled: 1-line block ×3, first 2 shown]
	s_waitcnt vmcnt(22) lgkmcnt(3)
	v_pk_fma_f32 v[68:69], v[146:147], v[148:149], v[68:69] op_sel_hi:[0,1,1] neg_lo:[1,0,0] neg_hi:[1,0,0]
	ds_read2_b32 v[148:149], v133 offset0:27 offset1:28
	s_waitcnt vmcnt(20) lgkmcnt(3)
	v_pk_fma_f32 v[70:71], v[146:147], v[140:141], v[70:71] op_sel_hi:[0,1,1] neg_lo:[1,0,0] neg_hi:[1,0,0]
	s_waitcnt vmcnt(18) lgkmcnt(2)
	v_pk_fma_f32 v[72:73], v[146:147], v[142:143], v[72:73] op_sel_hi:[0,1,1] neg_lo:[1,0,0] neg_hi:[1,0,0]
	ds_read2_b32 v[140:141], v133 offset0:29 offset1:30
	ds_read2_b32 v[142:143], v133 offset0:31 offset1:32
	s_waitcnt vmcnt(16) lgkmcnt(3)
	v_pk_fma_f32 v[94:95], v[146:147], v[144:145], v[94:95] op_sel_hi:[0,1,1] neg_lo:[1,0,0] neg_hi:[1,0,0]
	s_waitcnt vmcnt(14) lgkmcnt(2)
	v_pk_fma_f32 v[96:97], v[146:147], v[148:149], v[96:97] op_sel_hi:[0,1,1] neg_lo:[1,0,0] neg_hi:[1,0,0]
	ds_read2_b32 v[144:145], v133 offset0:33 offset1:34
	;; [unrolled: 6-line block ×3, first 2 shown]
	ds_read2_b32 v[142:143], v133 offset0:39 offset1:40
	ds_read2_b32 v[150:151], v133 offset0:41 offset1:42
	s_waitcnt vmcnt(8) lgkmcnt(4)
	v_pk_fma_f32 v[118:119], v[146:147], v[144:145], v[118:119] op_sel_hi:[0,1,1] neg_lo:[1,0,0] neg_hi:[1,0,0]
	s_waitcnt vmcnt(6) lgkmcnt(3)
	v_pk_fma_f32 v[122:123], v[146:147], v[148:149], v[122:123] op_sel_hi:[0,1,1] neg_lo:[1,0,0] neg_hi:[1,0,0]
	;; [unrolled: 2-line block ×5, first 2 shown]
	v_mov_b32_e32 v21, v146
.LBB85_28:
	s_or_b64 exec, exec, s[2:3]
	v_cmp_eq_u32_e32 vcc, 5, v25
	s_waitcnt lgkmcnt(0)
	s_barrier
	s_and_saveexec_b64 s[2:3], vcc
	s_cbranch_execz .LBB85_31
; %bb.29:
	s_waitcnt vmcnt(34)
	v_pk_mov_b32 v[140:141], v[22:23], v[16:17] op_sel:[1,0]
	ds_write_b32 v132, v22
	ds_write2_b32 v133, v140, v141 offset0:6 offset1:7
	s_waitcnt vmcnt(32)
	v_pk_mov_b32 v[140:141], v[16:17], v[46:47] op_sel:[1,0]
	ds_write2_b32 v133, v140, v141 offset0:8 offset1:9
	s_waitcnt vmcnt(30)
	v_pk_mov_b32 v[140:141], v[46:47], v[50:51] op_sel:[1,0]
	ds_write2_b32 v133, v140, v141 offset0:10 offset1:11
	s_waitcnt vmcnt(28)
	v_pk_mov_b32 v[140:141], v[50:51], v[44:45] op_sel:[1,0]
	ds_write2_b32 v133, v140, v141 offset0:12 offset1:13
	s_waitcnt vmcnt(26)
	v_pk_mov_b32 v[140:141], v[44:45], v[48:49] op_sel:[1,0]
	ds_write2_b32 v133, v140, v141 offset0:14 offset1:15
	s_waitcnt vmcnt(24)
	v_pk_mov_b32 v[140:141], v[48:49], v[74:75] op_sel:[1,0]
	ds_write2_b32 v133, v140, v141 offset0:16 offset1:17
	s_waitcnt vmcnt(22)
	v_pk_mov_b32 v[140:141], v[74:75], v[68:69] op_sel:[1,0]
	ds_write2_b32 v133, v140, v141 offset0:18 offset1:19
	s_waitcnt vmcnt(20)
	v_pk_mov_b32 v[140:141], v[68:69], v[70:71] op_sel:[1,0]
	ds_write2_b32 v133, v140, v141 offset0:20 offset1:21
	s_waitcnt vmcnt(18)
	v_pk_mov_b32 v[140:141], v[70:71], v[72:73] op_sel:[1,0]
	ds_write2_b32 v133, v140, v141 offset0:22 offset1:23
	s_waitcnt vmcnt(16)
	v_pk_mov_b32 v[140:141], v[72:73], v[94:95] op_sel:[1,0]
	ds_write2_b32 v133, v140, v141 offset0:24 offset1:25
	s_waitcnt vmcnt(14)
	v_pk_mov_b32 v[140:141], v[94:95], v[96:97] op_sel:[1,0]
	ds_write2_b32 v133, v140, v141 offset0:26 offset1:27
	s_waitcnt vmcnt(12)
	v_pk_mov_b32 v[140:141], v[96:97], v[98:99] op_sel:[1,0]
	ds_write2_b32 v133, v140, v141 offset0:28 offset1:29
	s_waitcnt vmcnt(10)
	v_pk_mov_b32 v[140:141], v[98:99], v[92:93] op_sel:[1,0]
	ds_write2_b32 v133, v140, v141 offset0:30 offset1:31
	s_waitcnt vmcnt(8)
	v_pk_mov_b32 v[140:141], v[92:93], v[118:119] op_sel:[1,0]
	ds_write2_b32 v133, v140, v141 offset0:32 offset1:33
	s_waitcnt vmcnt(6)
	v_pk_mov_b32 v[140:141], v[118:119], v[122:123] op_sel:[1,0]
	ds_write2_b32 v133, v140, v141 offset0:34 offset1:35
	s_waitcnt vmcnt(4)
	v_pk_mov_b32 v[140:141], v[122:123], v[116:117] op_sel:[1,0]
	ds_write2_b32 v133, v140, v141 offset0:36 offset1:37
	s_waitcnt vmcnt(2)
	v_pk_mov_b32 v[140:141], v[116:117], v[120:121] op_sel:[1,0]
	ds_write2_b32 v133, v140, v141 offset0:38 offset1:39
	s_waitcnt vmcnt(0)
	v_pk_mov_b32 v[140:141], v[120:121], v[130:131] op_sel:[1,0]
	ds_write2_b32 v133, v140, v141 offset0:40 offset1:41
	ds_write_b32 v133, v131 offset:168
	ds_read_b32 v139, v132
	s_waitcnt lgkmcnt(0)
	v_cmp_neq_f32_e32 vcc, 0, v139
	s_and_b64 exec, exec, vcc
	s_cbranch_execz .LBB85_31
; %bb.30:
	v_div_scale_f32 v140, s[4:5], v139, v139, 1.0
	v_rcp_f32_e32 v141, v140
	v_div_scale_f32 v142, vcc, 1.0, v139, 1.0
	v_fma_f32 v143, -v140, v141, 1.0
	v_fmac_f32_e32 v141, v143, v141
	v_mul_f32_e32 v143, v142, v141
	v_fma_f32 v144, -v140, v143, v142
	v_fmac_f32_e32 v143, v144, v141
	v_fma_f32 v140, -v140, v143, v142
	v_div_fmas_f32 v140, v140, v141, v143
	v_div_fixup_f32 v139, v140, v139, 1.0
	ds_write_b32 v132, v139
.LBB85_31:
	s_or_b64 exec, exec, s[2:3]
	s_waitcnt lgkmcnt(0)
	s_barrier
	ds_read_b32 v139, v132
	v_cmp_lt_u32_e32 vcc, 5, v25
	s_and_saveexec_b64 s[2:3], vcc
	s_cbranch_execz .LBB85_33
; %bb.32:
	ds_read_b32 v146, v133 offset:24
	ds_read2_b32 v[140:141], v133 offset0:7 offset1:8
	ds_read2_b32 v[142:143], v133 offset0:9 offset1:10
	s_waitcnt vmcnt(37) lgkmcnt(3)
	v_mul_f32_e32 v22, v139, v22
	ds_read2_b32 v[144:145], v133 offset0:11 offset1:12
	s_waitcnt vmcnt(36) lgkmcnt(3)
	v_fma_f32 v23, -v22, v146, v23
	s_waitcnt vmcnt(34) lgkmcnt(2)
	v_pk_fma_f32 v[16:17], v[22:23], v[140:141], v[16:17] op_sel_hi:[0,1,1] neg_lo:[1,0,0] neg_hi:[1,0,0]
	s_waitcnt vmcnt(32) lgkmcnt(1)
	v_pk_fma_f32 v[46:47], v[22:23], v[142:143], v[46:47] op_sel_hi:[0,1,1] neg_lo:[1,0,0] neg_hi:[1,0,0]
	ds_read2_b32 v[140:141], v133 offset0:13 offset1:14
	ds_read2_b32 v[142:143], v133 offset0:15 offset1:16
	;; [unrolled: 1-line block ×3, first 2 shown]
	s_waitcnt vmcnt(30) lgkmcnt(3)
	v_pk_fma_f32 v[50:51], v[22:23], v[144:145], v[50:51] op_sel_hi:[0,1,1] neg_lo:[1,0,0] neg_hi:[1,0,0]
	ds_read2_b32 v[144:145], v133 offset0:19 offset1:20
	s_waitcnt vmcnt(28) lgkmcnt(3)
	v_pk_fma_f32 v[44:45], v[22:23], v[140:141], v[44:45] op_sel_hi:[0,1,1] neg_lo:[1,0,0] neg_hi:[1,0,0]
	s_waitcnt vmcnt(26) lgkmcnt(2)
	v_pk_fma_f32 v[48:49], v[22:23], v[142:143], v[48:49] op_sel_hi:[0,1,1] neg_lo:[1,0,0] neg_hi:[1,0,0]
	;; [unrolled: 2-line block ×3, first 2 shown]
	ds_read2_b32 v[140:141], v133 offset0:21 offset1:22
	ds_read2_b32 v[142:143], v133 offset0:23 offset1:24
	;; [unrolled: 1-line block ×3, first 2 shown]
	s_waitcnt vmcnt(22) lgkmcnt(3)
	v_pk_fma_f32 v[68:69], v[22:23], v[144:145], v[68:69] op_sel_hi:[0,1,1] neg_lo:[1,0,0] neg_hi:[1,0,0]
	ds_read2_b32 v[144:145], v133 offset0:27 offset1:28
	s_waitcnt vmcnt(20) lgkmcnt(3)
	v_pk_fma_f32 v[70:71], v[22:23], v[140:141], v[70:71] op_sel_hi:[0,1,1] neg_lo:[1,0,0] neg_hi:[1,0,0]
	s_waitcnt vmcnt(18) lgkmcnt(2)
	v_pk_fma_f32 v[72:73], v[22:23], v[142:143], v[72:73] op_sel_hi:[0,1,1] neg_lo:[1,0,0] neg_hi:[1,0,0]
	ds_read2_b32 v[140:141], v133 offset0:29 offset1:30
	ds_read2_b32 v[142:143], v133 offset0:31 offset1:32
	s_waitcnt vmcnt(16) lgkmcnt(3)
	v_pk_fma_f32 v[94:95], v[22:23], v[146:147], v[94:95] op_sel_hi:[0,1,1] neg_lo:[1,0,0] neg_hi:[1,0,0]
	s_waitcnt vmcnt(14) lgkmcnt(2)
	v_pk_fma_f32 v[96:97], v[22:23], v[144:145], v[96:97] op_sel_hi:[0,1,1] neg_lo:[1,0,0] neg_hi:[1,0,0]
	ds_read2_b32 v[144:145], v133 offset0:33 offset1:34
	;; [unrolled: 6-line block ×3, first 2 shown]
	ds_read2_b32 v[142:143], v133 offset0:39 offset1:40
	ds_read2_b32 v[148:149], v133 offset0:41 offset1:42
	s_waitcnt vmcnt(8) lgkmcnt(4)
	v_pk_fma_f32 v[118:119], v[22:23], v[144:145], v[118:119] op_sel_hi:[0,1,1] neg_lo:[1,0,0] neg_hi:[1,0,0]
	s_waitcnt vmcnt(6) lgkmcnt(3)
	v_pk_fma_f32 v[122:123], v[22:23], v[146:147], v[122:123] op_sel_hi:[0,1,1] neg_lo:[1,0,0] neg_hi:[1,0,0]
	;; [unrolled: 2-line block ×5, first 2 shown]
.LBB85_33:
	s_or_b64 exec, exec, s[2:3]
	v_cmp_ne_u32_e32 vcc, 6, v25
	s_waitcnt lgkmcnt(0)
	s_barrier
	s_and_saveexec_b64 s[2:3], vcc
	s_xor_b64 s[2:3], exec, s[2:3]
	s_andn2_saveexec_b64 s[2:3], s[2:3]
	s_cbranch_execz .LBB85_37
; %bb.34:
	s_waitcnt vmcnt(36)
	ds_write_b32 v132, v23
	s_waitcnt vmcnt(34)
	ds_write2_b32 v133, v16, v17 offset0:7 offset1:8
	s_waitcnt vmcnt(32)
	ds_write2_b32 v133, v46, v47 offset0:9 offset1:10
	;; [unrolled: 2-line block ×18, first 2 shown]
	ds_read_b32 v140, v132
	s_waitcnt lgkmcnt(0)
	v_cmp_neq_f32_e32 vcc, 0, v140
	s_and_saveexec_b64 s[4:5], vcc
	s_cbranch_execz .LBB85_36
; %bb.35:
	v_div_scale_f32 v141, s[10:11], v140, v140, 1.0
	v_rcp_f32_e32 v142, v141
	v_div_scale_f32 v143, vcc, 1.0, v140, 1.0
	v_fma_f32 v144, -v141, v142, 1.0
	v_fmac_f32_e32 v142, v144, v142
	v_mul_f32_e32 v144, v143, v142
	v_fma_f32 v145, -v141, v144, v143
	v_fmac_f32_e32 v144, v145, v142
	v_fma_f32 v141, -v141, v144, v143
	v_div_fmas_f32 v141, v141, v142, v144
	v_div_fixup_f32 v140, v141, v140, 1.0
	ds_write_b32 v132, v140
.LBB85_36:
	s_or_b64 exec, exec, s[4:5]
.LBB85_37:
	s_or_b64 exec, exec, s[2:3]
	s_waitcnt lgkmcnt(0)
	s_barrier
	ds_read_b32 v140, v132
	v_cmp_lt_u32_e32 vcc, 6, v25
	s_and_saveexec_b64 s[2:3], vcc
	s_cbranch_execz .LBB85_39
; %bb.38:
	ds_read2_b32 v[142:143], v133 offset0:7 offset1:8
	ds_read2_b32 v[144:145], v133 offset0:9 offset1:10
	;; [unrolled: 1-line block ×4, first 2 shown]
	s_waitcnt vmcnt(36) lgkmcnt(4)
	v_mul_f32_e32 v148, v140, v23
	s_waitcnt vmcnt(34) lgkmcnt(3)
	v_pk_fma_f32 v[16:17], v[148:149], v[142:143], v[16:17] op_sel_hi:[0,1,1] neg_lo:[1,0,0] neg_hi:[1,0,0]
	s_waitcnt vmcnt(32) lgkmcnt(2)
	v_pk_fma_f32 v[46:47], v[148:149], v[144:145], v[46:47] op_sel_hi:[0,1,1] neg_lo:[1,0,0] neg_hi:[1,0,0]
	;; [unrolled: 2-line block ×3, first 2 shown]
	ds_read2_b32 v[142:143], v133 offset0:15 offset1:16
	ds_read2_b32 v[144:145], v133 offset0:17 offset1:18
	;; [unrolled: 1-line block ×3, first 2 shown]
	s_waitcnt vmcnt(28) lgkmcnt(3)
	v_pk_fma_f32 v[44:45], v[148:149], v[150:151], v[44:45] op_sel_hi:[0,1,1] neg_lo:[1,0,0] neg_hi:[1,0,0]
	ds_read2_b32 v[150:151], v133 offset0:21 offset1:22
	s_waitcnt vmcnt(26) lgkmcnt(3)
	v_pk_fma_f32 v[48:49], v[148:149], v[142:143], v[48:49] op_sel_hi:[0,1,1] neg_lo:[1,0,0] neg_hi:[1,0,0]
	s_waitcnt vmcnt(24) lgkmcnt(2)
	v_pk_fma_f32 v[74:75], v[148:149], v[144:145], v[74:75] op_sel_hi:[0,1,1] neg_lo:[1,0,0] neg_hi:[1,0,0]
	;; [unrolled: 2-line block ×3, first 2 shown]
	ds_read2_b32 v[142:143], v133 offset0:23 offset1:24
	ds_read2_b32 v[144:145], v133 offset0:25 offset1:26
	;; [unrolled: 1-line block ×3, first 2 shown]
	s_waitcnt vmcnt(20) lgkmcnt(3)
	v_pk_fma_f32 v[70:71], v[148:149], v[150:151], v[70:71] op_sel_hi:[0,1,1] neg_lo:[1,0,0] neg_hi:[1,0,0]
	ds_read2_b32 v[150:151], v133 offset0:29 offset1:30
	s_waitcnt vmcnt(18) lgkmcnt(3)
	v_pk_fma_f32 v[72:73], v[148:149], v[142:143], v[72:73] op_sel_hi:[0,1,1] neg_lo:[1,0,0] neg_hi:[1,0,0]
	ds_read2_b32 v[142:143], v133 offset0:31 offset1:32
	s_waitcnt vmcnt(16) lgkmcnt(3)
	v_pk_fma_f32 v[94:95], v[148:149], v[144:145], v[94:95] op_sel_hi:[0,1,1] neg_lo:[1,0,0] neg_hi:[1,0,0]
	s_waitcnt vmcnt(14) lgkmcnt(2)
	v_pk_fma_f32 v[96:97], v[148:149], v[146:147], v[96:97] op_sel_hi:[0,1,1] neg_lo:[1,0,0] neg_hi:[1,0,0]
	;; [unrolled: 2-line block ×3, first 2 shown]
	ds_read2_b32 v[144:145], v133 offset0:33 offset1:34
	ds_read2_b32 v[146:147], v133 offset0:35 offset1:36
	;; [unrolled: 1-line block ×3, first 2 shown]
	s_waitcnt vmcnt(10) lgkmcnt(3)
	v_pk_fma_f32 v[92:93], v[148:149], v[142:143], v[92:93] op_sel_hi:[0,1,1] neg_lo:[1,0,0] neg_hi:[1,0,0]
	ds_read2_b32 v[142:143], v133 offset0:39 offset1:40
	ds_read2_b32 v[152:153], v133 offset0:41 offset1:42
	s_waitcnt vmcnt(8) lgkmcnt(4)
	v_pk_fma_f32 v[118:119], v[148:149], v[144:145], v[118:119] op_sel_hi:[0,1,1] neg_lo:[1,0,0] neg_hi:[1,0,0]
	s_waitcnt vmcnt(6) lgkmcnt(3)
	v_pk_fma_f32 v[122:123], v[148:149], v[146:147], v[122:123] op_sel_hi:[0,1,1] neg_lo:[1,0,0] neg_hi:[1,0,0]
	;; [unrolled: 2-line block ×5, first 2 shown]
	v_mov_b32_e32 v23, v148
.LBB85_39:
	s_or_b64 exec, exec, s[2:3]
	v_cmp_eq_u32_e32 vcc, 7, v25
	s_waitcnt lgkmcnt(0)
	s_barrier
	s_and_saveexec_b64 s[2:3], vcc
	s_cbranch_execz .LBB85_42
; %bb.40:
	s_waitcnt vmcnt(32)
	v_pk_mov_b32 v[142:143], v[16:17], v[46:47] op_sel:[1,0]
	ds_write_b32 v132, v16
	ds_write2_b32 v133, v142, v143 offset0:8 offset1:9
	s_waitcnt vmcnt(30)
	v_pk_mov_b32 v[142:143], v[46:47], v[50:51] op_sel:[1,0]
	ds_write2_b32 v133, v142, v143 offset0:10 offset1:11
	s_waitcnt vmcnt(28)
	v_pk_mov_b32 v[142:143], v[50:51], v[44:45] op_sel:[1,0]
	;; [unrolled: 3-line block ×16, first 2 shown]
	ds_write2_b32 v133, v142, v143 offset0:40 offset1:41
	ds_write_b32 v133, v131 offset:168
	ds_read_b32 v141, v132
	s_waitcnt lgkmcnt(0)
	v_cmp_neq_f32_e32 vcc, 0, v141
	s_and_b64 exec, exec, vcc
	s_cbranch_execz .LBB85_42
; %bb.41:
	v_div_scale_f32 v142, s[4:5], v141, v141, 1.0
	v_rcp_f32_e32 v143, v142
	v_div_scale_f32 v144, vcc, 1.0, v141, 1.0
	v_fma_f32 v145, -v142, v143, 1.0
	v_fmac_f32_e32 v143, v145, v143
	v_mul_f32_e32 v145, v144, v143
	v_fma_f32 v146, -v142, v145, v144
	v_fmac_f32_e32 v145, v146, v143
	v_fma_f32 v142, -v142, v145, v144
	v_div_fmas_f32 v142, v142, v143, v145
	v_div_fixup_f32 v141, v142, v141, 1.0
	ds_write_b32 v132, v141
.LBB85_42:
	s_or_b64 exec, exec, s[2:3]
	s_waitcnt lgkmcnt(0)
	s_barrier
	ds_read_b32 v141, v132
	v_cmp_lt_u32_e32 vcc, 7, v25
	s_and_saveexec_b64 s[2:3], vcc
	s_cbranch_execz .LBB85_44
; %bb.43:
	ds_read_b32 v148, v133 offset:32
	ds_read2_b32 v[142:143], v133 offset0:9 offset1:10
	ds_read2_b32 v[144:145], v133 offset0:11 offset1:12
	s_waitcnt vmcnt(35) lgkmcnt(3)
	v_mul_f32_e32 v16, v141, v16
	ds_read2_b32 v[146:147], v133 offset0:13 offset1:14
	s_waitcnt vmcnt(34) lgkmcnt(3)
	v_fma_f32 v17, -v16, v148, v17
	s_waitcnt vmcnt(32) lgkmcnt(2)
	v_pk_fma_f32 v[46:47], v[16:17], v[142:143], v[46:47] op_sel_hi:[0,1,1] neg_lo:[1,0,0] neg_hi:[1,0,0]
	s_waitcnt vmcnt(30) lgkmcnt(1)
	v_pk_fma_f32 v[50:51], v[16:17], v[144:145], v[50:51] op_sel_hi:[0,1,1] neg_lo:[1,0,0] neg_hi:[1,0,0]
	ds_read2_b32 v[142:143], v133 offset0:15 offset1:16
	ds_read2_b32 v[144:145], v133 offset0:17 offset1:18
	;; [unrolled: 1-line block ×3, first 2 shown]
	s_waitcnt vmcnt(28) lgkmcnt(3)
	v_pk_fma_f32 v[44:45], v[16:17], v[146:147], v[44:45] op_sel_hi:[0,1,1] neg_lo:[1,0,0] neg_hi:[1,0,0]
	ds_read2_b32 v[146:147], v133 offset0:21 offset1:22
	s_waitcnt vmcnt(26) lgkmcnt(3)
	v_pk_fma_f32 v[48:49], v[16:17], v[142:143], v[48:49] op_sel_hi:[0,1,1] neg_lo:[1,0,0] neg_hi:[1,0,0]
	s_waitcnt vmcnt(24) lgkmcnt(2)
	v_pk_fma_f32 v[74:75], v[16:17], v[144:145], v[74:75] op_sel_hi:[0,1,1] neg_lo:[1,0,0] neg_hi:[1,0,0]
	;; [unrolled: 2-line block ×3, first 2 shown]
	ds_read2_b32 v[142:143], v133 offset0:23 offset1:24
	ds_read2_b32 v[144:145], v133 offset0:25 offset1:26
	;; [unrolled: 1-line block ×3, first 2 shown]
	s_waitcnt vmcnt(20) lgkmcnt(3)
	v_pk_fma_f32 v[70:71], v[16:17], v[146:147], v[70:71] op_sel_hi:[0,1,1] neg_lo:[1,0,0] neg_hi:[1,0,0]
	ds_read2_b32 v[146:147], v133 offset0:29 offset1:30
	s_waitcnt vmcnt(18) lgkmcnt(3)
	v_pk_fma_f32 v[72:73], v[16:17], v[142:143], v[72:73] op_sel_hi:[0,1,1] neg_lo:[1,0,0] neg_hi:[1,0,0]
	ds_read2_b32 v[142:143], v133 offset0:31 offset1:32
	s_waitcnt vmcnt(16) lgkmcnt(3)
	v_pk_fma_f32 v[94:95], v[16:17], v[144:145], v[94:95] op_sel_hi:[0,1,1] neg_lo:[1,0,0] neg_hi:[1,0,0]
	s_waitcnt vmcnt(14) lgkmcnt(2)
	v_pk_fma_f32 v[96:97], v[16:17], v[148:149], v[96:97] op_sel_hi:[0,1,1] neg_lo:[1,0,0] neg_hi:[1,0,0]
	;; [unrolled: 2-line block ×3, first 2 shown]
	ds_read2_b32 v[144:145], v133 offset0:33 offset1:34
	ds_read2_b32 v[146:147], v133 offset0:35 offset1:36
	;; [unrolled: 1-line block ×3, first 2 shown]
	s_waitcnt vmcnt(10) lgkmcnt(3)
	v_pk_fma_f32 v[92:93], v[16:17], v[142:143], v[92:93] op_sel_hi:[0,1,1] neg_lo:[1,0,0] neg_hi:[1,0,0]
	ds_read2_b32 v[142:143], v133 offset0:39 offset1:40
	ds_read2_b32 v[150:151], v133 offset0:41 offset1:42
	s_waitcnt vmcnt(8) lgkmcnt(4)
	v_pk_fma_f32 v[118:119], v[16:17], v[144:145], v[118:119] op_sel_hi:[0,1,1] neg_lo:[1,0,0] neg_hi:[1,0,0]
	s_waitcnt vmcnt(6) lgkmcnt(3)
	v_pk_fma_f32 v[122:123], v[16:17], v[146:147], v[122:123] op_sel_hi:[0,1,1] neg_lo:[1,0,0] neg_hi:[1,0,0]
	;; [unrolled: 2-line block ×5, first 2 shown]
.LBB85_44:
	s_or_b64 exec, exec, s[2:3]
	v_cmp_ne_u32_e32 vcc, 8, v25
	s_waitcnt lgkmcnt(0)
	s_barrier
	s_and_saveexec_b64 s[2:3], vcc
	s_xor_b64 s[2:3], exec, s[2:3]
	s_andn2_saveexec_b64 s[2:3], s[2:3]
	s_cbranch_execz .LBB85_48
; %bb.45:
	s_waitcnt vmcnt(34)
	ds_write_b32 v132, v17
	s_waitcnt vmcnt(32)
	ds_write2_b32 v133, v46, v47 offset0:9 offset1:10
	s_waitcnt vmcnt(30)
	ds_write2_b32 v133, v50, v51 offset0:11 offset1:12
	s_waitcnt vmcnt(28)
	ds_write2_b32 v133, v44, v45 offset0:13 offset1:14
	s_waitcnt vmcnt(26)
	ds_write2_b32 v133, v48, v49 offset0:15 offset1:16
	s_waitcnt vmcnt(24)
	ds_write2_b32 v133, v74, v75 offset0:17 offset1:18
	s_waitcnt vmcnt(22)
	ds_write2_b32 v133, v68, v69 offset0:19 offset1:20
	s_waitcnt vmcnt(20)
	ds_write2_b32 v133, v70, v71 offset0:21 offset1:22
	s_waitcnt vmcnt(18)
	ds_write2_b32 v133, v72, v73 offset0:23 offset1:24
	s_waitcnt vmcnt(16)
	ds_write2_b32 v133, v94, v95 offset0:25 offset1:26
	s_waitcnt vmcnt(14)
	ds_write2_b32 v133, v96, v97 offset0:27 offset1:28
	s_waitcnt vmcnt(12)
	ds_write2_b32 v133, v98, v99 offset0:29 offset1:30
	s_waitcnt vmcnt(10)
	ds_write2_b32 v133, v92, v93 offset0:31 offset1:32
	s_waitcnt vmcnt(8)
	ds_write2_b32 v133, v118, v119 offset0:33 offset1:34
	s_waitcnt vmcnt(6)
	ds_write2_b32 v133, v122, v123 offset0:35 offset1:36
	s_waitcnt vmcnt(4)
	ds_write2_b32 v133, v116, v117 offset0:37 offset1:38
	s_waitcnt vmcnt(2)
	ds_write2_b32 v133, v120, v121 offset0:39 offset1:40
	s_waitcnt vmcnt(0)
	ds_write2_b32 v133, v130, v131 offset0:41 offset1:42
	ds_read_b32 v142, v132
	s_waitcnt lgkmcnt(0)
	v_cmp_neq_f32_e32 vcc, 0, v142
	s_and_saveexec_b64 s[4:5], vcc
	s_cbranch_execz .LBB85_47
; %bb.46:
	v_div_scale_f32 v143, s[10:11], v142, v142, 1.0
	v_rcp_f32_e32 v144, v143
	v_div_scale_f32 v145, vcc, 1.0, v142, 1.0
	v_fma_f32 v146, -v143, v144, 1.0
	v_fmac_f32_e32 v144, v146, v144
	v_mul_f32_e32 v146, v145, v144
	v_fma_f32 v147, -v143, v146, v145
	v_fmac_f32_e32 v146, v147, v144
	v_fma_f32 v143, -v143, v146, v145
	v_div_fmas_f32 v143, v143, v144, v146
	v_div_fixup_f32 v142, v143, v142, 1.0
	ds_write_b32 v132, v142
.LBB85_47:
	s_or_b64 exec, exec, s[4:5]
.LBB85_48:
	s_or_b64 exec, exec, s[2:3]
	s_waitcnt lgkmcnt(0)
	s_barrier
	ds_read_b32 v142, v132
	v_cmp_lt_u32_e32 vcc, 8, v25
	s_and_saveexec_b64 s[2:3], vcc
	s_cbranch_execz .LBB85_50
; %bb.49:
	ds_read2_b32 v[144:145], v133 offset0:9 offset1:10
	ds_read2_b32 v[146:147], v133 offset0:11 offset1:12
	;; [unrolled: 1-line block ×3, first 2 shown]
	s_waitcnt vmcnt(34) lgkmcnt(3)
	v_mul_f32_e32 v150, v142, v17
	ds_read2_b32 v[152:153], v133 offset0:15 offset1:16
	s_waitcnt vmcnt(32) lgkmcnt(3)
	v_pk_fma_f32 v[46:47], v[150:151], v[144:145], v[46:47] op_sel_hi:[0,1,1] neg_lo:[1,0,0] neg_hi:[1,0,0]
	s_waitcnt vmcnt(30) lgkmcnt(2)
	v_pk_fma_f32 v[50:51], v[150:151], v[146:147], v[50:51] op_sel_hi:[0,1,1] neg_lo:[1,0,0] neg_hi:[1,0,0]
	;; [unrolled: 2-line block ×3, first 2 shown]
	ds_read2_b32 v[144:145], v133 offset0:17 offset1:18
	ds_read2_b32 v[146:147], v133 offset0:19 offset1:20
	;; [unrolled: 1-line block ×3, first 2 shown]
	s_waitcnt vmcnt(26) lgkmcnt(3)
	v_pk_fma_f32 v[48:49], v[150:151], v[152:153], v[48:49] op_sel_hi:[0,1,1] neg_lo:[1,0,0] neg_hi:[1,0,0]
	ds_read2_b32 v[152:153], v133 offset0:23 offset1:24
	s_waitcnt vmcnt(24) lgkmcnt(3)
	v_pk_fma_f32 v[74:75], v[150:151], v[144:145], v[74:75] op_sel_hi:[0,1,1] neg_lo:[1,0,0] neg_hi:[1,0,0]
	s_waitcnt vmcnt(22) lgkmcnt(2)
	v_pk_fma_f32 v[68:69], v[150:151], v[146:147], v[68:69] op_sel_hi:[0,1,1] neg_lo:[1,0,0] neg_hi:[1,0,0]
	s_waitcnt vmcnt(20) lgkmcnt(1)
	v_pk_fma_f32 v[70:71], v[150:151], v[148:149], v[70:71] op_sel_hi:[0,1,1] neg_lo:[1,0,0] neg_hi:[1,0,0]
	ds_read2_b32 v[144:145], v133 offset0:25 offset1:26
	ds_read2_b32 v[146:147], v133 offset0:27 offset1:28
	;; [unrolled: 1-line block ×4, first 2 shown]
	s_waitcnt vmcnt(18) lgkmcnt(4)
	v_pk_fma_f32 v[72:73], v[150:151], v[152:153], v[72:73] op_sel_hi:[0,1,1] neg_lo:[1,0,0] neg_hi:[1,0,0]
	s_waitcnt vmcnt(16) lgkmcnt(3)
	v_pk_fma_f32 v[94:95], v[150:151], v[144:145], v[94:95] op_sel_hi:[0,1,1] neg_lo:[1,0,0] neg_hi:[1,0,0]
	;; [unrolled: 2-line block ×5, first 2 shown]
	ds_read2_b32 v[144:145], v133 offset0:33 offset1:34
	ds_read2_b32 v[146:147], v133 offset0:35 offset1:36
	;; [unrolled: 1-line block ×5, first 2 shown]
	s_waitcnt vmcnt(8) lgkmcnt(4)
	v_pk_fma_f32 v[118:119], v[150:151], v[144:145], v[118:119] op_sel_hi:[0,1,1] neg_lo:[1,0,0] neg_hi:[1,0,0]
	s_waitcnt vmcnt(6) lgkmcnt(3)
	v_pk_fma_f32 v[122:123], v[150:151], v[146:147], v[122:123] op_sel_hi:[0,1,1] neg_lo:[1,0,0] neg_hi:[1,0,0]
	s_waitcnt vmcnt(4) lgkmcnt(2)
	v_pk_fma_f32 v[116:117], v[150:151], v[148:149], v[116:117] op_sel_hi:[0,1,1] neg_lo:[1,0,0] neg_hi:[1,0,0]
	s_waitcnt vmcnt(2) lgkmcnt(1)
	v_pk_fma_f32 v[120:121], v[150:151], v[152:153], v[120:121] op_sel_hi:[0,1,1] neg_lo:[1,0,0] neg_hi:[1,0,0]
	s_waitcnt vmcnt(0) lgkmcnt(0)
	v_pk_fma_f32 v[130:131], v[150:151], v[154:155], v[130:131] op_sel_hi:[0,1,1] neg_lo:[1,0,0] neg_hi:[1,0,0]
	v_mov_b32_e32 v17, v150
.LBB85_50:
	s_or_b64 exec, exec, s[2:3]
	v_cmp_eq_u32_e32 vcc, 9, v25
	s_waitcnt lgkmcnt(0)
	s_barrier
	s_and_saveexec_b64 s[2:3], vcc
	s_cbranch_execz .LBB85_53
; %bb.51:
	s_waitcnt vmcnt(30)
	v_pk_mov_b32 v[144:145], v[46:47], v[50:51] op_sel:[1,0]
	ds_write_b32 v132, v46
	ds_write2_b32 v133, v144, v145 offset0:10 offset1:11
	s_waitcnt vmcnt(28)
	v_pk_mov_b32 v[144:145], v[50:51], v[44:45] op_sel:[1,0]
	ds_write2_b32 v133, v144, v145 offset0:12 offset1:13
	s_waitcnt vmcnt(26)
	v_pk_mov_b32 v[144:145], v[44:45], v[48:49] op_sel:[1,0]
	;; [unrolled: 3-line block ×15, first 2 shown]
	ds_write2_b32 v133, v144, v145 offset0:40 offset1:41
	ds_write_b32 v133, v131 offset:168
	ds_read_b32 v143, v132
	s_waitcnt lgkmcnt(0)
	v_cmp_neq_f32_e32 vcc, 0, v143
	s_and_b64 exec, exec, vcc
	s_cbranch_execz .LBB85_53
; %bb.52:
	v_div_scale_f32 v144, s[4:5], v143, v143, 1.0
	v_rcp_f32_e32 v145, v144
	v_div_scale_f32 v146, vcc, 1.0, v143, 1.0
	v_fma_f32 v147, -v144, v145, 1.0
	v_fmac_f32_e32 v145, v147, v145
	v_mul_f32_e32 v147, v146, v145
	v_fma_f32 v148, -v144, v147, v146
	v_fmac_f32_e32 v147, v148, v145
	v_fma_f32 v144, -v144, v147, v146
	v_div_fmas_f32 v144, v144, v145, v147
	v_div_fixup_f32 v143, v144, v143, 1.0
	ds_write_b32 v132, v143
.LBB85_53:
	s_or_b64 exec, exec, s[2:3]
	s_waitcnt lgkmcnt(0)
	s_barrier
	ds_read_b32 v143, v132
	v_cmp_lt_u32_e32 vcc, 9, v25
	s_and_saveexec_b64 s[2:3], vcc
	s_cbranch_execz .LBB85_55
; %bb.54:
	ds_read_b32 v150, v133 offset:40
	ds_read2_b32 v[144:145], v133 offset0:11 offset1:12
	ds_read2_b32 v[146:147], v133 offset0:13 offset1:14
	s_waitcnt vmcnt(33) lgkmcnt(3)
	v_mul_f32_e32 v46, v143, v46
	ds_read2_b32 v[148:149], v133 offset0:15 offset1:16
	s_waitcnt vmcnt(32) lgkmcnt(3)
	v_fma_f32 v47, -v46, v150, v47
	s_waitcnt vmcnt(30) lgkmcnt(2)
	v_pk_fma_f32 v[50:51], v[46:47], v[144:145], v[50:51] op_sel_hi:[0,1,1] neg_lo:[1,0,0] neg_hi:[1,0,0]
	s_waitcnt vmcnt(28) lgkmcnt(1)
	v_pk_fma_f32 v[44:45], v[46:47], v[146:147], v[44:45] op_sel_hi:[0,1,1] neg_lo:[1,0,0] neg_hi:[1,0,0]
	ds_read2_b32 v[144:145], v133 offset0:17 offset1:18
	ds_read2_b32 v[146:147], v133 offset0:19 offset1:20
	;; [unrolled: 1-line block ×3, first 2 shown]
	s_waitcnt vmcnt(26) lgkmcnt(3)
	v_pk_fma_f32 v[48:49], v[46:47], v[148:149], v[48:49] op_sel_hi:[0,1,1] neg_lo:[1,0,0] neg_hi:[1,0,0]
	ds_read2_b32 v[148:149], v133 offset0:23 offset1:24
	s_waitcnt vmcnt(24) lgkmcnt(3)
	v_pk_fma_f32 v[74:75], v[46:47], v[144:145], v[74:75] op_sel_hi:[0,1,1] neg_lo:[1,0,0] neg_hi:[1,0,0]
	s_waitcnt vmcnt(22) lgkmcnt(2)
	v_pk_fma_f32 v[68:69], v[46:47], v[146:147], v[68:69] op_sel_hi:[0,1,1] neg_lo:[1,0,0] neg_hi:[1,0,0]
	;; [unrolled: 2-line block ×3, first 2 shown]
	ds_read2_b32 v[144:145], v133 offset0:25 offset1:26
	ds_read2_b32 v[146:147], v133 offset0:27 offset1:28
	;; [unrolled: 1-line block ×4, first 2 shown]
	s_waitcnt vmcnt(18) lgkmcnt(4)
	v_pk_fma_f32 v[72:73], v[46:47], v[148:149], v[72:73] op_sel_hi:[0,1,1] neg_lo:[1,0,0] neg_hi:[1,0,0]
	s_waitcnt vmcnt(16) lgkmcnt(3)
	v_pk_fma_f32 v[94:95], v[46:47], v[144:145], v[94:95] op_sel_hi:[0,1,1] neg_lo:[1,0,0] neg_hi:[1,0,0]
	;; [unrolled: 2-line block ×5, first 2 shown]
	ds_read2_b32 v[144:145], v133 offset0:33 offset1:34
	ds_read2_b32 v[146:147], v133 offset0:35 offset1:36
	;; [unrolled: 1-line block ×5, first 2 shown]
	s_waitcnt vmcnt(8) lgkmcnt(4)
	v_pk_fma_f32 v[118:119], v[46:47], v[144:145], v[118:119] op_sel_hi:[0,1,1] neg_lo:[1,0,0] neg_hi:[1,0,0]
	s_waitcnt vmcnt(6) lgkmcnt(3)
	v_pk_fma_f32 v[122:123], v[46:47], v[146:147], v[122:123] op_sel_hi:[0,1,1] neg_lo:[1,0,0] neg_hi:[1,0,0]
	;; [unrolled: 2-line block ×5, first 2 shown]
.LBB85_55:
	s_or_b64 exec, exec, s[2:3]
	v_cmp_ne_u32_e32 vcc, 10, v25
	s_waitcnt lgkmcnt(0)
	s_barrier
	s_and_saveexec_b64 s[2:3], vcc
	s_xor_b64 s[2:3], exec, s[2:3]
	s_andn2_saveexec_b64 s[2:3], s[2:3]
	s_cbranch_execz .LBB85_59
; %bb.56:
	s_waitcnt vmcnt(32)
	ds_write_b32 v132, v47
	s_waitcnt vmcnt(30)
	ds_write2_b32 v133, v50, v51 offset0:11 offset1:12
	s_waitcnt vmcnt(28)
	ds_write2_b32 v133, v44, v45 offset0:13 offset1:14
	;; [unrolled: 2-line block ×16, first 2 shown]
	ds_read_b32 v144, v132
	s_waitcnt lgkmcnt(0)
	v_cmp_neq_f32_e32 vcc, 0, v144
	s_and_saveexec_b64 s[4:5], vcc
	s_cbranch_execz .LBB85_58
; %bb.57:
	v_div_scale_f32 v145, s[10:11], v144, v144, 1.0
	v_rcp_f32_e32 v146, v145
	v_div_scale_f32 v147, vcc, 1.0, v144, 1.0
	v_fma_f32 v148, -v145, v146, 1.0
	v_fmac_f32_e32 v146, v148, v146
	v_mul_f32_e32 v148, v147, v146
	v_fma_f32 v149, -v145, v148, v147
	v_fmac_f32_e32 v148, v149, v146
	v_fma_f32 v145, -v145, v148, v147
	v_div_fmas_f32 v145, v145, v146, v148
	v_div_fixup_f32 v144, v145, v144, 1.0
	ds_write_b32 v132, v144
.LBB85_58:
	s_or_b64 exec, exec, s[4:5]
.LBB85_59:
	s_or_b64 exec, exec, s[2:3]
	s_waitcnt lgkmcnt(0)
	s_barrier
	ds_read_b32 v144, v132
	v_cmp_lt_u32_e32 vcc, 10, v25
	s_and_saveexec_b64 s[2:3], vcc
	s_cbranch_execz .LBB85_61
; %bb.60:
	ds_read2_b32 v[146:147], v133 offset0:11 offset1:12
	ds_read2_b32 v[148:149], v133 offset0:13 offset1:14
	;; [unrolled: 1-line block ×3, first 2 shown]
	s_waitcnt vmcnt(32) lgkmcnt(3)
	v_mul_f32_e32 v152, v144, v47
	ds_read2_b32 v[154:155], v133 offset0:17 offset1:18
	s_waitcnt vmcnt(30) lgkmcnt(3)
	v_pk_fma_f32 v[50:51], v[152:153], v[146:147], v[50:51] op_sel_hi:[0,1,1] neg_lo:[1,0,0] neg_hi:[1,0,0]
	s_waitcnt vmcnt(28) lgkmcnt(2)
	v_pk_fma_f32 v[44:45], v[152:153], v[148:149], v[44:45] op_sel_hi:[0,1,1] neg_lo:[1,0,0] neg_hi:[1,0,0]
	s_waitcnt vmcnt(26) lgkmcnt(1)
	v_pk_fma_f32 v[48:49], v[152:153], v[150:151], v[48:49] op_sel_hi:[0,1,1] neg_lo:[1,0,0] neg_hi:[1,0,0]
	ds_read2_b32 v[146:147], v133 offset0:19 offset1:20
	ds_read2_b32 v[148:149], v133 offset0:21 offset1:22
	;; [unrolled: 1-line block ×3, first 2 shown]
	s_waitcnt vmcnt(24) lgkmcnt(3)
	v_pk_fma_f32 v[74:75], v[152:153], v[154:155], v[74:75] op_sel_hi:[0,1,1] neg_lo:[1,0,0] neg_hi:[1,0,0]
	ds_read2_b32 v[154:155], v133 offset0:25 offset1:26
	s_waitcnt vmcnt(22) lgkmcnt(3)
	v_pk_fma_f32 v[68:69], v[152:153], v[146:147], v[68:69] op_sel_hi:[0,1,1] neg_lo:[1,0,0] neg_hi:[1,0,0]
	s_waitcnt vmcnt(20) lgkmcnt(2)
	v_pk_fma_f32 v[70:71], v[152:153], v[148:149], v[70:71] op_sel_hi:[0,1,1] neg_lo:[1,0,0] neg_hi:[1,0,0]
	;; [unrolled: 2-line block ×3, first 2 shown]
	ds_read2_b32 v[146:147], v133 offset0:27 offset1:28
	ds_read2_b32 v[148:149], v133 offset0:29 offset1:30
	;; [unrolled: 1-line block ×3, first 2 shown]
	s_waitcnt vmcnt(16) lgkmcnt(3)
	v_pk_fma_f32 v[94:95], v[152:153], v[154:155], v[94:95] op_sel_hi:[0,1,1] neg_lo:[1,0,0] neg_hi:[1,0,0]
	ds_read2_b32 v[154:155], v133 offset0:33 offset1:34
	s_waitcnt vmcnt(14) lgkmcnt(3)
	v_pk_fma_f32 v[96:97], v[152:153], v[146:147], v[96:97] op_sel_hi:[0,1,1] neg_lo:[1,0,0] neg_hi:[1,0,0]
	s_waitcnt vmcnt(12) lgkmcnt(2)
	v_pk_fma_f32 v[98:99], v[152:153], v[148:149], v[98:99] op_sel_hi:[0,1,1] neg_lo:[1,0,0] neg_hi:[1,0,0]
	;; [unrolled: 2-line block ×3, first 2 shown]
	ds_read2_b32 v[146:147], v133 offset0:35 offset1:36
	ds_read2_b32 v[148:149], v133 offset0:37 offset1:38
	;; [unrolled: 1-line block ×4, first 2 shown]
	s_waitcnt vmcnt(8) lgkmcnt(4)
	v_pk_fma_f32 v[118:119], v[152:153], v[154:155], v[118:119] op_sel_hi:[0,1,1] neg_lo:[1,0,0] neg_hi:[1,0,0]
	s_waitcnt vmcnt(6) lgkmcnt(3)
	v_pk_fma_f32 v[122:123], v[152:153], v[146:147], v[122:123] op_sel_hi:[0,1,1] neg_lo:[1,0,0] neg_hi:[1,0,0]
	;; [unrolled: 2-line block ×5, first 2 shown]
	v_mov_b32_e32 v47, v152
.LBB85_61:
	s_or_b64 exec, exec, s[2:3]
	v_cmp_eq_u32_e32 vcc, 11, v25
	s_waitcnt lgkmcnt(0)
	s_barrier
	s_and_saveexec_b64 s[2:3], vcc
	s_cbranch_execz .LBB85_64
; %bb.62:
	s_waitcnt vmcnt(28)
	v_pk_mov_b32 v[146:147], v[50:51], v[44:45] op_sel:[1,0]
	ds_write_b32 v132, v50
	ds_write2_b32 v133, v146, v147 offset0:12 offset1:13
	s_waitcnt vmcnt(26)
	v_pk_mov_b32 v[146:147], v[44:45], v[48:49] op_sel:[1,0]
	ds_write2_b32 v133, v146, v147 offset0:14 offset1:15
	s_waitcnt vmcnt(24)
	v_pk_mov_b32 v[146:147], v[48:49], v[74:75] op_sel:[1,0]
	;; [unrolled: 3-line block ×14, first 2 shown]
	ds_write2_b32 v133, v146, v147 offset0:40 offset1:41
	ds_write_b32 v133, v131 offset:168
	ds_read_b32 v145, v132
	s_waitcnt lgkmcnt(0)
	v_cmp_neq_f32_e32 vcc, 0, v145
	s_and_b64 exec, exec, vcc
	s_cbranch_execz .LBB85_64
; %bb.63:
	v_div_scale_f32 v146, s[4:5], v145, v145, 1.0
	v_rcp_f32_e32 v147, v146
	v_div_scale_f32 v148, vcc, 1.0, v145, 1.0
	v_fma_f32 v149, -v146, v147, 1.0
	v_fmac_f32_e32 v147, v149, v147
	v_mul_f32_e32 v149, v148, v147
	v_fma_f32 v150, -v146, v149, v148
	v_fmac_f32_e32 v149, v150, v147
	v_fma_f32 v146, -v146, v149, v148
	v_div_fmas_f32 v146, v146, v147, v149
	v_div_fixup_f32 v145, v146, v145, 1.0
	ds_write_b32 v132, v145
.LBB85_64:
	s_or_b64 exec, exec, s[2:3]
	s_waitcnt lgkmcnt(0)
	s_barrier
	ds_read_b32 v145, v132
	v_cmp_lt_u32_e32 vcc, 11, v25
	s_and_saveexec_b64 s[2:3], vcc
	s_cbranch_execz .LBB85_66
; %bb.65:
	ds_read_b32 v152, v133 offset:48
	ds_read2_b32 v[146:147], v133 offset0:13 offset1:14
	ds_read2_b32 v[148:149], v133 offset0:15 offset1:16
	s_waitcnt vmcnt(31) lgkmcnt(3)
	v_mul_f32_e32 v50, v145, v50
	ds_read2_b32 v[150:151], v133 offset0:17 offset1:18
	s_waitcnt vmcnt(30) lgkmcnt(3)
	v_fma_f32 v51, -v50, v152, v51
	s_waitcnt vmcnt(28) lgkmcnt(2)
	v_pk_fma_f32 v[44:45], v[50:51], v[146:147], v[44:45] op_sel_hi:[0,1,1] neg_lo:[1,0,0] neg_hi:[1,0,0]
	s_waitcnt vmcnt(26) lgkmcnt(1)
	v_pk_fma_f32 v[48:49], v[50:51], v[148:149], v[48:49] op_sel_hi:[0,1,1] neg_lo:[1,0,0] neg_hi:[1,0,0]
	ds_read2_b32 v[146:147], v133 offset0:19 offset1:20
	ds_read2_b32 v[148:149], v133 offset0:21 offset1:22
	;; [unrolled: 1-line block ×3, first 2 shown]
	s_waitcnt vmcnt(24) lgkmcnt(3)
	v_pk_fma_f32 v[74:75], v[50:51], v[150:151], v[74:75] op_sel_hi:[0,1,1] neg_lo:[1,0,0] neg_hi:[1,0,0]
	ds_read2_b32 v[150:151], v133 offset0:25 offset1:26
	s_waitcnt vmcnt(22) lgkmcnt(3)
	v_pk_fma_f32 v[68:69], v[50:51], v[146:147], v[68:69] op_sel_hi:[0,1,1] neg_lo:[1,0,0] neg_hi:[1,0,0]
	s_waitcnt vmcnt(20) lgkmcnt(2)
	v_pk_fma_f32 v[70:71], v[50:51], v[148:149], v[70:71] op_sel_hi:[0,1,1] neg_lo:[1,0,0] neg_hi:[1,0,0]
	;; [unrolled: 2-line block ×3, first 2 shown]
	ds_read2_b32 v[146:147], v133 offset0:27 offset1:28
	ds_read2_b32 v[148:149], v133 offset0:29 offset1:30
	;; [unrolled: 1-line block ×3, first 2 shown]
	s_waitcnt vmcnt(16) lgkmcnt(3)
	v_pk_fma_f32 v[94:95], v[50:51], v[150:151], v[94:95] op_sel_hi:[0,1,1] neg_lo:[1,0,0] neg_hi:[1,0,0]
	ds_read2_b32 v[150:151], v133 offset0:33 offset1:34
	s_waitcnt vmcnt(14) lgkmcnt(3)
	v_pk_fma_f32 v[96:97], v[50:51], v[146:147], v[96:97] op_sel_hi:[0,1,1] neg_lo:[1,0,0] neg_hi:[1,0,0]
	s_waitcnt vmcnt(12) lgkmcnt(2)
	v_pk_fma_f32 v[98:99], v[50:51], v[148:149], v[98:99] op_sel_hi:[0,1,1] neg_lo:[1,0,0] neg_hi:[1,0,0]
	;; [unrolled: 2-line block ×3, first 2 shown]
	ds_read2_b32 v[146:147], v133 offset0:35 offset1:36
	ds_read2_b32 v[148:149], v133 offset0:37 offset1:38
	;; [unrolled: 1-line block ×4, first 2 shown]
	s_waitcnt vmcnt(8) lgkmcnt(4)
	v_pk_fma_f32 v[118:119], v[50:51], v[150:151], v[118:119] op_sel_hi:[0,1,1] neg_lo:[1,0,0] neg_hi:[1,0,0]
	s_waitcnt vmcnt(6) lgkmcnt(3)
	v_pk_fma_f32 v[122:123], v[50:51], v[146:147], v[122:123] op_sel_hi:[0,1,1] neg_lo:[1,0,0] neg_hi:[1,0,0]
	;; [unrolled: 2-line block ×5, first 2 shown]
.LBB85_66:
	s_or_b64 exec, exec, s[2:3]
	v_cmp_ne_u32_e32 vcc, 12, v25
	s_waitcnt lgkmcnt(0)
	s_barrier
	s_and_saveexec_b64 s[2:3], vcc
	s_xor_b64 s[2:3], exec, s[2:3]
	s_andn2_saveexec_b64 s[2:3], s[2:3]
	s_cbranch_execz .LBB85_70
; %bb.67:
	s_waitcnt vmcnt(30)
	ds_write_b32 v132, v51
	s_waitcnt vmcnt(28)
	ds_write2_b32 v133, v44, v45 offset0:13 offset1:14
	s_waitcnt vmcnt(26)
	ds_write2_b32 v133, v48, v49 offset0:15 offset1:16
	;; [unrolled: 2-line block ×15, first 2 shown]
	ds_read_b32 v146, v132
	s_waitcnt lgkmcnt(0)
	v_cmp_neq_f32_e32 vcc, 0, v146
	s_and_saveexec_b64 s[4:5], vcc
	s_cbranch_execz .LBB85_69
; %bb.68:
	v_div_scale_f32 v147, s[10:11], v146, v146, 1.0
	v_rcp_f32_e32 v148, v147
	v_div_scale_f32 v149, vcc, 1.0, v146, 1.0
	v_fma_f32 v150, -v147, v148, 1.0
	v_fmac_f32_e32 v148, v150, v148
	v_mul_f32_e32 v150, v149, v148
	v_fma_f32 v151, -v147, v150, v149
	v_fmac_f32_e32 v150, v151, v148
	v_fma_f32 v147, -v147, v150, v149
	v_div_fmas_f32 v147, v147, v148, v150
	v_div_fixup_f32 v146, v147, v146, 1.0
	ds_write_b32 v132, v146
.LBB85_69:
	s_or_b64 exec, exec, s[4:5]
.LBB85_70:
	s_or_b64 exec, exec, s[2:3]
	s_waitcnt lgkmcnt(0)
	s_barrier
	ds_read_b32 v146, v132
	v_cmp_lt_u32_e32 vcc, 12, v25
	s_and_saveexec_b64 s[2:3], vcc
	s_cbranch_execz .LBB85_72
; %bb.71:
	ds_read2_b32 v[148:149], v133 offset0:13 offset1:14
	ds_read2_b32 v[150:151], v133 offset0:15 offset1:16
	ds_read2_b32 v[152:153], v133 offset0:17 offset1:18
	s_waitcnt vmcnt(30) lgkmcnt(3)
	v_mul_f32_e32 v154, v146, v51
	ds_read2_b32 v[156:157], v133 offset0:19 offset1:20
	s_waitcnt vmcnt(28) lgkmcnt(3)
	v_pk_fma_f32 v[44:45], v[154:155], v[148:149], v[44:45] op_sel_hi:[0,1,1] neg_lo:[1,0,0] neg_hi:[1,0,0]
	s_waitcnt vmcnt(26) lgkmcnt(2)
	v_pk_fma_f32 v[48:49], v[154:155], v[150:151], v[48:49] op_sel_hi:[0,1,1] neg_lo:[1,0,0] neg_hi:[1,0,0]
	;; [unrolled: 2-line block ×3, first 2 shown]
	ds_read2_b32 v[148:149], v133 offset0:21 offset1:22
	ds_read2_b32 v[150:151], v133 offset0:23 offset1:24
	;; [unrolled: 1-line block ×3, first 2 shown]
	s_waitcnt vmcnt(22) lgkmcnt(3)
	v_pk_fma_f32 v[68:69], v[154:155], v[156:157], v[68:69] op_sel_hi:[0,1,1] neg_lo:[1,0,0] neg_hi:[1,0,0]
	ds_read2_b32 v[156:157], v133 offset0:27 offset1:28
	s_waitcnt vmcnt(20) lgkmcnt(3)
	v_pk_fma_f32 v[70:71], v[154:155], v[148:149], v[70:71] op_sel_hi:[0,1,1] neg_lo:[1,0,0] neg_hi:[1,0,0]
	s_waitcnt vmcnt(18) lgkmcnt(2)
	v_pk_fma_f32 v[72:73], v[154:155], v[150:151], v[72:73] op_sel_hi:[0,1,1] neg_lo:[1,0,0] neg_hi:[1,0,0]
	ds_read2_b32 v[148:149], v133 offset0:29 offset1:30
	ds_read2_b32 v[150:151], v133 offset0:31 offset1:32
	s_waitcnt vmcnt(16) lgkmcnt(3)
	v_pk_fma_f32 v[94:95], v[154:155], v[152:153], v[94:95] op_sel_hi:[0,1,1] neg_lo:[1,0,0] neg_hi:[1,0,0]
	s_waitcnt vmcnt(14) lgkmcnt(2)
	v_pk_fma_f32 v[96:97], v[154:155], v[156:157], v[96:97] op_sel_hi:[0,1,1] neg_lo:[1,0,0] neg_hi:[1,0,0]
	ds_read2_b32 v[152:153], v133 offset0:33 offset1:34
	;; [unrolled: 6-line block ×3, first 2 shown]
	ds_read2_b32 v[150:151], v133 offset0:39 offset1:40
	ds_read2_b32 v[158:159], v133 offset0:41 offset1:42
	s_waitcnt vmcnt(8) lgkmcnt(4)
	v_pk_fma_f32 v[118:119], v[154:155], v[152:153], v[118:119] op_sel_hi:[0,1,1] neg_lo:[1,0,0] neg_hi:[1,0,0]
	s_waitcnt vmcnt(6) lgkmcnt(3)
	v_pk_fma_f32 v[122:123], v[154:155], v[156:157], v[122:123] op_sel_hi:[0,1,1] neg_lo:[1,0,0] neg_hi:[1,0,0]
	;; [unrolled: 2-line block ×5, first 2 shown]
	v_mov_b32_e32 v51, v154
.LBB85_72:
	s_or_b64 exec, exec, s[2:3]
	v_cmp_eq_u32_e32 vcc, 13, v25
	s_waitcnt lgkmcnt(0)
	s_barrier
	s_and_saveexec_b64 s[2:3], vcc
	s_cbranch_execz .LBB85_75
; %bb.73:
	s_waitcnt vmcnt(26)
	v_pk_mov_b32 v[148:149], v[44:45], v[48:49] op_sel:[1,0]
	ds_write_b32 v132, v44
	ds_write2_b32 v133, v148, v149 offset0:14 offset1:15
	s_waitcnt vmcnt(24)
	v_pk_mov_b32 v[148:149], v[48:49], v[74:75] op_sel:[1,0]
	ds_write2_b32 v133, v148, v149 offset0:16 offset1:17
	s_waitcnt vmcnt(22)
	v_pk_mov_b32 v[148:149], v[74:75], v[68:69] op_sel:[1,0]
	;; [unrolled: 3-line block ×13, first 2 shown]
	ds_write2_b32 v133, v148, v149 offset0:40 offset1:41
	ds_write_b32 v133, v131 offset:168
	ds_read_b32 v147, v132
	s_waitcnt lgkmcnt(0)
	v_cmp_neq_f32_e32 vcc, 0, v147
	s_and_b64 exec, exec, vcc
	s_cbranch_execz .LBB85_75
; %bb.74:
	v_div_scale_f32 v148, s[4:5], v147, v147, 1.0
	v_rcp_f32_e32 v149, v148
	v_div_scale_f32 v150, vcc, 1.0, v147, 1.0
	v_fma_f32 v151, -v148, v149, 1.0
	v_fmac_f32_e32 v149, v151, v149
	v_mul_f32_e32 v151, v150, v149
	v_fma_f32 v152, -v148, v151, v150
	v_fmac_f32_e32 v151, v152, v149
	v_fma_f32 v148, -v148, v151, v150
	v_div_fmas_f32 v148, v148, v149, v151
	v_div_fixup_f32 v147, v148, v147, 1.0
	ds_write_b32 v132, v147
.LBB85_75:
	s_or_b64 exec, exec, s[2:3]
	s_waitcnt lgkmcnt(0)
	s_barrier
	ds_read_b32 v147, v132
	v_cmp_lt_u32_e32 vcc, 13, v25
	s_and_saveexec_b64 s[2:3], vcc
	s_cbranch_execz .LBB85_77
; %bb.76:
	ds_read_b32 v154, v133 offset:56
	ds_read2_b32 v[148:149], v133 offset0:15 offset1:16
	ds_read2_b32 v[150:151], v133 offset0:17 offset1:18
	s_waitcnt vmcnt(29) lgkmcnt(3)
	v_mul_f32_e32 v44, v147, v44
	ds_read2_b32 v[152:153], v133 offset0:19 offset1:20
	s_waitcnt vmcnt(28) lgkmcnt(3)
	v_fma_f32 v45, -v44, v154, v45
	s_waitcnt vmcnt(26) lgkmcnt(2)
	v_pk_fma_f32 v[48:49], v[44:45], v[148:149], v[48:49] op_sel_hi:[0,1,1] neg_lo:[1,0,0] neg_hi:[1,0,0]
	s_waitcnt vmcnt(24) lgkmcnt(1)
	v_pk_fma_f32 v[74:75], v[44:45], v[150:151], v[74:75] op_sel_hi:[0,1,1] neg_lo:[1,0,0] neg_hi:[1,0,0]
	ds_read2_b32 v[148:149], v133 offset0:21 offset1:22
	ds_read2_b32 v[150:151], v133 offset0:23 offset1:24
	;; [unrolled: 1-line block ×3, first 2 shown]
	s_waitcnt vmcnt(22) lgkmcnt(3)
	v_pk_fma_f32 v[68:69], v[44:45], v[152:153], v[68:69] op_sel_hi:[0,1,1] neg_lo:[1,0,0] neg_hi:[1,0,0]
	ds_read2_b32 v[152:153], v133 offset0:27 offset1:28
	s_waitcnt vmcnt(20) lgkmcnt(3)
	v_pk_fma_f32 v[70:71], v[44:45], v[148:149], v[70:71] op_sel_hi:[0,1,1] neg_lo:[1,0,0] neg_hi:[1,0,0]
	s_waitcnt vmcnt(18) lgkmcnt(2)
	v_pk_fma_f32 v[72:73], v[44:45], v[150:151], v[72:73] op_sel_hi:[0,1,1] neg_lo:[1,0,0] neg_hi:[1,0,0]
	ds_read2_b32 v[148:149], v133 offset0:29 offset1:30
	ds_read2_b32 v[150:151], v133 offset0:31 offset1:32
	s_waitcnt vmcnt(16) lgkmcnt(3)
	v_pk_fma_f32 v[94:95], v[44:45], v[154:155], v[94:95] op_sel_hi:[0,1,1] neg_lo:[1,0,0] neg_hi:[1,0,0]
	s_waitcnt vmcnt(14) lgkmcnt(2)
	v_pk_fma_f32 v[96:97], v[44:45], v[152:153], v[96:97] op_sel_hi:[0,1,1] neg_lo:[1,0,0] neg_hi:[1,0,0]
	ds_read2_b32 v[152:153], v133 offset0:33 offset1:34
	;; [unrolled: 6-line block ×3, first 2 shown]
	ds_read2_b32 v[150:151], v133 offset0:39 offset1:40
	ds_read2_b32 v[156:157], v133 offset0:41 offset1:42
	s_waitcnt vmcnt(8) lgkmcnt(4)
	v_pk_fma_f32 v[118:119], v[44:45], v[152:153], v[118:119] op_sel_hi:[0,1,1] neg_lo:[1,0,0] neg_hi:[1,0,0]
	s_waitcnt vmcnt(6) lgkmcnt(3)
	v_pk_fma_f32 v[122:123], v[44:45], v[154:155], v[122:123] op_sel_hi:[0,1,1] neg_lo:[1,0,0] neg_hi:[1,0,0]
	;; [unrolled: 2-line block ×5, first 2 shown]
.LBB85_77:
	s_or_b64 exec, exec, s[2:3]
	v_cmp_ne_u32_e32 vcc, 14, v25
	s_waitcnt lgkmcnt(0)
	s_barrier
	s_and_saveexec_b64 s[2:3], vcc
	s_xor_b64 s[2:3], exec, s[2:3]
	s_andn2_saveexec_b64 s[2:3], s[2:3]
	s_cbranch_execz .LBB85_81
; %bb.78:
	s_waitcnt vmcnt(28)
	ds_write_b32 v132, v45
	s_waitcnt vmcnt(26)
	ds_write2_b32 v133, v48, v49 offset0:15 offset1:16
	s_waitcnt vmcnt(24)
	ds_write2_b32 v133, v74, v75 offset0:17 offset1:18
	;; [unrolled: 2-line block ×14, first 2 shown]
	ds_read_b32 v148, v132
	s_waitcnt lgkmcnt(0)
	v_cmp_neq_f32_e32 vcc, 0, v148
	s_and_saveexec_b64 s[4:5], vcc
	s_cbranch_execz .LBB85_80
; %bb.79:
	v_div_scale_f32 v149, s[10:11], v148, v148, 1.0
	v_rcp_f32_e32 v150, v149
	v_div_scale_f32 v151, vcc, 1.0, v148, 1.0
	v_fma_f32 v152, -v149, v150, 1.0
	v_fmac_f32_e32 v150, v152, v150
	v_mul_f32_e32 v152, v151, v150
	v_fma_f32 v153, -v149, v152, v151
	v_fmac_f32_e32 v152, v153, v150
	v_fma_f32 v149, -v149, v152, v151
	v_div_fmas_f32 v149, v149, v150, v152
	v_div_fixup_f32 v148, v149, v148, 1.0
	ds_write_b32 v132, v148
.LBB85_80:
	s_or_b64 exec, exec, s[4:5]
.LBB85_81:
	s_or_b64 exec, exec, s[2:3]
	s_waitcnt lgkmcnt(0)
	s_barrier
	ds_read_b32 v148, v132
	v_cmp_lt_u32_e32 vcc, 14, v25
	s_and_saveexec_b64 s[2:3], vcc
	s_cbranch_execz .LBB85_83
; %bb.82:
	ds_read2_b32 v[150:151], v133 offset0:15 offset1:16
	ds_read2_b32 v[152:153], v133 offset0:17 offset1:18
	;; [unrolled: 1-line block ×4, first 2 shown]
	s_waitcnt vmcnt(28) lgkmcnt(4)
	v_mul_f32_e32 v156, v148, v45
	s_waitcnt vmcnt(26) lgkmcnt(3)
	v_pk_fma_f32 v[48:49], v[156:157], v[150:151], v[48:49] op_sel_hi:[0,1,1] neg_lo:[1,0,0] neg_hi:[1,0,0]
	s_waitcnt vmcnt(24) lgkmcnt(2)
	v_pk_fma_f32 v[74:75], v[156:157], v[152:153], v[74:75] op_sel_hi:[0,1,1] neg_lo:[1,0,0] neg_hi:[1,0,0]
	;; [unrolled: 2-line block ×3, first 2 shown]
	ds_read2_b32 v[150:151], v133 offset0:23 offset1:24
	ds_read2_b32 v[152:153], v133 offset0:25 offset1:26
	;; [unrolled: 1-line block ×3, first 2 shown]
	s_waitcnt vmcnt(20) lgkmcnt(3)
	v_pk_fma_f32 v[70:71], v[156:157], v[158:159], v[70:71] op_sel_hi:[0,1,1] neg_lo:[1,0,0] neg_hi:[1,0,0]
	ds_read2_b32 v[158:159], v133 offset0:29 offset1:30
	s_waitcnt vmcnt(18) lgkmcnt(3)
	v_pk_fma_f32 v[72:73], v[156:157], v[150:151], v[72:73] op_sel_hi:[0,1,1] neg_lo:[1,0,0] neg_hi:[1,0,0]
	ds_read2_b32 v[150:151], v133 offset0:31 offset1:32
	s_waitcnt vmcnt(16) lgkmcnt(3)
	v_pk_fma_f32 v[94:95], v[156:157], v[152:153], v[94:95] op_sel_hi:[0,1,1] neg_lo:[1,0,0] neg_hi:[1,0,0]
	s_waitcnt vmcnt(14) lgkmcnt(2)
	v_pk_fma_f32 v[96:97], v[156:157], v[154:155], v[96:97] op_sel_hi:[0,1,1] neg_lo:[1,0,0] neg_hi:[1,0,0]
	;; [unrolled: 2-line block ×3, first 2 shown]
	ds_read2_b32 v[152:153], v133 offset0:33 offset1:34
	ds_read2_b32 v[154:155], v133 offset0:35 offset1:36
	;; [unrolled: 1-line block ×3, first 2 shown]
	s_waitcnt vmcnt(10) lgkmcnt(3)
	v_pk_fma_f32 v[92:93], v[156:157], v[150:151], v[92:93] op_sel_hi:[0,1,1] neg_lo:[1,0,0] neg_hi:[1,0,0]
	ds_read2_b32 v[150:151], v133 offset0:39 offset1:40
	ds_read2_b32 v[160:161], v133 offset0:41 offset1:42
	s_waitcnt vmcnt(8) lgkmcnt(4)
	v_pk_fma_f32 v[118:119], v[156:157], v[152:153], v[118:119] op_sel_hi:[0,1,1] neg_lo:[1,0,0] neg_hi:[1,0,0]
	s_waitcnt vmcnt(6) lgkmcnt(3)
	v_pk_fma_f32 v[122:123], v[156:157], v[154:155], v[122:123] op_sel_hi:[0,1,1] neg_lo:[1,0,0] neg_hi:[1,0,0]
	;; [unrolled: 2-line block ×5, first 2 shown]
	v_mov_b32_e32 v45, v156
.LBB85_83:
	s_or_b64 exec, exec, s[2:3]
	v_cmp_eq_u32_e32 vcc, 15, v25
	s_waitcnt lgkmcnt(0)
	s_barrier
	s_and_saveexec_b64 s[2:3], vcc
	s_cbranch_execz .LBB85_86
; %bb.84:
	s_waitcnt vmcnt(24)
	v_pk_mov_b32 v[150:151], v[48:49], v[74:75] op_sel:[1,0]
	ds_write_b32 v132, v48
	ds_write2_b32 v133, v150, v151 offset0:16 offset1:17
	s_waitcnt vmcnt(22)
	v_pk_mov_b32 v[150:151], v[74:75], v[68:69] op_sel:[1,0]
	ds_write2_b32 v133, v150, v151 offset0:18 offset1:19
	s_waitcnt vmcnt(20)
	v_pk_mov_b32 v[150:151], v[68:69], v[70:71] op_sel:[1,0]
	;; [unrolled: 3-line block ×12, first 2 shown]
	ds_write2_b32 v133, v150, v151 offset0:40 offset1:41
	ds_write_b32 v133, v131 offset:168
	ds_read_b32 v149, v132
	s_waitcnt lgkmcnt(0)
	v_cmp_neq_f32_e32 vcc, 0, v149
	s_and_b64 exec, exec, vcc
	s_cbranch_execz .LBB85_86
; %bb.85:
	v_div_scale_f32 v150, s[4:5], v149, v149, 1.0
	v_rcp_f32_e32 v151, v150
	v_div_scale_f32 v152, vcc, 1.0, v149, 1.0
	v_fma_f32 v153, -v150, v151, 1.0
	v_fmac_f32_e32 v151, v153, v151
	v_mul_f32_e32 v153, v152, v151
	v_fma_f32 v154, -v150, v153, v152
	v_fmac_f32_e32 v153, v154, v151
	v_fma_f32 v150, -v150, v153, v152
	v_div_fmas_f32 v150, v150, v151, v153
	v_div_fixup_f32 v149, v150, v149, 1.0
	ds_write_b32 v132, v149
.LBB85_86:
	s_or_b64 exec, exec, s[2:3]
	s_waitcnt lgkmcnt(0)
	s_barrier
	ds_read_b32 v149, v132
	v_cmp_lt_u32_e32 vcc, 15, v25
	s_and_saveexec_b64 s[2:3], vcc
	s_cbranch_execz .LBB85_88
; %bb.87:
	ds_read_b32 v156, v133 offset:64
	ds_read2_b32 v[150:151], v133 offset0:17 offset1:18
	ds_read2_b32 v[152:153], v133 offset0:19 offset1:20
	s_waitcnt vmcnt(27) lgkmcnt(3)
	v_mul_f32_e32 v48, v149, v48
	ds_read2_b32 v[154:155], v133 offset0:21 offset1:22
	s_waitcnt vmcnt(26) lgkmcnt(3)
	v_fma_f32 v49, -v48, v156, v49
	s_waitcnt vmcnt(24) lgkmcnt(2)
	v_pk_fma_f32 v[74:75], v[48:49], v[150:151], v[74:75] op_sel_hi:[0,1,1] neg_lo:[1,0,0] neg_hi:[1,0,0]
	s_waitcnt vmcnt(22) lgkmcnt(1)
	v_pk_fma_f32 v[68:69], v[48:49], v[152:153], v[68:69] op_sel_hi:[0,1,1] neg_lo:[1,0,0] neg_hi:[1,0,0]
	ds_read2_b32 v[150:151], v133 offset0:23 offset1:24
	ds_read2_b32 v[152:153], v133 offset0:25 offset1:26
	;; [unrolled: 1-line block ×3, first 2 shown]
	s_waitcnt vmcnt(20) lgkmcnt(3)
	v_pk_fma_f32 v[70:71], v[48:49], v[154:155], v[70:71] op_sel_hi:[0,1,1] neg_lo:[1,0,0] neg_hi:[1,0,0]
	ds_read2_b32 v[154:155], v133 offset0:29 offset1:30
	s_waitcnt vmcnt(18) lgkmcnt(3)
	v_pk_fma_f32 v[72:73], v[48:49], v[150:151], v[72:73] op_sel_hi:[0,1,1] neg_lo:[1,0,0] neg_hi:[1,0,0]
	ds_read2_b32 v[150:151], v133 offset0:31 offset1:32
	s_waitcnt vmcnt(16) lgkmcnt(3)
	v_pk_fma_f32 v[94:95], v[48:49], v[152:153], v[94:95] op_sel_hi:[0,1,1] neg_lo:[1,0,0] neg_hi:[1,0,0]
	s_waitcnt vmcnt(14) lgkmcnt(2)
	v_pk_fma_f32 v[96:97], v[48:49], v[156:157], v[96:97] op_sel_hi:[0,1,1] neg_lo:[1,0,0] neg_hi:[1,0,0]
	;; [unrolled: 2-line block ×3, first 2 shown]
	ds_read2_b32 v[152:153], v133 offset0:33 offset1:34
	ds_read2_b32 v[154:155], v133 offset0:35 offset1:36
	;; [unrolled: 1-line block ×3, first 2 shown]
	s_waitcnt vmcnt(10) lgkmcnt(3)
	v_pk_fma_f32 v[92:93], v[48:49], v[150:151], v[92:93] op_sel_hi:[0,1,1] neg_lo:[1,0,0] neg_hi:[1,0,0]
	ds_read2_b32 v[150:151], v133 offset0:39 offset1:40
	ds_read2_b32 v[158:159], v133 offset0:41 offset1:42
	s_waitcnt vmcnt(8) lgkmcnt(4)
	v_pk_fma_f32 v[118:119], v[48:49], v[152:153], v[118:119] op_sel_hi:[0,1,1] neg_lo:[1,0,0] neg_hi:[1,0,0]
	s_waitcnt vmcnt(6) lgkmcnt(3)
	v_pk_fma_f32 v[122:123], v[48:49], v[154:155], v[122:123] op_sel_hi:[0,1,1] neg_lo:[1,0,0] neg_hi:[1,0,0]
	;; [unrolled: 2-line block ×5, first 2 shown]
.LBB85_88:
	s_or_b64 exec, exec, s[2:3]
	v_cmp_ne_u32_e32 vcc, 16, v25
	s_waitcnt lgkmcnt(0)
	s_barrier
	s_and_saveexec_b64 s[2:3], vcc
	s_xor_b64 s[2:3], exec, s[2:3]
	s_andn2_saveexec_b64 s[2:3], s[2:3]
	s_cbranch_execz .LBB85_92
; %bb.89:
	s_waitcnt vmcnt(26)
	ds_write_b32 v132, v49
	s_waitcnt vmcnt(24)
	ds_write2_b32 v133, v74, v75 offset0:17 offset1:18
	s_waitcnt vmcnt(22)
	ds_write2_b32 v133, v68, v69 offset0:19 offset1:20
	;; [unrolled: 2-line block ×13, first 2 shown]
	ds_read_b32 v150, v132
	s_waitcnt lgkmcnt(0)
	v_cmp_neq_f32_e32 vcc, 0, v150
	s_and_saveexec_b64 s[4:5], vcc
	s_cbranch_execz .LBB85_91
; %bb.90:
	v_div_scale_f32 v151, s[10:11], v150, v150, 1.0
	v_rcp_f32_e32 v152, v151
	v_div_scale_f32 v153, vcc, 1.0, v150, 1.0
	v_fma_f32 v154, -v151, v152, 1.0
	v_fmac_f32_e32 v152, v154, v152
	v_mul_f32_e32 v154, v153, v152
	v_fma_f32 v155, -v151, v154, v153
	v_fmac_f32_e32 v154, v155, v152
	v_fma_f32 v151, -v151, v154, v153
	v_div_fmas_f32 v151, v151, v152, v154
	v_div_fixup_f32 v150, v151, v150, 1.0
	ds_write_b32 v132, v150
.LBB85_91:
	s_or_b64 exec, exec, s[4:5]
.LBB85_92:
	s_or_b64 exec, exec, s[2:3]
	s_waitcnt lgkmcnt(0)
	s_barrier
	ds_read_b32 v150, v132
	v_cmp_lt_u32_e32 vcc, 16, v25
	s_and_saveexec_b64 s[2:3], vcc
	s_cbranch_execz .LBB85_94
; %bb.93:
	ds_read2_b32 v[152:153], v133 offset0:17 offset1:18
	ds_read2_b32 v[154:155], v133 offset0:19 offset1:20
	;; [unrolled: 1-line block ×3, first 2 shown]
	s_waitcnt vmcnt(26) lgkmcnt(3)
	v_mul_f32_e32 v158, v150, v49
	ds_read2_b32 v[160:161], v133 offset0:23 offset1:24
	s_waitcnt vmcnt(24) lgkmcnt(3)
	v_pk_fma_f32 v[74:75], v[158:159], v[152:153], v[74:75] op_sel_hi:[0,1,1] neg_lo:[1,0,0] neg_hi:[1,0,0]
	s_waitcnt vmcnt(22) lgkmcnt(2)
	v_pk_fma_f32 v[68:69], v[158:159], v[154:155], v[68:69] op_sel_hi:[0,1,1] neg_lo:[1,0,0] neg_hi:[1,0,0]
	;; [unrolled: 2-line block ×3, first 2 shown]
	ds_read2_b32 v[152:153], v133 offset0:25 offset1:26
	ds_read2_b32 v[154:155], v133 offset0:27 offset1:28
	;; [unrolled: 1-line block ×4, first 2 shown]
	s_waitcnt vmcnt(18) lgkmcnt(4)
	v_pk_fma_f32 v[72:73], v[158:159], v[160:161], v[72:73] op_sel_hi:[0,1,1] neg_lo:[1,0,0] neg_hi:[1,0,0]
	s_waitcnt vmcnt(16) lgkmcnt(3)
	v_pk_fma_f32 v[94:95], v[158:159], v[152:153], v[94:95] op_sel_hi:[0,1,1] neg_lo:[1,0,0] neg_hi:[1,0,0]
	;; [unrolled: 2-line block ×5, first 2 shown]
	ds_read2_b32 v[152:153], v133 offset0:33 offset1:34
	ds_read2_b32 v[154:155], v133 offset0:35 offset1:36
	ds_read2_b32 v[156:157], v133 offset0:37 offset1:38
	ds_read2_b32 v[160:161], v133 offset0:39 offset1:40
	ds_read2_b32 v[162:163], v133 offset0:41 offset1:42
	s_waitcnt vmcnt(8) lgkmcnt(4)
	v_pk_fma_f32 v[118:119], v[158:159], v[152:153], v[118:119] op_sel_hi:[0,1,1] neg_lo:[1,0,0] neg_hi:[1,0,0]
	s_waitcnt vmcnt(6) lgkmcnt(3)
	v_pk_fma_f32 v[122:123], v[158:159], v[154:155], v[122:123] op_sel_hi:[0,1,1] neg_lo:[1,0,0] neg_hi:[1,0,0]
	;; [unrolled: 2-line block ×5, first 2 shown]
	v_mov_b32_e32 v49, v158
.LBB85_94:
	s_or_b64 exec, exec, s[2:3]
	v_cmp_eq_u32_e32 vcc, 17, v25
	s_waitcnt lgkmcnt(0)
	s_barrier
	s_and_saveexec_b64 s[2:3], vcc
	s_cbranch_execz .LBB85_97
; %bb.95:
	s_waitcnt vmcnt(22)
	v_pk_mov_b32 v[152:153], v[74:75], v[68:69] op_sel:[1,0]
	ds_write_b32 v132, v74
	ds_write2_b32 v133, v152, v153 offset0:18 offset1:19
	s_waitcnt vmcnt(20)
	v_pk_mov_b32 v[152:153], v[68:69], v[70:71] op_sel:[1,0]
	ds_write2_b32 v133, v152, v153 offset0:20 offset1:21
	s_waitcnt vmcnt(18)
	v_pk_mov_b32 v[152:153], v[70:71], v[72:73] op_sel:[1,0]
	;; [unrolled: 3-line block ×11, first 2 shown]
	ds_write2_b32 v133, v152, v153 offset0:40 offset1:41
	ds_write_b32 v133, v131 offset:168
	ds_read_b32 v151, v132
	s_waitcnt lgkmcnt(0)
	v_cmp_neq_f32_e32 vcc, 0, v151
	s_and_b64 exec, exec, vcc
	s_cbranch_execz .LBB85_97
; %bb.96:
	v_div_scale_f32 v152, s[4:5], v151, v151, 1.0
	v_rcp_f32_e32 v153, v152
	v_div_scale_f32 v154, vcc, 1.0, v151, 1.0
	v_fma_f32 v155, -v152, v153, 1.0
	v_fmac_f32_e32 v153, v155, v153
	v_mul_f32_e32 v155, v154, v153
	v_fma_f32 v156, -v152, v155, v154
	v_fmac_f32_e32 v155, v156, v153
	v_fma_f32 v152, -v152, v155, v154
	v_div_fmas_f32 v152, v152, v153, v155
	v_div_fixup_f32 v151, v152, v151, 1.0
	ds_write_b32 v132, v151
.LBB85_97:
	s_or_b64 exec, exec, s[2:3]
	s_waitcnt lgkmcnt(0)
	s_barrier
	ds_read_b32 v151, v132
	v_cmp_lt_u32_e32 vcc, 17, v25
	s_and_saveexec_b64 s[2:3], vcc
	s_cbranch_execz .LBB85_99
; %bb.98:
	ds_read_b32 v158, v133 offset:72
	ds_read2_b32 v[152:153], v133 offset0:19 offset1:20
	ds_read2_b32 v[154:155], v133 offset0:21 offset1:22
	s_waitcnt vmcnt(25) lgkmcnt(3)
	v_mul_f32_e32 v74, v151, v74
	ds_read2_b32 v[156:157], v133 offset0:23 offset1:24
	s_waitcnt vmcnt(24) lgkmcnt(3)
	v_fma_f32 v75, -v74, v158, v75
	s_waitcnt vmcnt(22) lgkmcnt(2)
	v_pk_fma_f32 v[68:69], v[74:75], v[152:153], v[68:69] op_sel_hi:[0,1,1] neg_lo:[1,0,0] neg_hi:[1,0,0]
	s_waitcnt vmcnt(20) lgkmcnt(1)
	v_pk_fma_f32 v[70:71], v[74:75], v[154:155], v[70:71] op_sel_hi:[0,1,1] neg_lo:[1,0,0] neg_hi:[1,0,0]
	ds_read2_b32 v[152:153], v133 offset0:25 offset1:26
	ds_read2_b32 v[154:155], v133 offset0:27 offset1:28
	;; [unrolled: 1-line block ×4, first 2 shown]
	s_waitcnt vmcnt(18) lgkmcnt(4)
	v_pk_fma_f32 v[72:73], v[74:75], v[156:157], v[72:73] op_sel_hi:[0,1,1] neg_lo:[1,0,0] neg_hi:[1,0,0]
	s_waitcnt vmcnt(16) lgkmcnt(3)
	v_pk_fma_f32 v[94:95], v[74:75], v[152:153], v[94:95] op_sel_hi:[0,1,1] neg_lo:[1,0,0] neg_hi:[1,0,0]
	;; [unrolled: 2-line block ×5, first 2 shown]
	ds_read2_b32 v[152:153], v133 offset0:33 offset1:34
	ds_read2_b32 v[154:155], v133 offset0:35 offset1:36
	;; [unrolled: 1-line block ×5, first 2 shown]
	s_waitcnt vmcnt(8) lgkmcnt(4)
	v_pk_fma_f32 v[118:119], v[74:75], v[152:153], v[118:119] op_sel_hi:[0,1,1] neg_lo:[1,0,0] neg_hi:[1,0,0]
	s_waitcnt vmcnt(6) lgkmcnt(3)
	v_pk_fma_f32 v[122:123], v[74:75], v[154:155], v[122:123] op_sel_hi:[0,1,1] neg_lo:[1,0,0] neg_hi:[1,0,0]
	;; [unrolled: 2-line block ×5, first 2 shown]
.LBB85_99:
	s_or_b64 exec, exec, s[2:3]
	v_cmp_ne_u32_e32 vcc, 18, v25
	s_waitcnt lgkmcnt(0)
	s_barrier
	s_and_saveexec_b64 s[2:3], vcc
	s_xor_b64 s[2:3], exec, s[2:3]
	s_andn2_saveexec_b64 s[2:3], s[2:3]
	s_cbranch_execz .LBB85_103
; %bb.100:
	s_waitcnt vmcnt(24)
	ds_write_b32 v132, v75
	s_waitcnt vmcnt(22)
	ds_write2_b32 v133, v68, v69 offset0:19 offset1:20
	s_waitcnt vmcnt(20)
	ds_write2_b32 v133, v70, v71 offset0:21 offset1:22
	;; [unrolled: 2-line block ×12, first 2 shown]
	ds_read_b32 v152, v132
	s_waitcnt lgkmcnt(0)
	v_cmp_neq_f32_e32 vcc, 0, v152
	s_and_saveexec_b64 s[4:5], vcc
	s_cbranch_execz .LBB85_102
; %bb.101:
	v_div_scale_f32 v153, s[10:11], v152, v152, 1.0
	v_rcp_f32_e32 v154, v153
	v_div_scale_f32 v155, vcc, 1.0, v152, 1.0
	v_fma_f32 v156, -v153, v154, 1.0
	v_fmac_f32_e32 v154, v156, v154
	v_mul_f32_e32 v156, v155, v154
	v_fma_f32 v157, -v153, v156, v155
	v_fmac_f32_e32 v156, v157, v154
	v_fma_f32 v153, -v153, v156, v155
	v_div_fmas_f32 v153, v153, v154, v156
	v_div_fixup_f32 v152, v153, v152, 1.0
	ds_write_b32 v132, v152
.LBB85_102:
	s_or_b64 exec, exec, s[4:5]
.LBB85_103:
	s_or_b64 exec, exec, s[2:3]
	s_waitcnt lgkmcnt(0)
	s_barrier
	ds_read_b32 v152, v132
	v_cmp_lt_u32_e32 vcc, 18, v25
	s_and_saveexec_b64 s[2:3], vcc
	s_cbranch_execz .LBB85_105
; %bb.104:
	ds_read2_b32 v[154:155], v133 offset0:19 offset1:20
	ds_read2_b32 v[156:157], v133 offset0:21 offset1:22
	;; [unrolled: 1-line block ×3, first 2 shown]
	s_waitcnt vmcnt(24) lgkmcnt(3)
	v_mul_f32_e32 v160, v152, v75
	ds_read2_b32 v[162:163], v133 offset0:25 offset1:26
	s_waitcnt vmcnt(22) lgkmcnt(3)
	v_pk_fma_f32 v[68:69], v[160:161], v[154:155], v[68:69] op_sel_hi:[0,1,1] neg_lo:[1,0,0] neg_hi:[1,0,0]
	s_waitcnt vmcnt(20) lgkmcnt(2)
	v_pk_fma_f32 v[70:71], v[160:161], v[156:157], v[70:71] op_sel_hi:[0,1,1] neg_lo:[1,0,0] neg_hi:[1,0,0]
	;; [unrolled: 2-line block ×3, first 2 shown]
	ds_read2_b32 v[154:155], v133 offset0:27 offset1:28
	ds_read2_b32 v[156:157], v133 offset0:29 offset1:30
	ds_read2_b32 v[158:159], v133 offset0:31 offset1:32
	s_waitcnt vmcnt(16) lgkmcnt(3)
	v_pk_fma_f32 v[94:95], v[160:161], v[162:163], v[94:95] op_sel_hi:[0,1,1] neg_lo:[1,0,0] neg_hi:[1,0,0]
	ds_read2_b32 v[162:163], v133 offset0:33 offset1:34
	s_waitcnt vmcnt(14) lgkmcnt(3)
	v_pk_fma_f32 v[96:97], v[160:161], v[154:155], v[96:97] op_sel_hi:[0,1,1] neg_lo:[1,0,0] neg_hi:[1,0,0]
	s_waitcnt vmcnt(12) lgkmcnt(2)
	v_pk_fma_f32 v[98:99], v[160:161], v[156:157], v[98:99] op_sel_hi:[0,1,1] neg_lo:[1,0,0] neg_hi:[1,0,0]
	;; [unrolled: 2-line block ×3, first 2 shown]
	ds_read2_b32 v[154:155], v133 offset0:35 offset1:36
	ds_read2_b32 v[156:157], v133 offset0:37 offset1:38
	;; [unrolled: 1-line block ×4, first 2 shown]
	s_waitcnt vmcnt(8) lgkmcnt(4)
	v_pk_fma_f32 v[118:119], v[160:161], v[162:163], v[118:119] op_sel_hi:[0,1,1] neg_lo:[1,0,0] neg_hi:[1,0,0]
	s_waitcnt vmcnt(6) lgkmcnt(3)
	v_pk_fma_f32 v[122:123], v[160:161], v[154:155], v[122:123] op_sel_hi:[0,1,1] neg_lo:[1,0,0] neg_hi:[1,0,0]
	;; [unrolled: 2-line block ×5, first 2 shown]
	v_mov_b32_e32 v75, v160
.LBB85_105:
	s_or_b64 exec, exec, s[2:3]
	v_cmp_eq_u32_e32 vcc, 19, v25
	s_waitcnt lgkmcnt(0)
	s_barrier
	s_and_saveexec_b64 s[2:3], vcc
	s_cbranch_execz .LBB85_108
; %bb.106:
	s_waitcnt vmcnt(20)
	v_pk_mov_b32 v[154:155], v[68:69], v[70:71] op_sel:[1,0]
	ds_write_b32 v132, v68
	ds_write2_b32 v133, v154, v155 offset0:20 offset1:21
	s_waitcnt vmcnt(18)
	v_pk_mov_b32 v[154:155], v[70:71], v[72:73] op_sel:[1,0]
	ds_write2_b32 v133, v154, v155 offset0:22 offset1:23
	s_waitcnt vmcnt(16)
	v_pk_mov_b32 v[154:155], v[72:73], v[94:95] op_sel:[1,0]
	ds_write2_b32 v133, v154, v155 offset0:24 offset1:25
	s_waitcnt vmcnt(14)
	v_pk_mov_b32 v[154:155], v[94:95], v[96:97] op_sel:[1,0]
	ds_write2_b32 v133, v154, v155 offset0:26 offset1:27
	s_waitcnt vmcnt(12)
	v_pk_mov_b32 v[154:155], v[96:97], v[98:99] op_sel:[1,0]
	ds_write2_b32 v133, v154, v155 offset0:28 offset1:29
	s_waitcnt vmcnt(10)
	v_pk_mov_b32 v[154:155], v[98:99], v[92:93] op_sel:[1,0]
	ds_write2_b32 v133, v154, v155 offset0:30 offset1:31
	s_waitcnt vmcnt(8)
	v_pk_mov_b32 v[154:155], v[92:93], v[118:119] op_sel:[1,0]
	ds_write2_b32 v133, v154, v155 offset0:32 offset1:33
	s_waitcnt vmcnt(6)
	v_pk_mov_b32 v[154:155], v[118:119], v[122:123] op_sel:[1,0]
	ds_write2_b32 v133, v154, v155 offset0:34 offset1:35
	s_waitcnt vmcnt(4)
	v_pk_mov_b32 v[154:155], v[122:123], v[116:117] op_sel:[1,0]
	ds_write2_b32 v133, v154, v155 offset0:36 offset1:37
	s_waitcnt vmcnt(2)
	v_pk_mov_b32 v[154:155], v[116:117], v[120:121] op_sel:[1,0]
	ds_write2_b32 v133, v154, v155 offset0:38 offset1:39
	s_waitcnt vmcnt(0)
	v_pk_mov_b32 v[154:155], v[120:121], v[130:131] op_sel:[1,0]
	ds_write2_b32 v133, v154, v155 offset0:40 offset1:41
	ds_write_b32 v133, v131 offset:168
	ds_read_b32 v153, v132
	s_waitcnt lgkmcnt(0)
	v_cmp_neq_f32_e32 vcc, 0, v153
	s_and_b64 exec, exec, vcc
	s_cbranch_execz .LBB85_108
; %bb.107:
	v_div_scale_f32 v154, s[4:5], v153, v153, 1.0
	v_rcp_f32_e32 v155, v154
	v_div_scale_f32 v156, vcc, 1.0, v153, 1.0
	v_fma_f32 v157, -v154, v155, 1.0
	v_fmac_f32_e32 v155, v157, v155
	v_mul_f32_e32 v157, v156, v155
	v_fma_f32 v158, -v154, v157, v156
	v_fmac_f32_e32 v157, v158, v155
	v_fma_f32 v154, -v154, v157, v156
	v_div_fmas_f32 v154, v154, v155, v157
	v_div_fixup_f32 v153, v154, v153, 1.0
	ds_write_b32 v132, v153
.LBB85_108:
	s_or_b64 exec, exec, s[2:3]
	s_waitcnt lgkmcnt(0)
	s_barrier
	ds_read_b32 v153, v132
	v_cmp_lt_u32_e32 vcc, 19, v25
	s_and_saveexec_b64 s[2:3], vcc
	s_cbranch_execz .LBB85_110
; %bb.109:
	ds_read_b32 v160, v133 offset:80
	ds_read2_b32 v[154:155], v133 offset0:21 offset1:22
	ds_read2_b32 v[156:157], v133 offset0:23 offset1:24
	s_waitcnt vmcnt(23) lgkmcnt(3)
	v_mul_f32_e32 v68, v153, v68
	ds_read2_b32 v[158:159], v133 offset0:25 offset1:26
	s_waitcnt vmcnt(22) lgkmcnt(3)
	v_fma_f32 v69, -v68, v160, v69
	s_waitcnt vmcnt(20) lgkmcnt(2)
	v_pk_fma_f32 v[70:71], v[68:69], v[154:155], v[70:71] op_sel_hi:[0,1,1] neg_lo:[1,0,0] neg_hi:[1,0,0]
	s_waitcnt vmcnt(18) lgkmcnt(1)
	v_pk_fma_f32 v[72:73], v[68:69], v[156:157], v[72:73] op_sel_hi:[0,1,1] neg_lo:[1,0,0] neg_hi:[1,0,0]
	ds_read2_b32 v[154:155], v133 offset0:27 offset1:28
	ds_read2_b32 v[156:157], v133 offset0:29 offset1:30
	;; [unrolled: 1-line block ×3, first 2 shown]
	s_waitcnt vmcnt(16) lgkmcnt(3)
	v_pk_fma_f32 v[94:95], v[68:69], v[158:159], v[94:95] op_sel_hi:[0,1,1] neg_lo:[1,0,0] neg_hi:[1,0,0]
	ds_read2_b32 v[158:159], v133 offset0:33 offset1:34
	s_waitcnt vmcnt(14) lgkmcnt(3)
	v_pk_fma_f32 v[96:97], v[68:69], v[154:155], v[96:97] op_sel_hi:[0,1,1] neg_lo:[1,0,0] neg_hi:[1,0,0]
	s_waitcnt vmcnt(12) lgkmcnt(2)
	v_pk_fma_f32 v[98:99], v[68:69], v[156:157], v[98:99] op_sel_hi:[0,1,1] neg_lo:[1,0,0] neg_hi:[1,0,0]
	;; [unrolled: 2-line block ×3, first 2 shown]
	ds_read2_b32 v[154:155], v133 offset0:35 offset1:36
	ds_read2_b32 v[156:157], v133 offset0:37 offset1:38
	;; [unrolled: 1-line block ×4, first 2 shown]
	s_waitcnt vmcnt(8) lgkmcnt(4)
	v_pk_fma_f32 v[118:119], v[68:69], v[158:159], v[118:119] op_sel_hi:[0,1,1] neg_lo:[1,0,0] neg_hi:[1,0,0]
	s_waitcnt vmcnt(6) lgkmcnt(3)
	v_pk_fma_f32 v[122:123], v[68:69], v[154:155], v[122:123] op_sel_hi:[0,1,1] neg_lo:[1,0,0] neg_hi:[1,0,0]
	s_waitcnt vmcnt(4) lgkmcnt(2)
	v_pk_fma_f32 v[116:117], v[68:69], v[156:157], v[116:117] op_sel_hi:[0,1,1] neg_lo:[1,0,0] neg_hi:[1,0,0]
	s_waitcnt vmcnt(2) lgkmcnt(1)
	v_pk_fma_f32 v[120:121], v[68:69], v[160:161], v[120:121] op_sel_hi:[0,1,1] neg_lo:[1,0,0] neg_hi:[1,0,0]
	s_waitcnt vmcnt(0) lgkmcnt(0)
	v_pk_fma_f32 v[130:131], v[68:69], v[162:163], v[130:131] op_sel_hi:[0,1,1] neg_lo:[1,0,0] neg_hi:[1,0,0]
.LBB85_110:
	s_or_b64 exec, exec, s[2:3]
	v_cmp_ne_u32_e32 vcc, 20, v25
	s_waitcnt lgkmcnt(0)
	s_barrier
	s_and_saveexec_b64 s[2:3], vcc
	s_xor_b64 s[2:3], exec, s[2:3]
	s_andn2_saveexec_b64 s[2:3], s[2:3]
	s_cbranch_execz .LBB85_114
; %bb.111:
	s_waitcnt vmcnt(22)
	ds_write_b32 v132, v69
	s_waitcnt vmcnt(20)
	ds_write2_b32 v133, v70, v71 offset0:21 offset1:22
	s_waitcnt vmcnt(18)
	ds_write2_b32 v133, v72, v73 offset0:23 offset1:24
	;; [unrolled: 2-line block ×11, first 2 shown]
	ds_read_b32 v154, v132
	s_waitcnt lgkmcnt(0)
	v_cmp_neq_f32_e32 vcc, 0, v154
	s_and_saveexec_b64 s[4:5], vcc
	s_cbranch_execz .LBB85_113
; %bb.112:
	v_div_scale_f32 v155, s[10:11], v154, v154, 1.0
	v_rcp_f32_e32 v156, v155
	v_div_scale_f32 v157, vcc, 1.0, v154, 1.0
	v_fma_f32 v158, -v155, v156, 1.0
	v_fmac_f32_e32 v156, v158, v156
	v_mul_f32_e32 v158, v157, v156
	v_fma_f32 v159, -v155, v158, v157
	v_fmac_f32_e32 v158, v159, v156
	v_fma_f32 v155, -v155, v158, v157
	v_div_fmas_f32 v155, v155, v156, v158
	v_div_fixup_f32 v154, v155, v154, 1.0
	ds_write_b32 v132, v154
.LBB85_113:
	s_or_b64 exec, exec, s[4:5]
.LBB85_114:
	s_or_b64 exec, exec, s[2:3]
	s_waitcnt lgkmcnt(0)
	s_barrier
	ds_read_b32 v154, v132
	v_cmp_lt_u32_e32 vcc, 20, v25
	s_and_saveexec_b64 s[2:3], vcc
	s_cbranch_execz .LBB85_116
; %bb.115:
	ds_read2_b32 v[156:157], v133 offset0:21 offset1:22
	ds_read2_b32 v[158:159], v133 offset0:23 offset1:24
	;; [unrolled: 1-line block ×3, first 2 shown]
	s_waitcnt vmcnt(22) lgkmcnt(3)
	v_mul_f32_e32 v162, v154, v69
	ds_read2_b32 v[164:165], v133 offset0:27 offset1:28
	s_waitcnt vmcnt(20) lgkmcnt(3)
	v_pk_fma_f32 v[70:71], v[162:163], v[156:157], v[70:71] op_sel_hi:[0,1,1] neg_lo:[1,0,0] neg_hi:[1,0,0]
	s_waitcnt vmcnt(18) lgkmcnt(2)
	v_pk_fma_f32 v[72:73], v[162:163], v[158:159], v[72:73] op_sel_hi:[0,1,1] neg_lo:[1,0,0] neg_hi:[1,0,0]
	ds_read2_b32 v[156:157], v133 offset0:29 offset1:30
	ds_read2_b32 v[158:159], v133 offset0:31 offset1:32
	s_waitcnt vmcnt(16) lgkmcnt(3)
	v_pk_fma_f32 v[94:95], v[162:163], v[160:161], v[94:95] op_sel_hi:[0,1,1] neg_lo:[1,0,0] neg_hi:[1,0,0]
	s_waitcnt vmcnt(14) lgkmcnt(2)
	v_pk_fma_f32 v[96:97], v[162:163], v[164:165], v[96:97] op_sel_hi:[0,1,1] neg_lo:[1,0,0] neg_hi:[1,0,0]
	ds_read2_b32 v[160:161], v133 offset0:33 offset1:34
	;; [unrolled: 6-line block ×3, first 2 shown]
	ds_read2_b32 v[158:159], v133 offset0:39 offset1:40
	ds_read2_b32 v[166:167], v133 offset0:41 offset1:42
	s_waitcnt vmcnt(8) lgkmcnt(4)
	v_pk_fma_f32 v[118:119], v[162:163], v[160:161], v[118:119] op_sel_hi:[0,1,1] neg_lo:[1,0,0] neg_hi:[1,0,0]
	s_waitcnt vmcnt(6) lgkmcnt(3)
	v_pk_fma_f32 v[122:123], v[162:163], v[164:165], v[122:123] op_sel_hi:[0,1,1] neg_lo:[1,0,0] neg_hi:[1,0,0]
	;; [unrolled: 2-line block ×5, first 2 shown]
	v_mov_b32_e32 v69, v162
.LBB85_116:
	s_or_b64 exec, exec, s[2:3]
	v_cmp_eq_u32_e32 vcc, 21, v25
	s_waitcnt lgkmcnt(0)
	s_barrier
	s_and_saveexec_b64 s[2:3], vcc
	s_cbranch_execz .LBB85_119
; %bb.117:
	s_waitcnt vmcnt(18)
	v_pk_mov_b32 v[156:157], v[70:71], v[72:73] op_sel:[1,0]
	ds_write_b32 v132, v70
	ds_write2_b32 v133, v156, v157 offset0:22 offset1:23
	s_waitcnt vmcnt(16)
	v_pk_mov_b32 v[156:157], v[72:73], v[94:95] op_sel:[1,0]
	ds_write2_b32 v133, v156, v157 offset0:24 offset1:25
	s_waitcnt vmcnt(14)
	v_pk_mov_b32 v[156:157], v[94:95], v[96:97] op_sel:[1,0]
	;; [unrolled: 3-line block ×9, first 2 shown]
	ds_write2_b32 v133, v156, v157 offset0:40 offset1:41
	ds_write_b32 v133, v131 offset:168
	ds_read_b32 v155, v132
	s_waitcnt lgkmcnt(0)
	v_cmp_neq_f32_e32 vcc, 0, v155
	s_and_b64 exec, exec, vcc
	s_cbranch_execz .LBB85_119
; %bb.118:
	v_div_scale_f32 v156, s[4:5], v155, v155, 1.0
	v_rcp_f32_e32 v157, v156
	v_div_scale_f32 v158, vcc, 1.0, v155, 1.0
	v_fma_f32 v159, -v156, v157, 1.0
	v_fmac_f32_e32 v157, v159, v157
	v_mul_f32_e32 v159, v158, v157
	v_fma_f32 v160, -v156, v159, v158
	v_fmac_f32_e32 v159, v160, v157
	v_fma_f32 v156, -v156, v159, v158
	v_div_fmas_f32 v156, v156, v157, v159
	v_div_fixup_f32 v155, v156, v155, 1.0
	ds_write_b32 v132, v155
.LBB85_119:
	s_or_b64 exec, exec, s[2:3]
	s_waitcnt lgkmcnt(0)
	s_barrier
	ds_read_b32 v155, v132
	v_cmp_lt_u32_e32 vcc, 21, v25
	s_and_saveexec_b64 s[2:3], vcc
	s_cbranch_execz .LBB85_121
; %bb.120:
	ds_read_b32 v162, v133 offset:88
	ds_read2_b32 v[156:157], v133 offset0:23 offset1:24
	ds_read2_b32 v[158:159], v133 offset0:25 offset1:26
	s_waitcnt vmcnt(21) lgkmcnt(3)
	v_mul_f32_e32 v70, v155, v70
	ds_read2_b32 v[160:161], v133 offset0:27 offset1:28
	s_waitcnt vmcnt(20) lgkmcnt(3)
	v_fma_f32 v71, -v70, v162, v71
	s_waitcnt vmcnt(18) lgkmcnt(2)
	v_pk_fma_f32 v[72:73], v[70:71], v[156:157], v[72:73] op_sel_hi:[0,1,1] neg_lo:[1,0,0] neg_hi:[1,0,0]
	s_waitcnt vmcnt(16) lgkmcnt(1)
	v_pk_fma_f32 v[94:95], v[70:71], v[158:159], v[94:95] op_sel_hi:[0,1,1] neg_lo:[1,0,0] neg_hi:[1,0,0]
	ds_read2_b32 v[156:157], v133 offset0:29 offset1:30
	ds_read2_b32 v[158:159], v133 offset0:31 offset1:32
	s_waitcnt vmcnt(14) lgkmcnt(2)
	v_pk_fma_f32 v[96:97], v[70:71], v[160:161], v[96:97] op_sel_hi:[0,1,1] neg_lo:[1,0,0] neg_hi:[1,0,0]
	ds_read2_b32 v[160:161], v133 offset0:33 offset1:34
	ds_read2_b32 v[162:163], v133 offset0:35 offset1:36
	s_waitcnt vmcnt(12) lgkmcnt(3)
	v_pk_fma_f32 v[98:99], v[70:71], v[156:157], v[98:99] op_sel_hi:[0,1,1] neg_lo:[1,0,0] neg_hi:[1,0,0]
	s_waitcnt vmcnt(10) lgkmcnt(2)
	v_pk_fma_f32 v[92:93], v[70:71], v[158:159], v[92:93] op_sel_hi:[0,1,1] neg_lo:[1,0,0] neg_hi:[1,0,0]
	ds_read2_b32 v[156:157], v133 offset0:37 offset1:38
	ds_read2_b32 v[158:159], v133 offset0:39 offset1:40
	;; [unrolled: 1-line block ×3, first 2 shown]
	s_waitcnt vmcnt(8) lgkmcnt(4)
	v_pk_fma_f32 v[118:119], v[70:71], v[160:161], v[118:119] op_sel_hi:[0,1,1] neg_lo:[1,0,0] neg_hi:[1,0,0]
	s_waitcnt vmcnt(6) lgkmcnt(3)
	v_pk_fma_f32 v[122:123], v[70:71], v[162:163], v[122:123] op_sel_hi:[0,1,1] neg_lo:[1,0,0] neg_hi:[1,0,0]
	;; [unrolled: 2-line block ×5, first 2 shown]
.LBB85_121:
	s_or_b64 exec, exec, s[2:3]
	v_cmp_ne_u32_e32 vcc, 22, v25
	s_waitcnt lgkmcnt(0)
	s_barrier
	s_and_saveexec_b64 s[2:3], vcc
	s_xor_b64 s[2:3], exec, s[2:3]
	s_andn2_saveexec_b64 s[2:3], s[2:3]
	s_cbranch_execz .LBB85_125
; %bb.122:
	s_waitcnt vmcnt(20)
	ds_write_b32 v132, v71
	s_waitcnt vmcnt(18)
	ds_write2_b32 v133, v72, v73 offset0:23 offset1:24
	s_waitcnt vmcnt(16)
	ds_write2_b32 v133, v94, v95 offset0:25 offset1:26
	;; [unrolled: 2-line block ×10, first 2 shown]
	ds_read_b32 v156, v132
	s_waitcnt lgkmcnt(0)
	v_cmp_neq_f32_e32 vcc, 0, v156
	s_and_saveexec_b64 s[4:5], vcc
	s_cbranch_execz .LBB85_124
; %bb.123:
	v_div_scale_f32 v157, s[10:11], v156, v156, 1.0
	v_rcp_f32_e32 v158, v157
	v_div_scale_f32 v159, vcc, 1.0, v156, 1.0
	v_fma_f32 v160, -v157, v158, 1.0
	v_fmac_f32_e32 v158, v160, v158
	v_mul_f32_e32 v160, v159, v158
	v_fma_f32 v161, -v157, v160, v159
	v_fmac_f32_e32 v160, v161, v158
	v_fma_f32 v157, -v157, v160, v159
	v_div_fmas_f32 v157, v157, v158, v160
	v_div_fixup_f32 v156, v157, v156, 1.0
	ds_write_b32 v132, v156
.LBB85_124:
	s_or_b64 exec, exec, s[4:5]
.LBB85_125:
	s_or_b64 exec, exec, s[2:3]
	s_waitcnt lgkmcnt(0)
	s_barrier
	ds_read_b32 v156, v132
	v_cmp_lt_u32_e32 vcc, 22, v25
	s_and_saveexec_b64 s[2:3], vcc
	s_cbranch_execz .LBB85_127
; %bb.126:
	ds_read2_b32 v[158:159], v133 offset0:23 offset1:24
	ds_read2_b32 v[160:161], v133 offset0:25 offset1:26
	;; [unrolled: 1-line block ×3, first 2 shown]
	s_waitcnt vmcnt(20) lgkmcnt(3)
	v_mul_f32_e32 v164, v156, v71
	ds_read2_b32 v[166:167], v133 offset0:29 offset1:30
	s_waitcnt vmcnt(18) lgkmcnt(3)
	v_pk_fma_f32 v[72:73], v[164:165], v[158:159], v[72:73] op_sel_hi:[0,1,1] neg_lo:[1,0,0] neg_hi:[1,0,0]
	ds_read2_b32 v[158:159], v133 offset0:31 offset1:32
	s_waitcnt vmcnt(16) lgkmcnt(3)
	v_pk_fma_f32 v[94:95], v[164:165], v[160:161], v[94:95] op_sel_hi:[0,1,1] neg_lo:[1,0,0] neg_hi:[1,0,0]
	s_waitcnt vmcnt(14) lgkmcnt(2)
	v_pk_fma_f32 v[96:97], v[164:165], v[162:163], v[96:97] op_sel_hi:[0,1,1] neg_lo:[1,0,0] neg_hi:[1,0,0]
	;; [unrolled: 2-line block ×3, first 2 shown]
	ds_read2_b32 v[160:161], v133 offset0:33 offset1:34
	ds_read2_b32 v[162:163], v133 offset0:35 offset1:36
	;; [unrolled: 1-line block ×3, first 2 shown]
	s_waitcnt vmcnt(10) lgkmcnt(3)
	v_pk_fma_f32 v[92:93], v[164:165], v[158:159], v[92:93] op_sel_hi:[0,1,1] neg_lo:[1,0,0] neg_hi:[1,0,0]
	ds_read2_b32 v[158:159], v133 offset0:39 offset1:40
	ds_read2_b32 v[168:169], v133 offset0:41 offset1:42
	s_waitcnt vmcnt(8) lgkmcnt(4)
	v_pk_fma_f32 v[118:119], v[164:165], v[160:161], v[118:119] op_sel_hi:[0,1,1] neg_lo:[1,0,0] neg_hi:[1,0,0]
	s_waitcnt vmcnt(6) lgkmcnt(3)
	v_pk_fma_f32 v[122:123], v[164:165], v[162:163], v[122:123] op_sel_hi:[0,1,1] neg_lo:[1,0,0] neg_hi:[1,0,0]
	;; [unrolled: 2-line block ×5, first 2 shown]
	v_mov_b32_e32 v71, v164
.LBB85_127:
	s_or_b64 exec, exec, s[2:3]
	v_cmp_eq_u32_e32 vcc, 23, v25
	s_waitcnt lgkmcnt(0)
	s_barrier
	s_and_saveexec_b64 s[2:3], vcc
	s_cbranch_execz .LBB85_130
; %bb.128:
	s_waitcnt vmcnt(16)
	v_pk_mov_b32 v[158:159], v[72:73], v[94:95] op_sel:[1,0]
	ds_write_b32 v132, v72
	ds_write2_b32 v133, v158, v159 offset0:24 offset1:25
	s_waitcnt vmcnt(14)
	v_pk_mov_b32 v[158:159], v[94:95], v[96:97] op_sel:[1,0]
	ds_write2_b32 v133, v158, v159 offset0:26 offset1:27
	s_waitcnt vmcnt(12)
	v_pk_mov_b32 v[158:159], v[96:97], v[98:99] op_sel:[1,0]
	;; [unrolled: 3-line block ×8, first 2 shown]
	ds_write2_b32 v133, v158, v159 offset0:40 offset1:41
	ds_write_b32 v133, v131 offset:168
	ds_read_b32 v157, v132
	s_waitcnt lgkmcnt(0)
	v_cmp_neq_f32_e32 vcc, 0, v157
	s_and_b64 exec, exec, vcc
	s_cbranch_execz .LBB85_130
; %bb.129:
	v_div_scale_f32 v158, s[4:5], v157, v157, 1.0
	v_rcp_f32_e32 v159, v158
	v_div_scale_f32 v160, vcc, 1.0, v157, 1.0
	v_fma_f32 v161, -v158, v159, 1.0
	v_fmac_f32_e32 v159, v161, v159
	v_mul_f32_e32 v161, v160, v159
	v_fma_f32 v162, -v158, v161, v160
	v_fmac_f32_e32 v161, v162, v159
	v_fma_f32 v158, -v158, v161, v160
	v_div_fmas_f32 v158, v158, v159, v161
	v_div_fixup_f32 v157, v158, v157, 1.0
	ds_write_b32 v132, v157
.LBB85_130:
	s_or_b64 exec, exec, s[2:3]
	s_waitcnt lgkmcnt(0)
	s_barrier
	ds_read_b32 v157, v132
	v_cmp_lt_u32_e32 vcc, 23, v25
	s_and_saveexec_b64 s[2:3], vcc
	s_cbranch_execz .LBB85_132
; %bb.131:
	ds_read_b32 v164, v133 offset:96
	ds_read2_b32 v[158:159], v133 offset0:25 offset1:26
	ds_read2_b32 v[160:161], v133 offset0:27 offset1:28
	s_waitcnt vmcnt(19) lgkmcnt(3)
	v_mul_f32_e32 v72, v157, v72
	ds_read2_b32 v[162:163], v133 offset0:29 offset1:30
	s_waitcnt vmcnt(18) lgkmcnt(3)
	v_fma_f32 v73, -v72, v164, v73
	s_waitcnt vmcnt(16) lgkmcnt(2)
	v_pk_fma_f32 v[94:95], v[72:73], v[158:159], v[94:95] op_sel_hi:[0,1,1] neg_lo:[1,0,0] neg_hi:[1,0,0]
	ds_read2_b32 v[158:159], v133 offset0:31 offset1:32
	s_waitcnt vmcnt(14) lgkmcnt(2)
	v_pk_fma_f32 v[96:97], v[72:73], v[160:161], v[96:97] op_sel_hi:[0,1,1] neg_lo:[1,0,0] neg_hi:[1,0,0]
	s_waitcnt vmcnt(12) lgkmcnt(1)
	v_pk_fma_f32 v[98:99], v[72:73], v[162:163], v[98:99] op_sel_hi:[0,1,1] neg_lo:[1,0,0] neg_hi:[1,0,0]
	ds_read2_b32 v[160:161], v133 offset0:33 offset1:34
	ds_read2_b32 v[162:163], v133 offset0:35 offset1:36
	;; [unrolled: 1-line block ×3, first 2 shown]
	s_waitcnt vmcnt(10) lgkmcnt(3)
	v_pk_fma_f32 v[92:93], v[72:73], v[158:159], v[92:93] op_sel_hi:[0,1,1] neg_lo:[1,0,0] neg_hi:[1,0,0]
	ds_read2_b32 v[158:159], v133 offset0:39 offset1:40
	ds_read2_b32 v[166:167], v133 offset0:41 offset1:42
	s_waitcnt vmcnt(8) lgkmcnt(4)
	v_pk_fma_f32 v[118:119], v[72:73], v[160:161], v[118:119] op_sel_hi:[0,1,1] neg_lo:[1,0,0] neg_hi:[1,0,0]
	s_waitcnt vmcnt(6) lgkmcnt(3)
	v_pk_fma_f32 v[122:123], v[72:73], v[162:163], v[122:123] op_sel_hi:[0,1,1] neg_lo:[1,0,0] neg_hi:[1,0,0]
	;; [unrolled: 2-line block ×5, first 2 shown]
.LBB85_132:
	s_or_b64 exec, exec, s[2:3]
	v_cmp_ne_u32_e32 vcc, 24, v25
	s_waitcnt lgkmcnt(0)
	s_barrier
	s_and_saveexec_b64 s[2:3], vcc
	s_xor_b64 s[2:3], exec, s[2:3]
	s_andn2_saveexec_b64 s[2:3], s[2:3]
	s_cbranch_execz .LBB85_136
; %bb.133:
	s_waitcnt vmcnt(18)
	ds_write_b32 v132, v73
	s_waitcnt vmcnt(16)
	ds_write2_b32 v133, v94, v95 offset0:25 offset1:26
	s_waitcnt vmcnt(14)
	ds_write2_b32 v133, v96, v97 offset0:27 offset1:28
	;; [unrolled: 2-line block ×9, first 2 shown]
	ds_read_b32 v158, v132
	s_waitcnt lgkmcnt(0)
	v_cmp_neq_f32_e32 vcc, 0, v158
	s_and_saveexec_b64 s[4:5], vcc
	s_cbranch_execz .LBB85_135
; %bb.134:
	v_div_scale_f32 v159, s[10:11], v158, v158, 1.0
	v_rcp_f32_e32 v160, v159
	v_div_scale_f32 v161, vcc, 1.0, v158, 1.0
	v_fma_f32 v162, -v159, v160, 1.0
	v_fmac_f32_e32 v160, v162, v160
	v_mul_f32_e32 v162, v161, v160
	v_fma_f32 v163, -v159, v162, v161
	v_fmac_f32_e32 v162, v163, v160
	v_fma_f32 v159, -v159, v162, v161
	v_div_fmas_f32 v159, v159, v160, v162
	v_div_fixup_f32 v158, v159, v158, 1.0
	ds_write_b32 v132, v158
.LBB85_135:
	s_or_b64 exec, exec, s[4:5]
.LBB85_136:
	s_or_b64 exec, exec, s[2:3]
	s_waitcnt lgkmcnt(0)
	s_barrier
	ds_read_b32 v158, v132
	v_cmp_lt_u32_e32 vcc, 24, v25
	s_and_saveexec_b64 s[2:3], vcc
	s_cbranch_execz .LBB85_138
; %bb.137:
	ds_read2_b32 v[162:163], v133 offset0:25 offset1:26
	s_waitcnt vmcnt(18) lgkmcnt(1)
	v_mul_f32_e32 v160, v158, v73
	v_mov_b32_e32 v73, v160
	s_waitcnt vmcnt(16) lgkmcnt(0)
	v_pk_fma_f32 v[94:95], v[160:161], v[162:163], v[94:95] op_sel_hi:[0,1,1] neg_lo:[1,0,0] neg_hi:[1,0,0]
	ds_read2_b32 v[162:163], v133 offset0:27 offset1:28
	s_waitcnt vmcnt(14) lgkmcnt(0)
	v_pk_fma_f32 v[96:97], v[160:161], v[162:163], v[96:97] op_sel_hi:[0,1,1] neg_lo:[1,0,0] neg_hi:[1,0,0]
	ds_read2_b32 v[162:163], v133 offset0:29 offset1:30
	;; [unrolled: 3-line block ×8, first 2 shown]
	s_waitcnt vmcnt(0) lgkmcnt(0)
	v_pk_fma_f32 v[130:131], v[160:161], v[162:163], v[130:131] op_sel_hi:[0,1,1] neg_lo:[1,0,0] neg_hi:[1,0,0]
.LBB85_138:
	s_or_b64 exec, exec, s[2:3]
	v_cmp_eq_u32_e32 vcc, 25, v25
	s_waitcnt lgkmcnt(0)
	s_barrier
	s_and_saveexec_b64 s[2:3], vcc
	s_cbranch_execz .LBB85_141
; %bb.139:
	s_waitcnt vmcnt(14)
	v_pk_mov_b32 v[160:161], v[94:95], v[96:97] op_sel:[1,0]
	ds_write_b32 v132, v94
	ds_write2_b32 v133, v160, v161 offset0:26 offset1:27
	s_waitcnt vmcnt(12)
	v_pk_mov_b32 v[160:161], v[96:97], v[98:99] op_sel:[1,0]
	ds_write2_b32 v133, v160, v161 offset0:28 offset1:29
	s_waitcnt vmcnt(10)
	v_pk_mov_b32 v[160:161], v[98:99], v[92:93] op_sel:[1,0]
	ds_write2_b32 v133, v160, v161 offset0:30 offset1:31
	s_waitcnt vmcnt(8)
	v_pk_mov_b32 v[160:161], v[92:93], v[118:119] op_sel:[1,0]
	ds_write2_b32 v133, v160, v161 offset0:32 offset1:33
	s_waitcnt vmcnt(6)
	v_pk_mov_b32 v[160:161], v[118:119], v[122:123] op_sel:[1,0]
	ds_write2_b32 v133, v160, v161 offset0:34 offset1:35
	s_waitcnt vmcnt(4)
	v_pk_mov_b32 v[160:161], v[122:123], v[116:117] op_sel:[1,0]
	ds_write2_b32 v133, v160, v161 offset0:36 offset1:37
	s_waitcnt vmcnt(2)
	v_pk_mov_b32 v[160:161], v[116:117], v[120:121] op_sel:[1,0]
	ds_write2_b32 v133, v160, v161 offset0:38 offset1:39
	s_waitcnt vmcnt(0)
	v_pk_mov_b32 v[160:161], v[120:121], v[130:131] op_sel:[1,0]
	ds_write2_b32 v133, v160, v161 offset0:40 offset1:41
	ds_write_b32 v133, v131 offset:168
	ds_read_b32 v159, v132
	s_waitcnt lgkmcnt(0)
	v_cmp_neq_f32_e32 vcc, 0, v159
	s_and_b64 exec, exec, vcc
	s_cbranch_execz .LBB85_141
; %bb.140:
	v_div_scale_f32 v160, s[4:5], v159, v159, 1.0
	v_rcp_f32_e32 v161, v160
	v_div_scale_f32 v162, vcc, 1.0, v159, 1.0
	v_fma_f32 v163, -v160, v161, 1.0
	v_fmac_f32_e32 v161, v163, v161
	v_mul_f32_e32 v163, v162, v161
	v_fma_f32 v164, -v160, v163, v162
	v_fmac_f32_e32 v163, v164, v161
	v_fma_f32 v160, -v160, v163, v162
	v_div_fmas_f32 v160, v160, v161, v163
	v_div_fixup_f32 v159, v160, v159, 1.0
	ds_write_b32 v132, v159
.LBB85_141:
	s_or_b64 exec, exec, s[2:3]
	s_waitcnt lgkmcnt(0)
	s_barrier
	ds_read_b32 v159, v132
	v_cmp_lt_u32_e32 vcc, 25, v25
	s_and_saveexec_b64 s[2:3], vcc
	s_cbranch_execz .LBB85_143
; %bb.142:
	ds_read_b32 v160, v133 offset:104
	s_waitcnt vmcnt(17) lgkmcnt(1)
	v_mul_f32_e32 v94, v159, v94
	s_waitcnt vmcnt(16) lgkmcnt(0)
	v_fma_f32 v95, -v94, v160, v95
	ds_read2_b32 v[160:161], v133 offset0:27 offset1:28
	s_waitcnt vmcnt(14) lgkmcnt(0)
	v_pk_fma_f32 v[96:97], v[94:95], v[160:161], v[96:97] op_sel_hi:[0,1,1] neg_lo:[1,0,0] neg_hi:[1,0,0]
	ds_read2_b32 v[160:161], v133 offset0:29 offset1:30
	s_waitcnt vmcnt(12) lgkmcnt(0)
	v_pk_fma_f32 v[98:99], v[94:95], v[160:161], v[98:99] op_sel_hi:[0,1,1] neg_lo:[1,0,0] neg_hi:[1,0,0]
	;; [unrolled: 3-line block ×8, first 2 shown]
.LBB85_143:
	s_or_b64 exec, exec, s[2:3]
	v_cmp_ne_u32_e32 vcc, 26, v25
	s_waitcnt lgkmcnt(0)
	s_barrier
	s_and_saveexec_b64 s[2:3], vcc
	s_xor_b64 s[2:3], exec, s[2:3]
	s_andn2_saveexec_b64 s[2:3], s[2:3]
	s_cbranch_execz .LBB85_147
; %bb.144:
	s_waitcnt vmcnt(16)
	ds_write_b32 v132, v95
	s_waitcnt vmcnt(14)
	ds_write2_b32 v133, v96, v97 offset0:27 offset1:28
	s_waitcnt vmcnt(12)
	ds_write2_b32 v133, v98, v99 offset0:29 offset1:30
	;; [unrolled: 2-line block ×8, first 2 shown]
	ds_read_b32 v160, v132
	s_waitcnt lgkmcnt(0)
	v_cmp_neq_f32_e32 vcc, 0, v160
	s_and_saveexec_b64 s[4:5], vcc
	s_cbranch_execz .LBB85_146
; %bb.145:
	v_div_scale_f32 v161, s[10:11], v160, v160, 1.0
	v_rcp_f32_e32 v162, v161
	v_div_scale_f32 v163, vcc, 1.0, v160, 1.0
	v_fma_f32 v164, -v161, v162, 1.0
	v_fmac_f32_e32 v162, v164, v162
	v_mul_f32_e32 v164, v163, v162
	v_fma_f32 v165, -v161, v164, v163
	v_fmac_f32_e32 v164, v165, v162
	v_fma_f32 v161, -v161, v164, v163
	v_div_fmas_f32 v161, v161, v162, v164
	v_div_fixup_f32 v160, v161, v160, 1.0
	ds_write_b32 v132, v160
.LBB85_146:
	s_or_b64 exec, exec, s[4:5]
.LBB85_147:
	s_or_b64 exec, exec, s[2:3]
	s_waitcnt lgkmcnt(0)
	s_barrier
	ds_read_b32 v160, v132
	v_cmp_lt_u32_e32 vcc, 26, v25
	s_and_saveexec_b64 s[2:3], vcc
	s_cbranch_execz .LBB85_149
; %bb.148:
	ds_read2_b32 v[164:165], v133 offset0:27 offset1:28
	s_waitcnt vmcnt(16) lgkmcnt(1)
	v_mul_f32_e32 v162, v160, v95
	v_mov_b32_e32 v95, v162
	s_waitcnt vmcnt(14) lgkmcnt(0)
	v_pk_fma_f32 v[96:97], v[162:163], v[164:165], v[96:97] op_sel_hi:[0,1,1] neg_lo:[1,0,0] neg_hi:[1,0,0]
	ds_read2_b32 v[164:165], v133 offset0:29 offset1:30
	s_waitcnt vmcnt(12) lgkmcnt(0)
	v_pk_fma_f32 v[98:99], v[162:163], v[164:165], v[98:99] op_sel_hi:[0,1,1] neg_lo:[1,0,0] neg_hi:[1,0,0]
	ds_read2_b32 v[164:165], v133 offset0:31 offset1:32
	;; [unrolled: 3-line block ×7, first 2 shown]
	s_waitcnt vmcnt(0) lgkmcnt(0)
	v_pk_fma_f32 v[130:131], v[162:163], v[164:165], v[130:131] op_sel_hi:[0,1,1] neg_lo:[1,0,0] neg_hi:[1,0,0]
.LBB85_149:
	s_or_b64 exec, exec, s[2:3]
	v_cmp_eq_u32_e32 vcc, 27, v25
	s_waitcnt lgkmcnt(0)
	s_barrier
	s_and_saveexec_b64 s[2:3], vcc
	s_cbranch_execz .LBB85_152
; %bb.150:
	s_waitcnt vmcnt(12)
	v_pk_mov_b32 v[162:163], v[96:97], v[98:99] op_sel:[1,0]
	ds_write_b32 v132, v96
	ds_write2_b32 v133, v162, v163 offset0:28 offset1:29
	s_waitcnt vmcnt(10)
	v_pk_mov_b32 v[162:163], v[98:99], v[92:93] op_sel:[1,0]
	ds_write2_b32 v133, v162, v163 offset0:30 offset1:31
	s_waitcnt vmcnt(8)
	v_pk_mov_b32 v[162:163], v[92:93], v[118:119] op_sel:[1,0]
	;; [unrolled: 3-line block ×6, first 2 shown]
	ds_write2_b32 v133, v162, v163 offset0:40 offset1:41
	ds_write_b32 v133, v131 offset:168
	ds_read_b32 v161, v132
	s_waitcnt lgkmcnt(0)
	v_cmp_neq_f32_e32 vcc, 0, v161
	s_and_b64 exec, exec, vcc
	s_cbranch_execz .LBB85_152
; %bb.151:
	v_div_scale_f32 v162, s[4:5], v161, v161, 1.0
	v_rcp_f32_e32 v163, v162
	v_div_scale_f32 v164, vcc, 1.0, v161, 1.0
	v_fma_f32 v165, -v162, v163, 1.0
	v_fmac_f32_e32 v163, v165, v163
	v_mul_f32_e32 v165, v164, v163
	v_fma_f32 v166, -v162, v165, v164
	v_fmac_f32_e32 v165, v166, v163
	v_fma_f32 v162, -v162, v165, v164
	v_div_fmas_f32 v162, v162, v163, v165
	v_div_fixup_f32 v161, v162, v161, 1.0
	ds_write_b32 v132, v161
.LBB85_152:
	s_or_b64 exec, exec, s[2:3]
	s_waitcnt lgkmcnt(0)
	s_barrier
	ds_read_b32 v161, v132
	v_cmp_lt_u32_e32 vcc, 27, v25
	s_and_saveexec_b64 s[2:3], vcc
	s_cbranch_execz .LBB85_154
; %bb.153:
	ds_read_b32 v162, v133 offset:112
	s_waitcnt vmcnt(15) lgkmcnt(1)
	v_mul_f32_e32 v96, v161, v96
	s_waitcnt vmcnt(14) lgkmcnt(0)
	v_fma_f32 v97, -v96, v162, v97
	ds_read2_b32 v[162:163], v133 offset0:29 offset1:30
	s_waitcnt vmcnt(12) lgkmcnt(0)
	v_pk_fma_f32 v[98:99], v[96:97], v[162:163], v[98:99] op_sel_hi:[0,1,1] neg_lo:[1,0,0] neg_hi:[1,0,0]
	ds_read2_b32 v[162:163], v133 offset0:31 offset1:32
	s_waitcnt vmcnt(10) lgkmcnt(0)
	v_pk_fma_f32 v[92:93], v[96:97], v[162:163], v[92:93] op_sel_hi:[0,1,1] neg_lo:[1,0,0] neg_hi:[1,0,0]
	;; [unrolled: 3-line block ×7, first 2 shown]
.LBB85_154:
	s_or_b64 exec, exec, s[2:3]
	v_cmp_ne_u32_e32 vcc, 28, v25
	s_waitcnt lgkmcnt(0)
	s_barrier
	s_and_saveexec_b64 s[2:3], vcc
	s_xor_b64 s[2:3], exec, s[2:3]
	s_andn2_saveexec_b64 s[2:3], s[2:3]
	s_cbranch_execz .LBB85_158
; %bb.155:
	s_waitcnt vmcnt(14)
	ds_write_b32 v132, v97
	s_waitcnt vmcnt(12)
	ds_write2_b32 v133, v98, v99 offset0:29 offset1:30
	s_waitcnt vmcnt(10)
	ds_write2_b32 v133, v92, v93 offset0:31 offset1:32
	s_waitcnt vmcnt(8)
	ds_write2_b32 v133, v118, v119 offset0:33 offset1:34
	s_waitcnt vmcnt(6)
	ds_write2_b32 v133, v122, v123 offset0:35 offset1:36
	s_waitcnt vmcnt(4)
	ds_write2_b32 v133, v116, v117 offset0:37 offset1:38
	s_waitcnt vmcnt(2)
	ds_write2_b32 v133, v120, v121 offset0:39 offset1:40
	s_waitcnt vmcnt(0)
	ds_write2_b32 v133, v130, v131 offset0:41 offset1:42
	ds_read_b32 v162, v132
	s_waitcnt lgkmcnt(0)
	v_cmp_neq_f32_e32 vcc, 0, v162
	s_and_saveexec_b64 s[4:5], vcc
	s_cbranch_execz .LBB85_157
; %bb.156:
	v_div_scale_f32 v163, s[10:11], v162, v162, 1.0
	v_rcp_f32_e32 v164, v163
	v_div_scale_f32 v165, vcc, 1.0, v162, 1.0
	v_fma_f32 v166, -v163, v164, 1.0
	v_fmac_f32_e32 v164, v166, v164
	v_mul_f32_e32 v166, v165, v164
	v_fma_f32 v167, -v163, v166, v165
	v_fmac_f32_e32 v166, v167, v164
	v_fma_f32 v163, -v163, v166, v165
	v_div_fmas_f32 v163, v163, v164, v166
	v_div_fixup_f32 v162, v163, v162, 1.0
	ds_write_b32 v132, v162
.LBB85_157:
	s_or_b64 exec, exec, s[4:5]
.LBB85_158:
	s_or_b64 exec, exec, s[2:3]
	s_waitcnt lgkmcnt(0)
	s_barrier
	ds_read_b32 v162, v132
	v_cmp_lt_u32_e32 vcc, 28, v25
	s_and_saveexec_b64 s[2:3], vcc
	s_cbranch_execz .LBB85_160
; %bb.159:
	ds_read2_b32 v[166:167], v133 offset0:29 offset1:30
	s_waitcnt vmcnt(14) lgkmcnt(1)
	v_mul_f32_e32 v164, v162, v97
	v_mov_b32_e32 v97, v164
	s_waitcnt vmcnt(12) lgkmcnt(0)
	v_pk_fma_f32 v[98:99], v[164:165], v[166:167], v[98:99] op_sel_hi:[0,1,1] neg_lo:[1,0,0] neg_hi:[1,0,0]
	ds_read2_b32 v[166:167], v133 offset0:31 offset1:32
	s_waitcnt vmcnt(10) lgkmcnt(0)
	v_pk_fma_f32 v[92:93], v[164:165], v[166:167], v[92:93] op_sel_hi:[0,1,1] neg_lo:[1,0,0] neg_hi:[1,0,0]
	ds_read2_b32 v[166:167], v133 offset0:33 offset1:34
	;; [unrolled: 3-line block ×6, first 2 shown]
	s_waitcnt vmcnt(0) lgkmcnt(0)
	v_pk_fma_f32 v[130:131], v[164:165], v[166:167], v[130:131] op_sel_hi:[0,1,1] neg_lo:[1,0,0] neg_hi:[1,0,0]
.LBB85_160:
	s_or_b64 exec, exec, s[2:3]
	v_cmp_eq_u32_e32 vcc, 29, v25
	s_waitcnt lgkmcnt(0)
	s_barrier
	s_and_saveexec_b64 s[2:3], vcc
	s_cbranch_execz .LBB85_163
; %bb.161:
	s_waitcnt vmcnt(10)
	v_pk_mov_b32 v[164:165], v[98:99], v[92:93] op_sel:[1,0]
	ds_write_b32 v132, v98
	ds_write2_b32 v133, v164, v165 offset0:30 offset1:31
	s_waitcnt vmcnt(8)
	v_pk_mov_b32 v[164:165], v[92:93], v[118:119] op_sel:[1,0]
	ds_write2_b32 v133, v164, v165 offset0:32 offset1:33
	s_waitcnt vmcnt(6)
	v_pk_mov_b32 v[164:165], v[118:119], v[122:123] op_sel:[1,0]
	;; [unrolled: 3-line block ×5, first 2 shown]
	ds_write2_b32 v133, v164, v165 offset0:40 offset1:41
	ds_write_b32 v133, v131 offset:168
	ds_read_b32 v163, v132
	s_waitcnt lgkmcnt(0)
	v_cmp_neq_f32_e32 vcc, 0, v163
	s_and_b64 exec, exec, vcc
	s_cbranch_execz .LBB85_163
; %bb.162:
	v_div_scale_f32 v164, s[4:5], v163, v163, 1.0
	v_rcp_f32_e32 v165, v164
	v_div_scale_f32 v166, vcc, 1.0, v163, 1.0
	v_fma_f32 v167, -v164, v165, 1.0
	v_fmac_f32_e32 v165, v167, v165
	v_mul_f32_e32 v167, v166, v165
	v_fma_f32 v168, -v164, v167, v166
	v_fmac_f32_e32 v167, v168, v165
	v_fma_f32 v164, -v164, v167, v166
	v_div_fmas_f32 v164, v164, v165, v167
	v_div_fixup_f32 v163, v164, v163, 1.0
	ds_write_b32 v132, v163
.LBB85_163:
	s_or_b64 exec, exec, s[2:3]
	s_waitcnt lgkmcnt(0)
	s_barrier
	ds_read_b32 v163, v132
	v_cmp_lt_u32_e32 vcc, 29, v25
	s_and_saveexec_b64 s[2:3], vcc
	s_cbranch_execz .LBB85_165
; %bb.164:
	ds_read_b32 v170, v133 offset:120
	ds_read2_b32 v[164:165], v133 offset0:31 offset1:32
	s_waitcnt vmcnt(13) lgkmcnt(2)
	v_mul_f32_e32 v98, v163, v98
	ds_read2_b32 v[166:167], v133 offset0:33 offset1:34
	ds_read2_b32 v[168:169], v133 offset0:35 offset1:36
	s_waitcnt vmcnt(12) lgkmcnt(3)
	v_fma_f32 v99, -v98, v170, v99
	s_waitcnt vmcnt(10) lgkmcnt(2)
	v_pk_fma_f32 v[92:93], v[98:99], v[164:165], v[92:93] op_sel_hi:[0,1,1] neg_lo:[1,0,0] neg_hi:[1,0,0]
	ds_read2_b32 v[164:165], v133 offset0:37 offset1:38
	ds_read2_b32 v[170:171], v133 offset0:39 offset1:40
	;; [unrolled: 1-line block ×3, first 2 shown]
	s_waitcnt vmcnt(8) lgkmcnt(4)
	v_pk_fma_f32 v[118:119], v[98:99], v[166:167], v[118:119] op_sel_hi:[0,1,1] neg_lo:[1,0,0] neg_hi:[1,0,0]
	s_waitcnt vmcnt(6) lgkmcnt(3)
	v_pk_fma_f32 v[122:123], v[98:99], v[168:169], v[122:123] op_sel_hi:[0,1,1] neg_lo:[1,0,0] neg_hi:[1,0,0]
	;; [unrolled: 2-line block ×5, first 2 shown]
.LBB85_165:
	s_or_b64 exec, exec, s[2:3]
	v_cmp_ne_u32_e32 vcc, 30, v25
	s_waitcnt lgkmcnt(0)
	s_barrier
	s_and_saveexec_b64 s[2:3], vcc
	s_xor_b64 s[2:3], exec, s[2:3]
	s_andn2_saveexec_b64 s[2:3], s[2:3]
	s_cbranch_execz .LBB85_169
; %bb.166:
	s_waitcnt vmcnt(12)
	ds_write_b32 v132, v99
	s_waitcnt vmcnt(10)
	ds_write2_b32 v133, v92, v93 offset0:31 offset1:32
	s_waitcnt vmcnt(8)
	ds_write2_b32 v133, v118, v119 offset0:33 offset1:34
	;; [unrolled: 2-line block ×6, first 2 shown]
	ds_read_b32 v164, v132
	s_waitcnt lgkmcnt(0)
	v_cmp_neq_f32_e32 vcc, 0, v164
	s_and_saveexec_b64 s[4:5], vcc
	s_cbranch_execz .LBB85_168
; %bb.167:
	v_div_scale_f32 v165, s[10:11], v164, v164, 1.0
	v_rcp_f32_e32 v166, v165
	v_div_scale_f32 v167, vcc, 1.0, v164, 1.0
	v_fma_f32 v168, -v165, v166, 1.0
	v_fmac_f32_e32 v166, v168, v166
	v_mul_f32_e32 v168, v167, v166
	v_fma_f32 v169, -v165, v168, v167
	v_fmac_f32_e32 v168, v169, v166
	v_fma_f32 v165, -v165, v168, v167
	v_div_fmas_f32 v165, v165, v166, v168
	v_div_fixup_f32 v164, v165, v164, 1.0
	ds_write_b32 v132, v164
.LBB85_168:
	s_or_b64 exec, exec, s[4:5]
.LBB85_169:
	s_or_b64 exec, exec, s[2:3]
	s_waitcnt lgkmcnt(0)
	s_barrier
	ds_read_b32 v164, v132
	v_cmp_lt_u32_e32 vcc, 30, v25
	s_and_saveexec_b64 s[2:3], vcc
	s_cbranch_execz .LBB85_171
; %bb.170:
	ds_read2_b32 v[166:167], v133 offset0:31 offset1:32
	s_waitcnt vmcnt(12) lgkmcnt(1)
	v_mul_f32_e32 v168, v164, v99
	ds_read2_b32 v[170:171], v133 offset0:33 offset1:34
	ds_read2_b32 v[172:173], v133 offset0:35 offset1:36
	;; [unrolled: 1-line block ×3, first 2 shown]
	v_mov_b32_e32 v99, v168
	s_waitcnt vmcnt(8) lgkmcnt(2)
	v_pk_fma_f32 v[118:119], v[168:169], v[170:171], v[118:119] op_sel_hi:[0,1,1] neg_lo:[1,0,0] neg_hi:[1,0,0]
	v_pk_fma_f32 v[92:93], v[168:169], v[166:167], v[92:93] op_sel_hi:[0,1,1] neg_lo:[1,0,0] neg_hi:[1,0,0]
	ds_read2_b32 v[166:167], v133 offset0:39 offset1:40
	ds_read2_b32 v[176:177], v133 offset0:41 offset1:42
	s_waitcnt vmcnt(6) lgkmcnt(3)
	v_pk_fma_f32 v[122:123], v[168:169], v[172:173], v[122:123] op_sel_hi:[0,1,1] neg_lo:[1,0,0] neg_hi:[1,0,0]
	s_waitcnt vmcnt(4) lgkmcnt(2)
	v_pk_fma_f32 v[116:117], v[168:169], v[174:175], v[116:117] op_sel_hi:[0,1,1] neg_lo:[1,0,0] neg_hi:[1,0,0]
	s_waitcnt vmcnt(2) lgkmcnt(1)
	v_pk_fma_f32 v[120:121], v[168:169], v[166:167], v[120:121] op_sel_hi:[0,1,1] neg_lo:[1,0,0] neg_hi:[1,0,0]
	s_waitcnt vmcnt(0) lgkmcnt(0)
	v_pk_fma_f32 v[130:131], v[168:169], v[176:177], v[130:131] op_sel_hi:[0,1,1] neg_lo:[1,0,0] neg_hi:[1,0,0]
.LBB85_171:
	s_or_b64 exec, exec, s[2:3]
	v_cmp_eq_u32_e32 vcc, 31, v25
	s_waitcnt lgkmcnt(0)
	s_barrier
	s_and_saveexec_b64 s[2:3], vcc
	s_cbranch_execz .LBB85_174
; %bb.172:
	s_waitcnt vmcnt(8)
	v_pk_mov_b32 v[166:167], v[92:93], v[118:119] op_sel:[1,0]
	ds_write_b32 v132, v92
	ds_write2_b32 v133, v166, v167 offset0:32 offset1:33
	s_waitcnt vmcnt(6)
	v_pk_mov_b32 v[166:167], v[118:119], v[122:123] op_sel:[1,0]
	ds_write2_b32 v133, v166, v167 offset0:34 offset1:35
	s_waitcnt vmcnt(4)
	v_pk_mov_b32 v[166:167], v[122:123], v[116:117] op_sel:[1,0]
	;; [unrolled: 3-line block ×4, first 2 shown]
	ds_write2_b32 v133, v166, v167 offset0:40 offset1:41
	ds_write_b32 v133, v131 offset:168
	ds_read_b32 v165, v132
	s_waitcnt lgkmcnt(0)
	v_cmp_neq_f32_e32 vcc, 0, v165
	s_and_b64 exec, exec, vcc
	s_cbranch_execz .LBB85_174
; %bb.173:
	v_div_scale_f32 v166, s[4:5], v165, v165, 1.0
	v_rcp_f32_e32 v167, v166
	v_div_scale_f32 v168, vcc, 1.0, v165, 1.0
	v_fma_f32 v169, -v166, v167, 1.0
	v_fmac_f32_e32 v167, v169, v167
	v_mul_f32_e32 v169, v168, v167
	v_fma_f32 v170, -v166, v169, v168
	v_fmac_f32_e32 v169, v170, v167
	v_fma_f32 v166, -v166, v169, v168
	v_div_fmas_f32 v166, v166, v167, v169
	v_div_fixup_f32 v165, v166, v165, 1.0
	ds_write_b32 v132, v165
.LBB85_174:
	s_or_b64 exec, exec, s[2:3]
	s_waitcnt lgkmcnt(0)
	s_barrier
	ds_read_b32 v165, v132
	v_cmp_lt_u32_e32 vcc, 31, v25
	s_and_saveexec_b64 s[2:3], vcc
	s_cbranch_execz .LBB85_176
; %bb.175:
	ds_read_b32 v172, v133 offset:128
	s_waitcnt vmcnt(11) lgkmcnt(1)
	v_mul_f32_e32 v92, v165, v92
	ds_read2_b32 v[166:167], v133 offset0:33 offset1:34
	ds_read2_b32 v[168:169], v133 offset0:35 offset1:36
	;; [unrolled: 1-line block ×3, first 2 shown]
	s_waitcnt vmcnt(10) lgkmcnt(3)
	v_fma_f32 v93, -v92, v172, v93
	ds_read2_b32 v[172:173], v133 offset0:39 offset1:40
	ds_read2_b32 v[174:175], v133 offset0:41 offset1:42
	s_waitcnt vmcnt(8) lgkmcnt(4)
	v_pk_fma_f32 v[118:119], v[92:93], v[166:167], v[118:119] op_sel_hi:[0,1,1] neg_lo:[1,0,0] neg_hi:[1,0,0]
	s_waitcnt vmcnt(6) lgkmcnt(3)
	v_pk_fma_f32 v[122:123], v[92:93], v[168:169], v[122:123] op_sel_hi:[0,1,1] neg_lo:[1,0,0] neg_hi:[1,0,0]
	s_waitcnt vmcnt(4) lgkmcnt(2)
	v_pk_fma_f32 v[116:117], v[92:93], v[170:171], v[116:117] op_sel_hi:[0,1,1] neg_lo:[1,0,0] neg_hi:[1,0,0]
	s_waitcnt vmcnt(2) lgkmcnt(1)
	v_pk_fma_f32 v[120:121], v[92:93], v[172:173], v[120:121] op_sel_hi:[0,1,1] neg_lo:[1,0,0] neg_hi:[1,0,0]
	s_waitcnt vmcnt(0) lgkmcnt(0)
	v_pk_fma_f32 v[130:131], v[92:93], v[174:175], v[130:131] op_sel_hi:[0,1,1] neg_lo:[1,0,0] neg_hi:[1,0,0]
.LBB85_176:
	s_or_b64 exec, exec, s[2:3]
	v_cmp_ne_u32_e32 vcc, 32, v25
	s_waitcnt lgkmcnt(0)
	s_barrier
	s_and_saveexec_b64 s[2:3], vcc
	s_xor_b64 s[2:3], exec, s[2:3]
	s_andn2_saveexec_b64 s[2:3], s[2:3]
	s_cbranch_execz .LBB85_180
; %bb.177:
	s_waitcnt vmcnt(10)
	ds_write_b32 v132, v93
	s_waitcnt vmcnt(8)
	ds_write2_b32 v133, v118, v119 offset0:33 offset1:34
	s_waitcnt vmcnt(6)
	ds_write2_b32 v133, v122, v123 offset0:35 offset1:36
	;; [unrolled: 2-line block ×5, first 2 shown]
	ds_read_b32 v166, v132
	s_waitcnt lgkmcnt(0)
	v_cmp_neq_f32_e32 vcc, 0, v166
	s_and_saveexec_b64 s[4:5], vcc
	s_cbranch_execz .LBB85_179
; %bb.178:
	v_div_scale_f32 v167, s[10:11], v166, v166, 1.0
	v_rcp_f32_e32 v168, v167
	v_div_scale_f32 v169, vcc, 1.0, v166, 1.0
	v_fma_f32 v170, -v167, v168, 1.0
	v_fmac_f32_e32 v168, v170, v168
	v_mul_f32_e32 v170, v169, v168
	v_fma_f32 v171, -v167, v170, v169
	v_fmac_f32_e32 v170, v171, v168
	v_fma_f32 v167, -v167, v170, v169
	v_div_fmas_f32 v167, v167, v168, v170
	v_div_fixup_f32 v166, v167, v166, 1.0
	ds_write_b32 v132, v166
.LBB85_179:
	s_or_b64 exec, exec, s[4:5]
.LBB85_180:
	s_or_b64 exec, exec, s[2:3]
	s_waitcnt lgkmcnt(0)
	s_barrier
	ds_read_b32 v166, v132
	v_cmp_lt_u32_e32 vcc, 32, v25
	s_and_saveexec_b64 s[2:3], vcc
	s_cbranch_execz .LBB85_182
; %bb.181:
	ds_read2_b32 v[170:171], v133 offset0:33 offset1:34
	ds_read2_b32 v[172:173], v133 offset0:35 offset1:36
	;; [unrolled: 1-line block ×5, first 2 shown]
	s_waitcnt vmcnt(10) lgkmcnt(5)
	v_mul_f32_e32 v168, v166, v93
	s_waitcnt vmcnt(8) lgkmcnt(4)
	v_pk_fma_f32 v[118:119], v[168:169], v[170:171], v[118:119] op_sel_hi:[0,1,1] neg_lo:[1,0,0] neg_hi:[1,0,0]
	s_waitcnt vmcnt(6) lgkmcnt(3)
	v_pk_fma_f32 v[122:123], v[168:169], v[172:173], v[122:123] op_sel_hi:[0,1,1] neg_lo:[1,0,0] neg_hi:[1,0,0]
	;; [unrolled: 2-line block ×5, first 2 shown]
	v_mov_b32_e32 v93, v168
.LBB85_182:
	s_or_b64 exec, exec, s[2:3]
	v_cmp_eq_u32_e32 vcc, 33, v25
	s_waitcnt lgkmcnt(0)
	s_barrier
	s_and_saveexec_b64 s[2:3], vcc
	s_cbranch_execz .LBB85_185
; %bb.183:
	s_waitcnt vmcnt(6)
	v_pk_mov_b32 v[168:169], v[118:119], v[122:123] op_sel:[1,0]
	ds_write_b32 v132, v118
	ds_write2_b32 v133, v168, v169 offset0:34 offset1:35
	s_waitcnt vmcnt(4)
	v_pk_mov_b32 v[168:169], v[122:123], v[116:117] op_sel:[1,0]
	ds_write2_b32 v133, v168, v169 offset0:36 offset1:37
	s_waitcnt vmcnt(2)
	v_pk_mov_b32 v[168:169], v[116:117], v[120:121] op_sel:[1,0]
	;; [unrolled: 3-line block ×3, first 2 shown]
	ds_write2_b32 v133, v168, v169 offset0:40 offset1:41
	ds_write_b32 v133, v131 offset:168
	ds_read_b32 v167, v132
	s_waitcnt lgkmcnt(0)
	v_cmp_neq_f32_e32 vcc, 0, v167
	s_and_b64 exec, exec, vcc
	s_cbranch_execz .LBB85_185
; %bb.184:
	v_div_scale_f32 v168, s[4:5], v167, v167, 1.0
	v_rcp_f32_e32 v169, v168
	v_div_scale_f32 v170, vcc, 1.0, v167, 1.0
	v_fma_f32 v171, -v168, v169, 1.0
	v_fmac_f32_e32 v169, v171, v169
	v_mul_f32_e32 v171, v170, v169
	v_fma_f32 v172, -v168, v171, v170
	v_fmac_f32_e32 v171, v172, v169
	v_fma_f32 v168, -v168, v171, v170
	v_div_fmas_f32 v168, v168, v169, v171
	v_div_fixup_f32 v167, v168, v167, 1.0
	ds_write_b32 v132, v167
.LBB85_185:
	s_or_b64 exec, exec, s[2:3]
	s_waitcnt lgkmcnt(0)
	s_barrier
	ds_read_b32 v167, v132
	v_cmp_lt_u32_e32 vcc, 33, v25
	s_and_saveexec_b64 s[2:3], vcc
	s_cbranch_execz .LBB85_187
; %bb.186:
	ds_read_b32 v176, v133 offset:136
	ds_read2_b32 v[168:169], v133 offset0:35 offset1:36
	ds_read2_b32 v[170:171], v133 offset0:37 offset1:38
	;; [unrolled: 1-line block ×4, first 2 shown]
	s_waitcnt vmcnt(9) lgkmcnt(5)
	v_mul_f32_e32 v118, v167, v118
	s_waitcnt vmcnt(8) lgkmcnt(4)
	v_fma_f32 v119, -v118, v176, v119
	s_waitcnt vmcnt(6) lgkmcnt(3)
	v_pk_fma_f32 v[122:123], v[118:119], v[168:169], v[122:123] op_sel_hi:[0,1,1] neg_lo:[1,0,0] neg_hi:[1,0,0]
	s_waitcnt vmcnt(4) lgkmcnt(2)
	v_pk_fma_f32 v[116:117], v[118:119], v[170:171], v[116:117] op_sel_hi:[0,1,1] neg_lo:[1,0,0] neg_hi:[1,0,0]
	;; [unrolled: 2-line block ×4, first 2 shown]
.LBB85_187:
	s_or_b64 exec, exec, s[2:3]
	v_cmp_ne_u32_e32 vcc, 34, v25
	s_waitcnt lgkmcnt(0)
	s_barrier
	s_and_saveexec_b64 s[2:3], vcc
	s_xor_b64 s[2:3], exec, s[2:3]
	s_andn2_saveexec_b64 s[2:3], s[2:3]
	s_cbranch_execz .LBB85_191
; %bb.188:
	s_waitcnt vmcnt(8)
	ds_write_b32 v132, v119
	s_waitcnt vmcnt(6)
	ds_write2_b32 v133, v122, v123 offset0:35 offset1:36
	s_waitcnt vmcnt(4)
	ds_write2_b32 v133, v116, v117 offset0:37 offset1:38
	;; [unrolled: 2-line block ×4, first 2 shown]
	ds_read_b32 v168, v132
	s_waitcnt lgkmcnt(0)
	v_cmp_neq_f32_e32 vcc, 0, v168
	s_and_saveexec_b64 s[4:5], vcc
	s_cbranch_execz .LBB85_190
; %bb.189:
	v_div_scale_f32 v169, s[10:11], v168, v168, 1.0
	v_rcp_f32_e32 v170, v169
	v_div_scale_f32 v171, vcc, 1.0, v168, 1.0
	v_fma_f32 v172, -v169, v170, 1.0
	v_fmac_f32_e32 v170, v172, v170
	v_mul_f32_e32 v172, v171, v170
	v_fma_f32 v173, -v169, v172, v171
	v_fmac_f32_e32 v172, v173, v170
	v_fma_f32 v169, -v169, v172, v171
	v_div_fmas_f32 v169, v169, v170, v172
	v_div_fixup_f32 v168, v169, v168, 1.0
	ds_write_b32 v132, v168
.LBB85_190:
	s_or_b64 exec, exec, s[4:5]
.LBB85_191:
	s_or_b64 exec, exec, s[2:3]
	s_waitcnt lgkmcnt(0)
	s_barrier
	ds_read_b32 v168, v132
	v_cmp_lt_u32_e32 vcc, 34, v25
	s_and_saveexec_b64 s[2:3], vcc
	s_cbranch_execz .LBB85_193
; %bb.192:
	ds_read2_b32 v[170:171], v133 offset0:35 offset1:36
	ds_read2_b32 v[172:173], v133 offset0:37 offset1:38
	;; [unrolled: 1-line block ×4, first 2 shown]
	s_waitcnt vmcnt(8) lgkmcnt(4)
	v_mul_f32_e32 v178, v168, v119
	s_waitcnt vmcnt(6) lgkmcnt(3)
	v_pk_fma_f32 v[122:123], v[178:179], v[170:171], v[122:123] op_sel_hi:[0,1,1] neg_lo:[1,0,0] neg_hi:[1,0,0]
	s_waitcnt vmcnt(4) lgkmcnt(2)
	v_pk_fma_f32 v[116:117], v[178:179], v[172:173], v[116:117] op_sel_hi:[0,1,1] neg_lo:[1,0,0] neg_hi:[1,0,0]
	;; [unrolled: 2-line block ×4, first 2 shown]
	v_mov_b32_e32 v119, v178
.LBB85_193:
	s_or_b64 exec, exec, s[2:3]
	v_cmp_eq_u32_e32 vcc, 35, v25
	s_waitcnt lgkmcnt(0)
	s_barrier
	s_and_saveexec_b64 s[2:3], vcc
	s_cbranch_execz .LBB85_196
; %bb.194:
	s_waitcnt vmcnt(4)
	v_pk_mov_b32 v[170:171], v[122:123], v[116:117] op_sel:[1,0]
	ds_write_b32 v132, v122
	ds_write2_b32 v133, v170, v171 offset0:36 offset1:37
	s_waitcnt vmcnt(2)
	v_pk_mov_b32 v[170:171], v[116:117], v[120:121] op_sel:[1,0]
	ds_write2_b32 v133, v170, v171 offset0:38 offset1:39
	s_waitcnt vmcnt(0)
	v_pk_mov_b32 v[170:171], v[120:121], v[130:131] op_sel:[1,0]
	ds_write2_b32 v133, v170, v171 offset0:40 offset1:41
	ds_write_b32 v133, v131 offset:168
	ds_read_b32 v169, v132
	s_waitcnt lgkmcnt(0)
	v_cmp_neq_f32_e32 vcc, 0, v169
	s_and_b64 exec, exec, vcc
	s_cbranch_execz .LBB85_196
; %bb.195:
	v_div_scale_f32 v170, s[4:5], v169, v169, 1.0
	v_rcp_f32_e32 v171, v170
	v_div_scale_f32 v172, vcc, 1.0, v169, 1.0
	v_fma_f32 v173, -v170, v171, 1.0
	v_fmac_f32_e32 v171, v173, v171
	v_mul_f32_e32 v173, v172, v171
	v_fma_f32 v174, -v170, v173, v172
	v_fmac_f32_e32 v173, v174, v171
	v_fma_f32 v170, -v170, v173, v172
	v_div_fmas_f32 v170, v170, v171, v173
	v_div_fixup_f32 v169, v170, v169, 1.0
	ds_write_b32 v132, v169
.LBB85_196:
	s_or_b64 exec, exec, s[2:3]
	s_waitcnt lgkmcnt(0)
	s_barrier
	ds_read_b32 v169, v132
	v_cmp_lt_u32_e32 vcc, 35, v25
	s_and_saveexec_b64 s[2:3], vcc
	s_cbranch_execz .LBB85_198
; %bb.197:
	ds_read_b32 v176, v133 offset:144
	ds_read2_b32 v[170:171], v133 offset0:37 offset1:38
	ds_read2_b32 v[172:173], v133 offset0:39 offset1:40
	;; [unrolled: 1-line block ×3, first 2 shown]
	s_waitcnt vmcnt(7) lgkmcnt(4)
	v_mul_f32_e32 v122, v169, v122
	s_waitcnt vmcnt(6) lgkmcnt(3)
	v_fma_f32 v123, -v122, v176, v123
	s_waitcnt vmcnt(4) lgkmcnt(2)
	v_pk_fma_f32 v[116:117], v[122:123], v[170:171], v[116:117] op_sel_hi:[0,1,1] neg_lo:[1,0,0] neg_hi:[1,0,0]
	s_waitcnt vmcnt(2) lgkmcnt(1)
	v_pk_fma_f32 v[120:121], v[122:123], v[172:173], v[120:121] op_sel_hi:[0,1,1] neg_lo:[1,0,0] neg_hi:[1,0,0]
	;; [unrolled: 2-line block ×3, first 2 shown]
.LBB85_198:
	s_or_b64 exec, exec, s[2:3]
	v_cmp_ne_u32_e32 vcc, 36, v25
	s_waitcnt lgkmcnt(0)
	s_barrier
	s_and_saveexec_b64 s[2:3], vcc
	s_xor_b64 s[2:3], exec, s[2:3]
	s_andn2_saveexec_b64 s[2:3], s[2:3]
	s_cbranch_execz .LBB85_202
; %bb.199:
	s_waitcnt vmcnt(6)
	ds_write_b32 v132, v123
	s_waitcnt vmcnt(4)
	ds_write2_b32 v133, v116, v117 offset0:37 offset1:38
	s_waitcnt vmcnt(2)
	ds_write2_b32 v133, v120, v121 offset0:39 offset1:40
	;; [unrolled: 2-line block ×3, first 2 shown]
	ds_read_b32 v170, v132
	s_waitcnt lgkmcnt(0)
	v_cmp_neq_f32_e32 vcc, 0, v170
	s_and_saveexec_b64 s[4:5], vcc
	s_cbranch_execz .LBB85_201
; %bb.200:
	v_div_scale_f32 v171, s[10:11], v170, v170, 1.0
	v_rcp_f32_e32 v172, v171
	v_div_scale_f32 v173, vcc, 1.0, v170, 1.0
	v_fma_f32 v174, -v171, v172, 1.0
	v_fmac_f32_e32 v172, v174, v172
	v_mul_f32_e32 v174, v173, v172
	v_fma_f32 v175, -v171, v174, v173
	v_fmac_f32_e32 v174, v175, v172
	v_fma_f32 v171, -v171, v174, v173
	v_div_fmas_f32 v171, v171, v172, v174
	v_div_fixup_f32 v170, v171, v170, 1.0
	ds_write_b32 v132, v170
.LBB85_201:
	s_or_b64 exec, exec, s[4:5]
.LBB85_202:
	s_or_b64 exec, exec, s[2:3]
	s_waitcnt lgkmcnt(0)
	s_barrier
	ds_read_b32 v170, v132
	v_cmp_lt_u32_e32 vcc, 36, v25
	s_and_saveexec_b64 s[2:3], vcc
	s_cbranch_execz .LBB85_204
; %bb.203:
	ds_read2_b32 v[172:173], v133 offset0:37 offset1:38
	ds_read2_b32 v[174:175], v133 offset0:39 offset1:40
	;; [unrolled: 1-line block ×3, first 2 shown]
	s_waitcnt vmcnt(6) lgkmcnt(3)
	v_mul_f32_e32 v178, v170, v123
	v_mov_b32_e32 v123, v178
	s_waitcnt vmcnt(4) lgkmcnt(2)
	v_pk_fma_f32 v[116:117], v[178:179], v[172:173], v[116:117] op_sel_hi:[0,1,1] neg_lo:[1,0,0] neg_hi:[1,0,0]
	s_waitcnt vmcnt(2) lgkmcnt(1)
	v_pk_fma_f32 v[120:121], v[178:179], v[174:175], v[120:121] op_sel_hi:[0,1,1] neg_lo:[1,0,0] neg_hi:[1,0,0]
	;; [unrolled: 2-line block ×3, first 2 shown]
.LBB85_204:
	s_or_b64 exec, exec, s[2:3]
	v_cmp_eq_u32_e32 vcc, 37, v25
	s_waitcnt lgkmcnt(0)
	s_barrier
	s_and_saveexec_b64 s[2:3], vcc
	s_cbranch_execz .LBB85_207
; %bb.205:
	s_waitcnt vmcnt(2)
	v_pk_mov_b32 v[172:173], v[116:117], v[120:121] op_sel:[1,0]
	ds_write_b32 v132, v116
	ds_write2_b32 v133, v172, v173 offset0:38 offset1:39
	s_waitcnt vmcnt(0)
	v_pk_mov_b32 v[172:173], v[120:121], v[130:131] op_sel:[1,0]
	ds_write2_b32 v133, v172, v173 offset0:40 offset1:41
	ds_write_b32 v133, v131 offset:168
	ds_read_b32 v171, v132
	s_waitcnt lgkmcnt(0)
	v_cmp_neq_f32_e32 vcc, 0, v171
	s_and_b64 exec, exec, vcc
	s_cbranch_execz .LBB85_207
; %bb.206:
	v_div_scale_f32 v172, s[4:5], v171, v171, 1.0
	v_rcp_f32_e32 v173, v172
	v_div_scale_f32 v174, vcc, 1.0, v171, 1.0
	v_fma_f32 v175, -v172, v173, 1.0
	v_fmac_f32_e32 v173, v175, v173
	v_mul_f32_e32 v175, v174, v173
	v_fma_f32 v176, -v172, v175, v174
	v_fmac_f32_e32 v175, v176, v173
	v_fma_f32 v172, -v172, v175, v174
	v_div_fmas_f32 v172, v172, v173, v175
	v_div_fixup_f32 v171, v172, v171, 1.0
	ds_write_b32 v132, v171
.LBB85_207:
	s_or_b64 exec, exec, s[2:3]
	s_waitcnt lgkmcnt(0)
	s_barrier
	ds_read_b32 v171, v132
	v_cmp_lt_u32_e32 vcc, 37, v25
	s_and_saveexec_b64 s[2:3], vcc
	s_cbranch_execz .LBB85_209
; %bb.208:
	ds_read_b32 v176, v133 offset:152
	ds_read2_b32 v[172:173], v133 offset0:39 offset1:40
	ds_read2_b32 v[174:175], v133 offset0:41 offset1:42
	s_waitcnt vmcnt(5) lgkmcnt(3)
	v_mul_f32_e32 v116, v171, v116
	s_waitcnt vmcnt(4) lgkmcnt(2)
	v_fma_f32 v117, -v116, v176, v117
	s_waitcnt vmcnt(2) lgkmcnt(1)
	v_pk_fma_f32 v[120:121], v[116:117], v[172:173], v[120:121] op_sel_hi:[0,1,1] neg_lo:[1,0,0] neg_hi:[1,0,0]
	s_waitcnt vmcnt(0) lgkmcnt(0)
	v_pk_fma_f32 v[130:131], v[116:117], v[174:175], v[130:131] op_sel_hi:[0,1,1] neg_lo:[1,0,0] neg_hi:[1,0,0]
.LBB85_209:
	s_or_b64 exec, exec, s[2:3]
	v_cmp_ne_u32_e32 vcc, 38, v25
	s_waitcnt lgkmcnt(0)
	s_barrier
	s_and_saveexec_b64 s[2:3], vcc
	s_xor_b64 s[2:3], exec, s[2:3]
	s_andn2_saveexec_b64 s[2:3], s[2:3]
	s_cbranch_execz .LBB85_213
; %bb.210:
	s_waitcnt vmcnt(4)
	ds_write_b32 v132, v117
	s_waitcnt vmcnt(2)
	ds_write2_b32 v133, v120, v121 offset0:39 offset1:40
	s_waitcnt vmcnt(0)
	ds_write2_b32 v133, v130, v131 offset0:41 offset1:42
	ds_read_b32 v172, v132
	s_waitcnt lgkmcnt(0)
	v_cmp_neq_f32_e32 vcc, 0, v172
	s_and_saveexec_b64 s[4:5], vcc
	s_cbranch_execz .LBB85_212
; %bb.211:
	v_div_scale_f32 v173, s[10:11], v172, v172, 1.0
	v_rcp_f32_e32 v174, v173
	v_div_scale_f32 v175, vcc, 1.0, v172, 1.0
	v_fma_f32 v176, -v173, v174, 1.0
	v_fmac_f32_e32 v174, v176, v174
	v_mul_f32_e32 v176, v175, v174
	v_fma_f32 v177, -v173, v176, v175
	v_fmac_f32_e32 v176, v177, v174
	v_fma_f32 v173, -v173, v176, v175
	v_div_fmas_f32 v173, v173, v174, v176
	v_div_fixup_f32 v172, v173, v172, 1.0
	ds_write_b32 v132, v172
.LBB85_212:
	s_or_b64 exec, exec, s[4:5]
.LBB85_213:
	s_or_b64 exec, exec, s[2:3]
	s_waitcnt lgkmcnt(0)
	s_barrier
	ds_read_b32 v172, v132
	v_cmp_lt_u32_e32 vcc, 38, v25
	s_and_saveexec_b64 s[2:3], vcc
	s_cbranch_execz .LBB85_215
; %bb.214:
	ds_read2_b32 v[174:175], v133 offset0:39 offset1:40
	ds_read2_b32 v[176:177], v133 offset0:41 offset1:42
	s_waitcnt vmcnt(4) lgkmcnt(2)
	v_mul_f32_e32 v178, v172, v117
	v_mov_b32_e32 v117, v178
	s_waitcnt vmcnt(2) lgkmcnt(1)
	v_pk_fma_f32 v[120:121], v[178:179], v[174:175], v[120:121] op_sel_hi:[0,1,1] neg_lo:[1,0,0] neg_hi:[1,0,0]
	s_waitcnt vmcnt(0) lgkmcnt(0)
	v_pk_fma_f32 v[130:131], v[178:179], v[176:177], v[130:131] op_sel_hi:[0,1,1] neg_lo:[1,0,0] neg_hi:[1,0,0]
.LBB85_215:
	s_or_b64 exec, exec, s[2:3]
	v_cmp_eq_u32_e32 vcc, 39, v25
	s_waitcnt lgkmcnt(0)
	s_barrier
	s_and_saveexec_b64 s[2:3], vcc
	s_cbranch_execz .LBB85_218
; %bb.216:
	s_waitcnt vmcnt(0)
	v_pk_mov_b32 v[174:175], v[120:121], v[130:131] op_sel:[1,0]
	ds_write_b32 v132, v120
	ds_write2_b32 v133, v174, v175 offset0:40 offset1:41
	ds_write_b32 v133, v131 offset:168
	ds_read_b32 v173, v132
	s_waitcnt lgkmcnt(0)
	v_cmp_neq_f32_e32 vcc, 0, v173
	s_and_b64 exec, exec, vcc
	s_cbranch_execz .LBB85_218
; %bb.217:
	v_div_scale_f32 v174, s[4:5], v173, v173, 1.0
	v_rcp_f32_e32 v175, v174
	v_div_scale_f32 v176, vcc, 1.0, v173, 1.0
	v_fma_f32 v177, -v174, v175, 1.0
	v_fmac_f32_e32 v175, v177, v175
	v_mul_f32_e32 v177, v176, v175
	v_fma_f32 v178, -v174, v177, v176
	v_fmac_f32_e32 v177, v178, v175
	v_fma_f32 v174, -v174, v177, v176
	v_div_fmas_f32 v174, v174, v175, v177
	v_div_fixup_f32 v173, v174, v173, 1.0
	ds_write_b32 v132, v173
.LBB85_218:
	s_or_b64 exec, exec, s[2:3]
	s_waitcnt lgkmcnt(0)
	s_barrier
	ds_read_b32 v173, v132
	v_cmp_lt_u32_e32 vcc, 39, v25
	s_and_saveexec_b64 s[2:3], vcc
	s_cbranch_execz .LBB85_220
; %bb.219:
	ds_read_b32 v176, v133 offset:160
	ds_read2_b32 v[174:175], v133 offset0:41 offset1:42
	s_waitcnt vmcnt(3) lgkmcnt(2)
	v_mul_f32_e32 v120, v173, v120
	s_waitcnt vmcnt(2) lgkmcnt(1)
	v_fma_f32 v121, -v120, v176, v121
	s_waitcnt vmcnt(0) lgkmcnt(0)
	v_pk_fma_f32 v[130:131], v[120:121], v[174:175], v[130:131] op_sel_hi:[0,1,1] neg_lo:[1,0,0] neg_hi:[1,0,0]
.LBB85_220:
	s_or_b64 exec, exec, s[2:3]
	v_cmp_ne_u32_e32 vcc, 40, v25
	s_waitcnt lgkmcnt(0)
	s_barrier
	s_and_saveexec_b64 s[2:3], vcc
	s_xor_b64 s[2:3], exec, s[2:3]
	s_andn2_saveexec_b64 s[2:3], s[2:3]
	s_cbranch_execz .LBB85_224
; %bb.221:
	s_waitcnt vmcnt(2)
	ds_write_b32 v132, v121
	s_waitcnt vmcnt(0)
	ds_write2_b32 v133, v130, v131 offset0:41 offset1:42
	ds_read_b32 v174, v132
	s_waitcnt lgkmcnt(0)
	v_cmp_neq_f32_e32 vcc, 0, v174
	s_and_saveexec_b64 s[4:5], vcc
	s_cbranch_execz .LBB85_223
; %bb.222:
	v_div_scale_f32 v175, s[10:11], v174, v174, 1.0
	v_rcp_f32_e32 v176, v175
	v_div_scale_f32 v177, vcc, 1.0, v174, 1.0
	v_fma_f32 v178, -v175, v176, 1.0
	v_fmac_f32_e32 v176, v178, v176
	v_mul_f32_e32 v178, v177, v176
	v_fma_f32 v179, -v175, v178, v177
	v_fmac_f32_e32 v178, v179, v176
	v_fma_f32 v175, -v175, v178, v177
	v_div_fmas_f32 v175, v175, v176, v178
	v_div_fixup_f32 v174, v175, v174, 1.0
	ds_write_b32 v132, v174
.LBB85_223:
	s_or_b64 exec, exec, s[4:5]
.LBB85_224:
	s_or_b64 exec, exec, s[2:3]
	s_waitcnt lgkmcnt(0)
	s_barrier
	ds_read_b32 v174, v132
	v_cmp_lt_u32_e32 vcc, 40, v25
	s_and_saveexec_b64 s[2:3], vcc
	s_cbranch_execz .LBB85_226
; %bb.225:
	ds_read2_b32 v[176:177], v133 offset0:41 offset1:42
	s_waitcnt vmcnt(2) lgkmcnt(1)
	v_mul_f32_e32 v178, v174, v121
	v_mov_b32_e32 v121, v178
	s_waitcnt vmcnt(0) lgkmcnt(0)
	v_pk_fma_f32 v[130:131], v[178:179], v[176:177], v[130:131] op_sel_hi:[0,1,1] neg_lo:[1,0,0] neg_hi:[1,0,0]
.LBB85_226:
	s_or_b64 exec, exec, s[2:3]
	v_cmp_eq_u32_e32 vcc, 41, v25
	s_waitcnt lgkmcnt(0)
	s_barrier
	s_and_saveexec_b64 s[2:3], vcc
	s_cbranch_execz .LBB85_229
; %bb.227:
	s_waitcnt vmcnt(1)
	ds_write_b32 v132, v130
	s_waitcnt vmcnt(0)
	ds_write_b32 v133, v131 offset:168
	ds_read_b32 v175, v132
	s_waitcnt lgkmcnt(0)
	v_cmp_neq_f32_e32 vcc, 0, v175
	s_and_b64 exec, exec, vcc
	s_cbranch_execz .LBB85_229
; %bb.228:
	v_div_scale_f32 v176, s[4:5], v175, v175, 1.0
	v_rcp_f32_e32 v177, v176
	v_div_scale_f32 v178, vcc, 1.0, v175, 1.0
	v_fma_f32 v179, -v176, v177, 1.0
	v_fmac_f32_e32 v177, v179, v177
	v_mul_f32_e32 v179, v178, v177
	v_fma_f32 v180, -v176, v179, v178
	v_fmac_f32_e32 v179, v180, v177
	v_fma_f32 v176, -v176, v179, v178
	v_div_fmas_f32 v176, v176, v177, v179
	v_div_fixup_f32 v175, v176, v175, 1.0
	ds_write_b32 v132, v175
.LBB85_229:
	s_or_b64 exec, exec, s[2:3]
	s_waitcnt lgkmcnt(0)
	s_barrier
	ds_read_b32 v175, v132
	v_cmp_lt_u32_e32 vcc, 41, v25
	s_and_saveexec_b64 s[2:3], vcc
	s_cbranch_execz .LBB85_231
; %bb.230:
	ds_read_b32 v133, v133 offset:168
	s_waitcnt vmcnt(1) lgkmcnt(1)
	v_mul_f32_e32 v130, v175, v130
	s_waitcnt vmcnt(0) lgkmcnt(0)
	v_fma_f32 v131, -v130, v133, v131
.LBB85_231:
	s_or_b64 exec, exec, s[2:3]
	v_cmp_ne_u32_e32 vcc, 42, v25
	s_waitcnt lgkmcnt(0)
	s_barrier
	s_and_saveexec_b64 s[2:3], vcc
	s_xor_b64 s[2:3], exec, s[2:3]
	s_andn2_saveexec_b64 s[2:3], s[2:3]
	s_cbranch_execz .LBB85_235
; %bb.232:
	s_waitcnt vmcnt(0)
	v_cmp_neq_f32_e32 vcc, 0, v131
	ds_write_b32 v132, v131
	s_and_saveexec_b64 s[4:5], vcc
	s_cbranch_execz .LBB85_234
; %bb.233:
	v_div_scale_f32 v133, s[10:11], v131, v131, 1.0
	v_rcp_f32_e32 v176, v133
	v_div_scale_f32 v177, vcc, 1.0, v131, 1.0
	v_fma_f32 v178, -v133, v176, 1.0
	v_fmac_f32_e32 v176, v178, v176
	v_mul_f32_e32 v178, v177, v176
	v_fma_f32 v179, -v133, v178, v177
	v_fmac_f32_e32 v178, v179, v176
	v_fma_f32 v133, -v133, v178, v177
	v_div_fmas_f32 v133, v133, v176, v178
	v_div_fixup_f32 v133, v133, v131, 1.0
	ds_write_b32 v132, v133
.LBB85_234:
	s_or_b64 exec, exec, s[4:5]
.LBB85_235:
	s_or_b64 exec, exec, s[2:3]
	s_waitcnt lgkmcnt(0)
	s_barrier
	ds_read_b32 v132, v132
	s_waitcnt lgkmcnt(0)
	s_barrier
	s_and_saveexec_b64 s[2:3], s[0:1]
	s_cbranch_execz .LBB85_238
; %bb.236:
	v_cmp_eq_f32_e32 vcc, 0, v134
	v_cmp_neq_f32_e64 s[0:1], 0, v135
	v_mov_b32_e32 v134, s6
	v_cndmask_b32_e64 v133, 0, 1, vcc
	s_or_b64 vcc, s[0:1], vcc
	v_cndmask_b32_e32 v133, 2, v133, vcc
	v_cmp_eq_f32_e32 vcc, 0, v136
	v_cmp_eq_u32_e64 s[0:1], 0, v133
	s_and_b64 s[0:1], vcc, s[0:1]
	v_cmp_eq_f32_e32 vcc, 0, v137
	v_cndmask_b32_e64 v133, v133, 3, s[0:1]
	v_cmp_eq_u32_e64 s[0:1], 0, v133
	s_and_b64 s[0:1], vcc, s[0:1]
	v_cmp_eq_f32_e32 vcc, 0, v138
	v_cndmask_b32_e64 v133, v133, 4, s[0:1]
	;; [unrolled: 4-line block ×13, first 2 shown]
	v_cmp_eq_u32_e64 s[0:1], 0, v133
	s_and_b64 s[0:1], vcc, s[0:1]
	v_mov_b32_e32 v135, s7
	v_cndmask_b32_e64 v133, v133, 16, s[0:1]
	v_cmp_eq_f32_e32 vcc, 0, v150
	v_cmp_eq_u32_e64 s[0:1], 0, v133
	v_lshl_add_u64 v[34:35], v[34:35], 2, v[134:135]
	s_and_b64 s[0:1], vcc, s[0:1]
	global_load_dword v134, v[34:35], off
	v_cndmask_b32_e64 v133, v133, 17, s[0:1]
	v_cmp_eq_f32_e32 vcc, 0, v151
	v_cmp_eq_u32_e64 s[0:1], 0, v133
	s_and_b64 s[0:1], vcc, s[0:1]
	v_cmp_eq_f32_e32 vcc, 0, v152
	v_cndmask_b32_e64 v133, v133, 18, s[0:1]
	v_cmp_eq_u32_e64 s[0:1], 0, v133
	s_and_b64 s[0:1], vcc, s[0:1]
	v_cmp_eq_f32_e32 vcc, 0, v153
	v_cndmask_b32_e64 v133, v133, 19, s[0:1]
	v_cmp_eq_u32_e64 s[0:1], 0, v133
	s_and_b64 s[0:1], vcc, s[0:1]
	v_cmp_eq_f32_e32 vcc, 0, v154
	v_cndmask_b32_e64 v133, v133, 20, s[0:1]
	v_cmp_eq_u32_e64 s[0:1], 0, v133
	s_and_b64 s[0:1], vcc, s[0:1]
	v_cmp_eq_f32_e32 vcc, 0, v155
	v_cndmask_b32_e64 v133, v133, 21, s[0:1]
	v_cmp_eq_u32_e64 s[0:1], 0, v133
	s_and_b64 s[0:1], vcc, s[0:1]
	v_cmp_eq_f32_e32 vcc, 0, v156
	v_cndmask_b32_e64 v133, v133, 22, s[0:1]
	v_cmp_eq_u32_e64 s[0:1], 0, v133
	s_and_b64 s[0:1], vcc, s[0:1]
	v_cmp_eq_f32_e32 vcc, 0, v157
	v_cndmask_b32_e64 v133, v133, 23, s[0:1]
	v_cmp_eq_u32_e64 s[0:1], 0, v133
	s_and_b64 s[0:1], vcc, s[0:1]
	v_cmp_eq_f32_e32 vcc, 0, v158
	v_cndmask_b32_e64 v133, v133, 24, s[0:1]
	v_cmp_eq_u32_e64 s[0:1], 0, v133
	s_and_b64 s[0:1], vcc, s[0:1]
	v_cmp_eq_f32_e32 vcc, 0, v159
	v_cndmask_b32_e64 v133, v133, 25, s[0:1]
	v_cmp_eq_u32_e64 s[0:1], 0, v133
	s_and_b64 s[0:1], vcc, s[0:1]
	v_cmp_eq_f32_e32 vcc, 0, v160
	v_cndmask_b32_e64 v133, v133, 26, s[0:1]
	v_cmp_eq_u32_e64 s[0:1], 0, v133
	s_and_b64 s[0:1], vcc, s[0:1]
	v_cmp_eq_f32_e32 vcc, 0, v161
	v_cndmask_b32_e64 v133, v133, 27, s[0:1]
	v_cmp_eq_u32_e64 s[0:1], 0, v133
	s_and_b64 s[0:1], vcc, s[0:1]
	v_cmp_eq_f32_e32 vcc, 0, v162
	v_cndmask_b32_e64 v133, v133, 28, s[0:1]
	v_cmp_eq_u32_e64 s[0:1], 0, v133
	s_and_b64 s[0:1], vcc, s[0:1]
	v_cmp_eq_f32_e32 vcc, 0, v163
	v_cndmask_b32_e64 v133, v133, 29, s[0:1]
	v_cmp_eq_u32_e64 s[0:1], 0, v133
	s_and_b64 s[0:1], vcc, s[0:1]
	v_cmp_eq_f32_e32 vcc, 0, v164
	v_cndmask_b32_e64 v133, v133, 30, s[0:1]
	v_cmp_eq_u32_e64 s[0:1], 0, v133
	s_and_b64 s[0:1], vcc, s[0:1]
	v_cmp_eq_f32_e32 vcc, 0, v165
	v_cndmask_b32_e64 v133, v133, 31, s[0:1]
	v_cmp_eq_u32_e64 s[0:1], 0, v133
	s_and_b64 s[0:1], vcc, s[0:1]
	v_cmp_eq_f32_e32 vcc, 0, v166
	v_cndmask_b32_e64 v133, v133, 32, s[0:1]
	v_cmp_eq_u32_e64 s[0:1], 0, v133
	s_and_b64 s[0:1], vcc, s[0:1]
	v_cmp_eq_f32_e32 vcc, 0, v167
	v_cndmask_b32_e64 v133, v133, 33, s[0:1]
	v_cmp_eq_u32_e64 s[0:1], 0, v133
	s_and_b64 s[0:1], vcc, s[0:1]
	v_cmp_eq_f32_e32 vcc, 0, v168
	v_cndmask_b32_e64 v133, v133, 34, s[0:1]
	v_cmp_eq_u32_e64 s[0:1], 0, v133
	s_and_b64 s[0:1], vcc, s[0:1]
	v_cmp_eq_f32_e32 vcc, 0, v169
	v_cndmask_b32_e64 v133, v133, 35, s[0:1]
	v_cmp_eq_u32_e64 s[0:1], 0, v133
	s_and_b64 s[0:1], vcc, s[0:1]
	v_cmp_eq_f32_e32 vcc, 0, v170
	v_cndmask_b32_e64 v133, v133, 36, s[0:1]
	v_cmp_eq_u32_e64 s[0:1], 0, v133
	s_and_b64 s[0:1], vcc, s[0:1]
	v_cmp_eq_f32_e32 vcc, 0, v171
	v_cndmask_b32_e64 v133, v133, 37, s[0:1]
	v_cmp_eq_u32_e64 s[0:1], 0, v133
	s_and_b64 s[0:1], vcc, s[0:1]
	v_cmp_eq_f32_e32 vcc, 0, v172
	v_cndmask_b32_e64 v133, v133, 38, s[0:1]
	v_cmp_eq_u32_e64 s[0:1], 0, v133
	s_and_b64 s[0:1], vcc, s[0:1]
	v_cmp_eq_f32_e32 vcc, 0, v173
	v_cndmask_b32_e64 v133, v133, 39, s[0:1]
	v_cmp_eq_u32_e64 s[0:1], 0, v133
	s_and_b64 s[0:1], vcc, s[0:1]
	v_cmp_eq_f32_e32 vcc, 0, v174
	v_cndmask_b32_e64 v133, v133, 40, s[0:1]
	v_cmp_eq_u32_e64 s[0:1], 0, v133
	s_and_b64 s[0:1], vcc, s[0:1]
	v_cmp_eq_f32_e32 vcc, 0, v175
	v_cndmask_b32_e64 v133, v133, 41, s[0:1]
	v_cmp_eq_u32_e64 s[0:1], 0, v133
	s_and_b64 s[0:1], vcc, s[0:1]
	v_cmp_eq_f32_e32 vcc, 0, v132
	v_cndmask_b32_e64 v133, v133, 42, s[0:1]
	v_cmp_eq_u32_e64 s[0:1], 0, v133
	s_and_b64 s[0:1], vcc, s[0:1]
	s_waitcnt vmcnt(0)
	v_cmp_eq_u32_e32 vcc, 0, v134
	v_cndmask_b32_e64 v133, v133, 43, s[0:1]
	v_cmp_ne_u32_e64 s[0:1], 0, v133
	s_and_b64 s[0:1], vcc, s[0:1]
	s_and_b64 exec, exec, s[0:1]
	s_cbranch_execz .LBB85_238
; %bb.237:
	v_add_u32_e32 v133, s9, v133
	global_store_dword v[34:35], v133, off
.LBB85_238:
	s_or_b64 exec, exec, s[2:3]
	s_waitcnt vmcnt(0)
	v_mul_f32_e32 v34, v132, v131
	v_cmp_lt_u32_e32 vcc, 42, v25
	s_nop 1
	v_cndmask_b32_e32 v25, v131, v34, vcc
	global_store_dword v[0:1], v24, off
	global_store_dword v[2:3], v18, off
	;; [unrolled: 1-line block ×43, first 2 shown]
.LBB85_239:
	s_endpgm
	.section	.rodata,"a",@progbits
	.p2align	6, 0x0
	.amdhsa_kernel _ZN9rocsolver6v33100L23getf2_npvt_small_kernelILi43EfiiPfEEvT1_T3_lS3_lPT2_S3_S3_
		.amdhsa_group_segment_fixed_size 0
		.amdhsa_private_segment_fixed_size 0
		.amdhsa_kernarg_size 312
		.amdhsa_user_sgpr_count 2
		.amdhsa_user_sgpr_dispatch_ptr 0
		.amdhsa_user_sgpr_queue_ptr 0
		.amdhsa_user_sgpr_kernarg_segment_ptr 1
		.amdhsa_user_sgpr_dispatch_id 0
		.amdhsa_user_sgpr_kernarg_preload_length 0
		.amdhsa_user_sgpr_kernarg_preload_offset 0
		.amdhsa_user_sgpr_private_segment_size 0
		.amdhsa_uses_dynamic_stack 0
		.amdhsa_enable_private_segment 0
		.amdhsa_system_sgpr_workgroup_id_x 1
		.amdhsa_system_sgpr_workgroup_id_y 1
		.amdhsa_system_sgpr_workgroup_id_z 0
		.amdhsa_system_sgpr_workgroup_info 0
		.amdhsa_system_vgpr_workitem_id 1
		.amdhsa_next_free_vgpr 181
		.amdhsa_next_free_sgpr 16
		.amdhsa_accum_offset 184
		.amdhsa_reserve_vcc 1
		.amdhsa_float_round_mode_32 0
		.amdhsa_float_round_mode_16_64 0
		.amdhsa_float_denorm_mode_32 3
		.amdhsa_float_denorm_mode_16_64 3
		.amdhsa_dx10_clamp 1
		.amdhsa_ieee_mode 1
		.amdhsa_fp16_overflow 0
		.amdhsa_tg_split 0
		.amdhsa_exception_fp_ieee_invalid_op 0
		.amdhsa_exception_fp_denorm_src 0
		.amdhsa_exception_fp_ieee_div_zero 0
		.amdhsa_exception_fp_ieee_overflow 0
		.amdhsa_exception_fp_ieee_underflow 0
		.amdhsa_exception_fp_ieee_inexact 0
		.amdhsa_exception_int_div_zero 0
	.end_amdhsa_kernel
	.section	.text._ZN9rocsolver6v33100L23getf2_npvt_small_kernelILi43EfiiPfEEvT1_T3_lS3_lPT2_S3_S3_,"axG",@progbits,_ZN9rocsolver6v33100L23getf2_npvt_small_kernelILi43EfiiPfEEvT1_T3_lS3_lPT2_S3_S3_,comdat
.Lfunc_end85:
	.size	_ZN9rocsolver6v33100L23getf2_npvt_small_kernelILi43EfiiPfEEvT1_T3_lS3_lPT2_S3_S3_, .Lfunc_end85-_ZN9rocsolver6v33100L23getf2_npvt_small_kernelILi43EfiiPfEEvT1_T3_lS3_lPT2_S3_S3_
                                        ; -- End function
	.set _ZN9rocsolver6v33100L23getf2_npvt_small_kernelILi43EfiiPfEEvT1_T3_lS3_lPT2_S3_S3_.num_vgpr, 181
	.set _ZN9rocsolver6v33100L23getf2_npvt_small_kernelILi43EfiiPfEEvT1_T3_lS3_lPT2_S3_S3_.num_agpr, 0
	.set _ZN9rocsolver6v33100L23getf2_npvt_small_kernelILi43EfiiPfEEvT1_T3_lS3_lPT2_S3_S3_.numbered_sgpr, 16
	.set _ZN9rocsolver6v33100L23getf2_npvt_small_kernelILi43EfiiPfEEvT1_T3_lS3_lPT2_S3_S3_.num_named_barrier, 0
	.set _ZN9rocsolver6v33100L23getf2_npvt_small_kernelILi43EfiiPfEEvT1_T3_lS3_lPT2_S3_S3_.private_seg_size, 0
	.set _ZN9rocsolver6v33100L23getf2_npvt_small_kernelILi43EfiiPfEEvT1_T3_lS3_lPT2_S3_S3_.uses_vcc, 1
	.set _ZN9rocsolver6v33100L23getf2_npvt_small_kernelILi43EfiiPfEEvT1_T3_lS3_lPT2_S3_S3_.uses_flat_scratch, 0
	.set _ZN9rocsolver6v33100L23getf2_npvt_small_kernelILi43EfiiPfEEvT1_T3_lS3_lPT2_S3_S3_.has_dyn_sized_stack, 0
	.set _ZN9rocsolver6v33100L23getf2_npvt_small_kernelILi43EfiiPfEEvT1_T3_lS3_lPT2_S3_S3_.has_recursion, 0
	.set _ZN9rocsolver6v33100L23getf2_npvt_small_kernelILi43EfiiPfEEvT1_T3_lS3_lPT2_S3_S3_.has_indirect_call, 0
	.section	.AMDGPU.csdata,"",@progbits
; Kernel info:
; codeLenInByte = 27016
; TotalNumSgprs: 22
; NumVgprs: 181
; NumAgprs: 0
; TotalNumVgprs: 181
; ScratchSize: 0
; MemoryBound: 0
; FloatMode: 240
; IeeeMode: 1
; LDSByteSize: 0 bytes/workgroup (compile time only)
; SGPRBlocks: 2
; VGPRBlocks: 22
; NumSGPRsForWavesPerEU: 22
; NumVGPRsForWavesPerEU: 181
; AccumOffset: 184
; Occupancy: 2
; WaveLimiterHint : 0
; COMPUTE_PGM_RSRC2:SCRATCH_EN: 0
; COMPUTE_PGM_RSRC2:USER_SGPR: 2
; COMPUTE_PGM_RSRC2:TRAP_HANDLER: 0
; COMPUTE_PGM_RSRC2:TGID_X_EN: 1
; COMPUTE_PGM_RSRC2:TGID_Y_EN: 1
; COMPUTE_PGM_RSRC2:TGID_Z_EN: 0
; COMPUTE_PGM_RSRC2:TIDIG_COMP_CNT: 1
; COMPUTE_PGM_RSRC3_GFX90A:ACCUM_OFFSET: 45
; COMPUTE_PGM_RSRC3_GFX90A:TG_SPLIT: 0
	.section	.text._ZN9rocsolver6v33100L18getf2_small_kernelILi44EfiiPfEEvT1_T3_lS3_lPS3_llPT2_S3_S3_S5_l,"axG",@progbits,_ZN9rocsolver6v33100L18getf2_small_kernelILi44EfiiPfEEvT1_T3_lS3_lPS3_llPT2_S3_S3_S5_l,comdat
	.globl	_ZN9rocsolver6v33100L18getf2_small_kernelILi44EfiiPfEEvT1_T3_lS3_lPS3_llPT2_S3_S3_S5_l ; -- Begin function _ZN9rocsolver6v33100L18getf2_small_kernelILi44EfiiPfEEvT1_T3_lS3_lPS3_llPT2_S3_S3_S5_l
	.p2align	8
	.type	_ZN9rocsolver6v33100L18getf2_small_kernelILi44EfiiPfEEvT1_T3_lS3_lPS3_llPT2_S3_S3_S5_l,@function
_ZN9rocsolver6v33100L18getf2_small_kernelILi44EfiiPfEEvT1_T3_lS3_lPS3_llPT2_S3_S3_S5_l: ; @_ZN9rocsolver6v33100L18getf2_small_kernelILi44EfiiPfEEvT1_T3_lS3_lPS3_llPT2_S3_S3_S5_l
; %bb.0:
	s_load_dword s2, s[0:1], 0x6c
	s_load_dwordx2 s[14:15], s[0:1], 0x48
	v_bfe_u32 v17, v0, 10, 10
	s_waitcnt lgkmcnt(0)
	s_lshr_b32 s2, s2, 16
	s_mul_i32 s3, s3, s2
	v_add_u32_e32 v4, s3, v17
	v_cmp_gt_i32_e32 vcc, s14, v4
	s_and_saveexec_b64 s[2:3], vcc
	s_cbranch_execz .LBB86_745
; %bb.1:
	s_load_dwordx4 s[4:7], s[0:1], 0x50
	v_ashrrev_i32_e32 v5, 31, v4
	v_mov_b64_e32 v[20:21], 0
	s_waitcnt lgkmcnt(0)
	s_cmp_eq_u64 s[4:5], 0
	s_cselect_b64 s[16:17], -1, 0
	s_and_b64 vcc, exec, s[16:17]
	s_cbranch_vccnz .LBB86_3
; %bb.2:
	v_mul_lo_u32 v1, s7, v4
	v_mul_lo_u32 v6, s6, v5
	v_mad_u64_u32 v[2:3], s[2:3], s6, v4, 0
	v_add3_u32 v3, v3, v6, v1
	v_lshl_add_u64 v[20:21], v[2:3], 2, s[4:5]
.LBB86_3:
	s_load_dwordx4 s[20:23], s[0:1], 0x8
	s_load_dwordx8 s[4:11], s[0:1], 0x20
	s_load_dword s12, s[0:1], 0x18
	v_and_b32_e32 v19, 0x3ff, v0
	v_lshlrev_b32_e32 v52, 2, v19
	s_waitcnt lgkmcnt(0)
	v_mov_b32_e32 v2, s20
	v_mul_lo_u32 v1, s5, v4
	v_mul_lo_u32 v8, s4, v5
	v_mad_u64_u32 v[6:7], s[2:3], s4, v4, 0
	v_mov_b32_e32 v3, s21
	v_add3_u32 v7, v7, v8, v1
	s_add_i32 s14, s12, s12
	v_lshl_add_u64 v[2:3], v[6:7], 2, v[2:3]
	v_add_u32_e32 v0, s14, v19
	v_lshl_add_u64 v[2:3], s[22:23], 2, v[2:3]
	v_ashrrev_i32_e32 v1, 31, v0
	v_lshl_add_u64 v[14:15], v[0:1], 2, v[2:3]
	v_add_u32_e32 v0, s12, v0
	v_ashrrev_i32_e32 v1, 31, v0
	v_lshl_add_u64 v[22:23], v[0:1], 2, v[2:3]
	v_add_u32_e32 v0, s12, v0
	;; [unrolled: 3-line block ×4, first 2 shown]
	v_mov_b32_e32 v53, 0
	v_add_u32_e32 v30, s12, v0
	v_lshl_add_u64 v[8:9], v[2:3], 0, v[52:53]
	s_ashr_i32 s13, s12, 31
	v_ashrrev_i32_e32 v1, 31, v0
	v_ashrrev_i32_e32 v31, 31, v30
	v_lshl_add_u64 v[12:13], s[12:13], 2, v[8:9]
	v_lshl_add_u64 v[28:29], v[0:1], 2, v[2:3]
	v_lshl_add_u64 v[32:33], v[30:31], 2, v[2:3]
	global_load_dword v18, v[8:9], off
	global_load_dword v16, v[12:13], off
	global_load_dword v10, v[14:15], off
	global_load_dword v11, v[22:23], off
	global_load_dword v6, v[24:25], off
	global_load_dword v7, v[26:27], off
	global_load_dword v0, v[28:29], off
	global_load_dword v1, v[32:33], off
	v_add_u32_e32 v8, s12, v30
	v_ashrrev_i32_e32 v9, 31, v8
	v_lshl_add_u64 v[14:15], v[8:9], 2, v[2:3]
	v_add_u32_e32 v8, s12, v8
	v_ashrrev_i32_e32 v9, 31, v8
	v_lshl_add_u64 v[24:25], v[8:9], 2, v[2:3]
	v_add_u32_e32 v8, s12, v8
	v_ashrrev_i32_e32 v9, 31, v8
	v_lshl_add_u64 v[26:27], v[8:9], 2, v[2:3]
	v_add_u32_e32 v8, s12, v8
	v_ashrrev_i32_e32 v9, 31, v8
	v_lshl_add_u64 v[30:31], v[8:9], 2, v[2:3]
	v_add_u32_e32 v8, s12, v8
	v_ashrrev_i32_e32 v9, 31, v8
	v_lshl_add_u64 v[32:33], v[8:9], 2, v[2:3]
	v_add_u32_e32 v8, s12, v8
	v_ashrrev_i32_e32 v9, 31, v8
	v_lshl_add_u64 v[34:35], v[8:9], 2, v[2:3]
	v_add_u32_e32 v8, s12, v8
	v_add_u32_e32 v38, s12, v8
	v_ashrrev_i32_e32 v9, 31, v8
	v_ashrrev_i32_e32 v39, 31, v38
	v_lshl_add_u64 v[36:37], v[8:9], 2, v[2:3]
	v_lshl_add_u64 v[40:41], v[38:39], 2, v[2:3]
	global_load_dword v28, v[14:15], off
	global_load_dword v29, v[24:25], off
	global_load_dword v22, v[26:27], off
	global_load_dword v23, v[30:31], off
	global_load_dword v12, v[32:33], off
	global_load_dword v13, v[34:35], off
	global_load_dword v8, v[36:37], off
	global_load_dword v9, v[40:41], off
	v_add_u32_e32 v14, s12, v38
	v_ashrrev_i32_e32 v15, 31, v14
	v_lshl_add_u64 v[26:27], v[14:15], 2, v[2:3]
	v_add_u32_e32 v14, s12, v14
	v_ashrrev_i32_e32 v15, 31, v14
	v_lshl_add_u64 v[32:33], v[14:15], 2, v[2:3]
	v_add_u32_e32 v14, s12, v14
	v_ashrrev_i32_e32 v15, 31, v14
	v_lshl_add_u64 v[36:37], v[14:15], 2, v[2:3]
	v_add_u32_e32 v14, s12, v14
	v_ashrrev_i32_e32 v15, 31, v14
	v_lshl_add_u64 v[38:39], v[14:15], 2, v[2:3]
	v_add_u32_e32 v14, s12, v14
	v_ashrrev_i32_e32 v15, 31, v14
	v_lshl_add_u64 v[40:41], v[14:15], 2, v[2:3]
	v_add_u32_e32 v14, s12, v14
	v_ashrrev_i32_e32 v15, 31, v14
	v_lshl_add_u64 v[42:43], v[14:15], 2, v[2:3]
	v_add_u32_e32 v14, s12, v14
	v_add_u32_e32 v46, s12, v14
	v_ashrrev_i32_e32 v15, 31, v14
	v_ashrrev_i32_e32 v47, 31, v46
	v_lshl_add_u64 v[44:45], v[14:15], 2, v[2:3]
	v_lshl_add_u64 v[48:49], v[46:47], 2, v[2:3]
	;; [unrolled: 32-line block ×4, first 2 shown]
	global_load_dword v50, v[44:45], off
	global_load_dword v51, v[48:49], off
	;; [unrolled: 1-line block ×5, first 2 shown]
                                        ; kill: killed $vgpr48_vgpr49
                                        ; kill: killed $vgpr54_vgpr55
                                        ; kill: killed $vgpr56_vgpr57
                                        ; kill: killed $vgpr58_vgpr59
                                        ; kill: killed $vgpr44_vgpr45
	global_load_dword v41, v[60:61], off
	global_load_dword v38, v[62:63], off
	;; [unrolled: 1-line block ×3, first 2 shown]
	v_add_u32_e32 v44, s12, v64
	v_ashrrev_i32_e32 v45, 31, v44
	v_lshl_add_u64 v[54:55], v[44:45], 2, v[2:3]
	v_add_u32_e32 v44, s12, v44
	v_ashrrev_i32_e32 v45, 31, v44
	v_lshl_add_u64 v[56:57], v[44:45], 2, v[2:3]
	v_add_u32_e32 v44, s12, v44
	v_ashrrev_i32_e32 v45, 31, v44
	v_lshl_add_u64 v[58:59], v[44:45], 2, v[2:3]
	v_add_u32_e32 v44, s12, v44
	v_ashrrev_i32_e32 v45, 31, v44
	v_lshl_add_u64 v[60:61], v[44:45], 2, v[2:3]
	global_load_dword v48, v[54:55], off
	global_load_dword v49, v[56:57], off
	;; [unrolled: 1-line block ×4, first 2 shown]
	s_load_dword s22, s[0:1], 0x0
	s_load_dwordx2 s[4:5], s[0:1], 0x40
	s_waitcnt lgkmcnt(0)
	s_max_i32 s0, s22, 44
	v_mul_lo_u32 v54, s0, v17
	v_lshl_add_u32 v17, v54, 2, 0
	v_add_u32_e32 v52, v17, v52
	s_waitcnt vmcnt(43)
	ds_write_b32 v52, v18
	s_waitcnt lgkmcnt(0)
	s_barrier
	ds_read_b32 v52, v17
	s_cmp_lt_i32 s22, 2
	v_lshlrev_b32_e32 v54, 2, v54
	s_cbranch_scc1 .LBB86_6
; %bb.4:
	v_add3_u32 v55, v54, 0, 4
	v_mov_b32_e32 v53, 0
	s_mov_b32 s0, 1
.LBB86_5:                               ; =>This Inner Loop Header: Depth=1
	ds_read_b32 v56, v55
	v_mov_b32_e32 v57, s0
	s_add_i32 s0, s0, 1
	v_add_u32_e32 v55, 4, v55
	s_cmp_eq_u32 s22, s0
	s_waitcnt lgkmcnt(0)
	v_cmp_lt_f32_e64 vcc, |v52|, |v56|
	s_nop 1
	v_cndmask_b32_e32 v52, v52, v56, vcc
	v_cndmask_b32_e32 v53, v53, v57, vcc
	s_cbranch_scc0 .LBB86_5
.LBB86_6:
	v_cmp_ne_u32_e32 vcc, v19, v53
                                        ; implicit-def: $vgpr55
	s_and_saveexec_b64 s[0:1], vcc
	s_xor_b64 s[0:1], exec, s[0:1]
	s_cbranch_execz .LBB86_12
; %bb.7:
	v_cmp_eq_u32_e32 vcc, 0, v19
	s_and_saveexec_b64 s[2:3], vcc
	s_cbranch_execz .LBB86_11
; %bb.8:
	v_cmp_ne_u32_e32 vcc, 0, v53
	s_xor_b64 s[18:19], s[16:17], -1
	s_and_b64 s[20:21], s[18:19], vcc
	s_and_saveexec_b64 s[18:19], s[20:21]
	s_cbranch_execz .LBB86_10
; %bb.9:
	v_ashrrev_i32_e32 v57, 31, v53
	v_mov_b32_e32 v56, v53
	v_lshl_add_u64 v[56:57], v[56:57], 2, v[20:21]
	global_load_dword v19, v[56:57], off
	global_load_dword v55, v[20:21], off
	s_waitcnt vmcnt(1)
	global_store_dword v[20:21], v19, off
	s_waitcnt vmcnt(1)
	global_store_dword v[56:57], v55, off
.LBB86_10:
	s_or_b64 exec, exec, s[18:19]
	v_mov_b32_e32 v19, v53
.LBB86_11:
	s_or_b64 exec, exec, s[2:3]
	v_mov_b32_e32 v55, v19
                                        ; implicit-def: $vgpr19
.LBB86_12:
	s_or_saveexec_b64 s[0:1], s[0:1]
	v_mov_b32_e32 v53, v55
	s_xor_b64 exec, exec, s[0:1]
	s_cbranch_execz .LBB86_14
; %bb.13:
	v_mov_b32_e32 v55, 0
	v_mov_b32_e32 v53, v19
	s_waitcnt vmcnt(41)
	ds_write2_b32 v17, v16, v10 offset0:1 offset1:2
	s_waitcnt vmcnt(39)
	ds_write2_b32 v17, v11, v6 offset0:3 offset1:4
	s_waitcnt vmcnt(37)
	ds_write2_b32 v17, v7, v0 offset0:5 offset1:6
	s_waitcnt vmcnt(35)
	ds_write2_b32 v17, v1, v28 offset0:7 offset1:8
	s_waitcnt vmcnt(33)
	ds_write2_b32 v17, v29, v22 offset0:9 offset1:10
	s_waitcnt vmcnt(31)
	ds_write2_b32 v17, v23, v12 offset0:11 offset1:12
	s_waitcnt vmcnt(29)
	ds_write2_b32 v17, v13, v8 offset0:13 offset1:14
	s_waitcnt vmcnt(27)
	ds_write2_b32 v17, v9, v34 offset0:15 offset1:16
	s_waitcnt vmcnt(25)
	ds_write2_b32 v17, v35, v30 offset0:17 offset1:18
	s_waitcnt vmcnt(23)
	ds_write2_b32 v17, v31, v24 offset0:19 offset1:20
	s_waitcnt vmcnt(21)
	ds_write2_b32 v17, v25, v14 offset0:21 offset1:22
	s_waitcnt vmcnt(19)
	ds_write2_b32 v17, v15, v42 offset0:23 offset1:24
	s_waitcnt vmcnt(17)
	ds_write2_b32 v17, v43, v36 offset0:25 offset1:26
	s_waitcnt vmcnt(15)
	ds_write2_b32 v17, v37, v32 offset0:27 offset1:28
	s_waitcnt vmcnt(13)
	ds_write2_b32 v17, v33, v26 offset0:29 offset1:30
	s_waitcnt vmcnt(11)
	ds_write2_b32 v17, v27, v50 offset0:31 offset1:32
	s_waitcnt vmcnt(9)
	ds_write2_b32 v17, v51, v46 offset0:33 offset1:34
	s_waitcnt vmcnt(7)
	ds_write2_b32 v17, v47, v40 offset0:35 offset1:36
	s_waitcnt vmcnt(5)
	ds_write2_b32 v17, v41, v38 offset0:37 offset1:38
	s_waitcnt vmcnt(3)
	ds_write2_b32 v17, v39, v48 offset0:39 offset1:40
	s_waitcnt vmcnt(1)
	ds_write2_b32 v17, v49, v44 offset0:41 offset1:42
	s_waitcnt vmcnt(0)
	ds_write_b32 v17, v45 offset:172
.LBB86_14:
	s_or_b64 exec, exec, s[0:1]
	s_waitcnt lgkmcnt(0)
	v_cmp_eq_f32_e64 s[0:1], 0, v52
	v_cmp_lt_i32_e32 vcc, 0, v55
	s_barrier
	s_and_saveexec_b64 s[2:3], vcc
	s_cbranch_execz .LBB86_16
; %bb.15:
	v_div_scale_f32 v19, s[18:19], v52, v52, 1.0
	v_rcp_f32_e32 v56, v19
	v_div_scale_f32 v57, vcc, 1.0, v52, 1.0
	v_fma_f32 v58, -v19, v56, 1.0
	v_fmac_f32_e32 v56, v58, v56
	v_mul_f32_e32 v58, v57, v56
	v_fma_f32 v59, -v19, v58, v57
	v_fmac_f32_e32 v58, v59, v56
	v_fma_f32 v19, -v19, v58, v57
	v_div_fmas_f32 v19, v19, v56, v58
	v_div_fixup_f32 v19, v19, v52, 1.0
	v_cndmask_b32_e64 v19, v19, v52, s[0:1]
	ds_read_b32 v52, v17 offset:4
	ds_read2_b32 v[56:57], v17 offset0:2 offset1:3
	ds_read2_b32 v[58:59], v17 offset0:4 offset1:5
	;; [unrolled: 1-line block ×3, first 2 shown]
	v_mul_f32_e32 v18, v19, v18
	s_waitcnt vmcnt(42) lgkmcnt(3)
	v_fma_f32 v16, -v18, v52, v16
	s_waitcnt vmcnt(40) lgkmcnt(2)
	v_pk_fma_f32 v[10:11], v[18:19], v[56:57], v[10:11] op_sel_hi:[0,1,1] neg_lo:[1,0,0] neg_hi:[1,0,0]
	s_waitcnt vmcnt(38) lgkmcnt(1)
	v_pk_fma_f32 v[6:7], v[18:19], v[58:59], v[6:7] op_sel_hi:[0,1,1] neg_lo:[1,0,0] neg_hi:[1,0,0]
	ds_read2_b32 v[56:57], v17 offset0:8 offset1:9
	ds_read2_b32 v[58:59], v17 offset0:10 offset1:11
	ds_read2_b32 v[62:63], v17 offset0:12 offset1:13
	s_waitcnt vmcnt(36) lgkmcnt(3)
	v_pk_fma_f32 v[0:1], v[18:19], v[60:61], v[0:1] op_sel_hi:[0,1,1] neg_lo:[1,0,0] neg_hi:[1,0,0]
	ds_read2_b32 v[60:61], v17 offset0:14 offset1:15
	s_waitcnt vmcnt(34) lgkmcnt(3)
	v_pk_fma_f32 v[28:29], v[18:19], v[56:57], v[28:29] op_sel_hi:[0,1,1] neg_lo:[1,0,0] neg_hi:[1,0,0]
	s_waitcnt vmcnt(32) lgkmcnt(2)
	v_pk_fma_f32 v[22:23], v[18:19], v[58:59], v[22:23] op_sel_hi:[0,1,1] neg_lo:[1,0,0] neg_hi:[1,0,0]
	s_waitcnt vmcnt(30) lgkmcnt(1)
	v_pk_fma_f32 v[12:13], v[18:19], v[62:63], v[12:13] op_sel_hi:[0,1,1] neg_lo:[1,0,0] neg_hi:[1,0,0]
	ds_read2_b32 v[56:57], v17 offset0:16 offset1:17
	ds_read2_b32 v[58:59], v17 offset0:18 offset1:19
	ds_read2_b32 v[62:63], v17 offset0:20 offset1:21
	s_waitcnt vmcnt(28) lgkmcnt(3)
	v_pk_fma_f32 v[8:9], v[18:19], v[60:61], v[8:9] op_sel_hi:[0,1,1] neg_lo:[1,0,0] neg_hi:[1,0,0]
	ds_read2_b32 v[60:61], v17 offset0:22 offset1:23
	s_waitcnt vmcnt(26) lgkmcnt(3)
	v_pk_fma_f32 v[34:35], v[18:19], v[56:57], v[34:35] op_sel_hi:[0,1,1] neg_lo:[1,0,0] neg_hi:[1,0,0]
	s_waitcnt vmcnt(24) lgkmcnt(2)
	v_pk_fma_f32 v[30:31], v[18:19], v[58:59], v[30:31] op_sel_hi:[0,1,1] neg_lo:[1,0,0] neg_hi:[1,0,0]
	s_waitcnt vmcnt(22) lgkmcnt(1)
	v_pk_fma_f32 v[24:25], v[18:19], v[62:63], v[24:25] op_sel_hi:[0,1,1] neg_lo:[1,0,0] neg_hi:[1,0,0]
	ds_read2_b32 v[56:57], v17 offset0:24 offset1:25
	ds_read2_b32 v[58:59], v17 offset0:26 offset1:27
	ds_read2_b32 v[62:63], v17 offset0:28 offset1:29
	s_waitcnt vmcnt(20) lgkmcnt(3)
	v_pk_fma_f32 v[14:15], v[18:19], v[60:61], v[14:15] op_sel_hi:[0,1,1] neg_lo:[1,0,0] neg_hi:[1,0,0]
	ds_read2_b32 v[60:61], v17 offset0:30 offset1:31
	s_waitcnt vmcnt(18) lgkmcnt(3)
	v_pk_fma_f32 v[42:43], v[18:19], v[56:57], v[42:43] op_sel_hi:[0,1,1] neg_lo:[1,0,0] neg_hi:[1,0,0]
	ds_read2_b32 v[56:57], v17 offset0:32 offset1:33
	s_waitcnt vmcnt(16) lgkmcnt(3)
	v_pk_fma_f32 v[36:37], v[18:19], v[58:59], v[36:37] op_sel_hi:[0,1,1] neg_lo:[1,0,0] neg_hi:[1,0,0]
	s_waitcnt vmcnt(14) lgkmcnt(2)
	v_pk_fma_f32 v[32:33], v[18:19], v[62:63], v[32:33] op_sel_hi:[0,1,1] neg_lo:[1,0,0] neg_hi:[1,0,0]
	;; [unrolled: 2-line block ×3, first 2 shown]
	ds_read2_b32 v[58:59], v17 offset0:34 offset1:35
	ds_read2_b32 v[60:61], v17 offset0:36 offset1:37
	;; [unrolled: 1-line block ×3, first 2 shown]
	s_waitcnt vmcnt(10) lgkmcnt(3)
	v_pk_fma_f32 v[50:51], v[18:19], v[56:57], v[50:51] op_sel_hi:[0,1,1] neg_lo:[1,0,0] neg_hi:[1,0,0]
	ds_read2_b32 v[56:57], v17 offset0:40 offset1:41
	ds_read2_b32 v[64:65], v17 offset0:42 offset1:43
	s_waitcnt vmcnt(8) lgkmcnt(4)
	v_pk_fma_f32 v[46:47], v[18:19], v[58:59], v[46:47] op_sel_hi:[0,1,1] neg_lo:[1,0,0] neg_hi:[1,0,0]
	s_waitcnt vmcnt(6) lgkmcnt(3)
	v_pk_fma_f32 v[40:41], v[18:19], v[60:61], v[40:41] op_sel_hi:[0,1,1] neg_lo:[1,0,0] neg_hi:[1,0,0]
	;; [unrolled: 2-line block ×5, first 2 shown]
.LBB86_16:
	s_or_b64 exec, exec, s[2:3]
	v_lshl_add_u32 v19, v55, 2, v17
	s_barrier
	s_waitcnt vmcnt(42)
	ds_write_b32 v19, v16
	s_waitcnt lgkmcnt(0)
	s_barrier
	ds_read_b32 v19, v17 offset:4
	s_mov_b32 s2, 2
	s_cmp_lt_i32 s22, 3
	v_mov_b32_e32 v52, 1
	s_cbranch_scc1 .LBB86_19
; %bb.17:
	v_add3_u32 v56, v54, 0, 8
	v_mov_b32_e32 v52, 1
.LBB86_18:                              ; =>This Inner Loop Header: Depth=1
	ds_read_b32 v57, v56
	v_mov_b32_e32 v58, s2
	s_add_i32 s2, s2, 1
	v_add_u32_e32 v56, 4, v56
	s_cmp_lg_u32 s22, s2
	s_waitcnt lgkmcnt(0)
	v_cmp_lt_f32_e64 vcc, |v19|, |v57|
	s_nop 1
	v_cndmask_b32_e32 v19, v19, v57, vcc
	v_cndmask_b32_e32 v52, v52, v58, vcc
	s_cbranch_scc1 .LBB86_18
.LBB86_19:
	v_cmp_ne_u32_e32 vcc, v55, v52
	s_and_saveexec_b64 s[2:3], vcc
	s_xor_b64 s[2:3], exec, s[2:3]
	s_cbranch_execz .LBB86_25
; %bb.20:
	v_cmp_eq_u32_e32 vcc, 1, v55
	s_and_saveexec_b64 s[18:19], vcc
	s_cbranch_execz .LBB86_24
; %bb.21:
	v_cmp_ne_u32_e32 vcc, 1, v52
	s_xor_b64 s[20:21], s[16:17], -1
	s_and_b64 s[24:25], s[20:21], vcc
	s_and_saveexec_b64 s[20:21], s[24:25]
	s_cbranch_execz .LBB86_23
; %bb.22:
	v_ashrrev_i32_e32 v53, 31, v52
	v_lshl_add_u64 v[56:57], v[52:53], 2, v[20:21]
	global_load_dword v53, v[56:57], off
	global_load_dword v55, v[20:21], off offset:4
	s_waitcnt vmcnt(1)
	global_store_dword v[20:21], v53, off offset:4
	s_waitcnt vmcnt(1)
	global_store_dword v[56:57], v55, off
.LBB86_23:
	s_or_b64 exec, exec, s[20:21]
	v_mov_b32_e32 v53, v52
	v_mov_b32_e32 v55, v52
.LBB86_24:
	s_or_b64 exec, exec, s[18:19]
.LBB86_25:
	s_andn2_saveexec_b64 s[2:3], s[2:3]
	s_cbranch_execz .LBB86_27
; %bb.26:
	v_mov_b32_e32 v55, 1
	s_waitcnt vmcnt(40)
	ds_write2_b32 v17, v10, v11 offset0:2 offset1:3
	s_waitcnt vmcnt(38)
	ds_write2_b32 v17, v6, v7 offset0:4 offset1:5
	;; [unrolled: 2-line block ×21, first 2 shown]
.LBB86_27:
	s_or_b64 exec, exec, s[2:3]
	s_waitcnt lgkmcnt(0)
	v_cmp_neq_f32_e64 s[2:3], 0, v19
	v_cmp_lt_i32_e32 vcc, 1, v55
	s_barrier
	s_and_saveexec_b64 s[18:19], vcc
	s_cbranch_execz .LBB86_29
; %bb.28:
	v_div_scale_f32 v52, s[20:21], v19, v19, 1.0
	v_rcp_f32_e32 v56, v52
	v_div_scale_f32 v57, vcc, 1.0, v19, 1.0
	v_fma_f32 v58, -v52, v56, 1.0
	v_fmac_f32_e32 v56, v58, v56
	v_mul_f32_e32 v58, v57, v56
	v_fma_f32 v59, -v52, v58, v57
	v_fmac_f32_e32 v58, v59, v56
	v_fma_f32 v52, -v52, v58, v57
	v_div_fmas_f32 v52, v52, v56, v58
	ds_read2_b32 v[56:57], v17 offset0:2 offset1:3
	ds_read2_b32 v[58:59], v17 offset0:4 offset1:5
	;; [unrolled: 1-line block ×3, first 2 shown]
	v_div_fixup_f32 v52, v52, v19, 1.0
	v_cndmask_b32_e64 v19, v19, v52, s[2:3]
	v_mul_f32_e32 v16, v19, v16
	ds_read2_b32 v[62:63], v17 offset0:8 offset1:9
	s_waitcnt vmcnt(40) lgkmcnt(3)
	v_pk_fma_f32 v[10:11], v[16:17], v[56:57], v[10:11] op_sel_hi:[0,1,1] neg_lo:[1,0,0] neg_hi:[1,0,0]
	s_waitcnt vmcnt(38) lgkmcnt(2)
	v_pk_fma_f32 v[6:7], v[16:17], v[58:59], v[6:7] op_sel_hi:[0,1,1] neg_lo:[1,0,0] neg_hi:[1,0,0]
	s_waitcnt vmcnt(36) lgkmcnt(1)
	v_pk_fma_f32 v[0:1], v[16:17], v[60:61], v[0:1] op_sel_hi:[0,1,1] neg_lo:[1,0,0] neg_hi:[1,0,0]
	ds_read2_b32 v[56:57], v17 offset0:10 offset1:11
	ds_read2_b32 v[58:59], v17 offset0:12 offset1:13
	;; [unrolled: 1-line block ×3, first 2 shown]
	s_waitcnt vmcnt(34) lgkmcnt(3)
	v_pk_fma_f32 v[28:29], v[16:17], v[62:63], v[28:29] op_sel_hi:[0,1,1] neg_lo:[1,0,0] neg_hi:[1,0,0]
	ds_read2_b32 v[62:63], v17 offset0:16 offset1:17
	s_waitcnt vmcnt(32) lgkmcnt(3)
	v_pk_fma_f32 v[22:23], v[16:17], v[56:57], v[22:23] op_sel_hi:[0,1,1] neg_lo:[1,0,0] neg_hi:[1,0,0]
	s_waitcnt vmcnt(30) lgkmcnt(2)
	v_pk_fma_f32 v[12:13], v[16:17], v[58:59], v[12:13] op_sel_hi:[0,1,1] neg_lo:[1,0,0] neg_hi:[1,0,0]
	;; [unrolled: 2-line block ×3, first 2 shown]
	ds_read2_b32 v[56:57], v17 offset0:18 offset1:19
	ds_read2_b32 v[58:59], v17 offset0:20 offset1:21
	;; [unrolled: 1-line block ×3, first 2 shown]
	s_waitcnt vmcnt(26) lgkmcnt(3)
	v_pk_fma_f32 v[34:35], v[16:17], v[62:63], v[34:35] op_sel_hi:[0,1,1] neg_lo:[1,0,0] neg_hi:[1,0,0]
	ds_read2_b32 v[62:63], v17 offset0:24 offset1:25
	s_waitcnt vmcnt(24) lgkmcnt(3)
	v_pk_fma_f32 v[30:31], v[16:17], v[56:57], v[30:31] op_sel_hi:[0,1,1] neg_lo:[1,0,0] neg_hi:[1,0,0]
	s_waitcnt vmcnt(22) lgkmcnt(2)
	v_pk_fma_f32 v[24:25], v[16:17], v[58:59], v[24:25] op_sel_hi:[0,1,1] neg_lo:[1,0,0] neg_hi:[1,0,0]
	s_waitcnt vmcnt(20) lgkmcnt(1)
	v_pk_fma_f32 v[14:15], v[16:17], v[60:61], v[14:15] op_sel_hi:[0,1,1] neg_lo:[1,0,0] neg_hi:[1,0,0]
	ds_read2_b32 v[56:57], v17 offset0:26 offset1:27
	ds_read2_b32 v[58:59], v17 offset0:28 offset1:29
	;; [unrolled: 1-line block ×4, first 2 shown]
	s_waitcnt vmcnt(18) lgkmcnt(4)
	v_pk_fma_f32 v[42:43], v[16:17], v[62:63], v[42:43] op_sel_hi:[0,1,1] neg_lo:[1,0,0] neg_hi:[1,0,0]
	s_waitcnt vmcnt(16) lgkmcnt(3)
	v_pk_fma_f32 v[36:37], v[16:17], v[56:57], v[36:37] op_sel_hi:[0,1,1] neg_lo:[1,0,0] neg_hi:[1,0,0]
	;; [unrolled: 2-line block ×5, first 2 shown]
	ds_read2_b32 v[56:57], v17 offset0:34 offset1:35
	ds_read2_b32 v[58:59], v17 offset0:36 offset1:37
	;; [unrolled: 1-line block ×5, first 2 shown]
	s_waitcnt vmcnt(8) lgkmcnt(4)
	v_pk_fma_f32 v[46:47], v[16:17], v[56:57], v[46:47] op_sel_hi:[0,1,1] neg_lo:[1,0,0] neg_hi:[1,0,0]
	s_waitcnt vmcnt(6) lgkmcnt(3)
	v_pk_fma_f32 v[40:41], v[16:17], v[58:59], v[40:41] op_sel_hi:[0,1,1] neg_lo:[1,0,0] neg_hi:[1,0,0]
	;; [unrolled: 2-line block ×5, first 2 shown]
.LBB86_29:
	s_or_b64 exec, exec, s[18:19]
	v_lshl_add_u32 v19, v55, 2, v17
	s_barrier
	s_waitcnt vmcnt(41)
	ds_write_b32 v19, v10
	s_waitcnt lgkmcnt(0)
	s_barrier
	ds_read_b32 v56, v17 offset:8
	s_cmp_lt_i32 s22, 4
	v_mov_b32_e32 v52, 2
	s_cbranch_scc1 .LBB86_32
; %bb.30:
	v_mov_b32_e32 v52, 2
	v_add3_u32 v19, v54, 0, 12
	s_mov_b32 s18, 3
.LBB86_31:                              ; =>This Inner Loop Header: Depth=1
	ds_read_b32 v57, v19
	v_mov_b32_e32 v58, s18
	s_add_i32 s18, s18, 1
	v_add_u32_e32 v19, 4, v19
	s_cmp_lg_u32 s22, s18
	s_waitcnt lgkmcnt(0)
	v_cmp_lt_f32_e64 vcc, |v56|, |v57|
	s_nop 1
	v_cndmask_b32_e32 v56, v56, v57, vcc
	v_cndmask_b32_e32 v52, v52, v58, vcc
	s_cbranch_scc1 .LBB86_31
.LBB86_32:
	v_cndmask_b32_e64 v19, 2, 1, s[0:1]
	v_cndmask_b32_e64 v57, 0, 1, s[0:1]
	;; [unrolled: 1-line block ×3, first 2 shown]
	s_waitcnt lgkmcnt(0)
	v_cmp_eq_f32_e32 vcc, 0, v56
	s_and_saveexec_b64 s[0:1], vcc
	s_xor_b64 s[0:1], exec, s[0:1]
; %bb.33:
	v_cmp_ne_u32_e32 vcc, 0, v19
	s_nop 1
	v_cndmask_b32_e32 v19, 3, v19, vcc
; %bb.34:
	s_andn2_saveexec_b64 s[0:1], s[0:1]
	s_cbranch_execz .LBB86_36
; %bb.35:
	v_div_scale_f32 v57, s[2:3], v56, v56, 1.0
	v_rcp_f32_e32 v58, v57
	v_div_scale_f32 v59, vcc, 1.0, v56, 1.0
	v_fma_f32 v60, -v57, v58, 1.0
	v_fmac_f32_e32 v58, v60, v58
	v_mul_f32_e32 v60, v59, v58
	v_fma_f32 v61, -v57, v60, v59
	v_fmac_f32_e32 v60, v61, v58
	v_fma_f32 v57, -v57, v60, v59
	v_div_fmas_f32 v57, v57, v58, v60
	v_div_fixup_f32 v56, v57, v56, 1.0
.LBB86_36:
	s_or_b64 exec, exec, s[0:1]
	v_cmp_ne_u32_e32 vcc, v55, v52
	s_and_saveexec_b64 s[0:1], vcc
	s_xor_b64 s[0:1], exec, s[0:1]
	s_cbranch_execz .LBB86_42
; %bb.37:
	v_cmp_eq_u32_e32 vcc, 2, v55
	s_and_saveexec_b64 s[2:3], vcc
	s_cbranch_execz .LBB86_41
; %bb.38:
	v_cmp_ne_u32_e32 vcc, 2, v52
	s_xor_b64 s[18:19], s[16:17], -1
	s_and_b64 s[20:21], s[18:19], vcc
	s_and_saveexec_b64 s[18:19], s[20:21]
	s_cbranch_execz .LBB86_40
; %bb.39:
	v_ashrrev_i32_e32 v53, 31, v52
	v_lshl_add_u64 v[58:59], v[52:53], 2, v[20:21]
	global_load_dword v53, v[58:59], off
	global_load_dword v55, v[20:21], off offset:8
	s_waitcnt vmcnt(1)
	global_store_dword v[20:21], v53, off offset:8
	s_waitcnt vmcnt(1)
	global_store_dword v[58:59], v55, off
.LBB86_40:
	s_or_b64 exec, exec, s[18:19]
	v_mov_b32_e32 v53, v52
	v_mov_b32_e32 v55, v52
.LBB86_41:
	s_or_b64 exec, exec, s[2:3]
.LBB86_42:
	s_andn2_saveexec_b64 s[0:1], s[0:1]
	s_cbranch_execz .LBB86_44
; %bb.43:
	s_waitcnt vmcnt(38)
	v_pk_mov_b32 v[58:59], v[10:11], v[6:7] op_sel:[1,0]
	ds_write2_b32 v17, v58, v59 offset0:3 offset1:4
	s_waitcnt vmcnt(36)
	v_pk_mov_b32 v[58:59], v[6:7], v[0:1] op_sel:[1,0]
	ds_write2_b32 v17, v58, v59 offset0:5 offset1:6
	;; [unrolled: 3-line block ×19, first 2 shown]
	s_waitcnt vmcnt(0)
	v_pk_mov_b32 v[58:59], v[48:49], v[44:45] op_sel:[1,0]
	v_mov_b32_e32 v55, 2
	ds_write2_b32 v17, v58, v59 offset0:41 offset1:42
	ds_write_b32 v17, v45 offset:172
.LBB86_44:
	s_or_b64 exec, exec, s[0:1]
	v_cmp_lt_i32_e32 vcc, 2, v55
	s_waitcnt lgkmcnt(0)
	s_barrier
	s_and_saveexec_b64 s[0:1], vcc
	s_cbranch_execz .LBB86_46
; %bb.45:
	ds_read_b32 v52, v17 offset:12
	v_mul_f32_e32 v10, v56, v10
	ds_read2_b32 v[56:57], v17 offset0:4 offset1:5
	s_waitcnt vmcnt(40) lgkmcnt(1)
	v_fma_f32 v11, -v10, v52, v11
	s_waitcnt vmcnt(38) lgkmcnt(0)
	v_pk_fma_f32 v[6:7], v[10:11], v[56:57], v[6:7] op_sel_hi:[0,1,1] neg_lo:[1,0,0] neg_hi:[1,0,0]
	ds_read2_b32 v[56:57], v17 offset0:6 offset1:7
	s_waitcnt vmcnt(36) lgkmcnt(0)
	v_pk_fma_f32 v[0:1], v[10:11], v[56:57], v[0:1] op_sel_hi:[0,1,1] neg_lo:[1,0,0] neg_hi:[1,0,0]
	ds_read2_b32 v[56:57], v17 offset0:8 offset1:9
	;; [unrolled: 3-line block ×19, first 2 shown]
	s_waitcnt vmcnt(0) lgkmcnt(0)
	v_pk_fma_f32 v[44:45], v[10:11], v[56:57], v[44:45] op_sel_hi:[0,1,1] neg_lo:[1,0,0] neg_hi:[1,0,0]
.LBB86_46:
	s_or_b64 exec, exec, s[0:1]
	v_lshl_add_u32 v52, v55, 2, v17
	s_barrier
	s_waitcnt vmcnt(40)
	ds_write_b32 v52, v11
	s_waitcnt lgkmcnt(0)
	s_barrier
	ds_read_b32 v56, v17 offset:12
	s_cmp_lt_i32 s22, 5
	v_mov_b32_e32 v52, 3
	s_cbranch_scc1 .LBB86_49
; %bb.47:
	v_add3_u32 v57, v54, 0, 16
	v_mov_b32_e32 v52, 3
	s_mov_b32 s0, 4
.LBB86_48:                              ; =>This Inner Loop Header: Depth=1
	ds_read_b32 v58, v57
	v_mov_b32_e32 v59, s0
	s_add_i32 s0, s0, 1
	v_add_u32_e32 v57, 4, v57
	s_cmp_lg_u32 s22, s0
	s_waitcnt lgkmcnt(0)
	v_cmp_lt_f32_e64 vcc, |v56|, |v58|
	s_nop 1
	v_cndmask_b32_e32 v56, v56, v58, vcc
	v_cndmask_b32_e32 v52, v52, v59, vcc
	s_cbranch_scc1 .LBB86_48
.LBB86_49:
	s_waitcnt lgkmcnt(0)
	v_cmp_eq_f32_e32 vcc, 0, v56
	s_and_saveexec_b64 s[0:1], vcc
	s_xor_b64 s[0:1], exec, s[0:1]
; %bb.50:
	v_cmp_ne_u32_e32 vcc, 0, v19
	s_nop 1
	v_cndmask_b32_e32 v19, 4, v19, vcc
; %bb.51:
	s_andn2_saveexec_b64 s[0:1], s[0:1]
	s_cbranch_execz .LBB86_53
; %bb.52:
	v_div_scale_f32 v57, s[2:3], v56, v56, 1.0
	v_rcp_f32_e32 v58, v57
	v_div_scale_f32 v59, vcc, 1.0, v56, 1.0
	v_fma_f32 v60, -v57, v58, 1.0
	v_fmac_f32_e32 v58, v60, v58
	v_mul_f32_e32 v60, v59, v58
	v_fma_f32 v61, -v57, v60, v59
	v_fmac_f32_e32 v60, v61, v58
	v_fma_f32 v57, -v57, v60, v59
	v_div_fmas_f32 v57, v57, v58, v60
	v_div_fixup_f32 v56, v57, v56, 1.0
.LBB86_53:
	s_or_b64 exec, exec, s[0:1]
	v_cmp_ne_u32_e32 vcc, v55, v52
	s_and_saveexec_b64 s[0:1], vcc
	s_xor_b64 s[0:1], exec, s[0:1]
	s_cbranch_execz .LBB86_59
; %bb.54:
	v_cmp_eq_u32_e32 vcc, 3, v55
	s_and_saveexec_b64 s[2:3], vcc
	s_cbranch_execz .LBB86_58
; %bb.55:
	v_cmp_ne_u32_e32 vcc, 3, v52
	s_xor_b64 s[18:19], s[16:17], -1
	s_and_b64 s[20:21], s[18:19], vcc
	s_and_saveexec_b64 s[18:19], s[20:21]
	s_cbranch_execz .LBB86_57
; %bb.56:
	v_ashrrev_i32_e32 v53, 31, v52
	v_lshl_add_u64 v[58:59], v[52:53], 2, v[20:21]
	global_load_dword v53, v[58:59], off
	global_load_dword v55, v[20:21], off offset:12
	s_waitcnt vmcnt(1)
	global_store_dword v[20:21], v53, off offset:12
	s_waitcnt vmcnt(1)
	global_store_dword v[58:59], v55, off
.LBB86_57:
	s_or_b64 exec, exec, s[18:19]
	v_mov_b32_e32 v53, v52
	v_mov_b32_e32 v55, v52
.LBB86_58:
	s_or_b64 exec, exec, s[2:3]
.LBB86_59:
	s_andn2_saveexec_b64 s[0:1], s[0:1]
	s_cbranch_execz .LBB86_61
; %bb.60:
	v_mov_b32_e32 v55, 3
	s_waitcnt vmcnt(38)
	ds_write2_b32 v17, v6, v7 offset0:4 offset1:5
	s_waitcnt vmcnt(36)
	ds_write2_b32 v17, v0, v1 offset0:6 offset1:7
	;; [unrolled: 2-line block ×20, first 2 shown]
.LBB86_61:
	s_or_b64 exec, exec, s[0:1]
	v_cmp_lt_i32_e32 vcc, 3, v55
	s_waitcnt lgkmcnt(0)
	s_barrier
	s_and_saveexec_b64 s[0:1], vcc
	s_cbranch_execz .LBB86_63
; %bb.62:
	v_mul_f32_e32 v52, v56, v11
	ds_read2_b32 v[56:57], v17 offset0:4 offset1:5
	v_mov_b32_e32 v11, v52
	s_waitcnt vmcnt(38) lgkmcnt(0)
	v_pk_fma_f32 v[6:7], v[52:53], v[56:57], v[6:7] op_sel_hi:[0,1,1] neg_lo:[1,0,0] neg_hi:[1,0,0]
	ds_read2_b32 v[56:57], v17 offset0:6 offset1:7
	s_waitcnt vmcnt(36) lgkmcnt(0)
	v_pk_fma_f32 v[0:1], v[52:53], v[56:57], v[0:1] op_sel_hi:[0,1,1] neg_lo:[1,0,0] neg_hi:[1,0,0]
	ds_read2_b32 v[56:57], v17 offset0:8 offset1:9
	;; [unrolled: 3-line block ×19, first 2 shown]
	s_waitcnt vmcnt(0) lgkmcnt(0)
	v_pk_fma_f32 v[44:45], v[52:53], v[56:57], v[44:45] op_sel_hi:[0,1,1] neg_lo:[1,0,0] neg_hi:[1,0,0]
.LBB86_63:
	s_or_b64 exec, exec, s[0:1]
	v_lshl_add_u32 v52, v55, 2, v17
	s_barrier
	s_waitcnt vmcnt(39)
	ds_write_b32 v52, v6
	s_waitcnt lgkmcnt(0)
	s_barrier
	ds_read_b32 v56, v17 offset:16
	s_cmp_lt_i32 s22, 6
	v_mov_b32_e32 v52, 4
	s_cbranch_scc1 .LBB86_66
; %bb.64:
	v_add3_u32 v57, v54, 0, 20
	v_mov_b32_e32 v52, 4
	s_mov_b32 s0, 5
.LBB86_65:                              ; =>This Inner Loop Header: Depth=1
	ds_read_b32 v58, v57
	v_mov_b32_e32 v59, s0
	s_add_i32 s0, s0, 1
	v_add_u32_e32 v57, 4, v57
	s_cmp_lg_u32 s22, s0
	s_waitcnt lgkmcnt(0)
	v_cmp_lt_f32_e64 vcc, |v56|, |v58|
	s_nop 1
	v_cndmask_b32_e32 v56, v56, v58, vcc
	v_cndmask_b32_e32 v52, v52, v59, vcc
	s_cbranch_scc1 .LBB86_65
.LBB86_66:
	s_waitcnt lgkmcnt(0)
	v_cmp_eq_f32_e32 vcc, 0, v56
	s_and_saveexec_b64 s[0:1], vcc
	s_xor_b64 s[0:1], exec, s[0:1]
; %bb.67:
	v_cmp_ne_u32_e32 vcc, 0, v19
	s_nop 1
	v_cndmask_b32_e32 v19, 5, v19, vcc
; %bb.68:
	s_andn2_saveexec_b64 s[0:1], s[0:1]
	s_cbranch_execz .LBB86_70
; %bb.69:
	v_div_scale_f32 v57, s[2:3], v56, v56, 1.0
	v_rcp_f32_e32 v58, v57
	v_div_scale_f32 v59, vcc, 1.0, v56, 1.0
	v_fma_f32 v60, -v57, v58, 1.0
	v_fmac_f32_e32 v58, v60, v58
	v_mul_f32_e32 v60, v59, v58
	v_fma_f32 v61, -v57, v60, v59
	v_fmac_f32_e32 v60, v61, v58
	v_fma_f32 v57, -v57, v60, v59
	v_div_fmas_f32 v57, v57, v58, v60
	v_div_fixup_f32 v56, v57, v56, 1.0
.LBB86_70:
	s_or_b64 exec, exec, s[0:1]
	v_cmp_ne_u32_e32 vcc, v55, v52
	s_and_saveexec_b64 s[0:1], vcc
	s_xor_b64 s[0:1], exec, s[0:1]
	s_cbranch_execz .LBB86_76
; %bb.71:
	v_cmp_eq_u32_e32 vcc, 4, v55
	s_and_saveexec_b64 s[2:3], vcc
	s_cbranch_execz .LBB86_75
; %bb.72:
	v_cmp_ne_u32_e32 vcc, 4, v52
	s_xor_b64 s[18:19], s[16:17], -1
	s_and_b64 s[20:21], s[18:19], vcc
	s_and_saveexec_b64 s[18:19], s[20:21]
	s_cbranch_execz .LBB86_74
; %bb.73:
	v_ashrrev_i32_e32 v53, 31, v52
	v_lshl_add_u64 v[58:59], v[52:53], 2, v[20:21]
	global_load_dword v53, v[58:59], off
	global_load_dword v55, v[20:21], off offset:16
	s_waitcnt vmcnt(1)
	global_store_dword v[20:21], v53, off offset:16
	s_waitcnt vmcnt(1)
	global_store_dword v[58:59], v55, off
.LBB86_74:
	s_or_b64 exec, exec, s[18:19]
	v_mov_b32_e32 v53, v52
	v_mov_b32_e32 v55, v52
.LBB86_75:
	s_or_b64 exec, exec, s[2:3]
.LBB86_76:
	s_andn2_saveexec_b64 s[0:1], s[0:1]
	s_cbranch_execz .LBB86_78
; %bb.77:
	s_waitcnt vmcnt(36)
	v_pk_mov_b32 v[58:59], v[6:7], v[0:1] op_sel:[1,0]
	ds_write2_b32 v17, v58, v59 offset0:5 offset1:6
	s_waitcnt vmcnt(34)
	v_pk_mov_b32 v[58:59], v[0:1], v[28:29] op_sel:[1,0]
	ds_write2_b32 v17, v58, v59 offset0:7 offset1:8
	;; [unrolled: 3-line block ×18, first 2 shown]
	s_waitcnt vmcnt(0)
	v_pk_mov_b32 v[58:59], v[48:49], v[44:45] op_sel:[1,0]
	v_mov_b32_e32 v55, 4
	ds_write2_b32 v17, v58, v59 offset0:41 offset1:42
	ds_write_b32 v17, v45 offset:172
.LBB86_78:
	s_or_b64 exec, exec, s[0:1]
	v_cmp_lt_i32_e32 vcc, 4, v55
	s_waitcnt lgkmcnt(0)
	s_barrier
	s_and_saveexec_b64 s[0:1], vcc
	s_cbranch_execz .LBB86_80
; %bb.79:
	ds_read_b32 v52, v17 offset:20
	v_mul_f32_e32 v6, v56, v6
	ds_read2_b32 v[56:57], v17 offset0:6 offset1:7
	s_waitcnt vmcnt(38) lgkmcnt(1)
	v_fma_f32 v7, -v6, v52, v7
	s_waitcnt vmcnt(36) lgkmcnt(0)
	v_pk_fma_f32 v[0:1], v[6:7], v[56:57], v[0:1] op_sel_hi:[0,1,1] neg_lo:[1,0,0] neg_hi:[1,0,0]
	ds_read2_b32 v[56:57], v17 offset0:8 offset1:9
	s_waitcnt vmcnt(34) lgkmcnt(0)
	v_pk_fma_f32 v[28:29], v[6:7], v[56:57], v[28:29] op_sel_hi:[0,1,1] neg_lo:[1,0,0] neg_hi:[1,0,0]
	ds_read2_b32 v[56:57], v17 offset0:10 offset1:11
	;; [unrolled: 3-line block ×18, first 2 shown]
	s_waitcnt vmcnt(0) lgkmcnt(0)
	v_pk_fma_f32 v[44:45], v[6:7], v[56:57], v[44:45] op_sel_hi:[0,1,1] neg_lo:[1,0,0] neg_hi:[1,0,0]
.LBB86_80:
	s_or_b64 exec, exec, s[0:1]
	v_lshl_add_u32 v52, v55, 2, v17
	s_barrier
	s_waitcnt vmcnt(38)
	ds_write_b32 v52, v7
	s_waitcnt lgkmcnt(0)
	s_barrier
	ds_read_b32 v56, v17 offset:20
	s_cmp_lt_i32 s22, 7
	v_mov_b32_e32 v52, 5
	s_cbranch_scc1 .LBB86_83
; %bb.81:
	v_add3_u32 v57, v54, 0, 24
	v_mov_b32_e32 v52, 5
	s_mov_b32 s0, 6
.LBB86_82:                              ; =>This Inner Loop Header: Depth=1
	ds_read_b32 v58, v57
	v_mov_b32_e32 v59, s0
	s_add_i32 s0, s0, 1
	v_add_u32_e32 v57, 4, v57
	s_cmp_lg_u32 s22, s0
	s_waitcnt lgkmcnt(0)
	v_cmp_lt_f32_e64 vcc, |v56|, |v58|
	s_nop 1
	v_cndmask_b32_e32 v56, v56, v58, vcc
	v_cndmask_b32_e32 v52, v52, v59, vcc
	s_cbranch_scc1 .LBB86_82
.LBB86_83:
	s_waitcnt lgkmcnt(0)
	v_cmp_eq_f32_e32 vcc, 0, v56
	s_and_saveexec_b64 s[0:1], vcc
	s_xor_b64 s[0:1], exec, s[0:1]
; %bb.84:
	v_cmp_ne_u32_e32 vcc, 0, v19
	s_nop 1
	v_cndmask_b32_e32 v19, 6, v19, vcc
; %bb.85:
	s_andn2_saveexec_b64 s[0:1], s[0:1]
	s_cbranch_execz .LBB86_87
; %bb.86:
	v_div_scale_f32 v57, s[2:3], v56, v56, 1.0
	v_rcp_f32_e32 v58, v57
	v_div_scale_f32 v59, vcc, 1.0, v56, 1.0
	v_fma_f32 v60, -v57, v58, 1.0
	v_fmac_f32_e32 v58, v60, v58
	v_mul_f32_e32 v60, v59, v58
	v_fma_f32 v61, -v57, v60, v59
	v_fmac_f32_e32 v60, v61, v58
	v_fma_f32 v57, -v57, v60, v59
	v_div_fmas_f32 v57, v57, v58, v60
	v_div_fixup_f32 v56, v57, v56, 1.0
.LBB86_87:
	s_or_b64 exec, exec, s[0:1]
	v_cmp_ne_u32_e32 vcc, v55, v52
	s_and_saveexec_b64 s[0:1], vcc
	s_xor_b64 s[0:1], exec, s[0:1]
	s_cbranch_execz .LBB86_93
; %bb.88:
	v_cmp_eq_u32_e32 vcc, 5, v55
	s_and_saveexec_b64 s[2:3], vcc
	s_cbranch_execz .LBB86_92
; %bb.89:
	v_cmp_ne_u32_e32 vcc, 5, v52
	s_xor_b64 s[18:19], s[16:17], -1
	s_and_b64 s[20:21], s[18:19], vcc
	s_and_saveexec_b64 s[18:19], s[20:21]
	s_cbranch_execz .LBB86_91
; %bb.90:
	v_ashrrev_i32_e32 v53, 31, v52
	v_lshl_add_u64 v[58:59], v[52:53], 2, v[20:21]
	global_load_dword v53, v[58:59], off
	global_load_dword v55, v[20:21], off offset:20
	s_waitcnt vmcnt(1)
	global_store_dword v[20:21], v53, off offset:20
	s_waitcnt vmcnt(1)
	global_store_dword v[58:59], v55, off
.LBB86_91:
	s_or_b64 exec, exec, s[18:19]
	v_mov_b32_e32 v53, v52
	v_mov_b32_e32 v55, v52
.LBB86_92:
	s_or_b64 exec, exec, s[2:3]
.LBB86_93:
	s_andn2_saveexec_b64 s[0:1], s[0:1]
	s_cbranch_execz .LBB86_95
; %bb.94:
	v_mov_b32_e32 v55, 5
	s_waitcnt vmcnt(36)
	ds_write2_b32 v17, v0, v1 offset0:6 offset1:7
	s_waitcnt vmcnt(34)
	ds_write2_b32 v17, v28, v29 offset0:8 offset1:9
	;; [unrolled: 2-line block ×19, first 2 shown]
.LBB86_95:
	s_or_b64 exec, exec, s[0:1]
	v_cmp_lt_i32_e32 vcc, 5, v55
	s_waitcnt lgkmcnt(0)
	s_barrier
	s_and_saveexec_b64 s[0:1], vcc
	s_cbranch_execz .LBB86_97
; %bb.96:
	v_mul_f32_e32 v52, v56, v7
	ds_read2_b32 v[56:57], v17 offset0:6 offset1:7
	v_mov_b32_e32 v7, v52
	s_waitcnt vmcnt(36) lgkmcnt(0)
	v_pk_fma_f32 v[0:1], v[52:53], v[56:57], v[0:1] op_sel_hi:[0,1,1] neg_lo:[1,0,0] neg_hi:[1,0,0]
	ds_read2_b32 v[56:57], v17 offset0:8 offset1:9
	s_waitcnt vmcnt(34) lgkmcnt(0)
	v_pk_fma_f32 v[28:29], v[52:53], v[56:57], v[28:29] op_sel_hi:[0,1,1] neg_lo:[1,0,0] neg_hi:[1,0,0]
	ds_read2_b32 v[56:57], v17 offset0:10 offset1:11
	;; [unrolled: 3-line block ×18, first 2 shown]
	s_waitcnt vmcnt(0) lgkmcnt(0)
	v_pk_fma_f32 v[44:45], v[52:53], v[56:57], v[44:45] op_sel_hi:[0,1,1] neg_lo:[1,0,0] neg_hi:[1,0,0]
.LBB86_97:
	s_or_b64 exec, exec, s[0:1]
	v_lshl_add_u32 v52, v55, 2, v17
	s_barrier
	s_waitcnt vmcnt(37)
	ds_write_b32 v52, v0
	s_waitcnt lgkmcnt(0)
	s_barrier
	ds_read_b32 v56, v17 offset:24
	s_cmp_lt_i32 s22, 8
	v_mov_b32_e32 v52, 6
	s_cbranch_scc1 .LBB86_100
; %bb.98:
	v_add3_u32 v57, v54, 0, 28
	v_mov_b32_e32 v52, 6
	s_mov_b32 s0, 7
.LBB86_99:                              ; =>This Inner Loop Header: Depth=1
	ds_read_b32 v58, v57
	v_mov_b32_e32 v59, s0
	s_add_i32 s0, s0, 1
	v_add_u32_e32 v57, 4, v57
	s_cmp_lg_u32 s22, s0
	s_waitcnt lgkmcnt(0)
	v_cmp_lt_f32_e64 vcc, |v56|, |v58|
	s_nop 1
	v_cndmask_b32_e32 v56, v56, v58, vcc
	v_cndmask_b32_e32 v52, v52, v59, vcc
	s_cbranch_scc1 .LBB86_99
.LBB86_100:
	s_waitcnt lgkmcnt(0)
	v_cmp_eq_f32_e32 vcc, 0, v56
	s_and_saveexec_b64 s[0:1], vcc
	s_xor_b64 s[0:1], exec, s[0:1]
; %bb.101:
	v_cmp_ne_u32_e32 vcc, 0, v19
	s_nop 1
	v_cndmask_b32_e32 v19, 7, v19, vcc
; %bb.102:
	s_andn2_saveexec_b64 s[0:1], s[0:1]
	s_cbranch_execz .LBB86_104
; %bb.103:
	v_div_scale_f32 v57, s[2:3], v56, v56, 1.0
	v_rcp_f32_e32 v58, v57
	v_div_scale_f32 v59, vcc, 1.0, v56, 1.0
	v_fma_f32 v60, -v57, v58, 1.0
	v_fmac_f32_e32 v58, v60, v58
	v_mul_f32_e32 v60, v59, v58
	v_fma_f32 v61, -v57, v60, v59
	v_fmac_f32_e32 v60, v61, v58
	v_fma_f32 v57, -v57, v60, v59
	v_div_fmas_f32 v57, v57, v58, v60
	v_div_fixup_f32 v56, v57, v56, 1.0
.LBB86_104:
	s_or_b64 exec, exec, s[0:1]
	v_cmp_ne_u32_e32 vcc, v55, v52
	s_and_saveexec_b64 s[0:1], vcc
	s_xor_b64 s[0:1], exec, s[0:1]
	s_cbranch_execz .LBB86_110
; %bb.105:
	v_cmp_eq_u32_e32 vcc, 6, v55
	s_and_saveexec_b64 s[2:3], vcc
	s_cbranch_execz .LBB86_109
; %bb.106:
	v_cmp_ne_u32_e32 vcc, 6, v52
	s_xor_b64 s[18:19], s[16:17], -1
	s_and_b64 s[20:21], s[18:19], vcc
	s_and_saveexec_b64 s[18:19], s[20:21]
	s_cbranch_execz .LBB86_108
; %bb.107:
	v_ashrrev_i32_e32 v53, 31, v52
	v_lshl_add_u64 v[58:59], v[52:53], 2, v[20:21]
	global_load_dword v53, v[58:59], off
	global_load_dword v55, v[20:21], off offset:24
	s_waitcnt vmcnt(1)
	global_store_dword v[20:21], v53, off offset:24
	s_waitcnt vmcnt(1)
	global_store_dword v[58:59], v55, off
.LBB86_108:
	s_or_b64 exec, exec, s[18:19]
	v_mov_b32_e32 v53, v52
	v_mov_b32_e32 v55, v52
.LBB86_109:
	s_or_b64 exec, exec, s[2:3]
.LBB86_110:
	s_andn2_saveexec_b64 s[0:1], s[0:1]
	s_cbranch_execz .LBB86_112
; %bb.111:
	s_waitcnt vmcnt(34)
	v_pk_mov_b32 v[58:59], v[0:1], v[28:29] op_sel:[1,0]
	ds_write2_b32 v17, v58, v59 offset0:7 offset1:8
	s_waitcnt vmcnt(32)
	v_pk_mov_b32 v[58:59], v[28:29], v[22:23] op_sel:[1,0]
	ds_write2_b32 v17, v58, v59 offset0:9 offset1:10
	;; [unrolled: 3-line block ×17, first 2 shown]
	s_waitcnt vmcnt(0)
	v_pk_mov_b32 v[58:59], v[48:49], v[44:45] op_sel:[1,0]
	v_mov_b32_e32 v55, 6
	ds_write2_b32 v17, v58, v59 offset0:41 offset1:42
	ds_write_b32 v17, v45 offset:172
.LBB86_112:
	s_or_b64 exec, exec, s[0:1]
	v_cmp_lt_i32_e32 vcc, 6, v55
	s_waitcnt lgkmcnt(0)
	s_barrier
	s_and_saveexec_b64 s[0:1], vcc
	s_cbranch_execz .LBB86_114
; %bb.113:
	ds_read_b32 v52, v17 offset:28
	v_mul_f32_e32 v0, v56, v0
	ds_read2_b32 v[56:57], v17 offset0:8 offset1:9
	s_waitcnt vmcnt(36) lgkmcnt(1)
	v_fma_f32 v1, -v0, v52, v1
	s_waitcnt vmcnt(34) lgkmcnt(0)
	v_pk_fma_f32 v[28:29], v[0:1], v[56:57], v[28:29] op_sel_hi:[0,1,1] neg_lo:[1,0,0] neg_hi:[1,0,0]
	ds_read2_b32 v[56:57], v17 offset0:10 offset1:11
	s_waitcnt vmcnt(32) lgkmcnt(0)
	v_pk_fma_f32 v[22:23], v[0:1], v[56:57], v[22:23] op_sel_hi:[0,1,1] neg_lo:[1,0,0] neg_hi:[1,0,0]
	ds_read2_b32 v[56:57], v17 offset0:12 offset1:13
	;; [unrolled: 3-line block ×17, first 2 shown]
	s_waitcnt vmcnt(0) lgkmcnt(0)
	v_pk_fma_f32 v[44:45], v[0:1], v[56:57], v[44:45] op_sel_hi:[0,1,1] neg_lo:[1,0,0] neg_hi:[1,0,0]
.LBB86_114:
	s_or_b64 exec, exec, s[0:1]
	v_lshl_add_u32 v52, v55, 2, v17
	s_barrier
	s_waitcnt vmcnt(36)
	ds_write_b32 v52, v1
	s_waitcnt lgkmcnt(0)
	s_barrier
	ds_read_b32 v56, v17 offset:28
	s_cmp_lt_i32 s22, 9
	v_mov_b32_e32 v52, 7
	s_cbranch_scc1 .LBB86_117
; %bb.115:
	v_add3_u32 v57, v54, 0, 32
	v_mov_b32_e32 v52, 7
	s_mov_b32 s0, 8
.LBB86_116:                             ; =>This Inner Loop Header: Depth=1
	ds_read_b32 v58, v57
	v_mov_b32_e32 v59, s0
	s_add_i32 s0, s0, 1
	v_add_u32_e32 v57, 4, v57
	s_cmp_lg_u32 s22, s0
	s_waitcnt lgkmcnt(0)
	v_cmp_lt_f32_e64 vcc, |v56|, |v58|
	s_nop 1
	v_cndmask_b32_e32 v56, v56, v58, vcc
	v_cndmask_b32_e32 v52, v52, v59, vcc
	s_cbranch_scc1 .LBB86_116
.LBB86_117:
	s_waitcnt lgkmcnt(0)
	v_cmp_eq_f32_e32 vcc, 0, v56
	s_and_saveexec_b64 s[0:1], vcc
	s_xor_b64 s[0:1], exec, s[0:1]
; %bb.118:
	v_cmp_ne_u32_e32 vcc, 0, v19
	s_nop 1
	v_cndmask_b32_e32 v19, 8, v19, vcc
; %bb.119:
	s_andn2_saveexec_b64 s[0:1], s[0:1]
	s_cbranch_execz .LBB86_121
; %bb.120:
	v_div_scale_f32 v57, s[2:3], v56, v56, 1.0
	v_rcp_f32_e32 v58, v57
	v_div_scale_f32 v59, vcc, 1.0, v56, 1.0
	v_fma_f32 v60, -v57, v58, 1.0
	v_fmac_f32_e32 v58, v60, v58
	v_mul_f32_e32 v60, v59, v58
	v_fma_f32 v61, -v57, v60, v59
	v_fmac_f32_e32 v60, v61, v58
	v_fma_f32 v57, -v57, v60, v59
	v_div_fmas_f32 v57, v57, v58, v60
	v_div_fixup_f32 v56, v57, v56, 1.0
.LBB86_121:
	s_or_b64 exec, exec, s[0:1]
	v_cmp_ne_u32_e32 vcc, v55, v52
	s_and_saveexec_b64 s[0:1], vcc
	s_xor_b64 s[0:1], exec, s[0:1]
	s_cbranch_execz .LBB86_127
; %bb.122:
	v_cmp_eq_u32_e32 vcc, 7, v55
	s_and_saveexec_b64 s[2:3], vcc
	s_cbranch_execz .LBB86_126
; %bb.123:
	v_cmp_ne_u32_e32 vcc, 7, v52
	s_xor_b64 s[18:19], s[16:17], -1
	s_and_b64 s[20:21], s[18:19], vcc
	s_and_saveexec_b64 s[18:19], s[20:21]
	s_cbranch_execz .LBB86_125
; %bb.124:
	v_ashrrev_i32_e32 v53, 31, v52
	v_lshl_add_u64 v[58:59], v[52:53], 2, v[20:21]
	global_load_dword v53, v[58:59], off
	global_load_dword v55, v[20:21], off offset:28
	s_waitcnt vmcnt(1)
	global_store_dword v[20:21], v53, off offset:28
	s_waitcnt vmcnt(1)
	global_store_dword v[58:59], v55, off
.LBB86_125:
	s_or_b64 exec, exec, s[18:19]
	v_mov_b32_e32 v53, v52
	v_mov_b32_e32 v55, v52
.LBB86_126:
	s_or_b64 exec, exec, s[2:3]
.LBB86_127:
	s_andn2_saveexec_b64 s[0:1], s[0:1]
	s_cbranch_execz .LBB86_129
; %bb.128:
	v_mov_b32_e32 v55, 7
	s_waitcnt vmcnt(34)
	ds_write2_b32 v17, v28, v29 offset0:8 offset1:9
	s_waitcnt vmcnt(32)
	ds_write2_b32 v17, v22, v23 offset0:10 offset1:11
	;; [unrolled: 2-line block ×18, first 2 shown]
.LBB86_129:
	s_or_b64 exec, exec, s[0:1]
	v_cmp_lt_i32_e32 vcc, 7, v55
	s_waitcnt lgkmcnt(0)
	s_barrier
	s_and_saveexec_b64 s[0:1], vcc
	s_cbranch_execz .LBB86_131
; %bb.130:
	v_mul_f32_e32 v52, v56, v1
	ds_read2_b32 v[56:57], v17 offset0:8 offset1:9
	v_mov_b32_e32 v1, v52
	s_waitcnt vmcnt(34) lgkmcnt(0)
	v_pk_fma_f32 v[28:29], v[52:53], v[56:57], v[28:29] op_sel_hi:[0,1,1] neg_lo:[1,0,0] neg_hi:[1,0,0]
	ds_read2_b32 v[56:57], v17 offset0:10 offset1:11
	s_waitcnt vmcnt(32) lgkmcnt(0)
	v_pk_fma_f32 v[22:23], v[52:53], v[56:57], v[22:23] op_sel_hi:[0,1,1] neg_lo:[1,0,0] neg_hi:[1,0,0]
	ds_read2_b32 v[56:57], v17 offset0:12 offset1:13
	;; [unrolled: 3-line block ×17, first 2 shown]
	s_waitcnt vmcnt(0) lgkmcnt(0)
	v_pk_fma_f32 v[44:45], v[52:53], v[56:57], v[44:45] op_sel_hi:[0,1,1] neg_lo:[1,0,0] neg_hi:[1,0,0]
.LBB86_131:
	s_or_b64 exec, exec, s[0:1]
	v_lshl_add_u32 v52, v55, 2, v17
	s_barrier
	s_waitcnt vmcnt(35)
	ds_write_b32 v52, v28
	s_waitcnt lgkmcnt(0)
	s_barrier
	ds_read_b32 v56, v17 offset:32
	s_cmp_lt_i32 s22, 10
	v_mov_b32_e32 v52, 8
	s_cbranch_scc1 .LBB86_134
; %bb.132:
	v_add3_u32 v57, v54, 0, 36
	v_mov_b32_e32 v52, 8
	s_mov_b32 s0, 9
.LBB86_133:                             ; =>This Inner Loop Header: Depth=1
	ds_read_b32 v58, v57
	v_mov_b32_e32 v59, s0
	s_add_i32 s0, s0, 1
	v_add_u32_e32 v57, 4, v57
	s_cmp_lg_u32 s22, s0
	s_waitcnt lgkmcnt(0)
	v_cmp_lt_f32_e64 vcc, |v56|, |v58|
	s_nop 1
	v_cndmask_b32_e32 v56, v56, v58, vcc
	v_cndmask_b32_e32 v52, v52, v59, vcc
	s_cbranch_scc1 .LBB86_133
.LBB86_134:
	s_waitcnt lgkmcnt(0)
	v_cmp_eq_f32_e32 vcc, 0, v56
	s_and_saveexec_b64 s[0:1], vcc
	s_xor_b64 s[0:1], exec, s[0:1]
; %bb.135:
	v_cmp_ne_u32_e32 vcc, 0, v19
	s_nop 1
	v_cndmask_b32_e32 v19, 9, v19, vcc
; %bb.136:
	s_andn2_saveexec_b64 s[0:1], s[0:1]
	s_cbranch_execz .LBB86_138
; %bb.137:
	v_div_scale_f32 v57, s[2:3], v56, v56, 1.0
	v_rcp_f32_e32 v58, v57
	v_div_scale_f32 v59, vcc, 1.0, v56, 1.0
	v_fma_f32 v60, -v57, v58, 1.0
	v_fmac_f32_e32 v58, v60, v58
	v_mul_f32_e32 v60, v59, v58
	v_fma_f32 v61, -v57, v60, v59
	v_fmac_f32_e32 v60, v61, v58
	v_fma_f32 v57, -v57, v60, v59
	v_div_fmas_f32 v57, v57, v58, v60
	v_div_fixup_f32 v56, v57, v56, 1.0
.LBB86_138:
	s_or_b64 exec, exec, s[0:1]
	v_cmp_ne_u32_e32 vcc, v55, v52
	s_and_saveexec_b64 s[0:1], vcc
	s_xor_b64 s[0:1], exec, s[0:1]
	s_cbranch_execz .LBB86_144
; %bb.139:
	v_cmp_eq_u32_e32 vcc, 8, v55
	s_and_saveexec_b64 s[2:3], vcc
	s_cbranch_execz .LBB86_143
; %bb.140:
	v_cmp_ne_u32_e32 vcc, 8, v52
	s_xor_b64 s[18:19], s[16:17], -1
	s_and_b64 s[20:21], s[18:19], vcc
	s_and_saveexec_b64 s[18:19], s[20:21]
	s_cbranch_execz .LBB86_142
; %bb.141:
	v_ashrrev_i32_e32 v53, 31, v52
	v_lshl_add_u64 v[58:59], v[52:53], 2, v[20:21]
	global_load_dword v53, v[58:59], off
	global_load_dword v55, v[20:21], off offset:32
	s_waitcnt vmcnt(1)
	global_store_dword v[20:21], v53, off offset:32
	s_waitcnt vmcnt(1)
	global_store_dword v[58:59], v55, off
.LBB86_142:
	s_or_b64 exec, exec, s[18:19]
	v_mov_b32_e32 v53, v52
	v_mov_b32_e32 v55, v52
.LBB86_143:
	s_or_b64 exec, exec, s[2:3]
.LBB86_144:
	s_andn2_saveexec_b64 s[0:1], s[0:1]
	s_cbranch_execz .LBB86_146
; %bb.145:
	s_waitcnt vmcnt(32)
	v_pk_mov_b32 v[58:59], v[28:29], v[22:23] op_sel:[1,0]
	ds_write2_b32 v17, v58, v59 offset0:9 offset1:10
	s_waitcnt vmcnt(30)
	v_pk_mov_b32 v[58:59], v[22:23], v[12:13] op_sel:[1,0]
	ds_write2_b32 v17, v58, v59 offset0:11 offset1:12
	;; [unrolled: 3-line block ×16, first 2 shown]
	s_waitcnt vmcnt(0)
	v_pk_mov_b32 v[58:59], v[48:49], v[44:45] op_sel:[1,0]
	v_mov_b32_e32 v55, 8
	ds_write2_b32 v17, v58, v59 offset0:41 offset1:42
	ds_write_b32 v17, v45 offset:172
.LBB86_146:
	s_or_b64 exec, exec, s[0:1]
	v_cmp_lt_i32_e32 vcc, 8, v55
	s_waitcnt lgkmcnt(0)
	s_barrier
	s_and_saveexec_b64 s[0:1], vcc
	s_cbranch_execz .LBB86_148
; %bb.147:
	ds_read_b32 v52, v17 offset:36
	v_mul_f32_e32 v28, v56, v28
	ds_read2_b32 v[56:57], v17 offset0:10 offset1:11
	s_waitcnt vmcnt(34) lgkmcnt(1)
	v_fma_f32 v29, -v28, v52, v29
	s_waitcnt vmcnt(32) lgkmcnt(0)
	v_pk_fma_f32 v[22:23], v[28:29], v[56:57], v[22:23] op_sel_hi:[0,1,1] neg_lo:[1,0,0] neg_hi:[1,0,0]
	ds_read2_b32 v[56:57], v17 offset0:12 offset1:13
	s_waitcnt vmcnt(30) lgkmcnt(0)
	v_pk_fma_f32 v[12:13], v[28:29], v[56:57], v[12:13] op_sel_hi:[0,1,1] neg_lo:[1,0,0] neg_hi:[1,0,0]
	ds_read2_b32 v[56:57], v17 offset0:14 offset1:15
	;; [unrolled: 3-line block ×16, first 2 shown]
	s_waitcnt vmcnt(0) lgkmcnt(0)
	v_pk_fma_f32 v[44:45], v[28:29], v[56:57], v[44:45] op_sel_hi:[0,1,1] neg_lo:[1,0,0] neg_hi:[1,0,0]
.LBB86_148:
	s_or_b64 exec, exec, s[0:1]
	v_lshl_add_u32 v52, v55, 2, v17
	s_barrier
	s_waitcnt vmcnt(34)
	ds_write_b32 v52, v29
	s_waitcnt lgkmcnt(0)
	s_barrier
	ds_read_b32 v56, v17 offset:36
	s_cmp_lt_i32 s22, 11
	v_mov_b32_e32 v52, 9
	s_cbranch_scc1 .LBB86_151
; %bb.149:
	v_add3_u32 v57, v54, 0, 40
	v_mov_b32_e32 v52, 9
	s_mov_b32 s0, 10
.LBB86_150:                             ; =>This Inner Loop Header: Depth=1
	ds_read_b32 v58, v57
	v_mov_b32_e32 v59, s0
	s_add_i32 s0, s0, 1
	v_add_u32_e32 v57, 4, v57
	s_cmp_lg_u32 s22, s0
	s_waitcnt lgkmcnt(0)
	v_cmp_lt_f32_e64 vcc, |v56|, |v58|
	s_nop 1
	v_cndmask_b32_e32 v56, v56, v58, vcc
	v_cndmask_b32_e32 v52, v52, v59, vcc
	s_cbranch_scc1 .LBB86_150
.LBB86_151:
	s_waitcnt lgkmcnt(0)
	v_cmp_eq_f32_e32 vcc, 0, v56
	s_and_saveexec_b64 s[0:1], vcc
	s_xor_b64 s[0:1], exec, s[0:1]
; %bb.152:
	v_cmp_ne_u32_e32 vcc, 0, v19
	s_nop 1
	v_cndmask_b32_e32 v19, 10, v19, vcc
; %bb.153:
	s_andn2_saveexec_b64 s[0:1], s[0:1]
	s_cbranch_execz .LBB86_155
; %bb.154:
	v_div_scale_f32 v57, s[2:3], v56, v56, 1.0
	v_rcp_f32_e32 v58, v57
	v_div_scale_f32 v59, vcc, 1.0, v56, 1.0
	v_fma_f32 v60, -v57, v58, 1.0
	v_fmac_f32_e32 v58, v60, v58
	v_mul_f32_e32 v60, v59, v58
	v_fma_f32 v61, -v57, v60, v59
	v_fmac_f32_e32 v60, v61, v58
	v_fma_f32 v57, -v57, v60, v59
	v_div_fmas_f32 v57, v57, v58, v60
	v_div_fixup_f32 v56, v57, v56, 1.0
.LBB86_155:
	s_or_b64 exec, exec, s[0:1]
	v_cmp_ne_u32_e32 vcc, v55, v52
	s_and_saveexec_b64 s[0:1], vcc
	s_xor_b64 s[0:1], exec, s[0:1]
	s_cbranch_execz .LBB86_161
; %bb.156:
	v_cmp_eq_u32_e32 vcc, 9, v55
	s_and_saveexec_b64 s[2:3], vcc
	s_cbranch_execz .LBB86_160
; %bb.157:
	v_cmp_ne_u32_e32 vcc, 9, v52
	s_xor_b64 s[18:19], s[16:17], -1
	s_and_b64 s[20:21], s[18:19], vcc
	s_and_saveexec_b64 s[18:19], s[20:21]
	s_cbranch_execz .LBB86_159
; %bb.158:
	v_ashrrev_i32_e32 v53, 31, v52
	v_lshl_add_u64 v[58:59], v[52:53], 2, v[20:21]
	global_load_dword v53, v[58:59], off
	global_load_dword v55, v[20:21], off offset:36
	s_waitcnt vmcnt(1)
	global_store_dword v[20:21], v53, off offset:36
	s_waitcnt vmcnt(1)
	global_store_dword v[58:59], v55, off
.LBB86_159:
	s_or_b64 exec, exec, s[18:19]
	v_mov_b32_e32 v53, v52
	v_mov_b32_e32 v55, v52
.LBB86_160:
	s_or_b64 exec, exec, s[2:3]
.LBB86_161:
	s_andn2_saveexec_b64 s[0:1], s[0:1]
	s_cbranch_execz .LBB86_163
; %bb.162:
	v_mov_b32_e32 v55, 9
	s_waitcnt vmcnt(32)
	ds_write2_b32 v17, v22, v23 offset0:10 offset1:11
	s_waitcnt vmcnt(30)
	ds_write2_b32 v17, v12, v13 offset0:12 offset1:13
	;; [unrolled: 2-line block ×17, first 2 shown]
.LBB86_163:
	s_or_b64 exec, exec, s[0:1]
	v_cmp_lt_i32_e32 vcc, 9, v55
	s_waitcnt lgkmcnt(0)
	s_barrier
	s_and_saveexec_b64 s[0:1], vcc
	s_cbranch_execz .LBB86_165
; %bb.164:
	v_mul_f32_e32 v52, v56, v29
	ds_read2_b32 v[56:57], v17 offset0:10 offset1:11
	v_mov_b32_e32 v29, v52
	s_waitcnt vmcnt(32) lgkmcnt(0)
	v_pk_fma_f32 v[22:23], v[52:53], v[56:57], v[22:23] op_sel_hi:[0,1,1] neg_lo:[1,0,0] neg_hi:[1,0,0]
	ds_read2_b32 v[56:57], v17 offset0:12 offset1:13
	s_waitcnt vmcnt(30) lgkmcnt(0)
	v_pk_fma_f32 v[12:13], v[52:53], v[56:57], v[12:13] op_sel_hi:[0,1,1] neg_lo:[1,0,0] neg_hi:[1,0,0]
	ds_read2_b32 v[56:57], v17 offset0:14 offset1:15
	;; [unrolled: 3-line block ×16, first 2 shown]
	s_waitcnt vmcnt(0) lgkmcnt(0)
	v_pk_fma_f32 v[44:45], v[52:53], v[56:57], v[44:45] op_sel_hi:[0,1,1] neg_lo:[1,0,0] neg_hi:[1,0,0]
.LBB86_165:
	s_or_b64 exec, exec, s[0:1]
	v_lshl_add_u32 v52, v55, 2, v17
	s_barrier
	s_waitcnt vmcnt(33)
	ds_write_b32 v52, v22
	s_waitcnt lgkmcnt(0)
	s_barrier
	ds_read_b32 v56, v17 offset:40
	s_cmp_lt_i32 s22, 12
	v_mov_b32_e32 v52, 10
	s_cbranch_scc1 .LBB86_168
; %bb.166:
	v_add3_u32 v57, v54, 0, 44
	v_mov_b32_e32 v52, 10
	s_mov_b32 s0, 11
.LBB86_167:                             ; =>This Inner Loop Header: Depth=1
	ds_read_b32 v58, v57
	v_mov_b32_e32 v59, s0
	s_add_i32 s0, s0, 1
	v_add_u32_e32 v57, 4, v57
	s_cmp_lg_u32 s22, s0
	s_waitcnt lgkmcnt(0)
	v_cmp_lt_f32_e64 vcc, |v56|, |v58|
	s_nop 1
	v_cndmask_b32_e32 v56, v56, v58, vcc
	v_cndmask_b32_e32 v52, v52, v59, vcc
	s_cbranch_scc1 .LBB86_167
.LBB86_168:
	s_waitcnt lgkmcnt(0)
	v_cmp_eq_f32_e32 vcc, 0, v56
	s_and_saveexec_b64 s[0:1], vcc
	s_xor_b64 s[0:1], exec, s[0:1]
; %bb.169:
	v_cmp_ne_u32_e32 vcc, 0, v19
	s_nop 1
	v_cndmask_b32_e32 v19, 11, v19, vcc
; %bb.170:
	s_andn2_saveexec_b64 s[0:1], s[0:1]
	s_cbranch_execz .LBB86_172
; %bb.171:
	v_div_scale_f32 v57, s[2:3], v56, v56, 1.0
	v_rcp_f32_e32 v58, v57
	v_div_scale_f32 v59, vcc, 1.0, v56, 1.0
	v_fma_f32 v60, -v57, v58, 1.0
	v_fmac_f32_e32 v58, v60, v58
	v_mul_f32_e32 v60, v59, v58
	v_fma_f32 v61, -v57, v60, v59
	v_fmac_f32_e32 v60, v61, v58
	v_fma_f32 v57, -v57, v60, v59
	v_div_fmas_f32 v57, v57, v58, v60
	v_div_fixup_f32 v56, v57, v56, 1.0
.LBB86_172:
	s_or_b64 exec, exec, s[0:1]
	v_cmp_ne_u32_e32 vcc, v55, v52
	s_and_saveexec_b64 s[0:1], vcc
	s_xor_b64 s[0:1], exec, s[0:1]
	s_cbranch_execz .LBB86_178
; %bb.173:
	v_cmp_eq_u32_e32 vcc, 10, v55
	s_and_saveexec_b64 s[2:3], vcc
	s_cbranch_execz .LBB86_177
; %bb.174:
	v_cmp_ne_u32_e32 vcc, 10, v52
	s_xor_b64 s[18:19], s[16:17], -1
	s_and_b64 s[20:21], s[18:19], vcc
	s_and_saveexec_b64 s[18:19], s[20:21]
	s_cbranch_execz .LBB86_176
; %bb.175:
	v_ashrrev_i32_e32 v53, 31, v52
	v_lshl_add_u64 v[58:59], v[52:53], 2, v[20:21]
	global_load_dword v53, v[58:59], off
	global_load_dword v55, v[20:21], off offset:40
	s_waitcnt vmcnt(1)
	global_store_dword v[20:21], v53, off offset:40
	s_waitcnt vmcnt(1)
	global_store_dword v[58:59], v55, off
.LBB86_176:
	s_or_b64 exec, exec, s[18:19]
	v_mov_b32_e32 v53, v52
	v_mov_b32_e32 v55, v52
.LBB86_177:
	s_or_b64 exec, exec, s[2:3]
.LBB86_178:
	s_andn2_saveexec_b64 s[0:1], s[0:1]
	s_cbranch_execz .LBB86_180
; %bb.179:
	s_waitcnt vmcnt(30)
	v_pk_mov_b32 v[58:59], v[22:23], v[12:13] op_sel:[1,0]
	ds_write2_b32 v17, v58, v59 offset0:11 offset1:12
	s_waitcnt vmcnt(28)
	v_pk_mov_b32 v[58:59], v[12:13], v[8:9] op_sel:[1,0]
	ds_write2_b32 v17, v58, v59 offset0:13 offset1:14
	s_waitcnt vmcnt(26)
	v_pk_mov_b32 v[58:59], v[8:9], v[34:35] op_sel:[1,0]
	ds_write2_b32 v17, v58, v59 offset0:15 offset1:16
	s_waitcnt vmcnt(24)
	v_pk_mov_b32 v[58:59], v[34:35], v[30:31] op_sel:[1,0]
	ds_write2_b32 v17, v58, v59 offset0:17 offset1:18
	s_waitcnt vmcnt(22)
	v_pk_mov_b32 v[58:59], v[30:31], v[24:25] op_sel:[1,0]
	ds_write2_b32 v17, v58, v59 offset0:19 offset1:20
	s_waitcnt vmcnt(20)
	v_pk_mov_b32 v[58:59], v[24:25], v[14:15] op_sel:[1,0]
	ds_write2_b32 v17, v58, v59 offset0:21 offset1:22
	s_waitcnt vmcnt(18)
	v_pk_mov_b32 v[58:59], v[14:15], v[42:43] op_sel:[1,0]
	ds_write2_b32 v17, v58, v59 offset0:23 offset1:24
	s_waitcnt vmcnt(16)
	v_pk_mov_b32 v[58:59], v[42:43], v[36:37] op_sel:[1,0]
	ds_write2_b32 v17, v58, v59 offset0:25 offset1:26
	s_waitcnt vmcnt(14)
	v_pk_mov_b32 v[58:59], v[36:37], v[32:33] op_sel:[1,0]
	ds_write2_b32 v17, v58, v59 offset0:27 offset1:28
	s_waitcnt vmcnt(12)
	v_pk_mov_b32 v[58:59], v[32:33], v[26:27] op_sel:[1,0]
	ds_write2_b32 v17, v58, v59 offset0:29 offset1:30
	s_waitcnt vmcnt(10)
	v_pk_mov_b32 v[58:59], v[26:27], v[50:51] op_sel:[1,0]
	ds_write2_b32 v17, v58, v59 offset0:31 offset1:32
	s_waitcnt vmcnt(8)
	v_pk_mov_b32 v[58:59], v[50:51], v[46:47] op_sel:[1,0]
	ds_write2_b32 v17, v58, v59 offset0:33 offset1:34
	s_waitcnt vmcnt(6)
	v_pk_mov_b32 v[58:59], v[46:47], v[40:41] op_sel:[1,0]
	ds_write2_b32 v17, v58, v59 offset0:35 offset1:36
	s_waitcnt vmcnt(4)
	v_pk_mov_b32 v[58:59], v[40:41], v[38:39] op_sel:[1,0]
	ds_write2_b32 v17, v58, v59 offset0:37 offset1:38
	s_waitcnt vmcnt(2)
	v_pk_mov_b32 v[58:59], v[38:39], v[48:49] op_sel:[1,0]
	ds_write2_b32 v17, v58, v59 offset0:39 offset1:40
	s_waitcnt vmcnt(0)
	v_pk_mov_b32 v[58:59], v[48:49], v[44:45] op_sel:[1,0]
	v_mov_b32_e32 v55, 10
	ds_write2_b32 v17, v58, v59 offset0:41 offset1:42
	ds_write_b32 v17, v45 offset:172
.LBB86_180:
	s_or_b64 exec, exec, s[0:1]
	v_cmp_lt_i32_e32 vcc, 10, v55
	s_waitcnt lgkmcnt(0)
	s_barrier
	s_and_saveexec_b64 s[0:1], vcc
	s_cbranch_execz .LBB86_182
; %bb.181:
	ds_read_b32 v52, v17 offset:44
	v_mul_f32_e32 v22, v56, v22
	ds_read2_b32 v[56:57], v17 offset0:12 offset1:13
	s_waitcnt vmcnt(32) lgkmcnt(1)
	v_fma_f32 v23, -v22, v52, v23
	s_waitcnt vmcnt(30) lgkmcnt(0)
	v_pk_fma_f32 v[12:13], v[22:23], v[56:57], v[12:13] op_sel_hi:[0,1,1] neg_lo:[1,0,0] neg_hi:[1,0,0]
	ds_read2_b32 v[56:57], v17 offset0:14 offset1:15
	s_waitcnt vmcnt(28) lgkmcnt(0)
	v_pk_fma_f32 v[8:9], v[22:23], v[56:57], v[8:9] op_sel_hi:[0,1,1] neg_lo:[1,0,0] neg_hi:[1,0,0]
	ds_read2_b32 v[56:57], v17 offset0:16 offset1:17
	;; [unrolled: 3-line block ×15, first 2 shown]
	s_waitcnt vmcnt(0) lgkmcnt(0)
	v_pk_fma_f32 v[44:45], v[22:23], v[56:57], v[44:45] op_sel_hi:[0,1,1] neg_lo:[1,0,0] neg_hi:[1,0,0]
.LBB86_182:
	s_or_b64 exec, exec, s[0:1]
	v_lshl_add_u32 v52, v55, 2, v17
	s_barrier
	s_waitcnt vmcnt(32)
	ds_write_b32 v52, v23
	s_waitcnt lgkmcnt(0)
	s_barrier
	ds_read_b32 v56, v17 offset:44
	s_cmp_lt_i32 s22, 13
	v_mov_b32_e32 v52, 11
	s_cbranch_scc1 .LBB86_185
; %bb.183:
	v_add3_u32 v57, v54, 0, 48
	v_mov_b32_e32 v52, 11
	s_mov_b32 s0, 12
.LBB86_184:                             ; =>This Inner Loop Header: Depth=1
	ds_read_b32 v58, v57
	v_mov_b32_e32 v59, s0
	s_add_i32 s0, s0, 1
	v_add_u32_e32 v57, 4, v57
	s_cmp_lg_u32 s22, s0
	s_waitcnt lgkmcnt(0)
	v_cmp_lt_f32_e64 vcc, |v56|, |v58|
	s_nop 1
	v_cndmask_b32_e32 v56, v56, v58, vcc
	v_cndmask_b32_e32 v52, v52, v59, vcc
	s_cbranch_scc1 .LBB86_184
.LBB86_185:
	s_waitcnt lgkmcnt(0)
	v_cmp_eq_f32_e32 vcc, 0, v56
	s_and_saveexec_b64 s[0:1], vcc
	s_xor_b64 s[0:1], exec, s[0:1]
; %bb.186:
	v_cmp_ne_u32_e32 vcc, 0, v19
	s_nop 1
	v_cndmask_b32_e32 v19, 12, v19, vcc
; %bb.187:
	s_andn2_saveexec_b64 s[0:1], s[0:1]
	s_cbranch_execz .LBB86_189
; %bb.188:
	v_div_scale_f32 v57, s[2:3], v56, v56, 1.0
	v_rcp_f32_e32 v58, v57
	v_div_scale_f32 v59, vcc, 1.0, v56, 1.0
	v_fma_f32 v60, -v57, v58, 1.0
	v_fmac_f32_e32 v58, v60, v58
	v_mul_f32_e32 v60, v59, v58
	v_fma_f32 v61, -v57, v60, v59
	v_fmac_f32_e32 v60, v61, v58
	v_fma_f32 v57, -v57, v60, v59
	v_div_fmas_f32 v57, v57, v58, v60
	v_div_fixup_f32 v56, v57, v56, 1.0
.LBB86_189:
	s_or_b64 exec, exec, s[0:1]
	v_cmp_ne_u32_e32 vcc, v55, v52
	s_and_saveexec_b64 s[0:1], vcc
	s_xor_b64 s[0:1], exec, s[0:1]
	s_cbranch_execz .LBB86_195
; %bb.190:
	v_cmp_eq_u32_e32 vcc, 11, v55
	s_and_saveexec_b64 s[2:3], vcc
	s_cbranch_execz .LBB86_194
; %bb.191:
	v_cmp_ne_u32_e32 vcc, 11, v52
	s_xor_b64 s[18:19], s[16:17], -1
	s_and_b64 s[20:21], s[18:19], vcc
	s_and_saveexec_b64 s[18:19], s[20:21]
	s_cbranch_execz .LBB86_193
; %bb.192:
	v_ashrrev_i32_e32 v53, 31, v52
	v_lshl_add_u64 v[58:59], v[52:53], 2, v[20:21]
	global_load_dword v53, v[58:59], off
	global_load_dword v55, v[20:21], off offset:44
	s_waitcnt vmcnt(1)
	global_store_dword v[20:21], v53, off offset:44
	s_waitcnt vmcnt(1)
	global_store_dword v[58:59], v55, off
.LBB86_193:
	s_or_b64 exec, exec, s[18:19]
	v_mov_b32_e32 v53, v52
	v_mov_b32_e32 v55, v52
.LBB86_194:
	s_or_b64 exec, exec, s[2:3]
.LBB86_195:
	s_andn2_saveexec_b64 s[0:1], s[0:1]
	s_cbranch_execz .LBB86_197
; %bb.196:
	v_mov_b32_e32 v55, 11
	s_waitcnt vmcnt(30)
	ds_write2_b32 v17, v12, v13 offset0:12 offset1:13
	s_waitcnt vmcnt(28)
	ds_write2_b32 v17, v8, v9 offset0:14 offset1:15
	;; [unrolled: 2-line block ×16, first 2 shown]
.LBB86_197:
	s_or_b64 exec, exec, s[0:1]
	v_cmp_lt_i32_e32 vcc, 11, v55
	s_waitcnt lgkmcnt(0)
	s_barrier
	s_and_saveexec_b64 s[0:1], vcc
	s_cbranch_execz .LBB86_199
; %bb.198:
	v_mul_f32_e32 v52, v56, v23
	ds_read2_b32 v[56:57], v17 offset0:12 offset1:13
	v_mov_b32_e32 v23, v52
	s_waitcnt vmcnt(30) lgkmcnt(0)
	v_pk_fma_f32 v[12:13], v[52:53], v[56:57], v[12:13] op_sel_hi:[0,1,1] neg_lo:[1,0,0] neg_hi:[1,0,0]
	ds_read2_b32 v[56:57], v17 offset0:14 offset1:15
	s_waitcnt vmcnt(28) lgkmcnt(0)
	v_pk_fma_f32 v[8:9], v[52:53], v[56:57], v[8:9] op_sel_hi:[0,1,1] neg_lo:[1,0,0] neg_hi:[1,0,0]
	ds_read2_b32 v[56:57], v17 offset0:16 offset1:17
	;; [unrolled: 3-line block ×15, first 2 shown]
	s_waitcnt vmcnt(0) lgkmcnt(0)
	v_pk_fma_f32 v[44:45], v[52:53], v[56:57], v[44:45] op_sel_hi:[0,1,1] neg_lo:[1,0,0] neg_hi:[1,0,0]
.LBB86_199:
	s_or_b64 exec, exec, s[0:1]
	v_lshl_add_u32 v52, v55, 2, v17
	s_barrier
	s_waitcnt vmcnt(31)
	ds_write_b32 v52, v12
	s_waitcnt lgkmcnt(0)
	s_barrier
	ds_read_b32 v56, v17 offset:48
	s_cmp_lt_i32 s22, 14
	v_mov_b32_e32 v52, 12
	s_cbranch_scc1 .LBB86_202
; %bb.200:
	v_add3_u32 v57, v54, 0, 52
	v_mov_b32_e32 v52, 12
	s_mov_b32 s0, 13
.LBB86_201:                             ; =>This Inner Loop Header: Depth=1
	ds_read_b32 v58, v57
	v_mov_b32_e32 v59, s0
	s_add_i32 s0, s0, 1
	v_add_u32_e32 v57, 4, v57
	s_cmp_lg_u32 s22, s0
	s_waitcnt lgkmcnt(0)
	v_cmp_lt_f32_e64 vcc, |v56|, |v58|
	s_nop 1
	v_cndmask_b32_e32 v56, v56, v58, vcc
	v_cndmask_b32_e32 v52, v52, v59, vcc
	s_cbranch_scc1 .LBB86_201
.LBB86_202:
	s_waitcnt lgkmcnt(0)
	v_cmp_eq_f32_e32 vcc, 0, v56
	s_and_saveexec_b64 s[0:1], vcc
	s_xor_b64 s[0:1], exec, s[0:1]
; %bb.203:
	v_cmp_ne_u32_e32 vcc, 0, v19
	s_nop 1
	v_cndmask_b32_e32 v19, 13, v19, vcc
; %bb.204:
	s_andn2_saveexec_b64 s[0:1], s[0:1]
	s_cbranch_execz .LBB86_206
; %bb.205:
	v_div_scale_f32 v57, s[2:3], v56, v56, 1.0
	v_rcp_f32_e32 v58, v57
	v_div_scale_f32 v59, vcc, 1.0, v56, 1.0
	v_fma_f32 v60, -v57, v58, 1.0
	v_fmac_f32_e32 v58, v60, v58
	v_mul_f32_e32 v60, v59, v58
	v_fma_f32 v61, -v57, v60, v59
	v_fmac_f32_e32 v60, v61, v58
	v_fma_f32 v57, -v57, v60, v59
	v_div_fmas_f32 v57, v57, v58, v60
	v_div_fixup_f32 v56, v57, v56, 1.0
.LBB86_206:
	s_or_b64 exec, exec, s[0:1]
	v_cmp_ne_u32_e32 vcc, v55, v52
	s_and_saveexec_b64 s[0:1], vcc
	s_xor_b64 s[0:1], exec, s[0:1]
	s_cbranch_execz .LBB86_212
; %bb.207:
	v_cmp_eq_u32_e32 vcc, 12, v55
	s_and_saveexec_b64 s[2:3], vcc
	s_cbranch_execz .LBB86_211
; %bb.208:
	v_cmp_ne_u32_e32 vcc, 12, v52
	s_xor_b64 s[18:19], s[16:17], -1
	s_and_b64 s[20:21], s[18:19], vcc
	s_and_saveexec_b64 s[18:19], s[20:21]
	s_cbranch_execz .LBB86_210
; %bb.209:
	v_ashrrev_i32_e32 v53, 31, v52
	v_lshl_add_u64 v[58:59], v[52:53], 2, v[20:21]
	global_load_dword v53, v[58:59], off
	global_load_dword v55, v[20:21], off offset:48
	s_waitcnt vmcnt(1)
	global_store_dword v[20:21], v53, off offset:48
	s_waitcnt vmcnt(1)
	global_store_dword v[58:59], v55, off
.LBB86_210:
	s_or_b64 exec, exec, s[18:19]
	v_mov_b32_e32 v53, v52
	v_mov_b32_e32 v55, v52
.LBB86_211:
	s_or_b64 exec, exec, s[2:3]
.LBB86_212:
	s_andn2_saveexec_b64 s[0:1], s[0:1]
	s_cbranch_execz .LBB86_214
; %bb.213:
	s_waitcnt vmcnt(28)
	v_pk_mov_b32 v[58:59], v[12:13], v[8:9] op_sel:[1,0]
	ds_write2_b32 v17, v58, v59 offset0:13 offset1:14
	s_waitcnt vmcnt(26)
	v_pk_mov_b32 v[58:59], v[8:9], v[34:35] op_sel:[1,0]
	ds_write2_b32 v17, v58, v59 offset0:15 offset1:16
	s_waitcnt vmcnt(24)
	v_pk_mov_b32 v[58:59], v[34:35], v[30:31] op_sel:[1,0]
	ds_write2_b32 v17, v58, v59 offset0:17 offset1:18
	s_waitcnt vmcnt(22)
	v_pk_mov_b32 v[58:59], v[30:31], v[24:25] op_sel:[1,0]
	ds_write2_b32 v17, v58, v59 offset0:19 offset1:20
	s_waitcnt vmcnt(20)
	v_pk_mov_b32 v[58:59], v[24:25], v[14:15] op_sel:[1,0]
	ds_write2_b32 v17, v58, v59 offset0:21 offset1:22
	s_waitcnt vmcnt(18)
	v_pk_mov_b32 v[58:59], v[14:15], v[42:43] op_sel:[1,0]
	ds_write2_b32 v17, v58, v59 offset0:23 offset1:24
	s_waitcnt vmcnt(16)
	v_pk_mov_b32 v[58:59], v[42:43], v[36:37] op_sel:[1,0]
	ds_write2_b32 v17, v58, v59 offset0:25 offset1:26
	s_waitcnt vmcnt(14)
	v_pk_mov_b32 v[58:59], v[36:37], v[32:33] op_sel:[1,0]
	ds_write2_b32 v17, v58, v59 offset0:27 offset1:28
	s_waitcnt vmcnt(12)
	v_pk_mov_b32 v[58:59], v[32:33], v[26:27] op_sel:[1,0]
	ds_write2_b32 v17, v58, v59 offset0:29 offset1:30
	s_waitcnt vmcnt(10)
	v_pk_mov_b32 v[58:59], v[26:27], v[50:51] op_sel:[1,0]
	ds_write2_b32 v17, v58, v59 offset0:31 offset1:32
	s_waitcnt vmcnt(8)
	v_pk_mov_b32 v[58:59], v[50:51], v[46:47] op_sel:[1,0]
	ds_write2_b32 v17, v58, v59 offset0:33 offset1:34
	s_waitcnt vmcnt(6)
	v_pk_mov_b32 v[58:59], v[46:47], v[40:41] op_sel:[1,0]
	ds_write2_b32 v17, v58, v59 offset0:35 offset1:36
	s_waitcnt vmcnt(4)
	v_pk_mov_b32 v[58:59], v[40:41], v[38:39] op_sel:[1,0]
	ds_write2_b32 v17, v58, v59 offset0:37 offset1:38
	s_waitcnt vmcnt(2)
	v_pk_mov_b32 v[58:59], v[38:39], v[48:49] op_sel:[1,0]
	ds_write2_b32 v17, v58, v59 offset0:39 offset1:40
	s_waitcnt vmcnt(0)
	v_pk_mov_b32 v[58:59], v[48:49], v[44:45] op_sel:[1,0]
	v_mov_b32_e32 v55, 12
	ds_write2_b32 v17, v58, v59 offset0:41 offset1:42
	ds_write_b32 v17, v45 offset:172
.LBB86_214:
	s_or_b64 exec, exec, s[0:1]
	v_cmp_lt_i32_e32 vcc, 12, v55
	s_waitcnt lgkmcnt(0)
	s_barrier
	s_and_saveexec_b64 s[0:1], vcc
	s_cbranch_execz .LBB86_216
; %bb.215:
	ds_read_b32 v52, v17 offset:52
	v_mul_f32_e32 v12, v56, v12
	ds_read2_b32 v[56:57], v17 offset0:14 offset1:15
	s_waitcnt vmcnt(30) lgkmcnt(1)
	v_fma_f32 v13, -v12, v52, v13
	s_waitcnt vmcnt(28) lgkmcnt(0)
	v_pk_fma_f32 v[8:9], v[12:13], v[56:57], v[8:9] op_sel_hi:[0,1,1] neg_lo:[1,0,0] neg_hi:[1,0,0]
	ds_read2_b32 v[56:57], v17 offset0:16 offset1:17
	s_waitcnt vmcnt(26) lgkmcnt(0)
	v_pk_fma_f32 v[34:35], v[12:13], v[56:57], v[34:35] op_sel_hi:[0,1,1] neg_lo:[1,0,0] neg_hi:[1,0,0]
	ds_read2_b32 v[56:57], v17 offset0:18 offset1:19
	;; [unrolled: 3-line block ×14, first 2 shown]
	s_waitcnt vmcnt(0) lgkmcnt(0)
	v_pk_fma_f32 v[44:45], v[12:13], v[56:57], v[44:45] op_sel_hi:[0,1,1] neg_lo:[1,0,0] neg_hi:[1,0,0]
.LBB86_216:
	s_or_b64 exec, exec, s[0:1]
	v_lshl_add_u32 v52, v55, 2, v17
	s_barrier
	s_waitcnt vmcnt(30)
	ds_write_b32 v52, v13
	s_waitcnt lgkmcnt(0)
	s_barrier
	ds_read_b32 v56, v17 offset:52
	s_cmp_lt_i32 s22, 15
	v_mov_b32_e32 v52, 13
	s_cbranch_scc1 .LBB86_219
; %bb.217:
	v_add3_u32 v57, v54, 0, 56
	v_mov_b32_e32 v52, 13
	s_mov_b32 s0, 14
.LBB86_218:                             ; =>This Inner Loop Header: Depth=1
	ds_read_b32 v58, v57
	v_mov_b32_e32 v59, s0
	s_add_i32 s0, s0, 1
	v_add_u32_e32 v57, 4, v57
	s_cmp_lg_u32 s22, s0
	s_waitcnt lgkmcnt(0)
	v_cmp_lt_f32_e64 vcc, |v56|, |v58|
	s_nop 1
	v_cndmask_b32_e32 v56, v56, v58, vcc
	v_cndmask_b32_e32 v52, v52, v59, vcc
	s_cbranch_scc1 .LBB86_218
.LBB86_219:
	s_waitcnt lgkmcnt(0)
	v_cmp_eq_f32_e32 vcc, 0, v56
	s_and_saveexec_b64 s[0:1], vcc
	s_xor_b64 s[0:1], exec, s[0:1]
; %bb.220:
	v_cmp_ne_u32_e32 vcc, 0, v19
	s_nop 1
	v_cndmask_b32_e32 v19, 14, v19, vcc
; %bb.221:
	s_andn2_saveexec_b64 s[0:1], s[0:1]
	s_cbranch_execz .LBB86_223
; %bb.222:
	v_div_scale_f32 v57, s[2:3], v56, v56, 1.0
	v_rcp_f32_e32 v58, v57
	v_div_scale_f32 v59, vcc, 1.0, v56, 1.0
	v_fma_f32 v60, -v57, v58, 1.0
	v_fmac_f32_e32 v58, v60, v58
	v_mul_f32_e32 v60, v59, v58
	v_fma_f32 v61, -v57, v60, v59
	v_fmac_f32_e32 v60, v61, v58
	v_fma_f32 v57, -v57, v60, v59
	v_div_fmas_f32 v57, v57, v58, v60
	v_div_fixup_f32 v56, v57, v56, 1.0
.LBB86_223:
	s_or_b64 exec, exec, s[0:1]
	v_cmp_ne_u32_e32 vcc, v55, v52
	s_and_saveexec_b64 s[0:1], vcc
	s_xor_b64 s[0:1], exec, s[0:1]
	s_cbranch_execz .LBB86_229
; %bb.224:
	v_cmp_eq_u32_e32 vcc, 13, v55
	s_and_saveexec_b64 s[2:3], vcc
	s_cbranch_execz .LBB86_228
; %bb.225:
	v_cmp_ne_u32_e32 vcc, 13, v52
	s_xor_b64 s[18:19], s[16:17], -1
	s_and_b64 s[20:21], s[18:19], vcc
	s_and_saveexec_b64 s[18:19], s[20:21]
	s_cbranch_execz .LBB86_227
; %bb.226:
	v_ashrrev_i32_e32 v53, 31, v52
	v_lshl_add_u64 v[58:59], v[52:53], 2, v[20:21]
	global_load_dword v53, v[58:59], off
	global_load_dword v55, v[20:21], off offset:52
	s_waitcnt vmcnt(1)
	global_store_dword v[20:21], v53, off offset:52
	s_waitcnt vmcnt(1)
	global_store_dword v[58:59], v55, off
.LBB86_227:
	s_or_b64 exec, exec, s[18:19]
	v_mov_b32_e32 v53, v52
	v_mov_b32_e32 v55, v52
.LBB86_228:
	s_or_b64 exec, exec, s[2:3]
.LBB86_229:
	s_andn2_saveexec_b64 s[0:1], s[0:1]
	s_cbranch_execz .LBB86_231
; %bb.230:
	v_mov_b32_e32 v55, 13
	s_waitcnt vmcnt(28)
	ds_write2_b32 v17, v8, v9 offset0:14 offset1:15
	s_waitcnt vmcnt(26)
	ds_write2_b32 v17, v34, v35 offset0:16 offset1:17
	s_waitcnt vmcnt(24)
	ds_write2_b32 v17, v30, v31 offset0:18 offset1:19
	s_waitcnt vmcnt(22)
	ds_write2_b32 v17, v24, v25 offset0:20 offset1:21
	s_waitcnt vmcnt(20)
	ds_write2_b32 v17, v14, v15 offset0:22 offset1:23
	s_waitcnt vmcnt(18)
	ds_write2_b32 v17, v42, v43 offset0:24 offset1:25
	s_waitcnt vmcnt(16)
	ds_write2_b32 v17, v36, v37 offset0:26 offset1:27
	s_waitcnt vmcnt(14)
	ds_write2_b32 v17, v32, v33 offset0:28 offset1:29
	s_waitcnt vmcnt(12)
	ds_write2_b32 v17, v26, v27 offset0:30 offset1:31
	s_waitcnt vmcnt(10)
	ds_write2_b32 v17, v50, v51 offset0:32 offset1:33
	s_waitcnt vmcnt(8)
	ds_write2_b32 v17, v46, v47 offset0:34 offset1:35
	s_waitcnt vmcnt(6)
	ds_write2_b32 v17, v40, v41 offset0:36 offset1:37
	s_waitcnt vmcnt(4)
	ds_write2_b32 v17, v38, v39 offset0:38 offset1:39
	s_waitcnt vmcnt(2)
	ds_write2_b32 v17, v48, v49 offset0:40 offset1:41
	s_waitcnt vmcnt(0)
	ds_write2_b32 v17, v44, v45 offset0:42 offset1:43
.LBB86_231:
	s_or_b64 exec, exec, s[0:1]
	v_cmp_lt_i32_e32 vcc, 13, v55
	s_waitcnt lgkmcnt(0)
	s_barrier
	s_and_saveexec_b64 s[0:1], vcc
	s_cbranch_execz .LBB86_233
; %bb.232:
	v_mul_f32_e32 v52, v56, v13
	ds_read2_b32 v[56:57], v17 offset0:14 offset1:15
	v_mov_b32_e32 v13, v52
	s_waitcnt vmcnt(28) lgkmcnt(0)
	v_pk_fma_f32 v[8:9], v[52:53], v[56:57], v[8:9] op_sel_hi:[0,1,1] neg_lo:[1,0,0] neg_hi:[1,0,0]
	ds_read2_b32 v[56:57], v17 offset0:16 offset1:17
	s_waitcnt vmcnt(26) lgkmcnt(0)
	v_pk_fma_f32 v[34:35], v[52:53], v[56:57], v[34:35] op_sel_hi:[0,1,1] neg_lo:[1,0,0] neg_hi:[1,0,0]
	ds_read2_b32 v[56:57], v17 offset0:18 offset1:19
	;; [unrolled: 3-line block ×14, first 2 shown]
	s_waitcnt vmcnt(0) lgkmcnt(0)
	v_pk_fma_f32 v[44:45], v[52:53], v[56:57], v[44:45] op_sel_hi:[0,1,1] neg_lo:[1,0,0] neg_hi:[1,0,0]
.LBB86_233:
	s_or_b64 exec, exec, s[0:1]
	v_lshl_add_u32 v52, v55, 2, v17
	s_barrier
	s_waitcnt vmcnt(29)
	ds_write_b32 v52, v8
	s_waitcnt lgkmcnt(0)
	s_barrier
	ds_read_b32 v56, v17 offset:56
	s_cmp_lt_i32 s22, 16
	v_mov_b32_e32 v52, 14
	s_cbranch_scc1 .LBB86_236
; %bb.234:
	v_add3_u32 v57, v54, 0, 60
	v_mov_b32_e32 v52, 14
	s_mov_b32 s0, 15
.LBB86_235:                             ; =>This Inner Loop Header: Depth=1
	ds_read_b32 v58, v57
	v_mov_b32_e32 v59, s0
	s_add_i32 s0, s0, 1
	v_add_u32_e32 v57, 4, v57
	s_cmp_lg_u32 s22, s0
	s_waitcnt lgkmcnt(0)
	v_cmp_lt_f32_e64 vcc, |v56|, |v58|
	s_nop 1
	v_cndmask_b32_e32 v56, v56, v58, vcc
	v_cndmask_b32_e32 v52, v52, v59, vcc
	s_cbranch_scc1 .LBB86_235
.LBB86_236:
	s_waitcnt lgkmcnt(0)
	v_cmp_eq_f32_e32 vcc, 0, v56
	s_and_saveexec_b64 s[0:1], vcc
	s_xor_b64 s[0:1], exec, s[0:1]
; %bb.237:
	v_cmp_ne_u32_e32 vcc, 0, v19
	s_nop 1
	v_cndmask_b32_e32 v19, 15, v19, vcc
; %bb.238:
	s_andn2_saveexec_b64 s[0:1], s[0:1]
	s_cbranch_execz .LBB86_240
; %bb.239:
	v_div_scale_f32 v57, s[2:3], v56, v56, 1.0
	v_rcp_f32_e32 v58, v57
	v_div_scale_f32 v59, vcc, 1.0, v56, 1.0
	v_fma_f32 v60, -v57, v58, 1.0
	v_fmac_f32_e32 v58, v60, v58
	v_mul_f32_e32 v60, v59, v58
	v_fma_f32 v61, -v57, v60, v59
	v_fmac_f32_e32 v60, v61, v58
	v_fma_f32 v57, -v57, v60, v59
	v_div_fmas_f32 v57, v57, v58, v60
	v_div_fixup_f32 v56, v57, v56, 1.0
.LBB86_240:
	s_or_b64 exec, exec, s[0:1]
	v_cmp_ne_u32_e32 vcc, v55, v52
	s_and_saveexec_b64 s[0:1], vcc
	s_xor_b64 s[0:1], exec, s[0:1]
	s_cbranch_execz .LBB86_246
; %bb.241:
	v_cmp_eq_u32_e32 vcc, 14, v55
	s_and_saveexec_b64 s[2:3], vcc
	s_cbranch_execz .LBB86_245
; %bb.242:
	v_cmp_ne_u32_e32 vcc, 14, v52
	s_xor_b64 s[18:19], s[16:17], -1
	s_and_b64 s[20:21], s[18:19], vcc
	s_and_saveexec_b64 s[18:19], s[20:21]
	s_cbranch_execz .LBB86_244
; %bb.243:
	v_ashrrev_i32_e32 v53, 31, v52
	v_lshl_add_u64 v[58:59], v[52:53], 2, v[20:21]
	global_load_dword v53, v[58:59], off
	global_load_dword v55, v[20:21], off offset:56
	s_waitcnt vmcnt(1)
	global_store_dword v[20:21], v53, off offset:56
	s_waitcnt vmcnt(1)
	global_store_dword v[58:59], v55, off
.LBB86_244:
	s_or_b64 exec, exec, s[18:19]
	v_mov_b32_e32 v53, v52
	v_mov_b32_e32 v55, v52
.LBB86_245:
	s_or_b64 exec, exec, s[2:3]
.LBB86_246:
	s_andn2_saveexec_b64 s[0:1], s[0:1]
	s_cbranch_execz .LBB86_248
; %bb.247:
	s_waitcnt vmcnt(26)
	v_pk_mov_b32 v[58:59], v[8:9], v[34:35] op_sel:[1,0]
	ds_write2_b32 v17, v58, v59 offset0:15 offset1:16
	s_waitcnt vmcnt(24)
	v_pk_mov_b32 v[58:59], v[34:35], v[30:31] op_sel:[1,0]
	ds_write2_b32 v17, v58, v59 offset0:17 offset1:18
	;; [unrolled: 3-line block ×13, first 2 shown]
	s_waitcnt vmcnt(0)
	v_pk_mov_b32 v[58:59], v[48:49], v[44:45] op_sel:[1,0]
	v_mov_b32_e32 v55, 14
	ds_write2_b32 v17, v58, v59 offset0:41 offset1:42
	ds_write_b32 v17, v45 offset:172
.LBB86_248:
	s_or_b64 exec, exec, s[0:1]
	v_cmp_lt_i32_e32 vcc, 14, v55
	s_waitcnt lgkmcnt(0)
	s_barrier
	s_and_saveexec_b64 s[0:1], vcc
	s_cbranch_execz .LBB86_250
; %bb.249:
	ds_read_b32 v52, v17 offset:60
	v_mul_f32_e32 v8, v56, v8
	ds_read2_b32 v[56:57], v17 offset0:16 offset1:17
	s_waitcnt vmcnt(28) lgkmcnt(1)
	v_fma_f32 v9, -v8, v52, v9
	s_waitcnt vmcnt(26) lgkmcnt(0)
	v_pk_fma_f32 v[34:35], v[8:9], v[56:57], v[34:35] op_sel_hi:[0,1,1] neg_lo:[1,0,0] neg_hi:[1,0,0]
	ds_read2_b32 v[56:57], v17 offset0:18 offset1:19
	s_waitcnt vmcnt(24) lgkmcnt(0)
	v_pk_fma_f32 v[30:31], v[8:9], v[56:57], v[30:31] op_sel_hi:[0,1,1] neg_lo:[1,0,0] neg_hi:[1,0,0]
	ds_read2_b32 v[56:57], v17 offset0:20 offset1:21
	;; [unrolled: 3-line block ×13, first 2 shown]
	s_waitcnt vmcnt(0) lgkmcnt(0)
	v_pk_fma_f32 v[44:45], v[8:9], v[56:57], v[44:45] op_sel_hi:[0,1,1] neg_lo:[1,0,0] neg_hi:[1,0,0]
.LBB86_250:
	s_or_b64 exec, exec, s[0:1]
	v_lshl_add_u32 v52, v55, 2, v17
	s_barrier
	s_waitcnt vmcnt(28)
	ds_write_b32 v52, v9
	s_waitcnt lgkmcnt(0)
	s_barrier
	ds_read_b32 v56, v17 offset:60
	s_cmp_lt_i32 s22, 17
	v_mov_b32_e32 v52, 15
	s_cbranch_scc1 .LBB86_253
; %bb.251:
	v_add3_u32 v54, v54, 0, 64
	v_mov_b32_e32 v52, 15
	s_mov_b32 s0, 16
.LBB86_252:                             ; =>This Inner Loop Header: Depth=1
	ds_read_b32 v57, v54
	v_mov_b32_e32 v58, s0
	s_add_i32 s0, s0, 1
	v_add_u32_e32 v54, 4, v54
	s_cmp_lg_u32 s22, s0
	s_waitcnt lgkmcnt(0)
	v_cmp_lt_f32_e64 vcc, |v56|, |v57|
	s_nop 1
	v_cndmask_b32_e32 v56, v56, v57, vcc
	v_cndmask_b32_e32 v52, v52, v58, vcc
	s_cbranch_scc1 .LBB86_252
.LBB86_253:
	s_waitcnt lgkmcnt(0)
	v_cmp_eq_f32_e32 vcc, 0, v56
	s_and_saveexec_b64 s[0:1], vcc
	s_xor_b64 s[0:1], exec, s[0:1]
; %bb.254:
	v_cmp_ne_u32_e32 vcc, 0, v19
	s_nop 1
	v_cndmask_b32_e32 v19, 16, v19, vcc
; %bb.255:
	s_andn2_saveexec_b64 s[0:1], s[0:1]
	s_cbranch_execz .LBB86_257
; %bb.256:
	v_div_scale_f32 v54, s[2:3], v56, v56, 1.0
	v_rcp_f32_e32 v57, v54
	v_div_scale_f32 v58, vcc, 1.0, v56, 1.0
	v_fma_f32 v59, -v54, v57, 1.0
	v_fmac_f32_e32 v57, v59, v57
	v_mul_f32_e32 v59, v58, v57
	v_fma_f32 v60, -v54, v59, v58
	v_fmac_f32_e32 v59, v60, v57
	v_fma_f32 v54, -v54, v59, v58
	v_div_fmas_f32 v54, v54, v57, v59
	v_div_fixup_f32 v56, v54, v56, 1.0
.LBB86_257:
	s_or_b64 exec, exec, s[0:1]
	v_cmp_ne_u32_e32 vcc, v55, v52
	s_and_saveexec_b64 s[0:1], vcc
	s_xor_b64 s[0:1], exec, s[0:1]
	s_cbranch_execz .LBB86_263
; %bb.258:
	v_cmp_eq_u32_e32 vcc, 15, v55
	s_and_saveexec_b64 s[2:3], vcc
	s_cbranch_execz .LBB86_262
; %bb.259:
	v_cmp_ne_u32_e32 vcc, 15, v52
	s_xor_b64 s[18:19], s[16:17], -1
	s_and_b64 s[20:21], s[18:19], vcc
	s_and_saveexec_b64 s[18:19], s[20:21]
	s_cbranch_execz .LBB86_261
; %bb.260:
	v_ashrrev_i32_e32 v53, 31, v52
	v_lshl_add_u64 v[54:55], v[52:53], 2, v[20:21]
	global_load_dword v53, v[54:55], off
	global_load_dword v57, v[20:21], off offset:60
	s_waitcnt vmcnt(1)
	global_store_dword v[20:21], v53, off offset:60
	s_waitcnt vmcnt(1)
	global_store_dword v[54:55], v57, off
.LBB86_261:
	s_or_b64 exec, exec, s[18:19]
	v_mov_b32_e32 v53, v52
	v_mov_b32_e32 v55, v52
.LBB86_262:
	s_or_b64 exec, exec, s[2:3]
.LBB86_263:
	s_andn2_saveexec_b64 s[0:1], s[0:1]
	s_cbranch_execz .LBB86_265
; %bb.264:
	v_mov_b32_e32 v55, 15
	s_waitcnt vmcnt(26)
	ds_write2_b32 v17, v34, v35 offset0:16 offset1:17
	s_waitcnt vmcnt(24)
	ds_write2_b32 v17, v30, v31 offset0:18 offset1:19
	;; [unrolled: 2-line block ×14, first 2 shown]
.LBB86_265:
	s_or_b64 exec, exec, s[0:1]
	v_cmp_lt_i32_e32 vcc, 15, v55
	s_waitcnt lgkmcnt(0)
	s_barrier
	s_and_saveexec_b64 s[0:1], vcc
	s_cbranch_execz .LBB86_267
; %bb.266:
	ds_read2_b32 v[58:59], v17 offset0:16 offset1:17
	ds_read2_b32 v[60:61], v17 offset0:18 offset1:19
	;; [unrolled: 1-line block ×3, first 2 shown]
	v_mul_f32_e32 v52, v56, v9
	ds_read2_b32 v[56:57], v17 offset0:22 offset1:23
	s_waitcnt vmcnt(26) lgkmcnt(3)
	v_pk_fma_f32 v[34:35], v[52:53], v[58:59], v[34:35] op_sel_hi:[0,1,1] neg_lo:[1,0,0] neg_hi:[1,0,0]
	s_waitcnt vmcnt(24) lgkmcnt(2)
	v_pk_fma_f32 v[30:31], v[52:53], v[60:61], v[30:31] op_sel_hi:[0,1,1] neg_lo:[1,0,0] neg_hi:[1,0,0]
	;; [unrolled: 2-line block ×3, first 2 shown]
	ds_read2_b32 v[58:59], v17 offset0:24 offset1:25
	ds_read2_b32 v[60:61], v17 offset0:26 offset1:27
	;; [unrolled: 1-line block ×3, first 2 shown]
	s_waitcnt vmcnt(20) lgkmcnt(3)
	v_pk_fma_f32 v[14:15], v[52:53], v[56:57], v[14:15] op_sel_hi:[0,1,1] neg_lo:[1,0,0] neg_hi:[1,0,0]
	ds_read2_b32 v[56:57], v17 offset0:30 offset1:31
	s_waitcnt vmcnt(18) lgkmcnt(3)
	v_pk_fma_f32 v[42:43], v[52:53], v[58:59], v[42:43] op_sel_hi:[0,1,1] neg_lo:[1,0,0] neg_hi:[1,0,0]
	ds_read2_b32 v[58:59], v17 offset0:32 offset1:33
	s_waitcnt vmcnt(16) lgkmcnt(3)
	v_pk_fma_f32 v[36:37], v[52:53], v[60:61], v[36:37] op_sel_hi:[0,1,1] neg_lo:[1,0,0] neg_hi:[1,0,0]
	s_waitcnt vmcnt(14) lgkmcnt(2)
	v_pk_fma_f32 v[32:33], v[52:53], v[62:63], v[32:33] op_sel_hi:[0,1,1] neg_lo:[1,0,0] neg_hi:[1,0,0]
	;; [unrolled: 2-line block ×3, first 2 shown]
	ds_read2_b32 v[56:57], v17 offset0:34 offset1:35
	ds_read2_b32 v[60:61], v17 offset0:36 offset1:37
	;; [unrolled: 1-line block ×3, first 2 shown]
	s_waitcnt vmcnt(10) lgkmcnt(3)
	v_pk_fma_f32 v[50:51], v[52:53], v[58:59], v[50:51] op_sel_hi:[0,1,1] neg_lo:[1,0,0] neg_hi:[1,0,0]
	ds_read2_b32 v[58:59], v17 offset0:40 offset1:41
	ds_read2_b32 v[64:65], v17 offset0:42 offset1:43
	s_waitcnt vmcnt(8) lgkmcnt(4)
	v_pk_fma_f32 v[46:47], v[52:53], v[56:57], v[46:47] op_sel_hi:[0,1,1] neg_lo:[1,0,0] neg_hi:[1,0,0]
	s_waitcnt vmcnt(6) lgkmcnt(3)
	v_pk_fma_f32 v[40:41], v[52:53], v[60:61], v[40:41] op_sel_hi:[0,1,1] neg_lo:[1,0,0] neg_hi:[1,0,0]
	;; [unrolled: 2-line block ×5, first 2 shown]
	v_mov_b32_e32 v9, v52
.LBB86_267:
	s_or_b64 exec, exec, s[0:1]
	v_lshl_add_u32 v52, v55, 2, v17
	s_barrier
	s_waitcnt vmcnt(27)
	ds_write_b32 v52, v34
	s_waitcnt lgkmcnt(0)
	s_barrier
	ds_read_b32 v54, v17 offset:64
	s_cmp_lt_i32 s22, 18
	v_mov_b32_e32 v52, 16
	s_cbranch_scc1 .LBB86_270
; %bb.268:
	v_add_u32_e32 v56, 0x44, v17
	v_mov_b32_e32 v52, 16
	s_mov_b32 s0, 17
.LBB86_269:                             ; =>This Inner Loop Header: Depth=1
	ds_read_b32 v57, v56
	v_mov_b32_e32 v58, s0
	s_add_i32 s0, s0, 1
	v_add_u32_e32 v56, 4, v56
	s_cmp_lg_u32 s22, s0
	s_waitcnt lgkmcnt(0)
	v_cmp_lt_f32_e64 vcc, |v54|, |v57|
	s_nop 1
	v_cndmask_b32_e32 v54, v54, v57, vcc
	v_cndmask_b32_e32 v52, v52, v58, vcc
	s_cbranch_scc1 .LBB86_269
.LBB86_270:
	s_waitcnt lgkmcnt(0)
	v_cmp_eq_f32_e32 vcc, 0, v54
	s_and_saveexec_b64 s[0:1], vcc
	s_xor_b64 s[0:1], exec, s[0:1]
; %bb.271:
	v_cmp_ne_u32_e32 vcc, 0, v19
	s_nop 1
	v_cndmask_b32_e32 v19, 17, v19, vcc
; %bb.272:
	s_andn2_saveexec_b64 s[0:1], s[0:1]
	s_cbranch_execz .LBB86_274
; %bb.273:
	v_div_scale_f32 v56, s[2:3], v54, v54, 1.0
	v_rcp_f32_e32 v57, v56
	v_div_scale_f32 v58, vcc, 1.0, v54, 1.0
	v_fma_f32 v59, -v56, v57, 1.0
	v_fmac_f32_e32 v57, v59, v57
	v_mul_f32_e32 v59, v58, v57
	v_fma_f32 v60, -v56, v59, v58
	v_fmac_f32_e32 v59, v60, v57
	v_fma_f32 v56, -v56, v59, v58
	v_div_fmas_f32 v56, v56, v57, v59
	v_div_fixup_f32 v54, v56, v54, 1.0
.LBB86_274:
	s_or_b64 exec, exec, s[0:1]
	v_cmp_ne_u32_e32 vcc, v55, v52
	s_and_saveexec_b64 s[0:1], vcc
	s_xor_b64 s[0:1], exec, s[0:1]
	s_cbranch_execz .LBB86_280
; %bb.275:
	v_cmp_eq_u32_e32 vcc, 16, v55
	s_and_saveexec_b64 s[2:3], vcc
	s_cbranch_execz .LBB86_279
; %bb.276:
	v_cmp_ne_u32_e32 vcc, 16, v52
	s_xor_b64 s[18:19], s[16:17], -1
	s_and_b64 s[20:21], s[18:19], vcc
	s_and_saveexec_b64 s[18:19], s[20:21]
	s_cbranch_execz .LBB86_278
; %bb.277:
	v_ashrrev_i32_e32 v53, 31, v52
	v_lshl_add_u64 v[56:57], v[52:53], 2, v[20:21]
	global_load_dword v53, v[56:57], off
	global_load_dword v55, v[20:21], off offset:64
	s_waitcnt vmcnt(1)
	global_store_dword v[20:21], v53, off offset:64
	s_waitcnt vmcnt(1)
	global_store_dword v[56:57], v55, off
.LBB86_278:
	s_or_b64 exec, exec, s[18:19]
	v_mov_b32_e32 v53, v52
	v_mov_b32_e32 v55, v52
.LBB86_279:
	s_or_b64 exec, exec, s[2:3]
.LBB86_280:
	s_andn2_saveexec_b64 s[0:1], s[0:1]
	s_cbranch_execz .LBB86_282
; %bb.281:
	s_waitcnt vmcnt(24)
	v_pk_mov_b32 v[56:57], v[34:35], v[30:31] op_sel:[1,0]
	ds_write2_b32 v17, v56, v57 offset0:17 offset1:18
	s_waitcnt vmcnt(22)
	v_pk_mov_b32 v[56:57], v[30:31], v[24:25] op_sel:[1,0]
	ds_write2_b32 v17, v56, v57 offset0:19 offset1:20
	;; [unrolled: 3-line block ×12, first 2 shown]
	s_waitcnt vmcnt(0)
	v_pk_mov_b32 v[56:57], v[48:49], v[44:45] op_sel:[1,0]
	v_mov_b32_e32 v55, 16
	ds_write2_b32 v17, v56, v57 offset0:41 offset1:42
	ds_write_b32 v17, v45 offset:172
.LBB86_282:
	s_or_b64 exec, exec, s[0:1]
	v_cmp_lt_i32_e32 vcc, 16, v55
	s_waitcnt lgkmcnt(0)
	s_barrier
	s_and_saveexec_b64 s[0:1], vcc
	s_cbranch_execz .LBB86_284
; %bb.283:
	ds_read_b32 v52, v17 offset:68
	ds_read2_b32 v[56:57], v17 offset0:18 offset1:19
	ds_read2_b32 v[58:59], v17 offset0:20 offset1:21
	v_mul_f32_e32 v34, v54, v34
	ds_read2_b32 v[60:61], v17 offset0:22 offset1:23
	s_waitcnt vmcnt(26) lgkmcnt(3)
	v_fma_f32 v35, -v34, v52, v35
	s_waitcnt vmcnt(24) lgkmcnt(2)
	v_pk_fma_f32 v[30:31], v[34:35], v[56:57], v[30:31] op_sel_hi:[0,1,1] neg_lo:[1,0,0] neg_hi:[1,0,0]
	s_waitcnt vmcnt(22) lgkmcnt(1)
	v_pk_fma_f32 v[24:25], v[34:35], v[58:59], v[24:25] op_sel_hi:[0,1,1] neg_lo:[1,0,0] neg_hi:[1,0,0]
	ds_read2_b32 v[56:57], v17 offset0:24 offset1:25
	ds_read2_b32 v[58:59], v17 offset0:26 offset1:27
	;; [unrolled: 1-line block ×3, first 2 shown]
	s_waitcnt vmcnt(20) lgkmcnt(3)
	v_pk_fma_f32 v[14:15], v[34:35], v[60:61], v[14:15] op_sel_hi:[0,1,1] neg_lo:[1,0,0] neg_hi:[1,0,0]
	ds_read2_b32 v[60:61], v17 offset0:30 offset1:31
	s_waitcnt vmcnt(18) lgkmcnt(3)
	v_pk_fma_f32 v[42:43], v[34:35], v[56:57], v[42:43] op_sel_hi:[0,1,1] neg_lo:[1,0,0] neg_hi:[1,0,0]
	ds_read2_b32 v[56:57], v17 offset0:32 offset1:33
	s_waitcnt vmcnt(16) lgkmcnt(3)
	v_pk_fma_f32 v[36:37], v[34:35], v[58:59], v[36:37] op_sel_hi:[0,1,1] neg_lo:[1,0,0] neg_hi:[1,0,0]
	s_waitcnt vmcnt(14) lgkmcnt(2)
	v_pk_fma_f32 v[32:33], v[34:35], v[62:63], v[32:33] op_sel_hi:[0,1,1] neg_lo:[1,0,0] neg_hi:[1,0,0]
	;; [unrolled: 2-line block ×3, first 2 shown]
	ds_read2_b32 v[58:59], v17 offset0:34 offset1:35
	ds_read2_b32 v[60:61], v17 offset0:36 offset1:37
	ds_read2_b32 v[62:63], v17 offset0:38 offset1:39
	s_waitcnt vmcnt(10) lgkmcnt(3)
	v_pk_fma_f32 v[50:51], v[34:35], v[56:57], v[50:51] op_sel_hi:[0,1,1] neg_lo:[1,0,0] neg_hi:[1,0,0]
	ds_read2_b32 v[56:57], v17 offset0:40 offset1:41
	ds_read2_b32 v[64:65], v17 offset0:42 offset1:43
	s_waitcnt vmcnt(8) lgkmcnt(4)
	v_pk_fma_f32 v[46:47], v[34:35], v[58:59], v[46:47] op_sel_hi:[0,1,1] neg_lo:[1,0,0] neg_hi:[1,0,0]
	s_waitcnt vmcnt(6) lgkmcnt(3)
	v_pk_fma_f32 v[40:41], v[34:35], v[60:61], v[40:41] op_sel_hi:[0,1,1] neg_lo:[1,0,0] neg_hi:[1,0,0]
	;; [unrolled: 2-line block ×5, first 2 shown]
.LBB86_284:
	s_or_b64 exec, exec, s[0:1]
	v_lshl_add_u32 v52, v55, 2, v17
	s_barrier
	s_waitcnt vmcnt(26)
	ds_write_b32 v52, v35
	s_waitcnt lgkmcnt(0)
	s_barrier
	ds_read_b32 v54, v17 offset:68
	s_cmp_lt_i32 s22, 19
	v_mov_b32_e32 v52, 17
	s_cbranch_scc1 .LBB86_287
; %bb.285:
	v_add_u32_e32 v56, 0x48, v17
	v_mov_b32_e32 v52, 17
	s_mov_b32 s0, 18
.LBB86_286:                             ; =>This Inner Loop Header: Depth=1
	ds_read_b32 v57, v56
	v_mov_b32_e32 v58, s0
	s_add_i32 s0, s0, 1
	v_add_u32_e32 v56, 4, v56
	s_cmp_lg_u32 s22, s0
	s_waitcnt lgkmcnt(0)
	v_cmp_lt_f32_e64 vcc, |v54|, |v57|
	s_nop 1
	v_cndmask_b32_e32 v54, v54, v57, vcc
	v_cndmask_b32_e32 v52, v52, v58, vcc
	s_cbranch_scc1 .LBB86_286
.LBB86_287:
	s_waitcnt lgkmcnt(0)
	v_cmp_eq_f32_e32 vcc, 0, v54
	s_and_saveexec_b64 s[0:1], vcc
	s_xor_b64 s[0:1], exec, s[0:1]
; %bb.288:
	v_cmp_ne_u32_e32 vcc, 0, v19
	s_nop 1
	v_cndmask_b32_e32 v19, 18, v19, vcc
; %bb.289:
	s_andn2_saveexec_b64 s[0:1], s[0:1]
	s_cbranch_execz .LBB86_291
; %bb.290:
	v_div_scale_f32 v56, s[2:3], v54, v54, 1.0
	v_rcp_f32_e32 v57, v56
	v_div_scale_f32 v58, vcc, 1.0, v54, 1.0
	v_fma_f32 v59, -v56, v57, 1.0
	v_fmac_f32_e32 v57, v59, v57
	v_mul_f32_e32 v59, v58, v57
	v_fma_f32 v60, -v56, v59, v58
	v_fmac_f32_e32 v59, v60, v57
	v_fma_f32 v56, -v56, v59, v58
	v_div_fmas_f32 v56, v56, v57, v59
	v_div_fixup_f32 v54, v56, v54, 1.0
.LBB86_291:
	s_or_b64 exec, exec, s[0:1]
	v_cmp_ne_u32_e32 vcc, v55, v52
	s_and_saveexec_b64 s[0:1], vcc
	s_xor_b64 s[0:1], exec, s[0:1]
	s_cbranch_execz .LBB86_297
; %bb.292:
	v_cmp_eq_u32_e32 vcc, 17, v55
	s_and_saveexec_b64 s[2:3], vcc
	s_cbranch_execz .LBB86_296
; %bb.293:
	v_cmp_ne_u32_e32 vcc, 17, v52
	s_xor_b64 s[18:19], s[16:17], -1
	s_and_b64 s[20:21], s[18:19], vcc
	s_and_saveexec_b64 s[18:19], s[20:21]
	s_cbranch_execz .LBB86_295
; %bb.294:
	v_ashrrev_i32_e32 v53, 31, v52
	v_lshl_add_u64 v[56:57], v[52:53], 2, v[20:21]
	global_load_dword v53, v[56:57], off
	global_load_dword v55, v[20:21], off offset:68
	s_waitcnt vmcnt(1)
	global_store_dword v[20:21], v53, off offset:68
	s_waitcnt vmcnt(1)
	global_store_dword v[56:57], v55, off
.LBB86_295:
	s_or_b64 exec, exec, s[18:19]
	v_mov_b32_e32 v53, v52
	v_mov_b32_e32 v55, v52
.LBB86_296:
	s_or_b64 exec, exec, s[2:3]
.LBB86_297:
	s_andn2_saveexec_b64 s[0:1], s[0:1]
	s_cbranch_execz .LBB86_299
; %bb.298:
	v_mov_b32_e32 v55, 17
	s_waitcnt vmcnt(24)
	ds_write2_b32 v17, v30, v31 offset0:18 offset1:19
	s_waitcnt vmcnt(22)
	ds_write2_b32 v17, v24, v25 offset0:20 offset1:21
	;; [unrolled: 2-line block ×13, first 2 shown]
.LBB86_299:
	s_or_b64 exec, exec, s[0:1]
	v_cmp_lt_i32_e32 vcc, 17, v55
	s_waitcnt lgkmcnt(0)
	s_barrier
	s_and_saveexec_b64 s[0:1], vcc
	s_cbranch_execz .LBB86_301
; %bb.300:
	ds_read2_b32 v[56:57], v17 offset0:18 offset1:19
	ds_read2_b32 v[58:59], v17 offset0:20 offset1:21
	;; [unrolled: 1-line block ×3, first 2 shown]
	v_mul_f32_e32 v52, v54, v35
	ds_read2_b32 v[62:63], v17 offset0:24 offset1:25
	s_waitcnt vmcnt(24) lgkmcnt(3)
	v_pk_fma_f32 v[30:31], v[52:53], v[56:57], v[30:31] op_sel_hi:[0,1,1] neg_lo:[1,0,0] neg_hi:[1,0,0]
	s_waitcnt vmcnt(22) lgkmcnt(2)
	v_pk_fma_f32 v[24:25], v[52:53], v[58:59], v[24:25] op_sel_hi:[0,1,1] neg_lo:[1,0,0] neg_hi:[1,0,0]
	;; [unrolled: 2-line block ×3, first 2 shown]
	ds_read2_b32 v[56:57], v17 offset0:26 offset1:27
	ds_read2_b32 v[58:59], v17 offset0:28 offset1:29
	;; [unrolled: 1-line block ×4, first 2 shown]
	s_waitcnt vmcnt(18) lgkmcnt(4)
	v_pk_fma_f32 v[42:43], v[52:53], v[62:63], v[42:43] op_sel_hi:[0,1,1] neg_lo:[1,0,0] neg_hi:[1,0,0]
	s_waitcnt vmcnt(16) lgkmcnt(3)
	v_pk_fma_f32 v[36:37], v[52:53], v[56:57], v[36:37] op_sel_hi:[0,1,1] neg_lo:[1,0,0] neg_hi:[1,0,0]
	;; [unrolled: 2-line block ×5, first 2 shown]
	ds_read2_b32 v[56:57], v17 offset0:34 offset1:35
	ds_read2_b32 v[58:59], v17 offset0:36 offset1:37
	;; [unrolled: 1-line block ×5, first 2 shown]
	s_waitcnt vmcnt(8) lgkmcnt(4)
	v_pk_fma_f32 v[46:47], v[52:53], v[56:57], v[46:47] op_sel_hi:[0,1,1] neg_lo:[1,0,0] neg_hi:[1,0,0]
	s_waitcnt vmcnt(6) lgkmcnt(3)
	v_pk_fma_f32 v[40:41], v[52:53], v[58:59], v[40:41] op_sel_hi:[0,1,1] neg_lo:[1,0,0] neg_hi:[1,0,0]
	;; [unrolled: 2-line block ×5, first 2 shown]
	v_mov_b32_e32 v35, v52
.LBB86_301:
	s_or_b64 exec, exec, s[0:1]
	v_lshl_add_u32 v52, v55, 2, v17
	s_barrier
	s_waitcnt vmcnt(25)
	ds_write_b32 v52, v30
	s_waitcnt lgkmcnt(0)
	s_barrier
	ds_read_b32 v54, v17 offset:72
	s_cmp_lt_i32 s22, 20
	v_mov_b32_e32 v52, 18
	s_cbranch_scc1 .LBB86_304
; %bb.302:
	v_add_u32_e32 v56, 0x4c, v17
	v_mov_b32_e32 v52, 18
	s_mov_b32 s0, 19
.LBB86_303:                             ; =>This Inner Loop Header: Depth=1
	ds_read_b32 v57, v56
	v_mov_b32_e32 v58, s0
	s_add_i32 s0, s0, 1
	v_add_u32_e32 v56, 4, v56
	s_cmp_lg_u32 s22, s0
	s_waitcnt lgkmcnt(0)
	v_cmp_lt_f32_e64 vcc, |v54|, |v57|
	s_nop 1
	v_cndmask_b32_e32 v54, v54, v57, vcc
	v_cndmask_b32_e32 v52, v52, v58, vcc
	s_cbranch_scc1 .LBB86_303
.LBB86_304:
	s_waitcnt lgkmcnt(0)
	v_cmp_eq_f32_e32 vcc, 0, v54
	s_and_saveexec_b64 s[0:1], vcc
	s_xor_b64 s[0:1], exec, s[0:1]
; %bb.305:
	v_cmp_ne_u32_e32 vcc, 0, v19
	s_nop 1
	v_cndmask_b32_e32 v19, 19, v19, vcc
; %bb.306:
	s_andn2_saveexec_b64 s[0:1], s[0:1]
	s_cbranch_execz .LBB86_308
; %bb.307:
	v_div_scale_f32 v56, s[2:3], v54, v54, 1.0
	v_rcp_f32_e32 v57, v56
	v_div_scale_f32 v58, vcc, 1.0, v54, 1.0
	v_fma_f32 v59, -v56, v57, 1.0
	v_fmac_f32_e32 v57, v59, v57
	v_mul_f32_e32 v59, v58, v57
	v_fma_f32 v60, -v56, v59, v58
	v_fmac_f32_e32 v59, v60, v57
	v_fma_f32 v56, -v56, v59, v58
	v_div_fmas_f32 v56, v56, v57, v59
	v_div_fixup_f32 v54, v56, v54, 1.0
.LBB86_308:
	s_or_b64 exec, exec, s[0:1]
	v_cmp_ne_u32_e32 vcc, v55, v52
	s_and_saveexec_b64 s[0:1], vcc
	s_xor_b64 s[0:1], exec, s[0:1]
	s_cbranch_execz .LBB86_314
; %bb.309:
	v_cmp_eq_u32_e32 vcc, 18, v55
	s_and_saveexec_b64 s[2:3], vcc
	s_cbranch_execz .LBB86_313
; %bb.310:
	v_cmp_ne_u32_e32 vcc, 18, v52
	s_xor_b64 s[18:19], s[16:17], -1
	s_and_b64 s[20:21], s[18:19], vcc
	s_and_saveexec_b64 s[18:19], s[20:21]
	s_cbranch_execz .LBB86_312
; %bb.311:
	v_ashrrev_i32_e32 v53, 31, v52
	v_lshl_add_u64 v[56:57], v[52:53], 2, v[20:21]
	global_load_dword v53, v[56:57], off
	global_load_dword v55, v[20:21], off offset:72
	s_waitcnt vmcnt(1)
	global_store_dword v[20:21], v53, off offset:72
	s_waitcnt vmcnt(1)
	global_store_dword v[56:57], v55, off
.LBB86_312:
	s_or_b64 exec, exec, s[18:19]
	v_mov_b32_e32 v53, v52
	v_mov_b32_e32 v55, v52
.LBB86_313:
	s_or_b64 exec, exec, s[2:3]
.LBB86_314:
	s_andn2_saveexec_b64 s[0:1], s[0:1]
	s_cbranch_execz .LBB86_316
; %bb.315:
	s_waitcnt vmcnt(22)
	v_pk_mov_b32 v[56:57], v[30:31], v[24:25] op_sel:[1,0]
	ds_write2_b32 v17, v56, v57 offset0:19 offset1:20
	s_waitcnt vmcnt(20)
	v_pk_mov_b32 v[56:57], v[24:25], v[14:15] op_sel:[1,0]
	ds_write2_b32 v17, v56, v57 offset0:21 offset1:22
	;; [unrolled: 3-line block ×11, first 2 shown]
	s_waitcnt vmcnt(0)
	v_pk_mov_b32 v[56:57], v[48:49], v[44:45] op_sel:[1,0]
	v_mov_b32_e32 v55, 18
	ds_write2_b32 v17, v56, v57 offset0:41 offset1:42
	ds_write_b32 v17, v45 offset:172
.LBB86_316:
	s_or_b64 exec, exec, s[0:1]
	v_cmp_lt_i32_e32 vcc, 18, v55
	s_waitcnt lgkmcnt(0)
	s_barrier
	s_and_saveexec_b64 s[0:1], vcc
	s_cbranch_execz .LBB86_318
; %bb.317:
	ds_read_b32 v52, v17 offset:76
	ds_read2_b32 v[56:57], v17 offset0:20 offset1:21
	ds_read2_b32 v[58:59], v17 offset0:22 offset1:23
	v_mul_f32_e32 v30, v54, v30
	ds_read2_b32 v[60:61], v17 offset0:24 offset1:25
	s_waitcnt vmcnt(24) lgkmcnt(3)
	v_fma_f32 v31, -v30, v52, v31
	s_waitcnt vmcnt(22) lgkmcnt(2)
	v_pk_fma_f32 v[24:25], v[30:31], v[56:57], v[24:25] op_sel_hi:[0,1,1] neg_lo:[1,0,0] neg_hi:[1,0,0]
	s_waitcnt vmcnt(20) lgkmcnt(1)
	v_pk_fma_f32 v[14:15], v[30:31], v[58:59], v[14:15] op_sel_hi:[0,1,1] neg_lo:[1,0,0] neg_hi:[1,0,0]
	ds_read2_b32 v[56:57], v17 offset0:26 offset1:27
	ds_read2_b32 v[58:59], v17 offset0:28 offset1:29
	;; [unrolled: 1-line block ×4, first 2 shown]
	s_waitcnt vmcnt(18) lgkmcnt(4)
	v_pk_fma_f32 v[42:43], v[30:31], v[60:61], v[42:43] op_sel_hi:[0,1,1] neg_lo:[1,0,0] neg_hi:[1,0,0]
	s_waitcnt vmcnt(16) lgkmcnt(3)
	v_pk_fma_f32 v[36:37], v[30:31], v[56:57], v[36:37] op_sel_hi:[0,1,1] neg_lo:[1,0,0] neg_hi:[1,0,0]
	;; [unrolled: 2-line block ×5, first 2 shown]
	ds_read2_b32 v[56:57], v17 offset0:34 offset1:35
	ds_read2_b32 v[58:59], v17 offset0:36 offset1:37
	;; [unrolled: 1-line block ×5, first 2 shown]
	s_waitcnt vmcnt(8) lgkmcnt(4)
	v_pk_fma_f32 v[46:47], v[30:31], v[56:57], v[46:47] op_sel_hi:[0,1,1] neg_lo:[1,0,0] neg_hi:[1,0,0]
	s_waitcnt vmcnt(6) lgkmcnt(3)
	v_pk_fma_f32 v[40:41], v[30:31], v[58:59], v[40:41] op_sel_hi:[0,1,1] neg_lo:[1,0,0] neg_hi:[1,0,0]
	;; [unrolled: 2-line block ×5, first 2 shown]
.LBB86_318:
	s_or_b64 exec, exec, s[0:1]
	v_lshl_add_u32 v52, v55, 2, v17
	s_barrier
	s_waitcnt vmcnt(24)
	ds_write_b32 v52, v31
	s_waitcnt lgkmcnt(0)
	s_barrier
	ds_read_b32 v54, v17 offset:76
	s_cmp_lt_i32 s22, 21
	v_mov_b32_e32 v52, 19
	s_cbranch_scc1 .LBB86_321
; %bb.319:
	v_add_u32_e32 v56, 0x50, v17
	v_mov_b32_e32 v52, 19
	s_mov_b32 s0, 20
.LBB86_320:                             ; =>This Inner Loop Header: Depth=1
	ds_read_b32 v57, v56
	v_mov_b32_e32 v58, s0
	s_add_i32 s0, s0, 1
	v_add_u32_e32 v56, 4, v56
	s_cmp_lg_u32 s22, s0
	s_waitcnt lgkmcnt(0)
	v_cmp_lt_f32_e64 vcc, |v54|, |v57|
	s_nop 1
	v_cndmask_b32_e32 v54, v54, v57, vcc
	v_cndmask_b32_e32 v52, v52, v58, vcc
	s_cbranch_scc1 .LBB86_320
.LBB86_321:
	s_waitcnt lgkmcnt(0)
	v_cmp_eq_f32_e32 vcc, 0, v54
	s_and_saveexec_b64 s[0:1], vcc
	s_xor_b64 s[0:1], exec, s[0:1]
; %bb.322:
	v_cmp_ne_u32_e32 vcc, 0, v19
	s_nop 1
	v_cndmask_b32_e32 v19, 20, v19, vcc
; %bb.323:
	s_andn2_saveexec_b64 s[0:1], s[0:1]
	s_cbranch_execz .LBB86_325
; %bb.324:
	v_div_scale_f32 v56, s[2:3], v54, v54, 1.0
	v_rcp_f32_e32 v57, v56
	v_div_scale_f32 v58, vcc, 1.0, v54, 1.0
	v_fma_f32 v59, -v56, v57, 1.0
	v_fmac_f32_e32 v57, v59, v57
	v_mul_f32_e32 v59, v58, v57
	v_fma_f32 v60, -v56, v59, v58
	v_fmac_f32_e32 v59, v60, v57
	v_fma_f32 v56, -v56, v59, v58
	v_div_fmas_f32 v56, v56, v57, v59
	v_div_fixup_f32 v54, v56, v54, 1.0
.LBB86_325:
	s_or_b64 exec, exec, s[0:1]
	v_cmp_ne_u32_e32 vcc, v55, v52
	s_and_saveexec_b64 s[0:1], vcc
	s_xor_b64 s[0:1], exec, s[0:1]
	s_cbranch_execz .LBB86_331
; %bb.326:
	v_cmp_eq_u32_e32 vcc, 19, v55
	s_and_saveexec_b64 s[2:3], vcc
	s_cbranch_execz .LBB86_330
; %bb.327:
	v_cmp_ne_u32_e32 vcc, 19, v52
	s_xor_b64 s[18:19], s[16:17], -1
	s_and_b64 s[20:21], s[18:19], vcc
	s_and_saveexec_b64 s[18:19], s[20:21]
	s_cbranch_execz .LBB86_329
; %bb.328:
	v_ashrrev_i32_e32 v53, 31, v52
	v_lshl_add_u64 v[56:57], v[52:53], 2, v[20:21]
	global_load_dword v53, v[56:57], off
	global_load_dword v55, v[20:21], off offset:76
	s_waitcnt vmcnt(1)
	global_store_dword v[20:21], v53, off offset:76
	s_waitcnt vmcnt(1)
	global_store_dword v[56:57], v55, off
.LBB86_329:
	s_or_b64 exec, exec, s[18:19]
	v_mov_b32_e32 v53, v52
	v_mov_b32_e32 v55, v52
.LBB86_330:
	s_or_b64 exec, exec, s[2:3]
.LBB86_331:
	s_andn2_saveexec_b64 s[0:1], s[0:1]
	s_cbranch_execz .LBB86_333
; %bb.332:
	v_mov_b32_e32 v55, 19
	s_waitcnt vmcnt(22)
	ds_write2_b32 v17, v24, v25 offset0:20 offset1:21
	s_waitcnt vmcnt(20)
	ds_write2_b32 v17, v14, v15 offset0:22 offset1:23
	s_waitcnt vmcnt(18)
	ds_write2_b32 v17, v42, v43 offset0:24 offset1:25
	s_waitcnt vmcnt(16)
	ds_write2_b32 v17, v36, v37 offset0:26 offset1:27
	s_waitcnt vmcnt(14)
	ds_write2_b32 v17, v32, v33 offset0:28 offset1:29
	s_waitcnt vmcnt(12)
	ds_write2_b32 v17, v26, v27 offset0:30 offset1:31
	s_waitcnt vmcnt(10)
	ds_write2_b32 v17, v50, v51 offset0:32 offset1:33
	s_waitcnt vmcnt(8)
	ds_write2_b32 v17, v46, v47 offset0:34 offset1:35
	s_waitcnt vmcnt(6)
	ds_write2_b32 v17, v40, v41 offset0:36 offset1:37
	s_waitcnt vmcnt(4)
	ds_write2_b32 v17, v38, v39 offset0:38 offset1:39
	s_waitcnt vmcnt(2)
	ds_write2_b32 v17, v48, v49 offset0:40 offset1:41
	s_waitcnt vmcnt(0)
	ds_write2_b32 v17, v44, v45 offset0:42 offset1:43
.LBB86_333:
	s_or_b64 exec, exec, s[0:1]
	v_cmp_lt_i32_e32 vcc, 19, v55
	s_waitcnt lgkmcnt(0)
	s_barrier
	s_and_saveexec_b64 s[0:1], vcc
	s_cbranch_execz .LBB86_335
; %bb.334:
	ds_read2_b32 v[56:57], v17 offset0:20 offset1:21
	ds_read2_b32 v[58:59], v17 offset0:22 offset1:23
	;; [unrolled: 1-line block ×3, first 2 shown]
	v_mul_f32_e32 v52, v54, v31
	ds_read2_b32 v[62:63], v17 offset0:26 offset1:27
	s_waitcnt vmcnt(22) lgkmcnt(3)
	v_pk_fma_f32 v[24:25], v[52:53], v[56:57], v[24:25] op_sel_hi:[0,1,1] neg_lo:[1,0,0] neg_hi:[1,0,0]
	s_waitcnt vmcnt(20) lgkmcnt(2)
	v_pk_fma_f32 v[14:15], v[52:53], v[58:59], v[14:15] op_sel_hi:[0,1,1] neg_lo:[1,0,0] neg_hi:[1,0,0]
	;; [unrolled: 2-line block ×3, first 2 shown]
	ds_read2_b32 v[56:57], v17 offset0:28 offset1:29
	ds_read2_b32 v[58:59], v17 offset0:30 offset1:31
	;; [unrolled: 1-line block ×3, first 2 shown]
	s_waitcnt vmcnt(16) lgkmcnt(3)
	v_pk_fma_f32 v[36:37], v[52:53], v[62:63], v[36:37] op_sel_hi:[0,1,1] neg_lo:[1,0,0] neg_hi:[1,0,0]
	ds_read2_b32 v[62:63], v17 offset0:34 offset1:35
	s_waitcnt vmcnt(14) lgkmcnt(3)
	v_pk_fma_f32 v[32:33], v[52:53], v[56:57], v[32:33] op_sel_hi:[0,1,1] neg_lo:[1,0,0] neg_hi:[1,0,0]
	s_waitcnt vmcnt(12) lgkmcnt(2)
	v_pk_fma_f32 v[26:27], v[52:53], v[58:59], v[26:27] op_sel_hi:[0,1,1] neg_lo:[1,0,0] neg_hi:[1,0,0]
	;; [unrolled: 2-line block ×3, first 2 shown]
	ds_read2_b32 v[56:57], v17 offset0:36 offset1:37
	ds_read2_b32 v[58:59], v17 offset0:38 offset1:39
	;; [unrolled: 1-line block ×4, first 2 shown]
	s_waitcnt vmcnt(8) lgkmcnt(4)
	v_pk_fma_f32 v[46:47], v[52:53], v[62:63], v[46:47] op_sel_hi:[0,1,1] neg_lo:[1,0,0] neg_hi:[1,0,0]
	s_waitcnt vmcnt(6) lgkmcnt(3)
	v_pk_fma_f32 v[40:41], v[52:53], v[56:57], v[40:41] op_sel_hi:[0,1,1] neg_lo:[1,0,0] neg_hi:[1,0,0]
	;; [unrolled: 2-line block ×5, first 2 shown]
	v_mov_b32_e32 v31, v52
.LBB86_335:
	s_or_b64 exec, exec, s[0:1]
	v_lshl_add_u32 v52, v55, 2, v17
	s_barrier
	s_waitcnt vmcnt(23)
	ds_write_b32 v52, v24
	s_waitcnt lgkmcnt(0)
	s_barrier
	ds_read_b32 v54, v17 offset:80
	s_cmp_lt_i32 s22, 22
	v_mov_b32_e32 v52, 20
	s_cbranch_scc1 .LBB86_338
; %bb.336:
	v_add_u32_e32 v56, 0x54, v17
	v_mov_b32_e32 v52, 20
	s_mov_b32 s0, 21
.LBB86_337:                             ; =>This Inner Loop Header: Depth=1
	ds_read_b32 v57, v56
	v_mov_b32_e32 v58, s0
	s_add_i32 s0, s0, 1
	v_add_u32_e32 v56, 4, v56
	s_cmp_lg_u32 s22, s0
	s_waitcnt lgkmcnt(0)
	v_cmp_lt_f32_e64 vcc, |v54|, |v57|
	s_nop 1
	v_cndmask_b32_e32 v54, v54, v57, vcc
	v_cndmask_b32_e32 v52, v52, v58, vcc
	s_cbranch_scc1 .LBB86_337
.LBB86_338:
	s_waitcnt lgkmcnt(0)
	v_cmp_eq_f32_e32 vcc, 0, v54
	s_and_saveexec_b64 s[0:1], vcc
	s_xor_b64 s[0:1], exec, s[0:1]
; %bb.339:
	v_cmp_ne_u32_e32 vcc, 0, v19
	s_nop 1
	v_cndmask_b32_e32 v19, 21, v19, vcc
; %bb.340:
	s_andn2_saveexec_b64 s[0:1], s[0:1]
	s_cbranch_execz .LBB86_342
; %bb.341:
	v_div_scale_f32 v56, s[2:3], v54, v54, 1.0
	v_rcp_f32_e32 v57, v56
	v_div_scale_f32 v58, vcc, 1.0, v54, 1.0
	v_fma_f32 v59, -v56, v57, 1.0
	v_fmac_f32_e32 v57, v59, v57
	v_mul_f32_e32 v59, v58, v57
	v_fma_f32 v60, -v56, v59, v58
	v_fmac_f32_e32 v59, v60, v57
	v_fma_f32 v56, -v56, v59, v58
	v_div_fmas_f32 v56, v56, v57, v59
	v_div_fixup_f32 v54, v56, v54, 1.0
.LBB86_342:
	s_or_b64 exec, exec, s[0:1]
	v_cmp_ne_u32_e32 vcc, v55, v52
	s_and_saveexec_b64 s[0:1], vcc
	s_xor_b64 s[0:1], exec, s[0:1]
	s_cbranch_execz .LBB86_348
; %bb.343:
	v_cmp_eq_u32_e32 vcc, 20, v55
	s_and_saveexec_b64 s[2:3], vcc
	s_cbranch_execz .LBB86_347
; %bb.344:
	v_cmp_ne_u32_e32 vcc, 20, v52
	s_xor_b64 s[18:19], s[16:17], -1
	s_and_b64 s[20:21], s[18:19], vcc
	s_and_saveexec_b64 s[18:19], s[20:21]
	s_cbranch_execz .LBB86_346
; %bb.345:
	v_ashrrev_i32_e32 v53, 31, v52
	v_lshl_add_u64 v[56:57], v[52:53], 2, v[20:21]
	global_load_dword v53, v[56:57], off
	global_load_dword v55, v[20:21], off offset:80
	s_waitcnt vmcnt(1)
	global_store_dword v[20:21], v53, off offset:80
	s_waitcnt vmcnt(1)
	global_store_dword v[56:57], v55, off
.LBB86_346:
	s_or_b64 exec, exec, s[18:19]
	v_mov_b32_e32 v53, v52
	v_mov_b32_e32 v55, v52
.LBB86_347:
	s_or_b64 exec, exec, s[2:3]
.LBB86_348:
	s_andn2_saveexec_b64 s[0:1], s[0:1]
	s_cbranch_execz .LBB86_350
; %bb.349:
	s_waitcnt vmcnt(20)
	v_pk_mov_b32 v[56:57], v[24:25], v[14:15] op_sel:[1,0]
	ds_write2_b32 v17, v56, v57 offset0:21 offset1:22
	s_waitcnt vmcnt(18)
	v_pk_mov_b32 v[56:57], v[14:15], v[42:43] op_sel:[1,0]
	ds_write2_b32 v17, v56, v57 offset0:23 offset1:24
	;; [unrolled: 3-line block ×10, first 2 shown]
	s_waitcnt vmcnt(0)
	v_pk_mov_b32 v[56:57], v[48:49], v[44:45] op_sel:[1,0]
	v_mov_b32_e32 v55, 20
	ds_write2_b32 v17, v56, v57 offset0:41 offset1:42
	ds_write_b32 v17, v45 offset:172
.LBB86_350:
	s_or_b64 exec, exec, s[0:1]
	v_cmp_lt_i32_e32 vcc, 20, v55
	s_waitcnt lgkmcnt(0)
	s_barrier
	s_and_saveexec_b64 s[0:1], vcc
	s_cbranch_execz .LBB86_352
; %bb.351:
	ds_read_b32 v52, v17 offset:84
	ds_read2_b32 v[56:57], v17 offset0:22 offset1:23
	ds_read2_b32 v[58:59], v17 offset0:24 offset1:25
	v_mul_f32_e32 v24, v54, v24
	ds_read2_b32 v[60:61], v17 offset0:26 offset1:27
	s_waitcnt vmcnt(22) lgkmcnt(3)
	v_fma_f32 v25, -v24, v52, v25
	s_waitcnt vmcnt(20) lgkmcnt(2)
	v_pk_fma_f32 v[14:15], v[24:25], v[56:57], v[14:15] op_sel_hi:[0,1,1] neg_lo:[1,0,0] neg_hi:[1,0,0]
	s_waitcnt vmcnt(18) lgkmcnt(1)
	v_pk_fma_f32 v[42:43], v[24:25], v[58:59], v[42:43] op_sel_hi:[0,1,1] neg_lo:[1,0,0] neg_hi:[1,0,0]
	ds_read2_b32 v[56:57], v17 offset0:28 offset1:29
	ds_read2_b32 v[58:59], v17 offset0:30 offset1:31
	ds_read2_b32 v[62:63], v17 offset0:32 offset1:33
	s_waitcnt vmcnt(16) lgkmcnt(3)
	v_pk_fma_f32 v[36:37], v[24:25], v[60:61], v[36:37] op_sel_hi:[0,1,1] neg_lo:[1,0,0] neg_hi:[1,0,0]
	ds_read2_b32 v[60:61], v17 offset0:34 offset1:35
	s_waitcnt vmcnt(14) lgkmcnt(3)
	v_pk_fma_f32 v[32:33], v[24:25], v[56:57], v[32:33] op_sel_hi:[0,1,1] neg_lo:[1,0,0] neg_hi:[1,0,0]
	s_waitcnt vmcnt(12) lgkmcnt(2)
	v_pk_fma_f32 v[26:27], v[24:25], v[58:59], v[26:27] op_sel_hi:[0,1,1] neg_lo:[1,0,0] neg_hi:[1,0,0]
	;; [unrolled: 2-line block ×3, first 2 shown]
	ds_read2_b32 v[56:57], v17 offset0:36 offset1:37
	ds_read2_b32 v[58:59], v17 offset0:38 offset1:39
	;; [unrolled: 1-line block ×4, first 2 shown]
	s_waitcnt vmcnt(8) lgkmcnt(4)
	v_pk_fma_f32 v[46:47], v[24:25], v[60:61], v[46:47] op_sel_hi:[0,1,1] neg_lo:[1,0,0] neg_hi:[1,0,0]
	s_waitcnt vmcnt(6) lgkmcnt(3)
	v_pk_fma_f32 v[40:41], v[24:25], v[56:57], v[40:41] op_sel_hi:[0,1,1] neg_lo:[1,0,0] neg_hi:[1,0,0]
	;; [unrolled: 2-line block ×5, first 2 shown]
.LBB86_352:
	s_or_b64 exec, exec, s[0:1]
	v_lshl_add_u32 v52, v55, 2, v17
	s_barrier
	s_waitcnt vmcnt(22)
	ds_write_b32 v52, v25
	s_waitcnt lgkmcnt(0)
	s_barrier
	ds_read_b32 v54, v17 offset:84
	s_cmp_lt_i32 s22, 23
	v_mov_b32_e32 v52, 21
	s_cbranch_scc1 .LBB86_355
; %bb.353:
	v_add_u32_e32 v56, 0x58, v17
	v_mov_b32_e32 v52, 21
	s_mov_b32 s0, 22
.LBB86_354:                             ; =>This Inner Loop Header: Depth=1
	ds_read_b32 v57, v56
	v_mov_b32_e32 v58, s0
	s_add_i32 s0, s0, 1
	v_add_u32_e32 v56, 4, v56
	s_cmp_lg_u32 s22, s0
	s_waitcnt lgkmcnt(0)
	v_cmp_lt_f32_e64 vcc, |v54|, |v57|
	s_nop 1
	v_cndmask_b32_e32 v54, v54, v57, vcc
	v_cndmask_b32_e32 v52, v52, v58, vcc
	s_cbranch_scc1 .LBB86_354
.LBB86_355:
	s_waitcnt lgkmcnt(0)
	v_cmp_eq_f32_e32 vcc, 0, v54
	s_and_saveexec_b64 s[0:1], vcc
	s_xor_b64 s[0:1], exec, s[0:1]
; %bb.356:
	v_cmp_ne_u32_e32 vcc, 0, v19
	s_nop 1
	v_cndmask_b32_e32 v19, 22, v19, vcc
; %bb.357:
	s_andn2_saveexec_b64 s[0:1], s[0:1]
	s_cbranch_execz .LBB86_359
; %bb.358:
	v_div_scale_f32 v56, s[2:3], v54, v54, 1.0
	v_rcp_f32_e32 v57, v56
	v_div_scale_f32 v58, vcc, 1.0, v54, 1.0
	v_fma_f32 v59, -v56, v57, 1.0
	v_fmac_f32_e32 v57, v59, v57
	v_mul_f32_e32 v59, v58, v57
	v_fma_f32 v60, -v56, v59, v58
	v_fmac_f32_e32 v59, v60, v57
	v_fma_f32 v56, -v56, v59, v58
	v_div_fmas_f32 v56, v56, v57, v59
	v_div_fixup_f32 v54, v56, v54, 1.0
.LBB86_359:
	s_or_b64 exec, exec, s[0:1]
	v_cmp_ne_u32_e32 vcc, v55, v52
	s_and_saveexec_b64 s[0:1], vcc
	s_xor_b64 s[0:1], exec, s[0:1]
	s_cbranch_execz .LBB86_365
; %bb.360:
	v_cmp_eq_u32_e32 vcc, 21, v55
	s_and_saveexec_b64 s[2:3], vcc
	s_cbranch_execz .LBB86_364
; %bb.361:
	v_cmp_ne_u32_e32 vcc, 21, v52
	s_xor_b64 s[18:19], s[16:17], -1
	s_and_b64 s[20:21], s[18:19], vcc
	s_and_saveexec_b64 s[18:19], s[20:21]
	s_cbranch_execz .LBB86_363
; %bb.362:
	v_ashrrev_i32_e32 v53, 31, v52
	v_lshl_add_u64 v[56:57], v[52:53], 2, v[20:21]
	global_load_dword v53, v[56:57], off
	global_load_dword v55, v[20:21], off offset:84
	s_waitcnt vmcnt(1)
	global_store_dword v[20:21], v53, off offset:84
	s_waitcnt vmcnt(1)
	global_store_dword v[56:57], v55, off
.LBB86_363:
	s_or_b64 exec, exec, s[18:19]
	v_mov_b32_e32 v53, v52
	v_mov_b32_e32 v55, v52
.LBB86_364:
	s_or_b64 exec, exec, s[2:3]
.LBB86_365:
	s_andn2_saveexec_b64 s[0:1], s[0:1]
	s_cbranch_execz .LBB86_367
; %bb.366:
	v_mov_b32_e32 v55, 21
	s_waitcnt vmcnt(20)
	ds_write2_b32 v17, v14, v15 offset0:22 offset1:23
	s_waitcnt vmcnt(18)
	ds_write2_b32 v17, v42, v43 offset0:24 offset1:25
	;; [unrolled: 2-line block ×11, first 2 shown]
.LBB86_367:
	s_or_b64 exec, exec, s[0:1]
	v_cmp_lt_i32_e32 vcc, 21, v55
	s_waitcnt lgkmcnt(0)
	s_barrier
	s_and_saveexec_b64 s[0:1], vcc
	s_cbranch_execz .LBB86_369
; %bb.368:
	ds_read2_b32 v[56:57], v17 offset0:22 offset1:23
	ds_read2_b32 v[58:59], v17 offset0:24 offset1:25
	;; [unrolled: 1-line block ×3, first 2 shown]
	v_mul_f32_e32 v52, v54, v25
	ds_read2_b32 v[62:63], v17 offset0:28 offset1:29
	s_waitcnt vmcnt(20) lgkmcnt(3)
	v_pk_fma_f32 v[14:15], v[52:53], v[56:57], v[14:15] op_sel_hi:[0,1,1] neg_lo:[1,0,0] neg_hi:[1,0,0]
	s_waitcnt vmcnt(18) lgkmcnt(2)
	v_pk_fma_f32 v[42:43], v[52:53], v[58:59], v[42:43] op_sel_hi:[0,1,1] neg_lo:[1,0,0] neg_hi:[1,0,0]
	ds_read2_b32 v[56:57], v17 offset0:30 offset1:31
	ds_read2_b32 v[58:59], v17 offset0:32 offset1:33
	s_waitcnt vmcnt(16) lgkmcnt(3)
	v_pk_fma_f32 v[36:37], v[52:53], v[60:61], v[36:37] op_sel_hi:[0,1,1] neg_lo:[1,0,0] neg_hi:[1,0,0]
	s_waitcnt vmcnt(14) lgkmcnt(2)
	v_pk_fma_f32 v[32:33], v[52:53], v[62:63], v[32:33] op_sel_hi:[0,1,1] neg_lo:[1,0,0] neg_hi:[1,0,0]
	ds_read2_b32 v[60:61], v17 offset0:34 offset1:35
	;; [unrolled: 6-line block ×3, first 2 shown]
	ds_read2_b32 v[58:59], v17 offset0:40 offset1:41
	ds_read2_b32 v[64:65], v17 offset0:42 offset1:43
	s_waitcnt vmcnt(8) lgkmcnt(4)
	v_pk_fma_f32 v[46:47], v[52:53], v[60:61], v[46:47] op_sel_hi:[0,1,1] neg_lo:[1,0,0] neg_hi:[1,0,0]
	s_waitcnt vmcnt(6) lgkmcnt(3)
	v_pk_fma_f32 v[40:41], v[52:53], v[62:63], v[40:41] op_sel_hi:[0,1,1] neg_lo:[1,0,0] neg_hi:[1,0,0]
	;; [unrolled: 2-line block ×5, first 2 shown]
	v_mov_b32_e32 v25, v52
.LBB86_369:
	s_or_b64 exec, exec, s[0:1]
	v_lshl_add_u32 v52, v55, 2, v17
	s_barrier
	s_waitcnt vmcnt(21)
	ds_write_b32 v52, v14
	s_waitcnt lgkmcnt(0)
	s_barrier
	ds_read_b32 v54, v17 offset:88
	s_cmp_lt_i32 s22, 24
	v_mov_b32_e32 v52, 22
	s_cbranch_scc1 .LBB86_372
; %bb.370:
	v_add_u32_e32 v56, 0x5c, v17
	v_mov_b32_e32 v52, 22
	s_mov_b32 s0, 23
.LBB86_371:                             ; =>This Inner Loop Header: Depth=1
	ds_read_b32 v57, v56
	v_mov_b32_e32 v58, s0
	s_add_i32 s0, s0, 1
	v_add_u32_e32 v56, 4, v56
	s_cmp_lg_u32 s22, s0
	s_waitcnt lgkmcnt(0)
	v_cmp_lt_f32_e64 vcc, |v54|, |v57|
	s_nop 1
	v_cndmask_b32_e32 v54, v54, v57, vcc
	v_cndmask_b32_e32 v52, v52, v58, vcc
	s_cbranch_scc1 .LBB86_371
.LBB86_372:
	s_waitcnt lgkmcnt(0)
	v_cmp_eq_f32_e32 vcc, 0, v54
	s_and_saveexec_b64 s[0:1], vcc
	s_xor_b64 s[0:1], exec, s[0:1]
; %bb.373:
	v_cmp_ne_u32_e32 vcc, 0, v19
	s_nop 1
	v_cndmask_b32_e32 v19, 23, v19, vcc
; %bb.374:
	s_andn2_saveexec_b64 s[0:1], s[0:1]
	s_cbranch_execz .LBB86_376
; %bb.375:
	v_div_scale_f32 v56, s[2:3], v54, v54, 1.0
	v_rcp_f32_e32 v57, v56
	v_div_scale_f32 v58, vcc, 1.0, v54, 1.0
	v_fma_f32 v59, -v56, v57, 1.0
	v_fmac_f32_e32 v57, v59, v57
	v_mul_f32_e32 v59, v58, v57
	v_fma_f32 v60, -v56, v59, v58
	v_fmac_f32_e32 v59, v60, v57
	v_fma_f32 v56, -v56, v59, v58
	v_div_fmas_f32 v56, v56, v57, v59
	v_div_fixup_f32 v54, v56, v54, 1.0
.LBB86_376:
	s_or_b64 exec, exec, s[0:1]
	v_cmp_ne_u32_e32 vcc, v55, v52
	s_and_saveexec_b64 s[0:1], vcc
	s_xor_b64 s[0:1], exec, s[0:1]
	s_cbranch_execz .LBB86_382
; %bb.377:
	v_cmp_eq_u32_e32 vcc, 22, v55
	s_and_saveexec_b64 s[2:3], vcc
	s_cbranch_execz .LBB86_381
; %bb.378:
	v_cmp_ne_u32_e32 vcc, 22, v52
	s_xor_b64 s[18:19], s[16:17], -1
	s_and_b64 s[20:21], s[18:19], vcc
	s_and_saveexec_b64 s[18:19], s[20:21]
	s_cbranch_execz .LBB86_380
; %bb.379:
	v_ashrrev_i32_e32 v53, 31, v52
	v_lshl_add_u64 v[56:57], v[52:53], 2, v[20:21]
	global_load_dword v53, v[56:57], off
	global_load_dword v55, v[20:21], off offset:88
	s_waitcnt vmcnt(1)
	global_store_dword v[20:21], v53, off offset:88
	s_waitcnt vmcnt(1)
	global_store_dword v[56:57], v55, off
.LBB86_380:
	s_or_b64 exec, exec, s[18:19]
	v_mov_b32_e32 v53, v52
	v_mov_b32_e32 v55, v52
.LBB86_381:
	s_or_b64 exec, exec, s[2:3]
.LBB86_382:
	s_andn2_saveexec_b64 s[0:1], s[0:1]
	s_cbranch_execz .LBB86_384
; %bb.383:
	s_waitcnt vmcnt(18)
	v_pk_mov_b32 v[56:57], v[14:15], v[42:43] op_sel:[1,0]
	ds_write2_b32 v17, v56, v57 offset0:23 offset1:24
	s_waitcnt vmcnt(16)
	v_pk_mov_b32 v[56:57], v[42:43], v[36:37] op_sel:[1,0]
	ds_write2_b32 v17, v56, v57 offset0:25 offset1:26
	;; [unrolled: 3-line block ×9, first 2 shown]
	s_waitcnt vmcnt(0)
	v_pk_mov_b32 v[56:57], v[48:49], v[44:45] op_sel:[1,0]
	v_mov_b32_e32 v55, 22
	ds_write2_b32 v17, v56, v57 offset0:41 offset1:42
	ds_write_b32 v17, v45 offset:172
.LBB86_384:
	s_or_b64 exec, exec, s[0:1]
	v_cmp_lt_i32_e32 vcc, 22, v55
	s_waitcnt lgkmcnt(0)
	s_barrier
	s_and_saveexec_b64 s[0:1], vcc
	s_cbranch_execz .LBB86_386
; %bb.385:
	ds_read_b32 v52, v17 offset:92
	ds_read2_b32 v[56:57], v17 offset0:24 offset1:25
	ds_read2_b32 v[58:59], v17 offset0:26 offset1:27
	v_mul_f32_e32 v14, v54, v14
	ds_read2_b32 v[60:61], v17 offset0:28 offset1:29
	s_waitcnt vmcnt(20) lgkmcnt(3)
	v_fma_f32 v15, -v14, v52, v15
	s_waitcnt vmcnt(18) lgkmcnt(2)
	v_pk_fma_f32 v[42:43], v[14:15], v[56:57], v[42:43] op_sel_hi:[0,1,1] neg_lo:[1,0,0] neg_hi:[1,0,0]
	s_waitcnt vmcnt(16) lgkmcnt(1)
	v_pk_fma_f32 v[36:37], v[14:15], v[58:59], v[36:37] op_sel_hi:[0,1,1] neg_lo:[1,0,0] neg_hi:[1,0,0]
	ds_read2_b32 v[56:57], v17 offset0:30 offset1:31
	ds_read2_b32 v[58:59], v17 offset0:32 offset1:33
	s_waitcnt vmcnt(14) lgkmcnt(2)
	v_pk_fma_f32 v[32:33], v[14:15], v[60:61], v[32:33] op_sel_hi:[0,1,1] neg_lo:[1,0,0] neg_hi:[1,0,0]
	ds_read2_b32 v[60:61], v17 offset0:34 offset1:35
	ds_read2_b32 v[62:63], v17 offset0:36 offset1:37
	s_waitcnt vmcnt(12) lgkmcnt(3)
	v_pk_fma_f32 v[26:27], v[14:15], v[56:57], v[26:27] op_sel_hi:[0,1,1] neg_lo:[1,0,0] neg_hi:[1,0,0]
	s_waitcnt vmcnt(10) lgkmcnt(2)
	v_pk_fma_f32 v[50:51], v[14:15], v[58:59], v[50:51] op_sel_hi:[0,1,1] neg_lo:[1,0,0] neg_hi:[1,0,0]
	ds_read2_b32 v[56:57], v17 offset0:38 offset1:39
	ds_read2_b32 v[58:59], v17 offset0:40 offset1:41
	;; [unrolled: 1-line block ×3, first 2 shown]
	s_waitcnt vmcnt(8) lgkmcnt(4)
	v_pk_fma_f32 v[46:47], v[14:15], v[60:61], v[46:47] op_sel_hi:[0,1,1] neg_lo:[1,0,0] neg_hi:[1,0,0]
	s_waitcnt vmcnt(6) lgkmcnt(3)
	v_pk_fma_f32 v[40:41], v[14:15], v[62:63], v[40:41] op_sel_hi:[0,1,1] neg_lo:[1,0,0] neg_hi:[1,0,0]
	;; [unrolled: 2-line block ×5, first 2 shown]
.LBB86_386:
	s_or_b64 exec, exec, s[0:1]
	v_lshl_add_u32 v52, v55, 2, v17
	s_barrier
	s_waitcnt vmcnt(20)
	ds_write_b32 v52, v15
	s_waitcnt lgkmcnt(0)
	s_barrier
	ds_read_b32 v54, v17 offset:92
	s_cmp_lt_i32 s22, 25
	v_mov_b32_e32 v52, 23
	s_cbranch_scc1 .LBB86_389
; %bb.387:
	v_add_u32_e32 v56, 0x60, v17
	v_mov_b32_e32 v52, 23
	s_mov_b32 s0, 24
.LBB86_388:                             ; =>This Inner Loop Header: Depth=1
	ds_read_b32 v57, v56
	v_mov_b32_e32 v58, s0
	s_add_i32 s0, s0, 1
	v_add_u32_e32 v56, 4, v56
	s_cmp_lg_u32 s22, s0
	s_waitcnt lgkmcnt(0)
	v_cmp_lt_f32_e64 vcc, |v54|, |v57|
	s_nop 1
	v_cndmask_b32_e32 v54, v54, v57, vcc
	v_cndmask_b32_e32 v52, v52, v58, vcc
	s_cbranch_scc1 .LBB86_388
.LBB86_389:
	s_waitcnt lgkmcnt(0)
	v_cmp_eq_f32_e32 vcc, 0, v54
	s_and_saveexec_b64 s[0:1], vcc
	s_xor_b64 s[0:1], exec, s[0:1]
; %bb.390:
	v_cmp_ne_u32_e32 vcc, 0, v19
	s_nop 1
	v_cndmask_b32_e32 v19, 24, v19, vcc
; %bb.391:
	s_andn2_saveexec_b64 s[0:1], s[0:1]
	s_cbranch_execz .LBB86_393
; %bb.392:
	v_div_scale_f32 v56, s[2:3], v54, v54, 1.0
	v_rcp_f32_e32 v57, v56
	v_div_scale_f32 v58, vcc, 1.0, v54, 1.0
	v_fma_f32 v59, -v56, v57, 1.0
	v_fmac_f32_e32 v57, v59, v57
	v_mul_f32_e32 v59, v58, v57
	v_fma_f32 v60, -v56, v59, v58
	v_fmac_f32_e32 v59, v60, v57
	v_fma_f32 v56, -v56, v59, v58
	v_div_fmas_f32 v56, v56, v57, v59
	v_div_fixup_f32 v54, v56, v54, 1.0
.LBB86_393:
	s_or_b64 exec, exec, s[0:1]
	v_cmp_ne_u32_e32 vcc, v55, v52
	s_and_saveexec_b64 s[0:1], vcc
	s_xor_b64 s[0:1], exec, s[0:1]
	s_cbranch_execz .LBB86_399
; %bb.394:
	v_cmp_eq_u32_e32 vcc, 23, v55
	s_and_saveexec_b64 s[2:3], vcc
	s_cbranch_execz .LBB86_398
; %bb.395:
	v_cmp_ne_u32_e32 vcc, 23, v52
	s_xor_b64 s[18:19], s[16:17], -1
	s_and_b64 s[20:21], s[18:19], vcc
	s_and_saveexec_b64 s[18:19], s[20:21]
	s_cbranch_execz .LBB86_397
; %bb.396:
	v_ashrrev_i32_e32 v53, 31, v52
	v_lshl_add_u64 v[56:57], v[52:53], 2, v[20:21]
	global_load_dword v53, v[56:57], off
	global_load_dword v55, v[20:21], off offset:92
	s_waitcnt vmcnt(1)
	global_store_dword v[20:21], v53, off offset:92
	s_waitcnt vmcnt(1)
	global_store_dword v[56:57], v55, off
.LBB86_397:
	s_or_b64 exec, exec, s[18:19]
	v_mov_b32_e32 v53, v52
	v_mov_b32_e32 v55, v52
.LBB86_398:
	s_or_b64 exec, exec, s[2:3]
.LBB86_399:
	s_andn2_saveexec_b64 s[0:1], s[0:1]
	s_cbranch_execz .LBB86_401
; %bb.400:
	v_mov_b32_e32 v55, 23
	s_waitcnt vmcnt(18)
	ds_write2_b32 v17, v42, v43 offset0:24 offset1:25
	s_waitcnt vmcnt(16)
	ds_write2_b32 v17, v36, v37 offset0:26 offset1:27
	;; [unrolled: 2-line block ×10, first 2 shown]
.LBB86_401:
	s_or_b64 exec, exec, s[0:1]
	v_cmp_lt_i32_e32 vcc, 23, v55
	s_waitcnt lgkmcnt(0)
	s_barrier
	s_and_saveexec_b64 s[0:1], vcc
	s_cbranch_execz .LBB86_403
; %bb.402:
	ds_read2_b32 v[56:57], v17 offset0:24 offset1:25
	ds_read2_b32 v[58:59], v17 offset0:26 offset1:27
	ds_read2_b32 v[60:61], v17 offset0:28 offset1:29
	v_mul_f32_e32 v52, v54, v15
	ds_read2_b32 v[62:63], v17 offset0:30 offset1:31
	s_waitcnt vmcnt(18) lgkmcnt(3)
	v_pk_fma_f32 v[42:43], v[52:53], v[56:57], v[42:43] op_sel_hi:[0,1,1] neg_lo:[1,0,0] neg_hi:[1,0,0]
	ds_read2_b32 v[56:57], v17 offset0:32 offset1:33
	s_waitcnt vmcnt(16) lgkmcnt(3)
	v_pk_fma_f32 v[36:37], v[52:53], v[58:59], v[36:37] op_sel_hi:[0,1,1] neg_lo:[1,0,0] neg_hi:[1,0,0]
	s_waitcnt vmcnt(14) lgkmcnt(2)
	v_pk_fma_f32 v[32:33], v[52:53], v[60:61], v[32:33] op_sel_hi:[0,1,1] neg_lo:[1,0,0] neg_hi:[1,0,0]
	;; [unrolled: 2-line block ×3, first 2 shown]
	ds_read2_b32 v[58:59], v17 offset0:34 offset1:35
	ds_read2_b32 v[60:61], v17 offset0:36 offset1:37
	;; [unrolled: 1-line block ×3, first 2 shown]
	s_waitcnt vmcnt(10) lgkmcnt(3)
	v_pk_fma_f32 v[50:51], v[52:53], v[56:57], v[50:51] op_sel_hi:[0,1,1] neg_lo:[1,0,0] neg_hi:[1,0,0]
	ds_read2_b32 v[56:57], v17 offset0:40 offset1:41
	ds_read2_b32 v[64:65], v17 offset0:42 offset1:43
	s_waitcnt vmcnt(8) lgkmcnt(4)
	v_pk_fma_f32 v[46:47], v[52:53], v[58:59], v[46:47] op_sel_hi:[0,1,1] neg_lo:[1,0,0] neg_hi:[1,0,0]
	s_waitcnt vmcnt(6) lgkmcnt(3)
	v_pk_fma_f32 v[40:41], v[52:53], v[60:61], v[40:41] op_sel_hi:[0,1,1] neg_lo:[1,0,0] neg_hi:[1,0,0]
	;; [unrolled: 2-line block ×5, first 2 shown]
	v_mov_b32_e32 v15, v52
.LBB86_403:
	s_or_b64 exec, exec, s[0:1]
	v_lshl_add_u32 v52, v55, 2, v17
	s_barrier
	s_waitcnt vmcnt(19)
	ds_write_b32 v52, v42
	s_waitcnt lgkmcnt(0)
	s_barrier
	ds_read_b32 v54, v17 offset:96
	s_cmp_lt_i32 s22, 26
	v_mov_b32_e32 v52, 24
	s_cbranch_scc1 .LBB86_406
; %bb.404:
	v_add_u32_e32 v56, 0x64, v17
	v_mov_b32_e32 v52, 24
	s_mov_b32 s0, 25
.LBB86_405:                             ; =>This Inner Loop Header: Depth=1
	ds_read_b32 v57, v56
	v_mov_b32_e32 v58, s0
	s_add_i32 s0, s0, 1
	v_add_u32_e32 v56, 4, v56
	s_cmp_lg_u32 s22, s0
	s_waitcnt lgkmcnt(0)
	v_cmp_lt_f32_e64 vcc, |v54|, |v57|
	s_nop 1
	v_cndmask_b32_e32 v54, v54, v57, vcc
	v_cndmask_b32_e32 v52, v52, v58, vcc
	s_cbranch_scc1 .LBB86_405
.LBB86_406:
	s_waitcnt lgkmcnt(0)
	v_cmp_eq_f32_e32 vcc, 0, v54
	s_and_saveexec_b64 s[0:1], vcc
	s_xor_b64 s[0:1], exec, s[0:1]
; %bb.407:
	v_cmp_ne_u32_e32 vcc, 0, v19
	s_nop 1
	v_cndmask_b32_e32 v19, 25, v19, vcc
; %bb.408:
	s_andn2_saveexec_b64 s[0:1], s[0:1]
	s_cbranch_execz .LBB86_410
; %bb.409:
	v_div_scale_f32 v56, s[2:3], v54, v54, 1.0
	v_rcp_f32_e32 v57, v56
	v_div_scale_f32 v58, vcc, 1.0, v54, 1.0
	v_fma_f32 v59, -v56, v57, 1.0
	v_fmac_f32_e32 v57, v59, v57
	v_mul_f32_e32 v59, v58, v57
	v_fma_f32 v60, -v56, v59, v58
	v_fmac_f32_e32 v59, v60, v57
	v_fma_f32 v56, -v56, v59, v58
	v_div_fmas_f32 v56, v56, v57, v59
	v_div_fixup_f32 v54, v56, v54, 1.0
.LBB86_410:
	s_or_b64 exec, exec, s[0:1]
	v_cmp_ne_u32_e32 vcc, v55, v52
	s_and_saveexec_b64 s[0:1], vcc
	s_xor_b64 s[0:1], exec, s[0:1]
	s_cbranch_execz .LBB86_416
; %bb.411:
	v_cmp_eq_u32_e32 vcc, 24, v55
	s_and_saveexec_b64 s[2:3], vcc
	s_cbranch_execz .LBB86_415
; %bb.412:
	v_cmp_ne_u32_e32 vcc, 24, v52
	s_xor_b64 s[18:19], s[16:17], -1
	s_and_b64 s[20:21], s[18:19], vcc
	s_and_saveexec_b64 s[18:19], s[20:21]
	s_cbranch_execz .LBB86_414
; %bb.413:
	v_ashrrev_i32_e32 v53, 31, v52
	v_lshl_add_u64 v[56:57], v[52:53], 2, v[20:21]
	global_load_dword v53, v[56:57], off
	global_load_dword v55, v[20:21], off offset:96
	s_waitcnt vmcnt(1)
	global_store_dword v[20:21], v53, off offset:96
	s_waitcnt vmcnt(1)
	global_store_dword v[56:57], v55, off
.LBB86_414:
	s_or_b64 exec, exec, s[18:19]
	v_mov_b32_e32 v53, v52
	v_mov_b32_e32 v55, v52
.LBB86_415:
	s_or_b64 exec, exec, s[2:3]
.LBB86_416:
	s_andn2_saveexec_b64 s[0:1], s[0:1]
	s_cbranch_execz .LBB86_418
; %bb.417:
	s_waitcnt vmcnt(16)
	v_pk_mov_b32 v[56:57], v[42:43], v[36:37] op_sel:[1,0]
	ds_write2_b32 v17, v56, v57 offset0:25 offset1:26
	s_waitcnt vmcnt(14)
	v_pk_mov_b32 v[56:57], v[36:37], v[32:33] op_sel:[1,0]
	ds_write2_b32 v17, v56, v57 offset0:27 offset1:28
	;; [unrolled: 3-line block ×8, first 2 shown]
	s_waitcnt vmcnt(0)
	v_pk_mov_b32 v[56:57], v[48:49], v[44:45] op_sel:[1,0]
	v_mov_b32_e32 v55, 24
	ds_write2_b32 v17, v56, v57 offset0:41 offset1:42
	ds_write_b32 v17, v45 offset:172
.LBB86_418:
	s_or_b64 exec, exec, s[0:1]
	v_cmp_lt_i32_e32 vcc, 24, v55
	s_waitcnt lgkmcnt(0)
	s_barrier
	s_and_saveexec_b64 s[0:1], vcc
	s_cbranch_execz .LBB86_420
; %bb.419:
	ds_read_b32 v52, v17 offset:100
	ds_read2_b32 v[56:57], v17 offset0:26 offset1:27
	ds_read2_b32 v[58:59], v17 offset0:28 offset1:29
	v_mul_f32_e32 v42, v54, v42
	ds_read2_b32 v[60:61], v17 offset0:30 offset1:31
	s_waitcnt vmcnt(18) lgkmcnt(3)
	v_fma_f32 v43, -v42, v52, v43
	s_waitcnt vmcnt(16) lgkmcnt(2)
	v_pk_fma_f32 v[36:37], v[42:43], v[56:57], v[36:37] op_sel_hi:[0,1,1] neg_lo:[1,0,0] neg_hi:[1,0,0]
	ds_read2_b32 v[56:57], v17 offset0:32 offset1:33
	s_waitcnt vmcnt(14) lgkmcnt(2)
	v_pk_fma_f32 v[32:33], v[42:43], v[58:59], v[32:33] op_sel_hi:[0,1,1] neg_lo:[1,0,0] neg_hi:[1,0,0]
	s_waitcnt vmcnt(12) lgkmcnt(1)
	v_pk_fma_f32 v[26:27], v[42:43], v[60:61], v[26:27] op_sel_hi:[0,1,1] neg_lo:[1,0,0] neg_hi:[1,0,0]
	ds_read2_b32 v[58:59], v17 offset0:34 offset1:35
	ds_read2_b32 v[60:61], v17 offset0:36 offset1:37
	;; [unrolled: 1-line block ×3, first 2 shown]
	s_waitcnt vmcnt(10) lgkmcnt(3)
	v_pk_fma_f32 v[50:51], v[42:43], v[56:57], v[50:51] op_sel_hi:[0,1,1] neg_lo:[1,0,0] neg_hi:[1,0,0]
	ds_read2_b32 v[56:57], v17 offset0:40 offset1:41
	ds_read2_b32 v[64:65], v17 offset0:42 offset1:43
	s_waitcnt vmcnt(8) lgkmcnt(4)
	v_pk_fma_f32 v[46:47], v[42:43], v[58:59], v[46:47] op_sel_hi:[0,1,1] neg_lo:[1,0,0] neg_hi:[1,0,0]
	s_waitcnt vmcnt(6) lgkmcnt(3)
	v_pk_fma_f32 v[40:41], v[42:43], v[60:61], v[40:41] op_sel_hi:[0,1,1] neg_lo:[1,0,0] neg_hi:[1,0,0]
	;; [unrolled: 2-line block ×5, first 2 shown]
.LBB86_420:
	s_or_b64 exec, exec, s[0:1]
	v_lshl_add_u32 v52, v55, 2, v17
	s_barrier
	s_waitcnt vmcnt(18)
	ds_write_b32 v52, v43
	s_waitcnt lgkmcnt(0)
	s_barrier
	ds_read_b32 v54, v17 offset:100
	s_cmp_lt_i32 s22, 27
	v_mov_b32_e32 v52, 25
	s_cbranch_scc1 .LBB86_423
; %bb.421:
	v_add_u32_e32 v56, 0x68, v17
	v_mov_b32_e32 v52, 25
	s_mov_b32 s0, 26
.LBB86_422:                             ; =>This Inner Loop Header: Depth=1
	ds_read_b32 v57, v56
	v_mov_b32_e32 v58, s0
	s_add_i32 s0, s0, 1
	v_add_u32_e32 v56, 4, v56
	s_cmp_lg_u32 s22, s0
	s_waitcnt lgkmcnt(0)
	v_cmp_lt_f32_e64 vcc, |v54|, |v57|
	s_nop 1
	v_cndmask_b32_e32 v54, v54, v57, vcc
	v_cndmask_b32_e32 v52, v52, v58, vcc
	s_cbranch_scc1 .LBB86_422
.LBB86_423:
	s_waitcnt lgkmcnt(0)
	v_cmp_eq_f32_e32 vcc, 0, v54
	s_and_saveexec_b64 s[0:1], vcc
	s_xor_b64 s[0:1], exec, s[0:1]
; %bb.424:
	v_cmp_ne_u32_e32 vcc, 0, v19
	s_nop 1
	v_cndmask_b32_e32 v19, 26, v19, vcc
; %bb.425:
	s_andn2_saveexec_b64 s[0:1], s[0:1]
	s_cbranch_execz .LBB86_427
; %bb.426:
	v_div_scale_f32 v56, s[2:3], v54, v54, 1.0
	v_rcp_f32_e32 v57, v56
	v_div_scale_f32 v58, vcc, 1.0, v54, 1.0
	v_fma_f32 v59, -v56, v57, 1.0
	v_fmac_f32_e32 v57, v59, v57
	v_mul_f32_e32 v59, v58, v57
	v_fma_f32 v60, -v56, v59, v58
	v_fmac_f32_e32 v59, v60, v57
	v_fma_f32 v56, -v56, v59, v58
	v_div_fmas_f32 v56, v56, v57, v59
	v_div_fixup_f32 v54, v56, v54, 1.0
.LBB86_427:
	s_or_b64 exec, exec, s[0:1]
	v_cmp_ne_u32_e32 vcc, v55, v52
	s_and_saveexec_b64 s[0:1], vcc
	s_xor_b64 s[0:1], exec, s[0:1]
	s_cbranch_execz .LBB86_433
; %bb.428:
	v_cmp_eq_u32_e32 vcc, 25, v55
	s_and_saveexec_b64 s[2:3], vcc
	s_cbranch_execz .LBB86_432
; %bb.429:
	v_cmp_ne_u32_e32 vcc, 25, v52
	s_xor_b64 s[18:19], s[16:17], -1
	s_and_b64 s[20:21], s[18:19], vcc
	s_and_saveexec_b64 s[18:19], s[20:21]
	s_cbranch_execz .LBB86_431
; %bb.430:
	v_ashrrev_i32_e32 v53, 31, v52
	v_lshl_add_u64 v[56:57], v[52:53], 2, v[20:21]
	global_load_dword v53, v[56:57], off
	global_load_dword v55, v[20:21], off offset:100
	s_waitcnt vmcnt(1)
	global_store_dword v[20:21], v53, off offset:100
	s_waitcnt vmcnt(1)
	global_store_dword v[56:57], v55, off
.LBB86_431:
	s_or_b64 exec, exec, s[18:19]
	v_mov_b32_e32 v53, v52
	v_mov_b32_e32 v55, v52
.LBB86_432:
	s_or_b64 exec, exec, s[2:3]
.LBB86_433:
	s_andn2_saveexec_b64 s[0:1], s[0:1]
	s_cbranch_execz .LBB86_435
; %bb.434:
	v_mov_b32_e32 v55, 25
	s_waitcnt vmcnt(16)
	ds_write2_b32 v17, v36, v37 offset0:26 offset1:27
	s_waitcnt vmcnt(14)
	ds_write2_b32 v17, v32, v33 offset0:28 offset1:29
	;; [unrolled: 2-line block ×9, first 2 shown]
.LBB86_435:
	s_or_b64 exec, exec, s[0:1]
	v_cmp_lt_i32_e32 vcc, 25, v55
	s_waitcnt lgkmcnt(0)
	s_barrier
	s_and_saveexec_b64 s[0:1], vcc
	s_cbranch_execz .LBB86_437
; %bb.436:
	ds_read2_b32 v[56:57], v17 offset0:26 offset1:27
	ds_read2_b32 v[58:59], v17 offset0:28 offset1:29
	ds_read2_b32 v[60:61], v17 offset0:30 offset1:31
	ds_read2_b32 v[62:63], v17 offset0:32 offset1:33
	v_mul_f32_e32 v52, v54, v43
	s_waitcnt vmcnt(16) lgkmcnt(3)
	v_pk_fma_f32 v[36:37], v[52:53], v[56:57], v[36:37] op_sel_hi:[0,1,1] neg_lo:[1,0,0] neg_hi:[1,0,0]
	s_waitcnt vmcnt(14) lgkmcnt(2)
	v_pk_fma_f32 v[32:33], v[52:53], v[58:59], v[32:33] op_sel_hi:[0,1,1] neg_lo:[1,0,0] neg_hi:[1,0,0]
	;; [unrolled: 2-line block ×4, first 2 shown]
	ds_read2_b32 v[56:57], v17 offset0:34 offset1:35
	ds_read2_b32 v[58:59], v17 offset0:36 offset1:37
	;; [unrolled: 1-line block ×5, first 2 shown]
	s_waitcnt vmcnt(8) lgkmcnt(4)
	v_pk_fma_f32 v[46:47], v[52:53], v[56:57], v[46:47] op_sel_hi:[0,1,1] neg_lo:[1,0,0] neg_hi:[1,0,0]
	s_waitcnt vmcnt(6) lgkmcnt(3)
	v_pk_fma_f32 v[40:41], v[52:53], v[58:59], v[40:41] op_sel_hi:[0,1,1] neg_lo:[1,0,0] neg_hi:[1,0,0]
	;; [unrolled: 2-line block ×5, first 2 shown]
	v_mov_b32_e32 v43, v52
.LBB86_437:
	s_or_b64 exec, exec, s[0:1]
	v_lshl_add_u32 v52, v55, 2, v17
	s_barrier
	s_waitcnt vmcnt(17)
	ds_write_b32 v52, v36
	s_waitcnt lgkmcnt(0)
	s_barrier
	ds_read_b32 v54, v17 offset:104
	s_cmp_lt_i32 s22, 28
	v_mov_b32_e32 v52, 26
	s_cbranch_scc1 .LBB86_440
; %bb.438:
	v_add_u32_e32 v56, 0x6c, v17
	v_mov_b32_e32 v52, 26
	s_mov_b32 s0, 27
.LBB86_439:                             ; =>This Inner Loop Header: Depth=1
	ds_read_b32 v57, v56
	v_mov_b32_e32 v58, s0
	s_add_i32 s0, s0, 1
	v_add_u32_e32 v56, 4, v56
	s_cmp_lg_u32 s22, s0
	s_waitcnt lgkmcnt(0)
	v_cmp_lt_f32_e64 vcc, |v54|, |v57|
	s_nop 1
	v_cndmask_b32_e32 v54, v54, v57, vcc
	v_cndmask_b32_e32 v52, v52, v58, vcc
	s_cbranch_scc1 .LBB86_439
.LBB86_440:
	s_waitcnt lgkmcnt(0)
	v_cmp_eq_f32_e32 vcc, 0, v54
	s_and_saveexec_b64 s[0:1], vcc
	s_xor_b64 s[0:1], exec, s[0:1]
; %bb.441:
	v_cmp_ne_u32_e32 vcc, 0, v19
	s_nop 1
	v_cndmask_b32_e32 v19, 27, v19, vcc
; %bb.442:
	s_andn2_saveexec_b64 s[0:1], s[0:1]
	s_cbranch_execz .LBB86_444
; %bb.443:
	v_div_scale_f32 v56, s[2:3], v54, v54, 1.0
	v_rcp_f32_e32 v57, v56
	v_div_scale_f32 v58, vcc, 1.0, v54, 1.0
	v_fma_f32 v59, -v56, v57, 1.0
	v_fmac_f32_e32 v57, v59, v57
	v_mul_f32_e32 v59, v58, v57
	v_fma_f32 v60, -v56, v59, v58
	v_fmac_f32_e32 v59, v60, v57
	v_fma_f32 v56, -v56, v59, v58
	v_div_fmas_f32 v56, v56, v57, v59
	v_div_fixup_f32 v54, v56, v54, 1.0
.LBB86_444:
	s_or_b64 exec, exec, s[0:1]
	v_cmp_ne_u32_e32 vcc, v55, v52
	s_and_saveexec_b64 s[0:1], vcc
	s_xor_b64 s[0:1], exec, s[0:1]
	s_cbranch_execz .LBB86_450
; %bb.445:
	v_cmp_eq_u32_e32 vcc, 26, v55
	s_and_saveexec_b64 s[2:3], vcc
	s_cbranch_execz .LBB86_449
; %bb.446:
	v_cmp_ne_u32_e32 vcc, 26, v52
	s_xor_b64 s[18:19], s[16:17], -1
	s_and_b64 s[20:21], s[18:19], vcc
	s_and_saveexec_b64 s[18:19], s[20:21]
	s_cbranch_execz .LBB86_448
; %bb.447:
	v_ashrrev_i32_e32 v53, 31, v52
	v_lshl_add_u64 v[56:57], v[52:53], 2, v[20:21]
	global_load_dword v53, v[56:57], off
	global_load_dword v55, v[20:21], off offset:104
	s_waitcnt vmcnt(1)
	global_store_dword v[20:21], v53, off offset:104
	s_waitcnt vmcnt(1)
	global_store_dword v[56:57], v55, off
.LBB86_448:
	s_or_b64 exec, exec, s[18:19]
	v_mov_b32_e32 v53, v52
	v_mov_b32_e32 v55, v52
.LBB86_449:
	s_or_b64 exec, exec, s[2:3]
.LBB86_450:
	s_andn2_saveexec_b64 s[0:1], s[0:1]
	s_cbranch_execz .LBB86_452
; %bb.451:
	s_waitcnt vmcnt(14)
	v_pk_mov_b32 v[56:57], v[36:37], v[32:33] op_sel:[1,0]
	ds_write2_b32 v17, v56, v57 offset0:27 offset1:28
	s_waitcnt vmcnt(12)
	v_pk_mov_b32 v[56:57], v[32:33], v[26:27] op_sel:[1,0]
	ds_write2_b32 v17, v56, v57 offset0:29 offset1:30
	;; [unrolled: 3-line block ×7, first 2 shown]
	s_waitcnt vmcnt(0)
	v_pk_mov_b32 v[56:57], v[48:49], v[44:45] op_sel:[1,0]
	v_mov_b32_e32 v55, 26
	ds_write2_b32 v17, v56, v57 offset0:41 offset1:42
	ds_write_b32 v17, v45 offset:172
.LBB86_452:
	s_or_b64 exec, exec, s[0:1]
	v_cmp_lt_i32_e32 vcc, 26, v55
	s_waitcnt lgkmcnt(0)
	s_barrier
	s_and_saveexec_b64 s[0:1], vcc
	s_cbranch_execz .LBB86_454
; %bb.453:
	ds_read_b32 v52, v17 offset:108
	ds_read2_b32 v[56:57], v17 offset0:28 offset1:29
	ds_read2_b32 v[58:59], v17 offset0:30 offset1:31
	;; [unrolled: 1-line block ×3, first 2 shown]
	v_mul_f32_e32 v36, v54, v36
	s_waitcnt vmcnt(16) lgkmcnt(3)
	v_fma_f32 v37, -v36, v52, v37
	s_waitcnt vmcnt(14) lgkmcnt(2)
	v_pk_fma_f32 v[32:33], v[36:37], v[56:57], v[32:33] op_sel_hi:[0,1,1] neg_lo:[1,0,0] neg_hi:[1,0,0]
	s_waitcnt vmcnt(12) lgkmcnt(1)
	v_pk_fma_f32 v[26:27], v[36:37], v[58:59], v[26:27] op_sel_hi:[0,1,1] neg_lo:[1,0,0] neg_hi:[1,0,0]
	;; [unrolled: 2-line block ×3, first 2 shown]
	ds_read2_b32 v[56:57], v17 offset0:34 offset1:35
	ds_read2_b32 v[58:59], v17 offset0:36 offset1:37
	;; [unrolled: 1-line block ×5, first 2 shown]
	s_waitcnt vmcnt(8) lgkmcnt(4)
	v_pk_fma_f32 v[46:47], v[36:37], v[56:57], v[46:47] op_sel_hi:[0,1,1] neg_lo:[1,0,0] neg_hi:[1,0,0]
	s_waitcnt vmcnt(6) lgkmcnt(3)
	v_pk_fma_f32 v[40:41], v[36:37], v[58:59], v[40:41] op_sel_hi:[0,1,1] neg_lo:[1,0,0] neg_hi:[1,0,0]
	;; [unrolled: 2-line block ×5, first 2 shown]
.LBB86_454:
	s_or_b64 exec, exec, s[0:1]
	v_lshl_add_u32 v52, v55, 2, v17
	s_barrier
	s_waitcnt vmcnt(16)
	ds_write_b32 v52, v37
	s_waitcnt lgkmcnt(0)
	s_barrier
	ds_read_b32 v54, v17 offset:108
	s_cmp_lt_i32 s22, 29
	v_mov_b32_e32 v52, 27
	s_cbranch_scc1 .LBB86_457
; %bb.455:
	v_add_u32_e32 v56, 0x70, v17
	v_mov_b32_e32 v52, 27
	s_mov_b32 s0, 28
.LBB86_456:                             ; =>This Inner Loop Header: Depth=1
	ds_read_b32 v57, v56
	v_mov_b32_e32 v58, s0
	s_add_i32 s0, s0, 1
	v_add_u32_e32 v56, 4, v56
	s_cmp_lg_u32 s22, s0
	s_waitcnt lgkmcnt(0)
	v_cmp_lt_f32_e64 vcc, |v54|, |v57|
	s_nop 1
	v_cndmask_b32_e32 v54, v54, v57, vcc
	v_cndmask_b32_e32 v52, v52, v58, vcc
	s_cbranch_scc1 .LBB86_456
.LBB86_457:
	s_waitcnt lgkmcnt(0)
	v_cmp_eq_f32_e32 vcc, 0, v54
	s_and_saveexec_b64 s[0:1], vcc
	s_xor_b64 s[0:1], exec, s[0:1]
; %bb.458:
	v_cmp_ne_u32_e32 vcc, 0, v19
	s_nop 1
	v_cndmask_b32_e32 v19, 28, v19, vcc
; %bb.459:
	s_andn2_saveexec_b64 s[0:1], s[0:1]
	s_cbranch_execz .LBB86_461
; %bb.460:
	v_div_scale_f32 v56, s[2:3], v54, v54, 1.0
	v_rcp_f32_e32 v57, v56
	v_div_scale_f32 v58, vcc, 1.0, v54, 1.0
	v_fma_f32 v59, -v56, v57, 1.0
	v_fmac_f32_e32 v57, v59, v57
	v_mul_f32_e32 v59, v58, v57
	v_fma_f32 v60, -v56, v59, v58
	v_fmac_f32_e32 v59, v60, v57
	v_fma_f32 v56, -v56, v59, v58
	v_div_fmas_f32 v56, v56, v57, v59
	v_div_fixup_f32 v54, v56, v54, 1.0
.LBB86_461:
	s_or_b64 exec, exec, s[0:1]
	v_cmp_ne_u32_e32 vcc, v55, v52
	s_and_saveexec_b64 s[0:1], vcc
	s_xor_b64 s[0:1], exec, s[0:1]
	s_cbranch_execz .LBB86_467
; %bb.462:
	v_cmp_eq_u32_e32 vcc, 27, v55
	s_and_saveexec_b64 s[2:3], vcc
	s_cbranch_execz .LBB86_466
; %bb.463:
	v_cmp_ne_u32_e32 vcc, 27, v52
	s_xor_b64 s[18:19], s[16:17], -1
	s_and_b64 s[20:21], s[18:19], vcc
	s_and_saveexec_b64 s[18:19], s[20:21]
	s_cbranch_execz .LBB86_465
; %bb.464:
	v_ashrrev_i32_e32 v53, 31, v52
	v_lshl_add_u64 v[56:57], v[52:53], 2, v[20:21]
	global_load_dword v53, v[56:57], off
	global_load_dword v55, v[20:21], off offset:108
	s_waitcnt vmcnt(1)
	global_store_dword v[20:21], v53, off offset:108
	s_waitcnt vmcnt(1)
	global_store_dword v[56:57], v55, off
.LBB86_465:
	s_or_b64 exec, exec, s[18:19]
	v_mov_b32_e32 v53, v52
	v_mov_b32_e32 v55, v52
.LBB86_466:
	s_or_b64 exec, exec, s[2:3]
.LBB86_467:
	s_andn2_saveexec_b64 s[0:1], s[0:1]
	s_cbranch_execz .LBB86_469
; %bb.468:
	v_mov_b32_e32 v55, 27
	s_waitcnt vmcnt(14)
	ds_write2_b32 v17, v32, v33 offset0:28 offset1:29
	s_waitcnt vmcnt(12)
	ds_write2_b32 v17, v26, v27 offset0:30 offset1:31
	;; [unrolled: 2-line block ×8, first 2 shown]
.LBB86_469:
	s_or_b64 exec, exec, s[0:1]
	v_cmp_lt_i32_e32 vcc, 27, v55
	s_waitcnt lgkmcnt(0)
	s_barrier
	s_and_saveexec_b64 s[0:1], vcc
	s_cbranch_execz .LBB86_471
; %bb.470:
	ds_read2_b32 v[56:57], v17 offset0:28 offset1:29
	ds_read2_b32 v[58:59], v17 offset0:30 offset1:31
	;; [unrolled: 1-line block ×3, first 2 shown]
	v_mul_f32_e32 v52, v54, v37
	ds_read2_b32 v[62:63], v17 offset0:34 offset1:35
	s_waitcnt vmcnt(14) lgkmcnt(3)
	v_pk_fma_f32 v[32:33], v[52:53], v[56:57], v[32:33] op_sel_hi:[0,1,1] neg_lo:[1,0,0] neg_hi:[1,0,0]
	s_waitcnt vmcnt(12) lgkmcnt(2)
	v_pk_fma_f32 v[26:27], v[52:53], v[58:59], v[26:27] op_sel_hi:[0,1,1] neg_lo:[1,0,0] neg_hi:[1,0,0]
	;; [unrolled: 2-line block ×3, first 2 shown]
	ds_read2_b32 v[56:57], v17 offset0:36 offset1:37
	ds_read2_b32 v[58:59], v17 offset0:38 offset1:39
	;; [unrolled: 1-line block ×4, first 2 shown]
	s_waitcnt vmcnt(8) lgkmcnt(4)
	v_pk_fma_f32 v[46:47], v[52:53], v[62:63], v[46:47] op_sel_hi:[0,1,1] neg_lo:[1,0,0] neg_hi:[1,0,0]
	s_waitcnt vmcnt(6) lgkmcnt(3)
	v_pk_fma_f32 v[40:41], v[52:53], v[56:57], v[40:41] op_sel_hi:[0,1,1] neg_lo:[1,0,0] neg_hi:[1,0,0]
	;; [unrolled: 2-line block ×5, first 2 shown]
	v_mov_b32_e32 v37, v52
.LBB86_471:
	s_or_b64 exec, exec, s[0:1]
	v_lshl_add_u32 v52, v55, 2, v17
	s_barrier
	s_waitcnt vmcnt(15)
	ds_write_b32 v52, v32
	s_waitcnt lgkmcnt(0)
	s_barrier
	ds_read_b32 v54, v17 offset:112
	s_cmp_lt_i32 s22, 30
	v_mov_b32_e32 v52, 28
	s_cbranch_scc1 .LBB86_474
; %bb.472:
	v_add_u32_e32 v56, 0x74, v17
	v_mov_b32_e32 v52, 28
	s_mov_b32 s0, 29
.LBB86_473:                             ; =>This Inner Loop Header: Depth=1
	ds_read_b32 v57, v56
	v_mov_b32_e32 v58, s0
	s_add_i32 s0, s0, 1
	v_add_u32_e32 v56, 4, v56
	s_cmp_lg_u32 s22, s0
	s_waitcnt lgkmcnt(0)
	v_cmp_lt_f32_e64 vcc, |v54|, |v57|
	s_nop 1
	v_cndmask_b32_e32 v54, v54, v57, vcc
	v_cndmask_b32_e32 v52, v52, v58, vcc
	s_cbranch_scc1 .LBB86_473
.LBB86_474:
	s_waitcnt lgkmcnt(0)
	v_cmp_eq_f32_e32 vcc, 0, v54
	s_and_saveexec_b64 s[0:1], vcc
	s_xor_b64 s[0:1], exec, s[0:1]
; %bb.475:
	v_cmp_ne_u32_e32 vcc, 0, v19
	s_nop 1
	v_cndmask_b32_e32 v19, 29, v19, vcc
; %bb.476:
	s_andn2_saveexec_b64 s[0:1], s[0:1]
	s_cbranch_execz .LBB86_478
; %bb.477:
	v_div_scale_f32 v56, s[2:3], v54, v54, 1.0
	v_rcp_f32_e32 v57, v56
	v_div_scale_f32 v58, vcc, 1.0, v54, 1.0
	v_fma_f32 v59, -v56, v57, 1.0
	v_fmac_f32_e32 v57, v59, v57
	v_mul_f32_e32 v59, v58, v57
	v_fma_f32 v60, -v56, v59, v58
	v_fmac_f32_e32 v59, v60, v57
	v_fma_f32 v56, -v56, v59, v58
	v_div_fmas_f32 v56, v56, v57, v59
	v_div_fixup_f32 v54, v56, v54, 1.0
.LBB86_478:
	s_or_b64 exec, exec, s[0:1]
	v_cmp_ne_u32_e32 vcc, v55, v52
	s_and_saveexec_b64 s[0:1], vcc
	s_xor_b64 s[0:1], exec, s[0:1]
	s_cbranch_execz .LBB86_484
; %bb.479:
	v_cmp_eq_u32_e32 vcc, 28, v55
	s_and_saveexec_b64 s[2:3], vcc
	s_cbranch_execz .LBB86_483
; %bb.480:
	v_cmp_ne_u32_e32 vcc, 28, v52
	s_xor_b64 s[18:19], s[16:17], -1
	s_and_b64 s[20:21], s[18:19], vcc
	s_and_saveexec_b64 s[18:19], s[20:21]
	s_cbranch_execz .LBB86_482
; %bb.481:
	v_ashrrev_i32_e32 v53, 31, v52
	v_lshl_add_u64 v[56:57], v[52:53], 2, v[20:21]
	global_load_dword v53, v[56:57], off
	global_load_dword v55, v[20:21], off offset:112
	s_waitcnt vmcnt(1)
	global_store_dword v[20:21], v53, off offset:112
	s_waitcnt vmcnt(1)
	global_store_dword v[56:57], v55, off
.LBB86_482:
	s_or_b64 exec, exec, s[18:19]
	v_mov_b32_e32 v53, v52
	v_mov_b32_e32 v55, v52
.LBB86_483:
	s_or_b64 exec, exec, s[2:3]
.LBB86_484:
	s_andn2_saveexec_b64 s[0:1], s[0:1]
	s_cbranch_execz .LBB86_486
; %bb.485:
	s_waitcnt vmcnt(12)
	v_pk_mov_b32 v[56:57], v[32:33], v[26:27] op_sel:[1,0]
	ds_write2_b32 v17, v56, v57 offset0:29 offset1:30
	s_waitcnt vmcnt(10)
	v_pk_mov_b32 v[56:57], v[26:27], v[50:51] op_sel:[1,0]
	ds_write2_b32 v17, v56, v57 offset0:31 offset1:32
	;; [unrolled: 3-line block ×6, first 2 shown]
	s_waitcnt vmcnt(0)
	v_pk_mov_b32 v[56:57], v[48:49], v[44:45] op_sel:[1,0]
	v_mov_b32_e32 v55, 28
	ds_write2_b32 v17, v56, v57 offset0:41 offset1:42
	ds_write_b32 v17, v45 offset:172
.LBB86_486:
	s_or_b64 exec, exec, s[0:1]
	v_cmp_lt_i32_e32 vcc, 28, v55
	s_waitcnt lgkmcnt(0)
	s_barrier
	s_and_saveexec_b64 s[0:1], vcc
	s_cbranch_execz .LBB86_488
; %bb.487:
	ds_read_b32 v52, v17 offset:116
	ds_read2_b32 v[56:57], v17 offset0:30 offset1:31
	ds_read2_b32 v[58:59], v17 offset0:32 offset1:33
	v_mul_f32_e32 v32, v54, v32
	ds_read2_b32 v[60:61], v17 offset0:34 offset1:35
	s_waitcnt vmcnt(14) lgkmcnt(3)
	v_fma_f32 v33, -v32, v52, v33
	s_waitcnt vmcnt(12) lgkmcnt(2)
	v_pk_fma_f32 v[26:27], v[32:33], v[56:57], v[26:27] op_sel_hi:[0,1,1] neg_lo:[1,0,0] neg_hi:[1,0,0]
	s_waitcnt vmcnt(10) lgkmcnt(1)
	v_pk_fma_f32 v[50:51], v[32:33], v[58:59], v[50:51] op_sel_hi:[0,1,1] neg_lo:[1,0,0] neg_hi:[1,0,0]
	ds_read2_b32 v[56:57], v17 offset0:36 offset1:37
	ds_read2_b32 v[58:59], v17 offset0:38 offset1:39
	;; [unrolled: 1-line block ×4, first 2 shown]
	s_waitcnt vmcnt(8) lgkmcnt(4)
	v_pk_fma_f32 v[46:47], v[32:33], v[60:61], v[46:47] op_sel_hi:[0,1,1] neg_lo:[1,0,0] neg_hi:[1,0,0]
	s_waitcnt vmcnt(6) lgkmcnt(3)
	v_pk_fma_f32 v[40:41], v[32:33], v[56:57], v[40:41] op_sel_hi:[0,1,1] neg_lo:[1,0,0] neg_hi:[1,0,0]
	;; [unrolled: 2-line block ×5, first 2 shown]
.LBB86_488:
	s_or_b64 exec, exec, s[0:1]
	v_lshl_add_u32 v52, v55, 2, v17
	s_barrier
	s_waitcnt vmcnt(14)
	ds_write_b32 v52, v33
	s_waitcnt lgkmcnt(0)
	s_barrier
	ds_read_b32 v54, v17 offset:116
	s_cmp_lt_i32 s22, 31
	v_mov_b32_e32 v52, 29
	s_cbranch_scc1 .LBB86_491
; %bb.489:
	v_add_u32_e32 v56, 0x78, v17
	v_mov_b32_e32 v52, 29
	s_mov_b32 s0, 30
.LBB86_490:                             ; =>This Inner Loop Header: Depth=1
	ds_read_b32 v57, v56
	v_mov_b32_e32 v58, s0
	s_add_i32 s0, s0, 1
	v_add_u32_e32 v56, 4, v56
	s_cmp_lg_u32 s22, s0
	s_waitcnt lgkmcnt(0)
	v_cmp_lt_f32_e64 vcc, |v54|, |v57|
	s_nop 1
	v_cndmask_b32_e32 v54, v54, v57, vcc
	v_cndmask_b32_e32 v52, v52, v58, vcc
	s_cbranch_scc1 .LBB86_490
.LBB86_491:
	s_waitcnt lgkmcnt(0)
	v_cmp_eq_f32_e32 vcc, 0, v54
	s_and_saveexec_b64 s[0:1], vcc
	s_xor_b64 s[0:1], exec, s[0:1]
; %bb.492:
	v_cmp_ne_u32_e32 vcc, 0, v19
	s_nop 1
	v_cndmask_b32_e32 v19, 30, v19, vcc
; %bb.493:
	s_andn2_saveexec_b64 s[0:1], s[0:1]
	s_cbranch_execz .LBB86_495
; %bb.494:
	v_div_scale_f32 v56, s[2:3], v54, v54, 1.0
	v_rcp_f32_e32 v57, v56
	v_div_scale_f32 v58, vcc, 1.0, v54, 1.0
	v_fma_f32 v59, -v56, v57, 1.0
	v_fmac_f32_e32 v57, v59, v57
	v_mul_f32_e32 v59, v58, v57
	v_fma_f32 v60, -v56, v59, v58
	v_fmac_f32_e32 v59, v60, v57
	v_fma_f32 v56, -v56, v59, v58
	v_div_fmas_f32 v56, v56, v57, v59
	v_div_fixup_f32 v54, v56, v54, 1.0
.LBB86_495:
	s_or_b64 exec, exec, s[0:1]
	v_cmp_ne_u32_e32 vcc, v55, v52
	s_and_saveexec_b64 s[0:1], vcc
	s_xor_b64 s[0:1], exec, s[0:1]
	s_cbranch_execz .LBB86_501
; %bb.496:
	v_cmp_eq_u32_e32 vcc, 29, v55
	s_and_saveexec_b64 s[2:3], vcc
	s_cbranch_execz .LBB86_500
; %bb.497:
	v_cmp_ne_u32_e32 vcc, 29, v52
	s_xor_b64 s[18:19], s[16:17], -1
	s_and_b64 s[20:21], s[18:19], vcc
	s_and_saveexec_b64 s[18:19], s[20:21]
	s_cbranch_execz .LBB86_499
; %bb.498:
	v_ashrrev_i32_e32 v53, 31, v52
	v_lshl_add_u64 v[56:57], v[52:53], 2, v[20:21]
	global_load_dword v53, v[56:57], off
	global_load_dword v55, v[20:21], off offset:116
	s_waitcnt vmcnt(1)
	global_store_dword v[20:21], v53, off offset:116
	s_waitcnt vmcnt(1)
	global_store_dword v[56:57], v55, off
.LBB86_499:
	s_or_b64 exec, exec, s[18:19]
	v_mov_b32_e32 v53, v52
	v_mov_b32_e32 v55, v52
.LBB86_500:
	s_or_b64 exec, exec, s[2:3]
.LBB86_501:
	s_andn2_saveexec_b64 s[0:1], s[0:1]
	s_cbranch_execz .LBB86_503
; %bb.502:
	v_mov_b32_e32 v55, 29
	s_waitcnt vmcnt(12)
	ds_write2_b32 v17, v26, v27 offset0:30 offset1:31
	s_waitcnt vmcnt(10)
	ds_write2_b32 v17, v50, v51 offset0:32 offset1:33
	;; [unrolled: 2-line block ×7, first 2 shown]
.LBB86_503:
	s_or_b64 exec, exec, s[0:1]
	v_cmp_lt_i32_e32 vcc, 29, v55
	s_waitcnt lgkmcnt(0)
	s_barrier
	s_and_saveexec_b64 s[0:1], vcc
	s_cbranch_execz .LBB86_505
; %bb.504:
	ds_read2_b32 v[56:57], v17 offset0:30 offset1:31
	ds_read2_b32 v[58:59], v17 offset0:32 offset1:33
	v_mul_f32_e32 v52, v54, v33
	ds_read2_b32 v[60:61], v17 offset0:34 offset1:35
	ds_read2_b32 v[62:63], v17 offset0:36 offset1:37
	v_mov_b32_e32 v33, v52
	s_waitcnt vmcnt(12) lgkmcnt(3)
	v_pk_fma_f32 v[26:27], v[52:53], v[56:57], v[26:27] op_sel_hi:[0,1,1] neg_lo:[1,0,0] neg_hi:[1,0,0]
	s_waitcnt vmcnt(10) lgkmcnt(2)
	v_pk_fma_f32 v[50:51], v[52:53], v[58:59], v[50:51] op_sel_hi:[0,1,1] neg_lo:[1,0,0] neg_hi:[1,0,0]
	ds_read2_b32 v[56:57], v17 offset0:38 offset1:39
	ds_read2_b32 v[58:59], v17 offset0:40 offset1:41
	ds_read2_b32 v[64:65], v17 offset0:42 offset1:43
	s_waitcnt vmcnt(8) lgkmcnt(4)
	v_pk_fma_f32 v[46:47], v[52:53], v[60:61], v[46:47] op_sel_hi:[0,1,1] neg_lo:[1,0,0] neg_hi:[1,0,0]
	s_waitcnt vmcnt(6) lgkmcnt(3)
	v_pk_fma_f32 v[40:41], v[52:53], v[62:63], v[40:41] op_sel_hi:[0,1,1] neg_lo:[1,0,0] neg_hi:[1,0,0]
	;; [unrolled: 2-line block ×5, first 2 shown]
.LBB86_505:
	s_or_b64 exec, exec, s[0:1]
	v_lshl_add_u32 v52, v55, 2, v17
	s_barrier
	s_waitcnt vmcnt(13)
	ds_write_b32 v52, v26
	s_waitcnt lgkmcnt(0)
	s_barrier
	ds_read_b32 v54, v17 offset:120
	s_cmp_lt_i32 s22, 32
	v_mov_b32_e32 v52, 30
	s_cbranch_scc1 .LBB86_508
; %bb.506:
	v_add_u32_e32 v56, 0x7c, v17
	v_mov_b32_e32 v52, 30
	s_mov_b32 s0, 31
.LBB86_507:                             ; =>This Inner Loop Header: Depth=1
	ds_read_b32 v57, v56
	v_mov_b32_e32 v58, s0
	s_add_i32 s0, s0, 1
	v_add_u32_e32 v56, 4, v56
	s_cmp_lg_u32 s22, s0
	s_waitcnt lgkmcnt(0)
	v_cmp_lt_f32_e64 vcc, |v54|, |v57|
	s_nop 1
	v_cndmask_b32_e32 v54, v54, v57, vcc
	v_cndmask_b32_e32 v52, v52, v58, vcc
	s_cbranch_scc1 .LBB86_507
.LBB86_508:
	s_waitcnt lgkmcnt(0)
	v_cmp_eq_f32_e32 vcc, 0, v54
	s_and_saveexec_b64 s[0:1], vcc
	s_xor_b64 s[0:1], exec, s[0:1]
; %bb.509:
	v_cmp_ne_u32_e32 vcc, 0, v19
	s_nop 1
	v_cndmask_b32_e32 v19, 31, v19, vcc
; %bb.510:
	s_andn2_saveexec_b64 s[0:1], s[0:1]
	s_cbranch_execz .LBB86_512
; %bb.511:
	v_div_scale_f32 v56, s[2:3], v54, v54, 1.0
	v_rcp_f32_e32 v57, v56
	v_div_scale_f32 v58, vcc, 1.0, v54, 1.0
	v_fma_f32 v59, -v56, v57, 1.0
	v_fmac_f32_e32 v57, v59, v57
	v_mul_f32_e32 v59, v58, v57
	v_fma_f32 v60, -v56, v59, v58
	v_fmac_f32_e32 v59, v60, v57
	v_fma_f32 v56, -v56, v59, v58
	v_div_fmas_f32 v56, v56, v57, v59
	v_div_fixup_f32 v54, v56, v54, 1.0
.LBB86_512:
	s_or_b64 exec, exec, s[0:1]
	v_cmp_ne_u32_e32 vcc, v55, v52
	s_and_saveexec_b64 s[0:1], vcc
	s_xor_b64 s[0:1], exec, s[0:1]
	s_cbranch_execz .LBB86_518
; %bb.513:
	v_cmp_eq_u32_e32 vcc, 30, v55
	s_and_saveexec_b64 s[2:3], vcc
	s_cbranch_execz .LBB86_517
; %bb.514:
	v_cmp_ne_u32_e32 vcc, 30, v52
	s_xor_b64 s[18:19], s[16:17], -1
	s_and_b64 s[20:21], s[18:19], vcc
	s_and_saveexec_b64 s[18:19], s[20:21]
	s_cbranch_execz .LBB86_516
; %bb.515:
	v_ashrrev_i32_e32 v53, 31, v52
	v_lshl_add_u64 v[56:57], v[52:53], 2, v[20:21]
	global_load_dword v53, v[56:57], off
	global_load_dword v55, v[20:21], off offset:120
	s_waitcnt vmcnt(1)
	global_store_dword v[20:21], v53, off offset:120
	s_waitcnt vmcnt(1)
	global_store_dword v[56:57], v55, off
.LBB86_516:
	s_or_b64 exec, exec, s[18:19]
	v_mov_b32_e32 v53, v52
	v_mov_b32_e32 v55, v52
.LBB86_517:
	s_or_b64 exec, exec, s[2:3]
.LBB86_518:
	s_andn2_saveexec_b64 s[0:1], s[0:1]
	s_cbranch_execz .LBB86_520
; %bb.519:
	s_waitcnt vmcnt(10)
	v_pk_mov_b32 v[56:57], v[26:27], v[50:51] op_sel:[1,0]
	ds_write2_b32 v17, v56, v57 offset0:31 offset1:32
	s_waitcnt vmcnt(8)
	v_pk_mov_b32 v[56:57], v[50:51], v[46:47] op_sel:[1,0]
	ds_write2_b32 v17, v56, v57 offset0:33 offset1:34
	;; [unrolled: 3-line block ×5, first 2 shown]
	s_waitcnt vmcnt(0)
	v_pk_mov_b32 v[56:57], v[48:49], v[44:45] op_sel:[1,0]
	v_mov_b32_e32 v55, 30
	ds_write2_b32 v17, v56, v57 offset0:41 offset1:42
	ds_write_b32 v17, v45 offset:172
.LBB86_520:
	s_or_b64 exec, exec, s[0:1]
	v_cmp_lt_i32_e32 vcc, 30, v55
	s_waitcnt lgkmcnt(0)
	s_barrier
	s_and_saveexec_b64 s[0:1], vcc
	s_cbranch_execz .LBB86_522
; %bb.521:
	ds_read_b32 v52, v17 offset:124
	ds_read2_b32 v[56:57], v17 offset0:32 offset1:33
	v_mul_f32_e32 v26, v54, v26
	ds_read2_b32 v[58:59], v17 offset0:34 offset1:35
	ds_read2_b32 v[60:61], v17 offset0:36 offset1:37
	s_waitcnt vmcnt(12) lgkmcnt(3)
	v_fma_f32 v27, -v26, v52, v27
	s_waitcnt vmcnt(10) lgkmcnt(2)
	v_pk_fma_f32 v[50:51], v[26:27], v[56:57], v[50:51] op_sel_hi:[0,1,1] neg_lo:[1,0,0] neg_hi:[1,0,0]
	ds_read2_b32 v[56:57], v17 offset0:38 offset1:39
	ds_read2_b32 v[62:63], v17 offset0:40 offset1:41
	;; [unrolled: 1-line block ×3, first 2 shown]
	s_waitcnt vmcnt(8) lgkmcnt(4)
	v_pk_fma_f32 v[46:47], v[26:27], v[58:59], v[46:47] op_sel_hi:[0,1,1] neg_lo:[1,0,0] neg_hi:[1,0,0]
	s_waitcnt vmcnt(6) lgkmcnt(3)
	v_pk_fma_f32 v[40:41], v[26:27], v[60:61], v[40:41] op_sel_hi:[0,1,1] neg_lo:[1,0,0] neg_hi:[1,0,0]
	s_waitcnt vmcnt(4) lgkmcnt(2)
	v_pk_fma_f32 v[38:39], v[26:27], v[56:57], v[38:39] op_sel_hi:[0,1,1] neg_lo:[1,0,0] neg_hi:[1,0,0]
	s_waitcnt vmcnt(2) lgkmcnt(1)
	v_pk_fma_f32 v[48:49], v[26:27], v[62:63], v[48:49] op_sel_hi:[0,1,1] neg_lo:[1,0,0] neg_hi:[1,0,0]
	s_waitcnt vmcnt(0) lgkmcnt(0)
	v_pk_fma_f32 v[44:45], v[26:27], v[64:65], v[44:45] op_sel_hi:[0,1,1] neg_lo:[1,0,0] neg_hi:[1,0,0]
.LBB86_522:
	s_or_b64 exec, exec, s[0:1]
	v_lshl_add_u32 v52, v55, 2, v17
	s_barrier
	s_waitcnt vmcnt(12)
	ds_write_b32 v52, v27
	s_waitcnt lgkmcnt(0)
	s_barrier
	ds_read_b32 v54, v17 offset:124
	s_cmp_lt_i32 s22, 33
	v_mov_b32_e32 v52, 31
	s_cbranch_scc1 .LBB86_525
; %bb.523:
	v_add_u32_e32 v56, 0x80, v17
	v_mov_b32_e32 v52, 31
	s_mov_b32 s0, 32
.LBB86_524:                             ; =>This Inner Loop Header: Depth=1
	ds_read_b32 v57, v56
	v_mov_b32_e32 v58, s0
	s_add_i32 s0, s0, 1
	v_add_u32_e32 v56, 4, v56
	s_cmp_lg_u32 s22, s0
	s_waitcnt lgkmcnt(0)
	v_cmp_lt_f32_e64 vcc, |v54|, |v57|
	s_nop 1
	v_cndmask_b32_e32 v54, v54, v57, vcc
	v_cndmask_b32_e32 v52, v52, v58, vcc
	s_cbranch_scc1 .LBB86_524
.LBB86_525:
	s_waitcnt lgkmcnt(0)
	v_cmp_eq_f32_e32 vcc, 0, v54
	s_and_saveexec_b64 s[0:1], vcc
	s_xor_b64 s[0:1], exec, s[0:1]
; %bb.526:
	v_cmp_ne_u32_e32 vcc, 0, v19
	s_nop 1
	v_cndmask_b32_e32 v19, 32, v19, vcc
; %bb.527:
	s_andn2_saveexec_b64 s[0:1], s[0:1]
	s_cbranch_execz .LBB86_529
; %bb.528:
	v_div_scale_f32 v56, s[2:3], v54, v54, 1.0
	v_rcp_f32_e32 v57, v56
	v_div_scale_f32 v58, vcc, 1.0, v54, 1.0
	v_fma_f32 v59, -v56, v57, 1.0
	v_fmac_f32_e32 v57, v59, v57
	v_mul_f32_e32 v59, v58, v57
	v_fma_f32 v60, -v56, v59, v58
	v_fmac_f32_e32 v59, v60, v57
	v_fma_f32 v56, -v56, v59, v58
	v_div_fmas_f32 v56, v56, v57, v59
	v_div_fixup_f32 v54, v56, v54, 1.0
.LBB86_529:
	s_or_b64 exec, exec, s[0:1]
	v_cmp_ne_u32_e32 vcc, v55, v52
	s_and_saveexec_b64 s[0:1], vcc
	s_xor_b64 s[0:1], exec, s[0:1]
	s_cbranch_execz .LBB86_535
; %bb.530:
	v_cmp_eq_u32_e32 vcc, 31, v55
	s_and_saveexec_b64 s[2:3], vcc
	s_cbranch_execz .LBB86_534
; %bb.531:
	v_cmp_ne_u32_e32 vcc, 31, v52
	s_xor_b64 s[18:19], s[16:17], -1
	s_and_b64 s[20:21], s[18:19], vcc
	s_and_saveexec_b64 s[18:19], s[20:21]
	s_cbranch_execz .LBB86_533
; %bb.532:
	v_ashrrev_i32_e32 v53, 31, v52
	v_lshl_add_u64 v[56:57], v[52:53], 2, v[20:21]
	global_load_dword v53, v[56:57], off
	global_load_dword v55, v[20:21], off offset:124
	s_waitcnt vmcnt(1)
	global_store_dword v[20:21], v53, off offset:124
	s_waitcnt vmcnt(1)
	global_store_dword v[56:57], v55, off
.LBB86_533:
	s_or_b64 exec, exec, s[18:19]
	v_mov_b32_e32 v53, v52
	v_mov_b32_e32 v55, v52
.LBB86_534:
	s_or_b64 exec, exec, s[2:3]
.LBB86_535:
	s_andn2_saveexec_b64 s[0:1], s[0:1]
	s_cbranch_execz .LBB86_537
; %bb.536:
	v_mov_b32_e32 v55, 31
	s_waitcnt vmcnt(10)
	ds_write2_b32 v17, v50, v51 offset0:32 offset1:33
	s_waitcnt vmcnt(8)
	ds_write2_b32 v17, v46, v47 offset0:34 offset1:35
	;; [unrolled: 2-line block ×6, first 2 shown]
.LBB86_537:
	s_or_b64 exec, exec, s[0:1]
	v_cmp_lt_i32_e32 vcc, 31, v55
	s_waitcnt lgkmcnt(0)
	s_barrier
	s_and_saveexec_b64 s[0:1], vcc
	s_cbranch_execz .LBB86_539
; %bb.538:
	ds_read2_b32 v[56:57], v17 offset0:32 offset1:33
	v_mul_f32_e32 v52, v54, v27
	ds_read2_b32 v[58:59], v17 offset0:34 offset1:35
	ds_read2_b32 v[60:61], v17 offset0:36 offset1:37
	;; [unrolled: 1-line block ×3, first 2 shown]
	v_mov_b32_e32 v27, v52
	s_waitcnt vmcnt(8) lgkmcnt(2)
	v_pk_fma_f32 v[46:47], v[52:53], v[58:59], v[46:47] op_sel_hi:[0,1,1] neg_lo:[1,0,0] neg_hi:[1,0,0]
	v_pk_fma_f32 v[50:51], v[52:53], v[56:57], v[50:51] op_sel_hi:[0,1,1] neg_lo:[1,0,0] neg_hi:[1,0,0]
	ds_read2_b32 v[56:57], v17 offset0:40 offset1:41
	ds_read2_b32 v[64:65], v17 offset0:42 offset1:43
	s_waitcnt vmcnt(6) lgkmcnt(3)
	v_pk_fma_f32 v[40:41], v[52:53], v[60:61], v[40:41] op_sel_hi:[0,1,1] neg_lo:[1,0,0] neg_hi:[1,0,0]
	s_waitcnt vmcnt(4) lgkmcnt(2)
	v_pk_fma_f32 v[38:39], v[52:53], v[62:63], v[38:39] op_sel_hi:[0,1,1] neg_lo:[1,0,0] neg_hi:[1,0,0]
	;; [unrolled: 2-line block ×4, first 2 shown]
.LBB86_539:
	s_or_b64 exec, exec, s[0:1]
	v_lshl_add_u32 v52, v55, 2, v17
	s_barrier
	s_waitcnt vmcnt(11)
	ds_write_b32 v52, v50
	s_waitcnt lgkmcnt(0)
	s_barrier
	ds_read_b32 v54, v17 offset:128
	s_cmp_lt_i32 s22, 34
	v_mov_b32_e32 v52, 32
	s_cbranch_scc1 .LBB86_542
; %bb.540:
	v_add_u32_e32 v56, 0x84, v17
	v_mov_b32_e32 v52, 32
	s_mov_b32 s0, 33
.LBB86_541:                             ; =>This Inner Loop Header: Depth=1
	ds_read_b32 v57, v56
	v_mov_b32_e32 v58, s0
	s_add_i32 s0, s0, 1
	v_add_u32_e32 v56, 4, v56
	s_cmp_lg_u32 s22, s0
	s_waitcnt lgkmcnt(0)
	v_cmp_lt_f32_e64 vcc, |v54|, |v57|
	s_nop 1
	v_cndmask_b32_e32 v54, v54, v57, vcc
	v_cndmask_b32_e32 v52, v52, v58, vcc
	s_cbranch_scc1 .LBB86_541
.LBB86_542:
	s_waitcnt lgkmcnt(0)
	v_cmp_eq_f32_e32 vcc, 0, v54
	s_and_saveexec_b64 s[0:1], vcc
	s_xor_b64 s[0:1], exec, s[0:1]
; %bb.543:
	v_cmp_ne_u32_e32 vcc, 0, v19
	s_nop 1
	v_cndmask_b32_e32 v19, 33, v19, vcc
; %bb.544:
	s_andn2_saveexec_b64 s[0:1], s[0:1]
	s_cbranch_execz .LBB86_546
; %bb.545:
	v_div_scale_f32 v56, s[2:3], v54, v54, 1.0
	v_rcp_f32_e32 v57, v56
	v_div_scale_f32 v58, vcc, 1.0, v54, 1.0
	v_fma_f32 v59, -v56, v57, 1.0
	v_fmac_f32_e32 v57, v59, v57
	v_mul_f32_e32 v59, v58, v57
	v_fma_f32 v60, -v56, v59, v58
	v_fmac_f32_e32 v59, v60, v57
	v_fma_f32 v56, -v56, v59, v58
	v_div_fmas_f32 v56, v56, v57, v59
	v_div_fixup_f32 v54, v56, v54, 1.0
.LBB86_546:
	s_or_b64 exec, exec, s[0:1]
	v_cmp_ne_u32_e32 vcc, v55, v52
	s_and_saveexec_b64 s[0:1], vcc
	s_xor_b64 s[0:1], exec, s[0:1]
	s_cbranch_execz .LBB86_552
; %bb.547:
	v_cmp_eq_u32_e32 vcc, 32, v55
	s_and_saveexec_b64 s[2:3], vcc
	s_cbranch_execz .LBB86_551
; %bb.548:
	v_cmp_ne_u32_e32 vcc, 32, v52
	s_xor_b64 s[18:19], s[16:17], -1
	s_and_b64 s[20:21], s[18:19], vcc
	s_and_saveexec_b64 s[18:19], s[20:21]
	s_cbranch_execz .LBB86_550
; %bb.549:
	v_ashrrev_i32_e32 v53, 31, v52
	v_lshl_add_u64 v[56:57], v[52:53], 2, v[20:21]
	global_load_dword v53, v[56:57], off
	global_load_dword v55, v[20:21], off offset:128
	s_waitcnt vmcnt(1)
	global_store_dword v[20:21], v53, off offset:128
	s_waitcnt vmcnt(1)
	global_store_dword v[56:57], v55, off
.LBB86_550:
	s_or_b64 exec, exec, s[18:19]
	v_mov_b32_e32 v53, v52
	v_mov_b32_e32 v55, v52
.LBB86_551:
	s_or_b64 exec, exec, s[2:3]
.LBB86_552:
	s_andn2_saveexec_b64 s[0:1], s[0:1]
	s_cbranch_execz .LBB86_554
; %bb.553:
	s_waitcnt vmcnt(8)
	v_pk_mov_b32 v[56:57], v[50:51], v[46:47] op_sel:[1,0]
	ds_write2_b32 v17, v56, v57 offset0:33 offset1:34
	s_waitcnt vmcnt(6)
	v_pk_mov_b32 v[56:57], v[46:47], v[40:41] op_sel:[1,0]
	ds_write2_b32 v17, v56, v57 offset0:35 offset1:36
	;; [unrolled: 3-line block ×4, first 2 shown]
	s_waitcnt vmcnt(0)
	v_pk_mov_b32 v[56:57], v[48:49], v[44:45] op_sel:[1,0]
	v_mov_b32_e32 v55, 32
	ds_write2_b32 v17, v56, v57 offset0:41 offset1:42
	ds_write_b32 v17, v45 offset:172
.LBB86_554:
	s_or_b64 exec, exec, s[0:1]
	v_cmp_lt_i32_e32 vcc, 32, v55
	s_waitcnt lgkmcnt(0)
	s_barrier
	s_and_saveexec_b64 s[0:1], vcc
	s_cbranch_execz .LBB86_556
; %bb.555:
	ds_read_b32 v52, v17 offset:132
	ds_read2_b32 v[56:57], v17 offset0:34 offset1:35
	ds_read2_b32 v[58:59], v17 offset0:36 offset1:37
	ds_read2_b32 v[60:61], v17 offset0:38 offset1:39
	ds_read2_b32 v[62:63], v17 offset0:40 offset1:41
	ds_read2_b32 v[64:65], v17 offset0:42 offset1:43
	v_mul_f32_e32 v50, v54, v50
	s_waitcnt vmcnt(10) lgkmcnt(5)
	v_fma_f32 v51, -v50, v52, v51
	s_waitcnt vmcnt(8) lgkmcnt(4)
	v_pk_fma_f32 v[46:47], v[50:51], v[56:57], v[46:47] op_sel_hi:[0,1,1] neg_lo:[1,0,0] neg_hi:[1,0,0]
	s_waitcnt vmcnt(6) lgkmcnt(3)
	v_pk_fma_f32 v[40:41], v[50:51], v[58:59], v[40:41] op_sel_hi:[0,1,1] neg_lo:[1,0,0] neg_hi:[1,0,0]
	;; [unrolled: 2-line block ×5, first 2 shown]
.LBB86_556:
	s_or_b64 exec, exec, s[0:1]
	v_lshl_add_u32 v52, v55, 2, v17
	s_barrier
	s_waitcnt vmcnt(10)
	ds_write_b32 v52, v51
	s_waitcnt lgkmcnt(0)
	s_barrier
	ds_read_b32 v54, v17 offset:132
	s_cmp_lt_i32 s22, 35
	v_mov_b32_e32 v52, 33
	s_cbranch_scc1 .LBB86_559
; %bb.557:
	v_add_u32_e32 v56, 0x88, v17
	v_mov_b32_e32 v52, 33
	s_mov_b32 s0, 34
.LBB86_558:                             ; =>This Inner Loop Header: Depth=1
	ds_read_b32 v57, v56
	v_mov_b32_e32 v58, s0
	s_add_i32 s0, s0, 1
	v_add_u32_e32 v56, 4, v56
	s_cmp_lg_u32 s22, s0
	s_waitcnt lgkmcnt(0)
	v_cmp_lt_f32_e64 vcc, |v54|, |v57|
	s_nop 1
	v_cndmask_b32_e32 v54, v54, v57, vcc
	v_cndmask_b32_e32 v52, v52, v58, vcc
	s_cbranch_scc1 .LBB86_558
.LBB86_559:
	s_waitcnt lgkmcnt(0)
	v_cmp_eq_f32_e32 vcc, 0, v54
	s_and_saveexec_b64 s[0:1], vcc
	s_xor_b64 s[0:1], exec, s[0:1]
; %bb.560:
	v_cmp_ne_u32_e32 vcc, 0, v19
	s_nop 1
	v_cndmask_b32_e32 v19, 34, v19, vcc
; %bb.561:
	s_andn2_saveexec_b64 s[0:1], s[0:1]
	s_cbranch_execz .LBB86_563
; %bb.562:
	v_div_scale_f32 v56, s[2:3], v54, v54, 1.0
	v_rcp_f32_e32 v57, v56
	v_div_scale_f32 v58, vcc, 1.0, v54, 1.0
	v_fma_f32 v59, -v56, v57, 1.0
	v_fmac_f32_e32 v57, v59, v57
	v_mul_f32_e32 v59, v58, v57
	v_fma_f32 v60, -v56, v59, v58
	v_fmac_f32_e32 v59, v60, v57
	v_fma_f32 v56, -v56, v59, v58
	v_div_fmas_f32 v56, v56, v57, v59
	v_div_fixup_f32 v54, v56, v54, 1.0
.LBB86_563:
	s_or_b64 exec, exec, s[0:1]
	v_cmp_ne_u32_e32 vcc, v55, v52
	s_and_saveexec_b64 s[0:1], vcc
	s_xor_b64 s[0:1], exec, s[0:1]
	s_cbranch_execz .LBB86_569
; %bb.564:
	v_cmp_eq_u32_e32 vcc, 33, v55
	s_and_saveexec_b64 s[2:3], vcc
	s_cbranch_execz .LBB86_568
; %bb.565:
	v_cmp_ne_u32_e32 vcc, 33, v52
	s_xor_b64 s[18:19], s[16:17], -1
	s_and_b64 s[20:21], s[18:19], vcc
	s_and_saveexec_b64 s[18:19], s[20:21]
	s_cbranch_execz .LBB86_567
; %bb.566:
	v_ashrrev_i32_e32 v53, 31, v52
	v_lshl_add_u64 v[56:57], v[52:53], 2, v[20:21]
	global_load_dword v53, v[56:57], off
	global_load_dword v55, v[20:21], off offset:132
	s_waitcnt vmcnt(1)
	global_store_dword v[20:21], v53, off offset:132
	s_waitcnt vmcnt(1)
	global_store_dword v[56:57], v55, off
.LBB86_567:
	s_or_b64 exec, exec, s[18:19]
	v_mov_b32_e32 v53, v52
	v_mov_b32_e32 v55, v52
.LBB86_568:
	s_or_b64 exec, exec, s[2:3]
.LBB86_569:
	s_andn2_saveexec_b64 s[0:1], s[0:1]
	s_cbranch_execz .LBB86_571
; %bb.570:
	v_mov_b32_e32 v55, 33
	s_waitcnt vmcnt(8)
	ds_write2_b32 v17, v46, v47 offset0:34 offset1:35
	s_waitcnt vmcnt(6)
	ds_write2_b32 v17, v40, v41 offset0:36 offset1:37
	;; [unrolled: 2-line block ×5, first 2 shown]
.LBB86_571:
	s_or_b64 exec, exec, s[0:1]
	v_cmp_lt_i32_e32 vcc, 33, v55
	s_waitcnt lgkmcnt(0)
	s_barrier
	s_and_saveexec_b64 s[0:1], vcc
	s_cbranch_execz .LBB86_573
; %bb.572:
	ds_read2_b32 v[56:57], v17 offset0:34 offset1:35
	ds_read2_b32 v[58:59], v17 offset0:36 offset1:37
	;; [unrolled: 1-line block ×5, first 2 shown]
	v_mul_f32_e32 v52, v54, v51
	s_waitcnt vmcnt(8) lgkmcnt(4)
	v_pk_fma_f32 v[46:47], v[52:53], v[56:57], v[46:47] op_sel_hi:[0,1,1] neg_lo:[1,0,0] neg_hi:[1,0,0]
	s_waitcnt vmcnt(6) lgkmcnt(3)
	v_pk_fma_f32 v[40:41], v[52:53], v[58:59], v[40:41] op_sel_hi:[0,1,1] neg_lo:[1,0,0] neg_hi:[1,0,0]
	;; [unrolled: 2-line block ×5, first 2 shown]
	v_mov_b32_e32 v51, v52
.LBB86_573:
	s_or_b64 exec, exec, s[0:1]
	v_lshl_add_u32 v52, v55, 2, v17
	s_barrier
	s_waitcnt vmcnt(9)
	ds_write_b32 v52, v46
	s_waitcnt lgkmcnt(0)
	s_barrier
	ds_read_b32 v54, v17 offset:136
	s_cmp_lt_i32 s22, 36
	v_mov_b32_e32 v52, 34
	s_cbranch_scc1 .LBB86_576
; %bb.574:
	v_add_u32_e32 v56, 0x8c, v17
	v_mov_b32_e32 v52, 34
	s_mov_b32 s0, 35
.LBB86_575:                             ; =>This Inner Loop Header: Depth=1
	ds_read_b32 v57, v56
	v_mov_b32_e32 v58, s0
	s_add_i32 s0, s0, 1
	v_add_u32_e32 v56, 4, v56
	s_cmp_lg_u32 s22, s0
	s_waitcnt lgkmcnt(0)
	v_cmp_lt_f32_e64 vcc, |v54|, |v57|
	s_nop 1
	v_cndmask_b32_e32 v54, v54, v57, vcc
	v_cndmask_b32_e32 v52, v52, v58, vcc
	s_cbranch_scc1 .LBB86_575
.LBB86_576:
	s_waitcnt lgkmcnt(0)
	v_cmp_eq_f32_e32 vcc, 0, v54
	s_and_saveexec_b64 s[0:1], vcc
	s_xor_b64 s[0:1], exec, s[0:1]
; %bb.577:
	v_cmp_ne_u32_e32 vcc, 0, v19
	s_nop 1
	v_cndmask_b32_e32 v19, 35, v19, vcc
; %bb.578:
	s_andn2_saveexec_b64 s[0:1], s[0:1]
	s_cbranch_execz .LBB86_580
; %bb.579:
	v_div_scale_f32 v56, s[2:3], v54, v54, 1.0
	v_rcp_f32_e32 v57, v56
	v_div_scale_f32 v58, vcc, 1.0, v54, 1.0
	v_fma_f32 v59, -v56, v57, 1.0
	v_fmac_f32_e32 v57, v59, v57
	v_mul_f32_e32 v59, v58, v57
	v_fma_f32 v60, -v56, v59, v58
	v_fmac_f32_e32 v59, v60, v57
	v_fma_f32 v56, -v56, v59, v58
	v_div_fmas_f32 v56, v56, v57, v59
	v_div_fixup_f32 v54, v56, v54, 1.0
.LBB86_580:
	s_or_b64 exec, exec, s[0:1]
	v_cmp_ne_u32_e32 vcc, v55, v52
	s_and_saveexec_b64 s[0:1], vcc
	s_xor_b64 s[0:1], exec, s[0:1]
	s_cbranch_execz .LBB86_586
; %bb.581:
	v_cmp_eq_u32_e32 vcc, 34, v55
	s_and_saveexec_b64 s[2:3], vcc
	s_cbranch_execz .LBB86_585
; %bb.582:
	v_cmp_ne_u32_e32 vcc, 34, v52
	s_xor_b64 s[18:19], s[16:17], -1
	s_and_b64 s[20:21], s[18:19], vcc
	s_and_saveexec_b64 s[18:19], s[20:21]
	s_cbranch_execz .LBB86_584
; %bb.583:
	v_ashrrev_i32_e32 v53, 31, v52
	v_lshl_add_u64 v[56:57], v[52:53], 2, v[20:21]
	global_load_dword v53, v[56:57], off
	global_load_dword v55, v[20:21], off offset:136
	s_waitcnt vmcnt(1)
	global_store_dword v[20:21], v53, off offset:136
	s_waitcnt vmcnt(1)
	global_store_dword v[56:57], v55, off
.LBB86_584:
	s_or_b64 exec, exec, s[18:19]
	v_mov_b32_e32 v53, v52
	v_mov_b32_e32 v55, v52
.LBB86_585:
	s_or_b64 exec, exec, s[2:3]
.LBB86_586:
	s_andn2_saveexec_b64 s[0:1], s[0:1]
	s_cbranch_execz .LBB86_588
; %bb.587:
	s_waitcnt vmcnt(6)
	v_pk_mov_b32 v[56:57], v[46:47], v[40:41] op_sel:[1,0]
	ds_write2_b32 v17, v56, v57 offset0:35 offset1:36
	s_waitcnt vmcnt(4)
	v_pk_mov_b32 v[56:57], v[40:41], v[38:39] op_sel:[1,0]
	ds_write2_b32 v17, v56, v57 offset0:37 offset1:38
	;; [unrolled: 3-line block ×3, first 2 shown]
	s_waitcnt vmcnt(0)
	v_pk_mov_b32 v[56:57], v[48:49], v[44:45] op_sel:[1,0]
	v_mov_b32_e32 v55, 34
	ds_write2_b32 v17, v56, v57 offset0:41 offset1:42
	ds_write_b32 v17, v45 offset:172
.LBB86_588:
	s_or_b64 exec, exec, s[0:1]
	v_cmp_lt_i32_e32 vcc, 34, v55
	s_waitcnt lgkmcnt(0)
	s_barrier
	s_and_saveexec_b64 s[0:1], vcc
	s_cbranch_execz .LBB86_590
; %bb.589:
	ds_read_b32 v52, v17 offset:140
	ds_read2_b32 v[56:57], v17 offset0:36 offset1:37
	ds_read2_b32 v[58:59], v17 offset0:38 offset1:39
	;; [unrolled: 1-line block ×4, first 2 shown]
	v_mul_f32_e32 v46, v54, v46
	s_waitcnt vmcnt(8) lgkmcnt(4)
	v_fma_f32 v47, -v46, v52, v47
	s_waitcnt vmcnt(6) lgkmcnt(3)
	v_pk_fma_f32 v[40:41], v[46:47], v[56:57], v[40:41] op_sel_hi:[0,1,1] neg_lo:[1,0,0] neg_hi:[1,0,0]
	s_waitcnt vmcnt(4) lgkmcnt(2)
	v_pk_fma_f32 v[38:39], v[46:47], v[58:59], v[38:39] op_sel_hi:[0,1,1] neg_lo:[1,0,0] neg_hi:[1,0,0]
	s_waitcnt vmcnt(2) lgkmcnt(1)
	v_pk_fma_f32 v[48:49], v[46:47], v[60:61], v[48:49] op_sel_hi:[0,1,1] neg_lo:[1,0,0] neg_hi:[1,0,0]
	s_waitcnt vmcnt(0) lgkmcnt(0)
	v_pk_fma_f32 v[44:45], v[46:47], v[62:63], v[44:45] op_sel_hi:[0,1,1] neg_lo:[1,0,0] neg_hi:[1,0,0]
.LBB86_590:
	s_or_b64 exec, exec, s[0:1]
	v_lshl_add_u32 v52, v55, 2, v17
	s_barrier
	s_waitcnt vmcnt(8)
	ds_write_b32 v52, v47
	s_waitcnt lgkmcnt(0)
	s_barrier
	ds_read_b32 v54, v17 offset:140
	s_cmp_lt_i32 s22, 37
	v_mov_b32_e32 v52, 35
	s_cbranch_scc1 .LBB86_593
; %bb.591:
	v_add_u32_e32 v56, 0x90, v17
	v_mov_b32_e32 v52, 35
	s_mov_b32 s0, 36
.LBB86_592:                             ; =>This Inner Loop Header: Depth=1
	ds_read_b32 v57, v56
	v_mov_b32_e32 v58, s0
	s_add_i32 s0, s0, 1
	v_add_u32_e32 v56, 4, v56
	s_cmp_lg_u32 s22, s0
	s_waitcnt lgkmcnt(0)
	v_cmp_lt_f32_e64 vcc, |v54|, |v57|
	s_nop 1
	v_cndmask_b32_e32 v54, v54, v57, vcc
	v_cndmask_b32_e32 v52, v52, v58, vcc
	s_cbranch_scc1 .LBB86_592
.LBB86_593:
	s_waitcnt lgkmcnt(0)
	v_cmp_eq_f32_e32 vcc, 0, v54
	s_and_saveexec_b64 s[0:1], vcc
	s_xor_b64 s[0:1], exec, s[0:1]
; %bb.594:
	v_cmp_ne_u32_e32 vcc, 0, v19
	s_nop 1
	v_cndmask_b32_e32 v19, 36, v19, vcc
; %bb.595:
	s_andn2_saveexec_b64 s[0:1], s[0:1]
	s_cbranch_execz .LBB86_597
; %bb.596:
	v_div_scale_f32 v56, s[2:3], v54, v54, 1.0
	v_rcp_f32_e32 v57, v56
	v_div_scale_f32 v58, vcc, 1.0, v54, 1.0
	v_fma_f32 v59, -v56, v57, 1.0
	v_fmac_f32_e32 v57, v59, v57
	v_mul_f32_e32 v59, v58, v57
	v_fma_f32 v60, -v56, v59, v58
	v_fmac_f32_e32 v59, v60, v57
	v_fma_f32 v56, -v56, v59, v58
	v_div_fmas_f32 v56, v56, v57, v59
	v_div_fixup_f32 v54, v56, v54, 1.0
.LBB86_597:
	s_or_b64 exec, exec, s[0:1]
	v_cmp_ne_u32_e32 vcc, v55, v52
	s_and_saveexec_b64 s[0:1], vcc
	s_xor_b64 s[0:1], exec, s[0:1]
	s_cbranch_execz .LBB86_603
; %bb.598:
	v_cmp_eq_u32_e32 vcc, 35, v55
	s_and_saveexec_b64 s[2:3], vcc
	s_cbranch_execz .LBB86_602
; %bb.599:
	v_cmp_ne_u32_e32 vcc, 35, v52
	s_xor_b64 s[18:19], s[16:17], -1
	s_and_b64 s[20:21], s[18:19], vcc
	s_and_saveexec_b64 s[18:19], s[20:21]
	s_cbranch_execz .LBB86_601
; %bb.600:
	v_ashrrev_i32_e32 v53, 31, v52
	v_lshl_add_u64 v[56:57], v[52:53], 2, v[20:21]
	global_load_dword v53, v[56:57], off
	global_load_dword v55, v[20:21], off offset:140
	s_waitcnt vmcnt(1)
	global_store_dword v[20:21], v53, off offset:140
	s_waitcnt vmcnt(1)
	global_store_dword v[56:57], v55, off
.LBB86_601:
	s_or_b64 exec, exec, s[18:19]
	v_mov_b32_e32 v53, v52
	v_mov_b32_e32 v55, v52
.LBB86_602:
	s_or_b64 exec, exec, s[2:3]
.LBB86_603:
	s_andn2_saveexec_b64 s[0:1], s[0:1]
	s_cbranch_execz .LBB86_605
; %bb.604:
	v_mov_b32_e32 v55, 35
	s_waitcnt vmcnt(6)
	ds_write2_b32 v17, v40, v41 offset0:36 offset1:37
	s_waitcnt vmcnt(4)
	ds_write2_b32 v17, v38, v39 offset0:38 offset1:39
	;; [unrolled: 2-line block ×4, first 2 shown]
.LBB86_605:
	s_or_b64 exec, exec, s[0:1]
	v_cmp_lt_i32_e32 vcc, 35, v55
	s_waitcnt lgkmcnt(0)
	s_barrier
	s_and_saveexec_b64 s[0:1], vcc
	s_cbranch_execz .LBB86_607
; %bb.606:
	ds_read2_b32 v[56:57], v17 offset0:36 offset1:37
	ds_read2_b32 v[58:59], v17 offset0:38 offset1:39
	;; [unrolled: 1-line block ×4, first 2 shown]
	v_mul_f32_e32 v52, v54, v47
	s_waitcnt vmcnt(6) lgkmcnt(3)
	v_pk_fma_f32 v[40:41], v[52:53], v[56:57], v[40:41] op_sel_hi:[0,1,1] neg_lo:[1,0,0] neg_hi:[1,0,0]
	s_waitcnt vmcnt(4) lgkmcnt(2)
	v_pk_fma_f32 v[38:39], v[52:53], v[58:59], v[38:39] op_sel_hi:[0,1,1] neg_lo:[1,0,0] neg_hi:[1,0,0]
	;; [unrolled: 2-line block ×4, first 2 shown]
	v_mov_b32_e32 v47, v52
.LBB86_607:
	s_or_b64 exec, exec, s[0:1]
	v_lshl_add_u32 v52, v55, 2, v17
	s_barrier
	s_waitcnt vmcnt(7)
	ds_write_b32 v52, v40
	s_waitcnt lgkmcnt(0)
	s_barrier
	ds_read_b32 v54, v17 offset:144
	s_cmp_lt_i32 s22, 38
	v_mov_b32_e32 v52, 36
	s_cbranch_scc1 .LBB86_610
; %bb.608:
	v_add_u32_e32 v56, 0x94, v17
	v_mov_b32_e32 v52, 36
	s_mov_b32 s0, 37
.LBB86_609:                             ; =>This Inner Loop Header: Depth=1
	ds_read_b32 v57, v56
	v_mov_b32_e32 v58, s0
	s_add_i32 s0, s0, 1
	v_add_u32_e32 v56, 4, v56
	s_cmp_lg_u32 s22, s0
	s_waitcnt lgkmcnt(0)
	v_cmp_lt_f32_e64 vcc, |v54|, |v57|
	s_nop 1
	v_cndmask_b32_e32 v54, v54, v57, vcc
	v_cndmask_b32_e32 v52, v52, v58, vcc
	s_cbranch_scc1 .LBB86_609
.LBB86_610:
	s_waitcnt lgkmcnt(0)
	v_cmp_eq_f32_e32 vcc, 0, v54
	s_and_saveexec_b64 s[0:1], vcc
	s_xor_b64 s[0:1], exec, s[0:1]
; %bb.611:
	v_cmp_ne_u32_e32 vcc, 0, v19
	s_nop 1
	v_cndmask_b32_e32 v19, 37, v19, vcc
; %bb.612:
	s_andn2_saveexec_b64 s[0:1], s[0:1]
	s_cbranch_execz .LBB86_614
; %bb.613:
	v_div_scale_f32 v56, s[2:3], v54, v54, 1.0
	v_rcp_f32_e32 v57, v56
	v_div_scale_f32 v58, vcc, 1.0, v54, 1.0
	v_fma_f32 v59, -v56, v57, 1.0
	v_fmac_f32_e32 v57, v59, v57
	v_mul_f32_e32 v59, v58, v57
	v_fma_f32 v60, -v56, v59, v58
	v_fmac_f32_e32 v59, v60, v57
	v_fma_f32 v56, -v56, v59, v58
	v_div_fmas_f32 v56, v56, v57, v59
	v_div_fixup_f32 v54, v56, v54, 1.0
.LBB86_614:
	s_or_b64 exec, exec, s[0:1]
	v_cmp_ne_u32_e32 vcc, v55, v52
	s_and_saveexec_b64 s[0:1], vcc
	s_xor_b64 s[0:1], exec, s[0:1]
	s_cbranch_execz .LBB86_620
; %bb.615:
	v_cmp_eq_u32_e32 vcc, 36, v55
	s_and_saveexec_b64 s[2:3], vcc
	s_cbranch_execz .LBB86_619
; %bb.616:
	v_cmp_ne_u32_e32 vcc, 36, v52
	s_xor_b64 s[18:19], s[16:17], -1
	s_and_b64 s[20:21], s[18:19], vcc
	s_and_saveexec_b64 s[18:19], s[20:21]
	s_cbranch_execz .LBB86_618
; %bb.617:
	v_ashrrev_i32_e32 v53, 31, v52
	v_lshl_add_u64 v[56:57], v[52:53], 2, v[20:21]
	global_load_dword v53, v[56:57], off
	global_load_dword v55, v[20:21], off offset:144
	s_waitcnt vmcnt(1)
	global_store_dword v[20:21], v53, off offset:144
	s_waitcnt vmcnt(1)
	global_store_dword v[56:57], v55, off
.LBB86_618:
	s_or_b64 exec, exec, s[18:19]
	v_mov_b32_e32 v53, v52
	v_mov_b32_e32 v55, v52
.LBB86_619:
	s_or_b64 exec, exec, s[2:3]
.LBB86_620:
	s_andn2_saveexec_b64 s[0:1], s[0:1]
	s_cbranch_execz .LBB86_622
; %bb.621:
	s_waitcnt vmcnt(4)
	v_pk_mov_b32 v[56:57], v[40:41], v[38:39] op_sel:[1,0]
	ds_write2_b32 v17, v56, v57 offset0:37 offset1:38
	s_waitcnt vmcnt(2)
	v_pk_mov_b32 v[56:57], v[38:39], v[48:49] op_sel:[1,0]
	ds_write2_b32 v17, v56, v57 offset0:39 offset1:40
	s_waitcnt vmcnt(0)
	v_pk_mov_b32 v[56:57], v[48:49], v[44:45] op_sel:[1,0]
	v_mov_b32_e32 v55, 36
	ds_write2_b32 v17, v56, v57 offset0:41 offset1:42
	ds_write_b32 v17, v45 offset:172
.LBB86_622:
	s_or_b64 exec, exec, s[0:1]
	v_cmp_lt_i32_e32 vcc, 36, v55
	s_waitcnt lgkmcnt(0)
	s_barrier
	s_and_saveexec_b64 s[0:1], vcc
	s_cbranch_execz .LBB86_624
; %bb.623:
	ds_read_b32 v52, v17 offset:148
	ds_read2_b32 v[56:57], v17 offset0:38 offset1:39
	ds_read2_b32 v[58:59], v17 offset0:40 offset1:41
	;; [unrolled: 1-line block ×3, first 2 shown]
	v_mul_f32_e32 v40, v54, v40
	s_waitcnt vmcnt(6) lgkmcnt(3)
	v_fma_f32 v41, -v40, v52, v41
	s_waitcnt vmcnt(4) lgkmcnt(2)
	v_pk_fma_f32 v[38:39], v[40:41], v[56:57], v[38:39] op_sel_hi:[0,1,1] neg_lo:[1,0,0] neg_hi:[1,0,0]
	s_waitcnt vmcnt(2) lgkmcnt(1)
	v_pk_fma_f32 v[48:49], v[40:41], v[58:59], v[48:49] op_sel_hi:[0,1,1] neg_lo:[1,0,0] neg_hi:[1,0,0]
	;; [unrolled: 2-line block ×3, first 2 shown]
.LBB86_624:
	s_or_b64 exec, exec, s[0:1]
	v_lshl_add_u32 v52, v55, 2, v17
	s_barrier
	s_waitcnt vmcnt(6)
	ds_write_b32 v52, v41
	s_waitcnt lgkmcnt(0)
	s_barrier
	ds_read_b32 v54, v17 offset:148
	s_cmp_lt_i32 s22, 39
	v_mov_b32_e32 v52, 37
	s_cbranch_scc1 .LBB86_627
; %bb.625:
	v_add_u32_e32 v56, 0x98, v17
	v_mov_b32_e32 v52, 37
	s_mov_b32 s0, 38
.LBB86_626:                             ; =>This Inner Loop Header: Depth=1
	ds_read_b32 v57, v56
	v_mov_b32_e32 v58, s0
	s_add_i32 s0, s0, 1
	v_add_u32_e32 v56, 4, v56
	s_cmp_lg_u32 s22, s0
	s_waitcnt lgkmcnt(0)
	v_cmp_lt_f32_e64 vcc, |v54|, |v57|
	s_nop 1
	v_cndmask_b32_e32 v54, v54, v57, vcc
	v_cndmask_b32_e32 v52, v52, v58, vcc
	s_cbranch_scc1 .LBB86_626
.LBB86_627:
	s_waitcnt lgkmcnt(0)
	v_cmp_eq_f32_e32 vcc, 0, v54
	s_and_saveexec_b64 s[0:1], vcc
	s_xor_b64 s[0:1], exec, s[0:1]
; %bb.628:
	v_cmp_ne_u32_e32 vcc, 0, v19
	s_nop 1
	v_cndmask_b32_e32 v19, 38, v19, vcc
; %bb.629:
	s_andn2_saveexec_b64 s[0:1], s[0:1]
	s_cbranch_execz .LBB86_631
; %bb.630:
	v_div_scale_f32 v56, s[2:3], v54, v54, 1.0
	v_rcp_f32_e32 v57, v56
	v_div_scale_f32 v58, vcc, 1.0, v54, 1.0
	v_fma_f32 v59, -v56, v57, 1.0
	v_fmac_f32_e32 v57, v59, v57
	v_mul_f32_e32 v59, v58, v57
	v_fma_f32 v60, -v56, v59, v58
	v_fmac_f32_e32 v59, v60, v57
	v_fma_f32 v56, -v56, v59, v58
	v_div_fmas_f32 v56, v56, v57, v59
	v_div_fixup_f32 v54, v56, v54, 1.0
.LBB86_631:
	s_or_b64 exec, exec, s[0:1]
	v_cmp_ne_u32_e32 vcc, v55, v52
	s_and_saveexec_b64 s[0:1], vcc
	s_xor_b64 s[0:1], exec, s[0:1]
	s_cbranch_execz .LBB86_637
; %bb.632:
	v_cmp_eq_u32_e32 vcc, 37, v55
	s_and_saveexec_b64 s[2:3], vcc
	s_cbranch_execz .LBB86_636
; %bb.633:
	v_cmp_ne_u32_e32 vcc, 37, v52
	s_xor_b64 s[18:19], s[16:17], -1
	s_and_b64 s[20:21], s[18:19], vcc
	s_and_saveexec_b64 s[18:19], s[20:21]
	s_cbranch_execz .LBB86_635
; %bb.634:
	v_ashrrev_i32_e32 v53, 31, v52
	v_lshl_add_u64 v[56:57], v[52:53], 2, v[20:21]
	global_load_dword v53, v[56:57], off
	global_load_dword v55, v[20:21], off offset:148
	s_waitcnt vmcnt(1)
	global_store_dword v[20:21], v53, off offset:148
	s_waitcnt vmcnt(1)
	global_store_dword v[56:57], v55, off
.LBB86_635:
	s_or_b64 exec, exec, s[18:19]
	v_mov_b32_e32 v53, v52
	v_mov_b32_e32 v55, v52
.LBB86_636:
	s_or_b64 exec, exec, s[2:3]
.LBB86_637:
	s_andn2_saveexec_b64 s[0:1], s[0:1]
	s_cbranch_execz .LBB86_639
; %bb.638:
	v_mov_b32_e32 v55, 37
	s_waitcnt vmcnt(4)
	ds_write2_b32 v17, v38, v39 offset0:38 offset1:39
	s_waitcnt vmcnt(2)
	ds_write2_b32 v17, v48, v49 offset0:40 offset1:41
	;; [unrolled: 2-line block ×3, first 2 shown]
.LBB86_639:
	s_or_b64 exec, exec, s[0:1]
	v_cmp_lt_i32_e32 vcc, 37, v55
	s_waitcnt lgkmcnt(0)
	s_barrier
	s_and_saveexec_b64 s[0:1], vcc
	s_cbranch_execz .LBB86_641
; %bb.640:
	ds_read2_b32 v[56:57], v17 offset0:38 offset1:39
	ds_read2_b32 v[58:59], v17 offset0:40 offset1:41
	;; [unrolled: 1-line block ×3, first 2 shown]
	v_mul_f32_e32 v52, v54, v41
	v_mov_b32_e32 v41, v52
	s_waitcnt vmcnt(4) lgkmcnt(2)
	v_pk_fma_f32 v[38:39], v[52:53], v[56:57], v[38:39] op_sel_hi:[0,1,1] neg_lo:[1,0,0] neg_hi:[1,0,0]
	s_waitcnt vmcnt(2) lgkmcnt(1)
	v_pk_fma_f32 v[48:49], v[52:53], v[58:59], v[48:49] op_sel_hi:[0,1,1] neg_lo:[1,0,0] neg_hi:[1,0,0]
	s_waitcnt vmcnt(0) lgkmcnt(0)
	v_pk_fma_f32 v[44:45], v[52:53], v[60:61], v[44:45] op_sel_hi:[0,1,1] neg_lo:[1,0,0] neg_hi:[1,0,0]
.LBB86_641:
	s_or_b64 exec, exec, s[0:1]
	v_lshl_add_u32 v52, v55, 2, v17
	s_barrier
	s_waitcnt vmcnt(5)
	ds_write_b32 v52, v38
	s_waitcnt lgkmcnt(0)
	s_barrier
	ds_read_b32 v54, v17 offset:152
	s_cmp_lt_i32 s22, 40
	v_mov_b32_e32 v52, 38
	s_cbranch_scc1 .LBB86_644
; %bb.642:
	v_add_u32_e32 v56, 0x9c, v17
	v_mov_b32_e32 v52, 38
	s_mov_b32 s0, 39
.LBB86_643:                             ; =>This Inner Loop Header: Depth=1
	ds_read_b32 v57, v56
	v_mov_b32_e32 v58, s0
	s_add_i32 s0, s0, 1
	v_add_u32_e32 v56, 4, v56
	s_cmp_lg_u32 s22, s0
	s_waitcnt lgkmcnt(0)
	v_cmp_lt_f32_e64 vcc, |v54|, |v57|
	s_nop 1
	v_cndmask_b32_e32 v54, v54, v57, vcc
	v_cndmask_b32_e32 v52, v52, v58, vcc
	s_cbranch_scc1 .LBB86_643
.LBB86_644:
	s_waitcnt lgkmcnt(0)
	v_cmp_eq_f32_e32 vcc, 0, v54
	s_and_saveexec_b64 s[0:1], vcc
	s_xor_b64 s[0:1], exec, s[0:1]
; %bb.645:
	v_cmp_ne_u32_e32 vcc, 0, v19
	s_nop 1
	v_cndmask_b32_e32 v19, 39, v19, vcc
; %bb.646:
	s_andn2_saveexec_b64 s[0:1], s[0:1]
	s_cbranch_execz .LBB86_648
; %bb.647:
	v_div_scale_f32 v56, s[2:3], v54, v54, 1.0
	v_rcp_f32_e32 v57, v56
	v_div_scale_f32 v58, vcc, 1.0, v54, 1.0
	v_fma_f32 v59, -v56, v57, 1.0
	v_fmac_f32_e32 v57, v59, v57
	v_mul_f32_e32 v59, v58, v57
	v_fma_f32 v60, -v56, v59, v58
	v_fmac_f32_e32 v59, v60, v57
	v_fma_f32 v56, -v56, v59, v58
	v_div_fmas_f32 v56, v56, v57, v59
	v_div_fixup_f32 v54, v56, v54, 1.0
.LBB86_648:
	s_or_b64 exec, exec, s[0:1]
	v_cmp_ne_u32_e32 vcc, v55, v52
	s_and_saveexec_b64 s[0:1], vcc
	s_xor_b64 s[0:1], exec, s[0:1]
	s_cbranch_execz .LBB86_654
; %bb.649:
	v_cmp_eq_u32_e32 vcc, 38, v55
	s_and_saveexec_b64 s[2:3], vcc
	s_cbranch_execz .LBB86_653
; %bb.650:
	v_cmp_ne_u32_e32 vcc, 38, v52
	s_xor_b64 s[18:19], s[16:17], -1
	s_and_b64 s[20:21], s[18:19], vcc
	s_and_saveexec_b64 s[18:19], s[20:21]
	s_cbranch_execz .LBB86_652
; %bb.651:
	v_ashrrev_i32_e32 v53, 31, v52
	v_lshl_add_u64 v[56:57], v[52:53], 2, v[20:21]
	global_load_dword v53, v[56:57], off
	global_load_dword v55, v[20:21], off offset:152
	s_waitcnt vmcnt(1)
	global_store_dword v[20:21], v53, off offset:152
	s_waitcnt vmcnt(1)
	global_store_dword v[56:57], v55, off
.LBB86_652:
	s_or_b64 exec, exec, s[18:19]
	v_mov_b32_e32 v53, v52
	v_mov_b32_e32 v55, v52
.LBB86_653:
	s_or_b64 exec, exec, s[2:3]
.LBB86_654:
	s_andn2_saveexec_b64 s[0:1], s[0:1]
	s_cbranch_execz .LBB86_656
; %bb.655:
	s_waitcnt vmcnt(2)
	v_pk_mov_b32 v[56:57], v[38:39], v[48:49] op_sel:[1,0]
	ds_write2_b32 v17, v56, v57 offset0:39 offset1:40
	s_waitcnt vmcnt(0)
	v_pk_mov_b32 v[56:57], v[48:49], v[44:45] op_sel:[1,0]
	v_mov_b32_e32 v55, 38
	ds_write2_b32 v17, v56, v57 offset0:41 offset1:42
	ds_write_b32 v17, v45 offset:172
.LBB86_656:
	s_or_b64 exec, exec, s[0:1]
	v_cmp_lt_i32_e32 vcc, 38, v55
	s_waitcnt lgkmcnt(0)
	s_barrier
	s_and_saveexec_b64 s[0:1], vcc
	s_cbranch_execz .LBB86_658
; %bb.657:
	ds_read_b32 v52, v17 offset:156
	ds_read2_b32 v[56:57], v17 offset0:40 offset1:41
	ds_read2_b32 v[58:59], v17 offset0:42 offset1:43
	v_mul_f32_e32 v38, v54, v38
	s_waitcnt vmcnt(4) lgkmcnt(2)
	v_fma_f32 v39, -v38, v52, v39
	s_waitcnt vmcnt(2) lgkmcnt(1)
	v_pk_fma_f32 v[48:49], v[38:39], v[56:57], v[48:49] op_sel_hi:[0,1,1] neg_lo:[1,0,0] neg_hi:[1,0,0]
	s_waitcnt vmcnt(0) lgkmcnt(0)
	v_pk_fma_f32 v[44:45], v[38:39], v[58:59], v[44:45] op_sel_hi:[0,1,1] neg_lo:[1,0,0] neg_hi:[1,0,0]
.LBB86_658:
	s_or_b64 exec, exec, s[0:1]
	v_lshl_add_u32 v52, v55, 2, v17
	s_barrier
	s_waitcnt vmcnt(4)
	ds_write_b32 v52, v39
	s_waitcnt lgkmcnt(0)
	s_barrier
	ds_read_b32 v54, v17 offset:156
	s_cmp_lt_i32 s22, 41
	v_mov_b32_e32 v52, 39
	s_cbranch_scc1 .LBB86_661
; %bb.659:
	v_add_u32_e32 v56, 0xa0, v17
	v_mov_b32_e32 v52, 39
	s_mov_b32 s0, 40
.LBB86_660:                             ; =>This Inner Loop Header: Depth=1
	ds_read_b32 v57, v56
	v_mov_b32_e32 v58, s0
	s_add_i32 s0, s0, 1
	v_add_u32_e32 v56, 4, v56
	s_cmp_lg_u32 s22, s0
	s_waitcnt lgkmcnt(0)
	v_cmp_lt_f32_e64 vcc, |v54|, |v57|
	s_nop 1
	v_cndmask_b32_e32 v54, v54, v57, vcc
	v_cndmask_b32_e32 v52, v52, v58, vcc
	s_cbranch_scc1 .LBB86_660
.LBB86_661:
	s_waitcnt lgkmcnt(0)
	v_cmp_eq_f32_e32 vcc, 0, v54
	s_and_saveexec_b64 s[0:1], vcc
	s_xor_b64 s[0:1], exec, s[0:1]
; %bb.662:
	v_cmp_ne_u32_e32 vcc, 0, v19
	s_nop 1
	v_cndmask_b32_e32 v19, 40, v19, vcc
; %bb.663:
	s_andn2_saveexec_b64 s[0:1], s[0:1]
	s_cbranch_execz .LBB86_665
; %bb.664:
	v_div_scale_f32 v56, s[2:3], v54, v54, 1.0
	v_rcp_f32_e32 v57, v56
	v_div_scale_f32 v58, vcc, 1.0, v54, 1.0
	v_fma_f32 v59, -v56, v57, 1.0
	v_fmac_f32_e32 v57, v59, v57
	v_mul_f32_e32 v59, v58, v57
	v_fma_f32 v60, -v56, v59, v58
	v_fmac_f32_e32 v59, v60, v57
	v_fma_f32 v56, -v56, v59, v58
	v_div_fmas_f32 v56, v56, v57, v59
	v_div_fixup_f32 v54, v56, v54, 1.0
.LBB86_665:
	s_or_b64 exec, exec, s[0:1]
	v_cmp_ne_u32_e32 vcc, v55, v52
	s_and_saveexec_b64 s[0:1], vcc
	s_xor_b64 s[0:1], exec, s[0:1]
	s_cbranch_execz .LBB86_671
; %bb.666:
	v_cmp_eq_u32_e32 vcc, 39, v55
	s_and_saveexec_b64 s[2:3], vcc
	s_cbranch_execz .LBB86_670
; %bb.667:
	v_cmp_ne_u32_e32 vcc, 39, v52
	s_xor_b64 s[18:19], s[16:17], -1
	s_and_b64 s[20:21], s[18:19], vcc
	s_and_saveexec_b64 s[18:19], s[20:21]
	s_cbranch_execz .LBB86_669
; %bb.668:
	v_ashrrev_i32_e32 v53, 31, v52
	v_lshl_add_u64 v[56:57], v[52:53], 2, v[20:21]
	global_load_dword v53, v[56:57], off
	global_load_dword v55, v[20:21], off offset:156
	s_waitcnt vmcnt(1)
	global_store_dword v[20:21], v53, off offset:156
	s_waitcnt vmcnt(1)
	global_store_dword v[56:57], v55, off
.LBB86_669:
	s_or_b64 exec, exec, s[18:19]
	v_mov_b32_e32 v53, v52
	v_mov_b32_e32 v55, v52
.LBB86_670:
	s_or_b64 exec, exec, s[2:3]
.LBB86_671:
	s_andn2_saveexec_b64 s[0:1], s[0:1]
	s_cbranch_execz .LBB86_673
; %bb.672:
	v_mov_b32_e32 v55, 39
	s_waitcnt vmcnt(2)
	ds_write2_b32 v17, v48, v49 offset0:40 offset1:41
	s_waitcnt vmcnt(0)
	ds_write2_b32 v17, v44, v45 offset0:42 offset1:43
.LBB86_673:
	s_or_b64 exec, exec, s[0:1]
	v_cmp_lt_i32_e32 vcc, 39, v55
	s_waitcnt lgkmcnt(0)
	s_barrier
	s_and_saveexec_b64 s[0:1], vcc
	s_cbranch_execz .LBB86_675
; %bb.674:
	ds_read2_b32 v[56:57], v17 offset0:40 offset1:41
	ds_read2_b32 v[58:59], v17 offset0:42 offset1:43
	v_mul_f32_e32 v52, v54, v39
	v_mov_b32_e32 v39, v52
	s_waitcnt vmcnt(2) lgkmcnt(1)
	v_pk_fma_f32 v[48:49], v[52:53], v[56:57], v[48:49] op_sel_hi:[0,1,1] neg_lo:[1,0,0] neg_hi:[1,0,0]
	s_waitcnt vmcnt(0) lgkmcnt(0)
	v_pk_fma_f32 v[44:45], v[52:53], v[58:59], v[44:45] op_sel_hi:[0,1,1] neg_lo:[1,0,0] neg_hi:[1,0,0]
.LBB86_675:
	s_or_b64 exec, exec, s[0:1]
	v_lshl_add_u32 v52, v55, 2, v17
	s_barrier
	s_waitcnt vmcnt(3)
	ds_write_b32 v52, v48
	s_waitcnt lgkmcnt(0)
	s_barrier
	ds_read_b32 v54, v17 offset:160
	s_cmp_lt_i32 s22, 42
	v_mov_b32_e32 v52, 40
	s_cbranch_scc1 .LBB86_678
; %bb.676:
	v_add_u32_e32 v56, 0xa4, v17
	v_mov_b32_e32 v52, 40
	s_mov_b32 s0, 41
.LBB86_677:                             ; =>This Inner Loop Header: Depth=1
	ds_read_b32 v57, v56
	v_mov_b32_e32 v58, s0
	s_add_i32 s0, s0, 1
	v_add_u32_e32 v56, 4, v56
	s_cmp_lg_u32 s22, s0
	s_waitcnt lgkmcnt(0)
	v_cmp_lt_f32_e64 vcc, |v54|, |v57|
	s_nop 1
	v_cndmask_b32_e32 v54, v54, v57, vcc
	v_cndmask_b32_e32 v52, v52, v58, vcc
	s_cbranch_scc1 .LBB86_677
.LBB86_678:
	s_waitcnt lgkmcnt(0)
	v_cmp_eq_f32_e32 vcc, 0, v54
	s_and_saveexec_b64 s[0:1], vcc
	s_xor_b64 s[0:1], exec, s[0:1]
; %bb.679:
	v_cmp_ne_u32_e32 vcc, 0, v19
	s_nop 1
	v_cndmask_b32_e32 v19, 41, v19, vcc
; %bb.680:
	s_andn2_saveexec_b64 s[0:1], s[0:1]
	s_cbranch_execz .LBB86_682
; %bb.681:
	v_div_scale_f32 v56, s[2:3], v54, v54, 1.0
	v_rcp_f32_e32 v57, v56
	v_div_scale_f32 v58, vcc, 1.0, v54, 1.0
	v_fma_f32 v59, -v56, v57, 1.0
	v_fmac_f32_e32 v57, v59, v57
	v_mul_f32_e32 v59, v58, v57
	v_fma_f32 v60, -v56, v59, v58
	v_fmac_f32_e32 v59, v60, v57
	v_fma_f32 v56, -v56, v59, v58
	v_div_fmas_f32 v56, v56, v57, v59
	v_div_fixup_f32 v54, v56, v54, 1.0
.LBB86_682:
	s_or_b64 exec, exec, s[0:1]
	v_cmp_ne_u32_e32 vcc, v55, v52
	s_and_saveexec_b64 s[0:1], vcc
	s_xor_b64 s[0:1], exec, s[0:1]
	s_cbranch_execz .LBB86_688
; %bb.683:
	v_cmp_eq_u32_e32 vcc, 40, v55
	s_and_saveexec_b64 s[2:3], vcc
	s_cbranch_execz .LBB86_687
; %bb.684:
	v_cmp_ne_u32_e32 vcc, 40, v52
	s_xor_b64 s[18:19], s[16:17], -1
	s_and_b64 s[20:21], s[18:19], vcc
	s_and_saveexec_b64 s[18:19], s[20:21]
	s_cbranch_execz .LBB86_686
; %bb.685:
	v_ashrrev_i32_e32 v53, 31, v52
	v_lshl_add_u64 v[56:57], v[52:53], 2, v[20:21]
	global_load_dword v53, v[56:57], off
	global_load_dword v55, v[20:21], off offset:160
	s_waitcnt vmcnt(1)
	global_store_dword v[20:21], v53, off offset:160
	s_waitcnt vmcnt(1)
	global_store_dword v[56:57], v55, off
.LBB86_686:
	s_or_b64 exec, exec, s[18:19]
	v_mov_b32_e32 v53, v52
	v_mov_b32_e32 v55, v52
.LBB86_687:
	s_or_b64 exec, exec, s[2:3]
.LBB86_688:
	s_andn2_saveexec_b64 s[0:1], s[0:1]
	s_cbranch_execz .LBB86_690
; %bb.689:
	s_waitcnt vmcnt(0)
	v_pk_mov_b32 v[56:57], v[48:49], v[44:45] op_sel:[1,0]
	v_mov_b32_e32 v55, 40
	ds_write2_b32 v17, v56, v57 offset0:41 offset1:42
	ds_write_b32 v17, v45 offset:172
.LBB86_690:
	s_or_b64 exec, exec, s[0:1]
	v_cmp_lt_i32_e32 vcc, 40, v55
	s_waitcnt lgkmcnt(0)
	s_barrier
	s_and_saveexec_b64 s[0:1], vcc
	s_cbranch_execz .LBB86_692
; %bb.691:
	ds_read_b32 v52, v17 offset:164
	ds_read2_b32 v[56:57], v17 offset0:42 offset1:43
	v_mul_f32_e32 v48, v54, v48
	s_waitcnt vmcnt(2) lgkmcnt(1)
	v_fma_f32 v49, -v48, v52, v49
	s_waitcnt vmcnt(0) lgkmcnt(0)
	v_pk_fma_f32 v[44:45], v[48:49], v[56:57], v[44:45] op_sel_hi:[0,1,1] neg_lo:[1,0,0] neg_hi:[1,0,0]
.LBB86_692:
	s_or_b64 exec, exec, s[0:1]
	v_lshl_add_u32 v52, v55, 2, v17
	s_barrier
	s_waitcnt vmcnt(2)
	ds_write_b32 v52, v49
	s_waitcnt lgkmcnt(0)
	s_barrier
	ds_read_b32 v54, v17 offset:164
	s_cmp_lt_i32 s22, 43
	v_mov_b32_e32 v52, 41
	s_cbranch_scc1 .LBB86_695
; %bb.693:
	v_add_u32_e32 v56, 0xa8, v17
	v_mov_b32_e32 v52, 41
	s_mov_b32 s0, 42
.LBB86_694:                             ; =>This Inner Loop Header: Depth=1
	ds_read_b32 v57, v56
	v_mov_b32_e32 v58, s0
	s_add_i32 s0, s0, 1
	v_add_u32_e32 v56, 4, v56
	s_cmp_lg_u32 s22, s0
	s_waitcnt lgkmcnt(0)
	v_cmp_lt_f32_e64 vcc, |v54|, |v57|
	s_nop 1
	v_cndmask_b32_e32 v54, v54, v57, vcc
	v_cndmask_b32_e32 v52, v52, v58, vcc
	s_cbranch_scc1 .LBB86_694
.LBB86_695:
	s_waitcnt lgkmcnt(0)
	v_cmp_eq_f32_e32 vcc, 0, v54
	s_and_saveexec_b64 s[0:1], vcc
	s_xor_b64 s[0:1], exec, s[0:1]
; %bb.696:
	v_cmp_ne_u32_e32 vcc, 0, v19
	s_nop 1
	v_cndmask_b32_e32 v19, 42, v19, vcc
; %bb.697:
	s_andn2_saveexec_b64 s[0:1], s[0:1]
	s_cbranch_execz .LBB86_699
; %bb.698:
	v_div_scale_f32 v56, s[2:3], v54, v54, 1.0
	v_rcp_f32_e32 v57, v56
	v_div_scale_f32 v58, vcc, 1.0, v54, 1.0
	v_fma_f32 v59, -v56, v57, 1.0
	v_fmac_f32_e32 v57, v59, v57
	v_mul_f32_e32 v59, v58, v57
	v_fma_f32 v60, -v56, v59, v58
	v_fmac_f32_e32 v59, v60, v57
	v_fma_f32 v56, -v56, v59, v58
	v_div_fmas_f32 v56, v56, v57, v59
	v_div_fixup_f32 v54, v56, v54, 1.0
.LBB86_699:
	s_or_b64 exec, exec, s[0:1]
	v_cmp_ne_u32_e32 vcc, v55, v52
	s_and_saveexec_b64 s[0:1], vcc
	s_xor_b64 s[0:1], exec, s[0:1]
	s_cbranch_execz .LBB86_705
; %bb.700:
	v_cmp_eq_u32_e32 vcc, 41, v55
	s_and_saveexec_b64 s[2:3], vcc
	s_cbranch_execz .LBB86_704
; %bb.701:
	v_cmp_ne_u32_e32 vcc, 41, v52
	s_xor_b64 s[18:19], s[16:17], -1
	s_and_b64 s[20:21], s[18:19], vcc
	s_and_saveexec_b64 s[18:19], s[20:21]
	s_cbranch_execz .LBB86_703
; %bb.702:
	v_ashrrev_i32_e32 v53, 31, v52
	v_lshl_add_u64 v[56:57], v[52:53], 2, v[20:21]
	global_load_dword v53, v[56:57], off
	global_load_dword v55, v[20:21], off offset:164
	s_waitcnt vmcnt(1)
	global_store_dword v[20:21], v53, off offset:164
	s_waitcnt vmcnt(1)
	global_store_dword v[56:57], v55, off
.LBB86_703:
	s_or_b64 exec, exec, s[18:19]
	v_mov_b32_e32 v53, v52
	v_mov_b32_e32 v55, v52
.LBB86_704:
	s_or_b64 exec, exec, s[2:3]
.LBB86_705:
	s_andn2_saveexec_b64 s[0:1], s[0:1]
	s_cbranch_execz .LBB86_707
; %bb.706:
	v_mov_b32_e32 v55, 41
	s_waitcnt vmcnt(0)
	ds_write2_b32 v17, v44, v45 offset0:42 offset1:43
.LBB86_707:
	s_or_b64 exec, exec, s[0:1]
	v_cmp_lt_i32_e32 vcc, 41, v55
	s_waitcnt lgkmcnt(0)
	s_barrier
	s_and_saveexec_b64 s[0:1], vcc
	s_cbranch_execz .LBB86_709
; %bb.708:
	ds_read2_b32 v[56:57], v17 offset0:42 offset1:43
	v_mul_f32_e32 v52, v54, v49
	v_mov_b32_e32 v49, v52
	s_waitcnt vmcnt(0) lgkmcnt(0)
	v_pk_fma_f32 v[44:45], v[52:53], v[56:57], v[44:45] op_sel_hi:[0,1,1] neg_lo:[1,0,0] neg_hi:[1,0,0]
.LBB86_709:
	s_or_b64 exec, exec, s[0:1]
	v_lshl_add_u32 v52, v55, 2, v17
	s_barrier
	s_waitcnt vmcnt(1)
	ds_write_b32 v52, v44
	s_waitcnt lgkmcnt(0)
	s_barrier
	ds_read_b32 v54, v17 offset:168
	s_cmp_lt_i32 s22, 44
	v_mov_b32_e32 v52, 42
	s_cbranch_scc1 .LBB86_712
; %bb.710:
	v_add_u32_e32 v56, 0xac, v17
	v_mov_b32_e32 v52, 42
	s_mov_b32 s0, 43
.LBB86_711:                             ; =>This Inner Loop Header: Depth=1
	ds_read_b32 v57, v56
	v_mov_b32_e32 v58, s0
	s_add_i32 s0, s0, 1
	v_add_u32_e32 v56, 4, v56
	s_cmp_lg_u32 s22, s0
	s_waitcnt lgkmcnt(0)
	v_cmp_lt_f32_e64 vcc, |v54|, |v57|
	s_nop 1
	v_cndmask_b32_e32 v54, v54, v57, vcc
	v_cndmask_b32_e32 v52, v52, v58, vcc
	s_cbranch_scc1 .LBB86_711
.LBB86_712:
	s_waitcnt lgkmcnt(0)
	v_cmp_eq_f32_e32 vcc, 0, v54
	s_and_saveexec_b64 s[0:1], vcc
	s_xor_b64 s[0:1], exec, s[0:1]
; %bb.713:
	v_cmp_ne_u32_e32 vcc, 0, v19
	s_nop 1
	v_cndmask_b32_e32 v19, 43, v19, vcc
; %bb.714:
	s_andn2_saveexec_b64 s[0:1], s[0:1]
	s_cbranch_execz .LBB86_716
; %bb.715:
	v_div_scale_f32 v56, s[2:3], v54, v54, 1.0
	v_rcp_f32_e32 v57, v56
	v_div_scale_f32 v58, vcc, 1.0, v54, 1.0
	v_fma_f32 v59, -v56, v57, 1.0
	v_fmac_f32_e32 v57, v59, v57
	v_mul_f32_e32 v59, v58, v57
	v_fma_f32 v60, -v56, v59, v58
	v_fmac_f32_e32 v59, v60, v57
	v_fma_f32 v56, -v56, v59, v58
	v_div_fmas_f32 v56, v56, v57, v59
	v_div_fixup_f32 v54, v56, v54, 1.0
.LBB86_716:
	s_or_b64 exec, exec, s[0:1]
	v_cmp_ne_u32_e32 vcc, v55, v52
	s_and_saveexec_b64 s[0:1], vcc
	s_xor_b64 s[0:1], exec, s[0:1]
	s_cbranch_execz .LBB86_722
; %bb.717:
	v_cmp_eq_u32_e32 vcc, 42, v55
	s_and_saveexec_b64 s[2:3], vcc
	s_cbranch_execz .LBB86_721
; %bb.718:
	v_cmp_ne_u32_e32 vcc, 42, v52
	s_xor_b64 s[18:19], s[16:17], -1
	s_and_b64 s[20:21], s[18:19], vcc
	s_and_saveexec_b64 s[18:19], s[20:21]
	s_cbranch_execz .LBB86_720
; %bb.719:
	v_ashrrev_i32_e32 v53, 31, v52
	v_lshl_add_u64 v[56:57], v[52:53], 2, v[20:21]
	global_load_dword v53, v[56:57], off
	global_load_dword v55, v[20:21], off offset:168
	s_waitcnt vmcnt(1)
	global_store_dword v[20:21], v53, off offset:168
	s_waitcnt vmcnt(1)
	global_store_dword v[56:57], v55, off
.LBB86_720:
	s_or_b64 exec, exec, s[18:19]
	v_mov_b32_e32 v53, v52
	v_mov_b32_e32 v55, v52
.LBB86_721:
	s_or_b64 exec, exec, s[2:3]
.LBB86_722:
	s_andn2_saveexec_b64 s[0:1], s[0:1]
	s_cbranch_execz .LBB86_724
; %bb.723:
	v_mov_b32_e32 v55, 42
	s_waitcnt vmcnt(0)
	ds_write_b32 v17, v45 offset:172
.LBB86_724:
	s_or_b64 exec, exec, s[0:1]
	v_cmp_lt_i32_e32 vcc, 42, v55
	s_waitcnt lgkmcnt(0)
	s_barrier
	s_and_saveexec_b64 s[0:1], vcc
	s_cbranch_execz .LBB86_726
; %bb.725:
	ds_read_b32 v52, v17 offset:172
	v_mul_f32_e32 v44, v54, v44
	s_waitcnt vmcnt(0) lgkmcnt(0)
	v_fma_f32 v45, -v44, v52, v45
.LBB86_726:
	s_or_b64 exec, exec, s[0:1]
	v_lshl_add_u32 v52, v55, 2, v17
	s_barrier
	s_waitcnt vmcnt(0)
	ds_write_b32 v52, v45
	s_waitcnt lgkmcnt(0)
	s_barrier
	ds_read_b32 v56, v17 offset:172
	s_cmp_lt_i32 s22, 45
	v_mov_b32_e32 v52, 43
	s_cbranch_scc1 .LBB86_729
; %bb.727:
	v_add_u32_e32 v17, 0xb0, v17
	v_mov_b32_e32 v52, 43
	s_mov_b32 s0, 44
.LBB86_728:                             ; =>This Inner Loop Header: Depth=1
	ds_read_b32 v54, v17
	v_mov_b32_e32 v57, s0
	s_add_i32 s0, s0, 1
	v_add_u32_e32 v17, 4, v17
	s_cmp_lg_u32 s22, s0
	s_waitcnt lgkmcnt(0)
	v_cmp_lt_f32_e64 vcc, |v56|, |v54|
	s_nop 1
	v_cndmask_b32_e32 v56, v56, v54, vcc
	v_cndmask_b32_e32 v52, v52, v57, vcc
	s_cbranch_scc1 .LBB86_728
.LBB86_729:
	s_waitcnt lgkmcnt(0)
	v_cmp_eq_f32_e32 vcc, 0, v56
	s_and_saveexec_b64 s[0:1], vcc
	s_xor_b64 s[0:1], exec, s[0:1]
; %bb.730:
	v_cmp_ne_u32_e32 vcc, 0, v19
	s_nop 1
	v_cndmask_b32_e32 v19, 44, v19, vcc
; %bb.731:
	s_andn2_saveexec_b64 s[0:1], s[0:1]
	s_cbranch_execz .LBB86_733
; %bb.732:
	v_div_scale_f32 v17, s[2:3], v56, v56, 1.0
	v_rcp_f32_e32 v54, v17
	v_div_scale_f32 v57, vcc, 1.0, v56, 1.0
	v_fma_f32 v58, -v17, v54, 1.0
	v_fmac_f32_e32 v54, v58, v54
	v_mul_f32_e32 v58, v57, v54
	v_fma_f32 v59, -v17, v58, v57
	v_fmac_f32_e32 v58, v59, v54
	v_fma_f32 v17, -v17, v58, v57
	v_div_fmas_f32 v17, v17, v54, v58
	v_div_fixup_f32 v56, v17, v56, 1.0
.LBB86_733:
	s_or_b64 exec, exec, s[0:1]
	v_cmp_ne_u32_e32 vcc, v55, v52
	v_mov_b32_e32 v54, 43
	s_and_saveexec_b64 s[0:1], vcc
	s_cbranch_execz .LBB86_739
; %bb.734:
	v_cmp_eq_u32_e32 vcc, 43, v55
	s_and_saveexec_b64 s[2:3], vcc
	s_cbranch_execz .LBB86_738
; %bb.735:
	v_cmp_ne_u32_e32 vcc, 43, v52
	s_xor_b64 s[16:17], s[16:17], -1
	s_and_b64 s[18:19], s[16:17], vcc
	s_and_saveexec_b64 s[16:17], s[18:19]
	s_cbranch_execz .LBB86_737
; %bb.736:
	v_ashrrev_i32_e32 v53, 31, v52
	v_lshl_add_u64 v[54:55], v[52:53], 2, v[20:21]
	global_load_dword v17, v[54:55], off
	global_load_dword v53, v[20:21], off offset:172
	s_waitcnt vmcnt(1)
	global_store_dword v[20:21], v17, off offset:172
	s_waitcnt vmcnt(1)
	global_store_dword v[54:55], v53, off
.LBB86_737:
	s_or_b64 exec, exec, s[16:17]
	v_mov_b32_e32 v53, v52
	v_mov_b32_e32 v55, v52
.LBB86_738:
	s_or_b64 exec, exec, s[2:3]
	v_mov_b32_e32 v54, v55
.LBB86_739:
	s_or_b64 exec, exec, s[0:1]
	v_cmp_gt_i32_e32 vcc, 44, v54
	v_ashrrev_i32_e32 v55, 31, v54
	s_barrier
	s_barrier
	s_and_saveexec_b64 s[0:1], vcc
	s_cbranch_execz .LBB86_741
; %bb.740:
	v_mul_lo_u32 v17, s11, v4
	v_mul_lo_u32 v52, s10, v5
	v_mad_u64_u32 v[58:59], s[2:3], s10, v4, 0
	v_mov_b32_e32 v20, s6
	v_mov_b32_e32 v21, s7
	v_add3_u32 v59, v59, v52, v17
	v_lshl_add_u64 v[20:21], v[58:59], 2, v[20:21]
	v_lshl_add_u64 v[20:21], s[8:9], 2, v[20:21]
	;; [unrolled: 1-line block ×3, first 2 shown]
	v_add3_u32 v17, v53, s15, 1
	global_store_dword v[20:21], v17, off
.LBB86_741:
	s_or_b64 exec, exec, s[0:1]
	v_cmp_eq_u32_e32 vcc, 0, v54
	s_and_saveexec_b64 s[2:3], vcc
	s_cbranch_execz .LBB86_744
; %bb.742:
	v_mov_b32_e32 v20, s4
	v_mov_b32_e32 v21, s5
	v_lshl_add_u64 v[4:5], v[4:5], 2, v[20:21]
	global_load_dword v17, v[4:5], off
	v_cmp_ne_u32_e64 s[0:1], 0, v19
	s_waitcnt vmcnt(0)
	v_cmp_eq_u32_e32 vcc, 0, v17
	s_and_b64 s[0:1], vcc, s[0:1]
	s_and_b64 exec, exec, s[0:1]
	s_cbranch_execz .LBB86_744
; %bb.743:
	v_add_u32_e32 v17, s15, v19
	global_store_dword v[4:5], v17, off
.LBB86_744:
	s_or_b64 exec, exec, s[2:3]
	v_mul_f32_e32 v4, v56, v45
	v_cmp_lt_i32_e32 vcc, 43, v54
	s_nop 1
	v_cndmask_b32_e32 v19, v45, v4, vcc
	v_lshl_add_u64 v[4:5], v[54:55], 2, v[2:3]
	global_store_dword v[4:5], v18, off
	v_lshl_add_u64 v[4:5], s[12:13], 2, v[4:5]
	global_store_dword v[4:5], v16, off
	v_add_u32_e32 v4, s14, v54
	v_ashrrev_i32_e32 v5, 31, v4
	v_lshl_add_u64 v[16:17], v[4:5], 2, v[2:3]
	v_add_u32_e32 v4, s12, v4
	v_ashrrev_i32_e32 v5, 31, v4
	global_store_dword v[16:17], v10, off
	v_lshl_add_u64 v[16:17], v[4:5], 2, v[2:3]
	v_add_u32_e32 v4, s12, v4
	v_ashrrev_i32_e32 v5, 31, v4
	global_store_dword v[16:17], v11, off
	;; [unrolled: 4-line block ×5, first 2 shown]
	v_lshl_add_u64 v[6:7], v[4:5], 2, v[2:3]
	v_add_u32_e32 v0, s12, v4
	global_store_dword v[6:7], v1, off
	v_ashrrev_i32_e32 v1, 31, v0
	v_lshl_add_u64 v[4:5], v[0:1], 2, v[2:3]
	v_add_u32_e32 v0, s12, v0
	v_ashrrev_i32_e32 v1, 31, v0
	global_store_dword v[4:5], v28, off
	v_lshl_add_u64 v[4:5], v[0:1], 2, v[2:3]
	v_add_u32_e32 v0, s12, v0
	v_ashrrev_i32_e32 v1, 31, v0
	global_store_dword v[4:5], v29, off
	;; [unrolled: 4-line block ×34, first 2 shown]
	v_lshl_add_u64 v[4:5], v[0:1], 2, v[2:3]
	v_add_u32_e32 v0, s12, v0
	v_ashrrev_i32_e32 v1, 31, v0
	v_lshl_add_u64 v[0:1], v[0:1], 2, v[2:3]
	global_store_dword v[4:5], v44, off
	global_store_dword v[0:1], v19, off
.LBB86_745:
	s_endpgm
	.section	.rodata,"a",@progbits
	.p2align	6, 0x0
	.amdhsa_kernel _ZN9rocsolver6v33100L18getf2_small_kernelILi44EfiiPfEEvT1_T3_lS3_lPS3_llPT2_S3_S3_S5_l
		.amdhsa_group_segment_fixed_size 0
		.amdhsa_private_segment_fixed_size 0
		.amdhsa_kernarg_size 352
		.amdhsa_user_sgpr_count 2
		.amdhsa_user_sgpr_dispatch_ptr 0
		.amdhsa_user_sgpr_queue_ptr 0
		.amdhsa_user_sgpr_kernarg_segment_ptr 1
		.amdhsa_user_sgpr_dispatch_id 0
		.amdhsa_user_sgpr_kernarg_preload_length 0
		.amdhsa_user_sgpr_kernarg_preload_offset 0
		.amdhsa_user_sgpr_private_segment_size 0
		.amdhsa_uses_dynamic_stack 0
		.amdhsa_enable_private_segment 0
		.amdhsa_system_sgpr_workgroup_id_x 1
		.amdhsa_system_sgpr_workgroup_id_y 1
		.amdhsa_system_sgpr_workgroup_id_z 0
		.amdhsa_system_sgpr_workgroup_info 0
		.amdhsa_system_vgpr_workitem_id 1
		.amdhsa_next_free_vgpr 68
		.amdhsa_next_free_sgpr 26
		.amdhsa_accum_offset 68
		.amdhsa_reserve_vcc 1
		.amdhsa_float_round_mode_32 0
		.amdhsa_float_round_mode_16_64 0
		.amdhsa_float_denorm_mode_32 3
		.amdhsa_float_denorm_mode_16_64 3
		.amdhsa_dx10_clamp 1
		.amdhsa_ieee_mode 1
		.amdhsa_fp16_overflow 0
		.amdhsa_tg_split 0
		.amdhsa_exception_fp_ieee_invalid_op 0
		.amdhsa_exception_fp_denorm_src 0
		.amdhsa_exception_fp_ieee_div_zero 0
		.amdhsa_exception_fp_ieee_overflow 0
		.amdhsa_exception_fp_ieee_underflow 0
		.amdhsa_exception_fp_ieee_inexact 0
		.amdhsa_exception_int_div_zero 0
	.end_amdhsa_kernel
	.section	.text._ZN9rocsolver6v33100L18getf2_small_kernelILi44EfiiPfEEvT1_T3_lS3_lPS3_llPT2_S3_S3_S5_l,"axG",@progbits,_ZN9rocsolver6v33100L18getf2_small_kernelILi44EfiiPfEEvT1_T3_lS3_lPS3_llPT2_S3_S3_S5_l,comdat
.Lfunc_end86:
	.size	_ZN9rocsolver6v33100L18getf2_small_kernelILi44EfiiPfEEvT1_T3_lS3_lPS3_llPT2_S3_S3_S5_l, .Lfunc_end86-_ZN9rocsolver6v33100L18getf2_small_kernelILi44EfiiPfEEvT1_T3_lS3_lPS3_llPT2_S3_S3_S5_l
                                        ; -- End function
	.set _ZN9rocsolver6v33100L18getf2_small_kernelILi44EfiiPfEEvT1_T3_lS3_lPS3_llPT2_S3_S3_S5_l.num_vgpr, 68
	.set _ZN9rocsolver6v33100L18getf2_small_kernelILi44EfiiPfEEvT1_T3_lS3_lPS3_llPT2_S3_S3_S5_l.num_agpr, 0
	.set _ZN9rocsolver6v33100L18getf2_small_kernelILi44EfiiPfEEvT1_T3_lS3_lPS3_llPT2_S3_S3_S5_l.numbered_sgpr, 26
	.set _ZN9rocsolver6v33100L18getf2_small_kernelILi44EfiiPfEEvT1_T3_lS3_lPS3_llPT2_S3_S3_S5_l.num_named_barrier, 0
	.set _ZN9rocsolver6v33100L18getf2_small_kernelILi44EfiiPfEEvT1_T3_lS3_lPS3_llPT2_S3_S3_S5_l.private_seg_size, 0
	.set _ZN9rocsolver6v33100L18getf2_small_kernelILi44EfiiPfEEvT1_T3_lS3_lPS3_llPT2_S3_S3_S5_l.uses_vcc, 1
	.set _ZN9rocsolver6v33100L18getf2_small_kernelILi44EfiiPfEEvT1_T3_lS3_lPS3_llPT2_S3_S3_S5_l.uses_flat_scratch, 0
	.set _ZN9rocsolver6v33100L18getf2_small_kernelILi44EfiiPfEEvT1_T3_lS3_lPS3_llPT2_S3_S3_S5_l.has_dyn_sized_stack, 0
	.set _ZN9rocsolver6v33100L18getf2_small_kernelILi44EfiiPfEEvT1_T3_lS3_lPS3_llPT2_S3_S3_S5_l.has_recursion, 0
	.set _ZN9rocsolver6v33100L18getf2_small_kernelILi44EfiiPfEEvT1_T3_lS3_lPS3_llPT2_S3_S3_S5_l.has_indirect_call, 0
	.section	.AMDGPU.csdata,"",@progbits
; Kernel info:
; codeLenInByte = 36924
; TotalNumSgprs: 32
; NumVgprs: 68
; NumAgprs: 0
; TotalNumVgprs: 68
; ScratchSize: 0
; MemoryBound: 0
; FloatMode: 240
; IeeeMode: 1
; LDSByteSize: 0 bytes/workgroup (compile time only)
; SGPRBlocks: 3
; VGPRBlocks: 8
; NumSGPRsForWavesPerEU: 32
; NumVGPRsForWavesPerEU: 68
; AccumOffset: 68
; Occupancy: 7
; WaveLimiterHint : 0
; COMPUTE_PGM_RSRC2:SCRATCH_EN: 0
; COMPUTE_PGM_RSRC2:USER_SGPR: 2
; COMPUTE_PGM_RSRC2:TRAP_HANDLER: 0
; COMPUTE_PGM_RSRC2:TGID_X_EN: 1
; COMPUTE_PGM_RSRC2:TGID_Y_EN: 1
; COMPUTE_PGM_RSRC2:TGID_Z_EN: 0
; COMPUTE_PGM_RSRC2:TIDIG_COMP_CNT: 1
; COMPUTE_PGM_RSRC3_GFX90A:ACCUM_OFFSET: 16
; COMPUTE_PGM_RSRC3_GFX90A:TG_SPLIT: 0
	.section	.text._ZN9rocsolver6v33100L23getf2_npvt_small_kernelILi44EfiiPfEEvT1_T3_lS3_lPT2_S3_S3_,"axG",@progbits,_ZN9rocsolver6v33100L23getf2_npvt_small_kernelILi44EfiiPfEEvT1_T3_lS3_lPT2_S3_S3_,comdat
	.globl	_ZN9rocsolver6v33100L23getf2_npvt_small_kernelILi44EfiiPfEEvT1_T3_lS3_lPT2_S3_S3_ ; -- Begin function _ZN9rocsolver6v33100L23getf2_npvt_small_kernelILi44EfiiPfEEvT1_T3_lS3_lPT2_S3_S3_
	.p2align	8
	.type	_ZN9rocsolver6v33100L23getf2_npvt_small_kernelILi44EfiiPfEEvT1_T3_lS3_lPT2_S3_S3_,@function
_ZN9rocsolver6v33100L23getf2_npvt_small_kernelILi44EfiiPfEEvT1_T3_lS3_lPT2_S3_S3_: ; @_ZN9rocsolver6v33100L23getf2_npvt_small_kernelILi44EfiiPfEEvT1_T3_lS3_lPT2_S3_S3_
; %bb.0:
	s_load_dword s2, s[0:1], 0x44
	s_load_dwordx2 s[8:9], s[0:1], 0x30
	v_bfe_u32 v135, v0, 10, 10
	s_waitcnt lgkmcnt(0)
	s_lshr_b32 s10, s2, 16
	s_mul_i32 s3, s3, s10
	v_add_u32_e32 v24, s3, v135
	v_cmp_gt_i32_e32 vcc, s8, v24
	s_and_saveexec_b64 s[2:3], vcc
	s_cbranch_execz .LBB87_243
; %bb.1:
	s_load_dwordx4 s[12:15], s[0:1], 0x8
	s_load_dword s2, s[0:1], 0x18
	s_load_dwordx4 s[4:7], s[0:1], 0x20
	v_ashrrev_i32_e32 v25, 31, v24
	v_and_b32_e32 v133, 0x3ff, v0
	s_waitcnt lgkmcnt(0)
	v_mov_b32_e32 v0, s12
	v_mov_b32_e32 v1, s13
	v_mad_u64_u32 v[2:3], s[0:1], s4, v24, 0
	v_mul_lo_u32 v4, s5, v24
	v_mul_lo_u32 v5, s4, v25
	s_add_i32 s0, s2, s2
	v_add3_u32 v3, v3, v5, v4
	v_add_u32_e32 v4, s0, v133
	v_add_u32_e32 v6, s2, v4
	;; [unrolled: 1-line block ×40, first 2 shown]
	v_lshl_add_u64 v[0:1], v[2:3], 2, v[0:1]
	v_add_u32_e32 v88, s2, v84
	v_lshl_add_u64 v[86:87], s[14:15], 2, v[0:1]
	v_ashrrev_i32_e32 v5, 31, v4
	v_ashrrev_i32_e32 v7, 31, v6
	;; [unrolled: 1-line block ×41, first 2 shown]
	v_lshl_add_u64 v[2:3], v[4:5], 2, v[86:87]
	v_lshl_add_u64 v[4:5], v[6:7], 2, v[86:87]
	;; [unrolled: 1-line block ×41, first 2 shown]
	v_add_u32_e32 v88, s2, v88
	v_lshlrev_b32_e32 v0, 2, v133
	v_mov_b32_e32 v1, 0
	v_ashrrev_i32_e32 v89, 31, v88
	v_lshl_add_u64 v[0:1], v[86:87], 0, v[0:1]
	v_lshl_add_u64 v[86:87], v[88:89], 2, v[86:87]
	global_load_dword v120, v[14:15], off
	global_load_dword v121, v[16:17], off
	global_load_dword v102, v[18:19], off
	global_load_dword v103, v[20:21], off
	global_load_dword v118, v[22:23], off
	global_load_dword v119, v[26:27], off
	global_load_dword v100, v[28:29], off
	global_load_dword v101, v[30:31], off
	global_load_dword v116, v[32:33], off
	global_load_dword v117, v[34:35], off
	global_load_dword v98, v[36:37], off
	global_load_dword v99, v[38:39], off
	global_load_dword v114, v[40:41], off
	global_load_dword v115, v[42:43], off
	global_load_dword v96, v[44:45], off
	global_load_dword v97, v[46:47], off
	global_load_dword v112, v[48:49], off
	global_load_dword v113, v[50:51], off
	global_load_dword v94, v[52:53], off
	global_load_dword v95, v[54:55], off
	global_load_dword v110, v[56:57], off
	global_load_dword v111, v[58:59], off
	global_load_dword v92, v[60:61], off
	global_load_dword v93, v[62:63], off
	global_load_dword v108, v[64:65], off
	global_load_dword v109, v[66:67], off
	global_load_dword v90, v[68:69], off
	global_load_dword v91, v[70:71], off
	global_load_dword v106, v[72:73], off
	global_load_dword v107, v[74:75], off
	global_load_dword v88, v[76:77], off
	global_load_dword v89, v[78:79], off
	global_load_dword v104, v[80:81], off
	global_load_dword v105, v[82:83], off
	global_load_dword v122, v[84:85], off
	global_load_dword v123, v[86:87], off
	s_ashr_i32 s3, s2, 31
	v_lshl_add_u64 v[130:131], s[2:3], 2, v[0:1]
	global_load_dword v126, v[2:3], off
	global_load_dword v127, v[4:5], off
	;; [unrolled: 1-line block ×8, first 2 shown]
	s_mulk_i32 s10, 0xb0
	s_movk_i32 s0, 0xb0
	s_add_i32 s1, s10, 0
	v_mad_u32_u24 v137, v135, s0, 0
	v_lshl_add_u32 v135, v135, 2, s1
	v_cmp_ne_u32_e64 s[2:3], 0, v133
	v_cmp_eq_u32_e64 s[0:1], 0, v133
	s_and_saveexec_b64 s[4:5], s[0:1]
	s_cbranch_execz .LBB87_4
; %bb.2:
	s_waitcnt vmcnt(1)
	ds_write_b32 v135, v132
	s_waitcnt vmcnt(0)
	ds_write2_b32 v137, v134, v126 offset0:1 offset1:2
	ds_write2_b32 v137, v127, v128 offset0:3 offset1:4
	;; [unrolled: 1-line block ×21, first 2 shown]
	ds_write_b32 v137, v123 offset:172
	ds_read_b32 v136, v135
	s_waitcnt lgkmcnt(0)
	v_cmp_neq_f32_e32 vcc, 0, v136
	s_and_b64 exec, exec, vcc
	s_cbranch_execz .LBB87_4
; %bb.3:
	v_div_scale_f32 v138, s[10:11], v136, v136, 1.0
	v_rcp_f32_e32 v139, v138
	v_div_scale_f32 v140, vcc, 1.0, v136, 1.0
	v_fma_f32 v141, -v138, v139, 1.0
	v_fmac_f32_e32 v139, v141, v139
	v_mul_f32_e32 v141, v140, v139
	v_fma_f32 v142, -v138, v141, v140
	v_fmac_f32_e32 v141, v142, v139
	v_fma_f32 v138, -v138, v141, v140
	v_div_fmas_f32 v138, v138, v139, v141
	v_div_fixup_f32 v136, v138, v136, 1.0
	ds_write_b32 v135, v136
.LBB87_4:
	s_or_b64 exec, exec, s[4:5]
	s_waitcnt lgkmcnt(0)
	s_barrier
	ds_read_b32 v136, v135
	s_and_saveexec_b64 s[4:5], s[2:3]
	s_cbranch_execz .LBB87_6
; %bb.5:
	ds_read_b32 v146, v137 offset:4
	ds_read2_b64 v[138:141], v137 offset0:1 offset1:2
	ds_read2_b64 v[142:145], v137 offset0:3 offset1:4
	s_waitcnt vmcnt(1) lgkmcnt(3)
	v_mul_f32_e32 v132, v136, v132
	s_waitcnt vmcnt(0) lgkmcnt(2)
	v_fma_f32 v134, -v132, v146, v134
	s_waitcnt lgkmcnt(1)
	v_pk_fma_f32 v[126:127], v[132:133], v[138:139], v[126:127] op_sel_hi:[0,1,1] neg_lo:[1,0,0] neg_hi:[1,0,0]
	ds_read2_b64 v[146:149], v137 offset0:5 offset1:6
	v_pk_fma_f32 v[128:129], v[132:133], v[140:141], v[128:129] op_sel_hi:[0,1,1] neg_lo:[1,0,0] neg_hi:[1,0,0]
	s_waitcnt lgkmcnt(1)
	v_pk_fma_f32 v[124:125], v[132:133], v[142:143], v[124:125] op_sel_hi:[0,1,1] neg_lo:[1,0,0] neg_hi:[1,0,0]
	ds_read2_b64 v[138:141], v137 offset0:7 offset1:8
	v_pk_fma_f32 v[120:121], v[132:133], v[144:145], v[120:121] op_sel_hi:[0,1,1] neg_lo:[1,0,0] neg_hi:[1,0,0]
	ds_read2_b64 v[142:145], v137 offset0:9 offset1:10
	s_waitcnt lgkmcnt(2)
	v_pk_fma_f32 v[102:103], v[132:133], v[146:147], v[102:103] op_sel_hi:[0,1,1] neg_lo:[1,0,0] neg_hi:[1,0,0]
	v_pk_fma_f32 v[118:119], v[132:133], v[148:149], v[118:119] op_sel_hi:[0,1,1] neg_lo:[1,0,0] neg_hi:[1,0,0]
	s_waitcnt lgkmcnt(1)
	v_pk_fma_f32 v[100:101], v[132:133], v[138:139], v[100:101] op_sel_hi:[0,1,1] neg_lo:[1,0,0] neg_hi:[1,0,0]
	ds_read2_b64 v[146:149], v137 offset0:11 offset1:12
	v_pk_fma_f32 v[116:117], v[132:133], v[140:141], v[116:117] op_sel_hi:[0,1,1] neg_lo:[1,0,0] neg_hi:[1,0,0]
	s_waitcnt lgkmcnt(1)
	v_pk_fma_f32 v[98:99], v[132:133], v[142:143], v[98:99] op_sel_hi:[0,1,1] neg_lo:[1,0,0] neg_hi:[1,0,0]
	ds_read2_b64 v[138:141], v137 offset0:13 offset1:14
	v_pk_fma_f32 v[114:115], v[132:133], v[144:145], v[114:115] op_sel_hi:[0,1,1] neg_lo:[1,0,0] neg_hi:[1,0,0]
	ds_read2_b64 v[142:145], v137 offset0:15 offset1:16
	s_waitcnt lgkmcnt(2)
	v_pk_fma_f32 v[96:97], v[132:133], v[146:147], v[96:97] op_sel_hi:[0,1,1] neg_lo:[1,0,0] neg_hi:[1,0,0]
	v_pk_fma_f32 v[112:113], v[132:133], v[148:149], v[112:113] op_sel_hi:[0,1,1] neg_lo:[1,0,0] neg_hi:[1,0,0]
	s_waitcnt lgkmcnt(1)
	v_pk_fma_f32 v[94:95], v[132:133], v[138:139], v[94:95] op_sel_hi:[0,1,1] neg_lo:[1,0,0] neg_hi:[1,0,0]
	v_pk_fma_f32 v[110:111], v[132:133], v[140:141], v[110:111] op_sel_hi:[0,1,1] neg_lo:[1,0,0] neg_hi:[1,0,0]
	ds_read2_b64 v[138:141], v137 offset0:17 offset1:18
	s_waitcnt lgkmcnt(1)
	v_pk_fma_f32 v[92:93], v[132:133], v[142:143], v[92:93] op_sel_hi:[0,1,1] neg_lo:[1,0,0] neg_hi:[1,0,0]
	ds_read2_b64 v[146:149], v137 offset0:19 offset1:20
	ds_read_b64 v[142:143], v137 offset:168
	v_pk_fma_f32 v[108:109], v[132:133], v[144:145], v[108:109] op_sel_hi:[0,1,1] neg_lo:[1,0,0] neg_hi:[1,0,0]
	s_waitcnt lgkmcnt(2)
	v_pk_fma_f32 v[90:91], v[132:133], v[138:139], v[90:91] op_sel_hi:[0,1,1] neg_lo:[1,0,0] neg_hi:[1,0,0]
	v_pk_fma_f32 v[106:107], v[132:133], v[140:141], v[106:107] op_sel_hi:[0,1,1] neg_lo:[1,0,0] neg_hi:[1,0,0]
	s_waitcnt lgkmcnt(1)
	v_pk_fma_f32 v[88:89], v[132:133], v[146:147], v[88:89] op_sel_hi:[0,1,1] neg_lo:[1,0,0] neg_hi:[1,0,0]
	;; [unrolled: 3-line block ×3, first 2 shown]
.LBB87_6:
	s_or_b64 exec, exec, s[4:5]
	v_cmp_eq_u32_e32 vcc, 1, v133
	s_waitcnt lgkmcnt(0)
	s_barrier
	s_and_saveexec_b64 s[2:3], vcc
	s_cbranch_execz .LBB87_9
; %bb.7:
	s_waitcnt vmcnt(0)
	ds_write_b32 v135, v134
	ds_write2_b64 v137, v[126:127], v[128:129] offset0:1 offset1:2
	ds_write2_b64 v137, v[124:125], v[120:121] offset0:3 offset1:4
	;; [unrolled: 1-line block ×10, first 2 shown]
	ds_write_b64 v137, v[122:123] offset:168
	ds_read_b32 v138, v135
	s_waitcnt lgkmcnt(0)
	v_cmp_neq_f32_e32 vcc, 0, v138
	s_and_b64 exec, exec, vcc
	s_cbranch_execz .LBB87_9
; %bb.8:
	v_div_scale_f32 v139, s[4:5], v138, v138, 1.0
	v_rcp_f32_e32 v140, v139
	v_div_scale_f32 v141, vcc, 1.0, v138, 1.0
	v_fma_f32 v142, -v139, v140, 1.0
	v_fmac_f32_e32 v140, v142, v140
	v_mul_f32_e32 v142, v141, v140
	v_fma_f32 v143, -v139, v142, v141
	v_fmac_f32_e32 v142, v143, v140
	v_fma_f32 v139, -v139, v142, v141
	v_div_fmas_f32 v139, v139, v140, v142
	v_div_fixup_f32 v138, v139, v138, 1.0
	ds_write_b32 v135, v138
.LBB87_9:
	s_or_b64 exec, exec, s[2:3]
	s_waitcnt lgkmcnt(0)
	s_barrier
	ds_read_b32 v138, v135
	v_cmp_lt_u32_e32 vcc, 1, v133
	s_and_saveexec_b64 s[2:3], vcc
	s_cbranch_execz .LBB87_11
; %bb.10:
	ds_read2_b64 v[140:143], v137 offset0:1 offset1:2
	ds_read2_b64 v[144:147], v137 offset0:3 offset1:4
	s_waitcnt vmcnt(0) lgkmcnt(2)
	v_mul_f32_e32 v134, v138, v134
	ds_read2_b64 v[148:151], v137 offset0:5 offset1:6
	s_waitcnt lgkmcnt(2)
	v_pk_fma_f32 v[126:127], v[134:135], v[140:141], v[126:127] op_sel_hi:[0,1,1] neg_lo:[1,0,0] neg_hi:[1,0,0]
	v_pk_fma_f32 v[128:129], v[134:135], v[142:143], v[128:129] op_sel_hi:[0,1,1] neg_lo:[1,0,0] neg_hi:[1,0,0]
	s_waitcnt lgkmcnt(1)
	v_pk_fma_f32 v[124:125], v[134:135], v[144:145], v[124:125] op_sel_hi:[0,1,1] neg_lo:[1,0,0] neg_hi:[1,0,0]
	ds_read2_b64 v[140:143], v137 offset0:7 offset1:8
	v_pk_fma_f32 v[120:121], v[134:135], v[146:147], v[120:121] op_sel_hi:[0,1,1] neg_lo:[1,0,0] neg_hi:[1,0,0]
	ds_read2_b64 v[144:147], v137 offset0:9 offset1:10
	s_waitcnt lgkmcnt(2)
	v_pk_fma_f32 v[102:103], v[134:135], v[148:149], v[102:103] op_sel_hi:[0,1,1] neg_lo:[1,0,0] neg_hi:[1,0,0]
	v_pk_fma_f32 v[118:119], v[134:135], v[150:151], v[118:119] op_sel_hi:[0,1,1] neg_lo:[1,0,0] neg_hi:[1,0,0]
	s_waitcnt lgkmcnt(1)
	v_pk_fma_f32 v[100:101], v[134:135], v[140:141], v[100:101] op_sel_hi:[0,1,1] neg_lo:[1,0,0] neg_hi:[1,0,0]
	ds_read2_b64 v[148:151], v137 offset0:11 offset1:12
	v_pk_fma_f32 v[116:117], v[134:135], v[142:143], v[116:117] op_sel_hi:[0,1,1] neg_lo:[1,0,0] neg_hi:[1,0,0]
	s_waitcnt lgkmcnt(1)
	v_pk_fma_f32 v[98:99], v[134:135], v[144:145], v[98:99] op_sel_hi:[0,1,1] neg_lo:[1,0,0] neg_hi:[1,0,0]
	ds_read2_b64 v[140:143], v137 offset0:13 offset1:14
	v_pk_fma_f32 v[114:115], v[134:135], v[146:147], v[114:115] op_sel_hi:[0,1,1] neg_lo:[1,0,0] neg_hi:[1,0,0]
	ds_read2_b64 v[144:147], v137 offset0:15 offset1:16
	s_waitcnt lgkmcnt(2)
	v_pk_fma_f32 v[96:97], v[134:135], v[148:149], v[96:97] op_sel_hi:[0,1,1] neg_lo:[1,0,0] neg_hi:[1,0,0]
	v_pk_fma_f32 v[112:113], v[134:135], v[150:151], v[112:113] op_sel_hi:[0,1,1] neg_lo:[1,0,0] neg_hi:[1,0,0]
	s_waitcnt lgkmcnt(1)
	v_pk_fma_f32 v[94:95], v[134:135], v[140:141], v[94:95] op_sel_hi:[0,1,1] neg_lo:[1,0,0] neg_hi:[1,0,0]
	v_pk_fma_f32 v[110:111], v[134:135], v[142:143], v[110:111] op_sel_hi:[0,1,1] neg_lo:[1,0,0] neg_hi:[1,0,0]
	ds_read2_b64 v[140:143], v137 offset0:17 offset1:18
	ds_read2_b64 v[148:151], v137 offset0:19 offset1:20
	s_waitcnt lgkmcnt(2)
	v_pk_fma_f32 v[92:93], v[134:135], v[144:145], v[92:93] op_sel_hi:[0,1,1] neg_lo:[1,0,0] neg_hi:[1,0,0]
	ds_read_b64 v[144:145], v137 offset:168
	v_pk_fma_f32 v[108:109], v[134:135], v[146:147], v[108:109] op_sel_hi:[0,1,1] neg_lo:[1,0,0] neg_hi:[1,0,0]
	s_waitcnt lgkmcnt(2)
	v_pk_fma_f32 v[90:91], v[134:135], v[140:141], v[90:91] op_sel_hi:[0,1,1] neg_lo:[1,0,0] neg_hi:[1,0,0]
	v_pk_fma_f32 v[106:107], v[134:135], v[142:143], v[106:107] op_sel_hi:[0,1,1] neg_lo:[1,0,0] neg_hi:[1,0,0]
	s_waitcnt lgkmcnt(1)
	v_pk_fma_f32 v[88:89], v[134:135], v[148:149], v[88:89] op_sel_hi:[0,1,1] neg_lo:[1,0,0] neg_hi:[1,0,0]
	;; [unrolled: 3-line block ×3, first 2 shown]
.LBB87_11:
	s_or_b64 exec, exec, s[2:3]
	v_cmp_eq_u32_e32 vcc, 2, v133
	s_waitcnt lgkmcnt(0)
	s_barrier
	s_and_saveexec_b64 s[2:3], vcc
	s_cbranch_execz .LBB87_14
; %bb.12:
	s_waitcnt vmcnt(4)
	v_pk_mov_b32 v[140:141], v[126:127], v[128:129] op_sel:[1,0]
	ds_write_b32 v135, v126
	ds_write2_b32 v137, v140, v141 offset0:3 offset1:4
	s_waitcnt vmcnt(2)
	v_pk_mov_b32 v[140:141], v[128:129], v[124:125] op_sel:[1,0]
	ds_write2_b32 v137, v140, v141 offset0:5 offset1:6
	v_pk_mov_b32 v[140:141], v[124:125], v[120:121] op_sel:[1,0]
	ds_write2_b32 v137, v140, v141 offset0:7 offset1:8
	;; [unrolled: 2-line block ×19, first 2 shown]
	ds_write_b32 v137, v123 offset:172
	ds_read_b32 v139, v135
	s_waitcnt lgkmcnt(0)
	v_cmp_neq_f32_e32 vcc, 0, v139
	s_and_b64 exec, exec, vcc
	s_cbranch_execz .LBB87_14
; %bb.13:
	v_div_scale_f32 v140, s[4:5], v139, v139, 1.0
	v_rcp_f32_e32 v141, v140
	v_div_scale_f32 v142, vcc, 1.0, v139, 1.0
	v_fma_f32 v143, -v140, v141, 1.0
	v_fmac_f32_e32 v141, v143, v141
	v_mul_f32_e32 v143, v142, v141
	v_fma_f32 v144, -v140, v143, v142
	v_fmac_f32_e32 v143, v144, v141
	v_fma_f32 v140, -v140, v143, v142
	v_div_fmas_f32 v140, v140, v141, v143
	v_div_fixup_f32 v139, v140, v139, 1.0
	ds_write_b32 v135, v139
.LBB87_14:
	s_or_b64 exec, exec, s[2:3]
	s_waitcnt lgkmcnt(0)
	s_barrier
	ds_read_b32 v139, v135
	v_cmp_lt_u32_e32 vcc, 2, v133
	s_and_saveexec_b64 s[2:3], vcc
	s_cbranch_execz .LBB87_16
; %bb.15:
	ds_read_b32 v152, v137 offset:12
	ds_read2_b64 v[140:143], v137 offset0:2 offset1:3
	s_waitcnt vmcnt(7) lgkmcnt(2)
	v_mul_f32_e32 v126, v139, v126
	ds_read2_b64 v[144:147], v137 offset0:4 offset1:5
	ds_read2_b64 v[148:151], v137 offset0:6 offset1:7
	s_waitcnt vmcnt(6) lgkmcnt(3)
	v_fma_f32 v127, -v126, v152, v127
	s_waitcnt vmcnt(4) lgkmcnt(2)
	v_pk_fma_f32 v[128:129], v[126:127], v[140:141], v[128:129] op_sel_hi:[0,1,1] neg_lo:[1,0,0] neg_hi:[1,0,0]
	s_waitcnt vmcnt(2)
	v_pk_fma_f32 v[124:125], v[126:127], v[142:143], v[124:125] op_sel_hi:[0,1,1] neg_lo:[1,0,0] neg_hi:[1,0,0]
	ds_read2_b64 v[140:143], v137 offset0:8 offset1:9
	s_waitcnt lgkmcnt(2)
	v_pk_fma_f32 v[120:121], v[126:127], v[144:145], v[120:121] op_sel_hi:[0,1,1] neg_lo:[1,0,0] neg_hi:[1,0,0]
	v_pk_fma_f32 v[102:103], v[126:127], v[146:147], v[102:103] op_sel_hi:[0,1,1] neg_lo:[1,0,0] neg_hi:[1,0,0]
	s_waitcnt lgkmcnt(1)
	v_pk_fma_f32 v[118:119], v[126:127], v[148:149], v[118:119] op_sel_hi:[0,1,1] neg_lo:[1,0,0] neg_hi:[1,0,0]
	ds_read2_b64 v[144:147], v137 offset0:10 offset1:11
	v_pk_fma_f32 v[100:101], v[126:127], v[150:151], v[100:101] op_sel_hi:[0,1,1] neg_lo:[1,0,0] neg_hi:[1,0,0]
	s_waitcnt lgkmcnt(1)
	v_pk_fma_f32 v[116:117], v[126:127], v[140:141], v[116:117] op_sel_hi:[0,1,1] neg_lo:[1,0,0] neg_hi:[1,0,0]
	ds_read2_b64 v[148:151], v137 offset0:12 offset1:13
	v_pk_fma_f32 v[98:99], v[126:127], v[142:143], v[98:99] op_sel_hi:[0,1,1] neg_lo:[1,0,0] neg_hi:[1,0,0]
	ds_read2_b64 v[140:143], v137 offset0:14 offset1:15
	s_waitcnt lgkmcnt(2)
	v_pk_fma_f32 v[114:115], v[126:127], v[144:145], v[114:115] op_sel_hi:[0,1,1] neg_lo:[1,0,0] neg_hi:[1,0,0]
	v_pk_fma_f32 v[96:97], v[126:127], v[146:147], v[96:97] op_sel_hi:[0,1,1] neg_lo:[1,0,0] neg_hi:[1,0,0]
	s_waitcnt lgkmcnt(1)
	v_pk_fma_f32 v[112:113], v[126:127], v[148:149], v[112:113] op_sel_hi:[0,1,1] neg_lo:[1,0,0] neg_hi:[1,0,0]
	v_pk_fma_f32 v[94:95], v[126:127], v[150:151], v[94:95] op_sel_hi:[0,1,1] neg_lo:[1,0,0] neg_hi:[1,0,0]
	ds_read2_b64 v[144:147], v137 offset0:16 offset1:17
	ds_read2_b64 v[148:151], v137 offset0:18 offset1:19
	s_waitcnt lgkmcnt(2)
	v_pk_fma_f32 v[110:111], v[126:127], v[140:141], v[110:111] op_sel_hi:[0,1,1] neg_lo:[1,0,0] neg_hi:[1,0,0]
	v_pk_fma_f32 v[92:93], v[126:127], v[142:143], v[92:93] op_sel_hi:[0,1,1] neg_lo:[1,0,0] neg_hi:[1,0,0]
	ds_read2_b64 v[140:143], v137 offset0:20 offset1:21
	s_waitcnt lgkmcnt(2)
	v_pk_fma_f32 v[108:109], v[126:127], v[144:145], v[108:109] op_sel_hi:[0,1,1] neg_lo:[1,0,0] neg_hi:[1,0,0]
	v_pk_fma_f32 v[90:91], v[126:127], v[146:147], v[90:91] op_sel_hi:[0,1,1] neg_lo:[1,0,0] neg_hi:[1,0,0]
	s_waitcnt lgkmcnt(1)
	v_pk_fma_f32 v[106:107], v[126:127], v[148:149], v[106:107] op_sel_hi:[0,1,1] neg_lo:[1,0,0] neg_hi:[1,0,0]
	v_pk_fma_f32 v[88:89], v[126:127], v[150:151], v[88:89] op_sel_hi:[0,1,1] neg_lo:[1,0,0] neg_hi:[1,0,0]
	;; [unrolled: 3-line block ×3, first 2 shown]
.LBB87_16:
	s_or_b64 exec, exec, s[2:3]
	v_cmp_eq_u32_e32 vcc, 3, v133
	s_waitcnt lgkmcnt(0)
	s_barrier
	s_and_saveexec_b64 s[2:3], vcc
	s_cbranch_execz .LBB87_19
; %bb.17:
	s_waitcnt vmcnt(5)
	v_mov_b32_e32 v140, v128
	s_waitcnt vmcnt(4)
	v_mov_b32_e32 v141, v129
	;; [unrolled: 2-line block ×4, first 2 shown]
	ds_write_b32 v135, v127
	ds_write2_b64 v137, v[140:141], v[142:143] offset0:2 offset1:3
	v_mov_b32_e32 v140, v120
	v_mov_b32_e32 v141, v121
	v_mov_b32_e32 v142, v102
	v_mov_b32_e32 v143, v103
	ds_write2_b64 v137, v[140:141], v[142:143] offset0:4 offset1:5
	v_mov_b32_e32 v140, v118
	v_mov_b32_e32 v141, v119
	v_mov_b32_e32 v142, v100
	v_mov_b32_e32 v143, v101
	;; [unrolled: 5-line block ×8, first 2 shown]
	ds_write2_b64 v137, v[140:141], v[142:143] offset0:18 offset1:19
	v_mov_b32_e32 v140, v104
	v_mov_b32_e32 v141, v105
	ds_write2_b64 v137, v[140:141], v[122:123] offset0:20 offset1:21
	ds_read_b32 v140, v135
	s_waitcnt lgkmcnt(0)
	v_cmp_neq_f32_e32 vcc, 0, v140
	s_and_b64 exec, exec, vcc
	s_cbranch_execz .LBB87_19
; %bb.18:
	v_div_scale_f32 v141, s[4:5], v140, v140, 1.0
	v_rcp_f32_e32 v142, v141
	v_div_scale_f32 v143, vcc, 1.0, v140, 1.0
	v_fma_f32 v144, -v141, v142, 1.0
	v_fmac_f32_e32 v142, v144, v142
	v_mul_f32_e32 v144, v143, v142
	v_fma_f32 v145, -v141, v144, v143
	v_fmac_f32_e32 v144, v145, v142
	v_fma_f32 v141, -v141, v144, v143
	v_div_fmas_f32 v141, v141, v142, v144
	v_div_fixup_f32 v140, v141, v140, 1.0
	ds_write_b32 v135, v140
.LBB87_19:
	s_or_b64 exec, exec, s[2:3]
	s_waitcnt lgkmcnt(0)
	s_barrier
	ds_read_b32 v140, v135
	v_cmp_lt_u32_e32 vcc, 3, v133
	s_and_saveexec_b64 s[2:3], vcc
	s_cbranch_execz .LBB87_21
; %bb.20:
	ds_read2_b64 v[142:145], v137 offset0:2 offset1:3
	ds_read2_b64 v[146:149], v137 offset0:4 offset1:5
	s_waitcnt vmcnt(6) lgkmcnt(2)
	v_mul_f32_e32 v154, v140, v127
	ds_read2_b64 v[150:153], v137 offset0:6 offset1:7
	v_mov_b32_e32 v127, v154
	s_waitcnt vmcnt(4) lgkmcnt(2)
	v_pk_fma_f32 v[128:129], v[154:155], v[142:143], v[128:129] op_sel_hi:[0,1,1] neg_lo:[1,0,0] neg_hi:[1,0,0]
	s_waitcnt vmcnt(2)
	v_pk_fma_f32 v[124:125], v[154:155], v[144:145], v[124:125] op_sel_hi:[0,1,1] neg_lo:[1,0,0] neg_hi:[1,0,0]
	ds_read2_b64 v[142:145], v137 offset0:8 offset1:9
	s_waitcnt lgkmcnt(2)
	v_pk_fma_f32 v[120:121], v[154:155], v[146:147], v[120:121] op_sel_hi:[0,1,1] neg_lo:[1,0,0] neg_hi:[1,0,0]
	v_pk_fma_f32 v[102:103], v[154:155], v[148:149], v[102:103] op_sel_hi:[0,1,1] neg_lo:[1,0,0] neg_hi:[1,0,0]
	s_waitcnt lgkmcnt(1)
	v_pk_fma_f32 v[118:119], v[154:155], v[150:151], v[118:119] op_sel_hi:[0,1,1] neg_lo:[1,0,0] neg_hi:[1,0,0]
	ds_read2_b64 v[146:149], v137 offset0:10 offset1:11
	v_pk_fma_f32 v[100:101], v[154:155], v[152:153], v[100:101] op_sel_hi:[0,1,1] neg_lo:[1,0,0] neg_hi:[1,0,0]
	s_waitcnt lgkmcnt(1)
	v_pk_fma_f32 v[116:117], v[154:155], v[142:143], v[116:117] op_sel_hi:[0,1,1] neg_lo:[1,0,0] neg_hi:[1,0,0]
	ds_read2_b64 v[150:153], v137 offset0:12 offset1:13
	v_pk_fma_f32 v[98:99], v[154:155], v[144:145], v[98:99] op_sel_hi:[0,1,1] neg_lo:[1,0,0] neg_hi:[1,0,0]
	ds_read2_b64 v[142:145], v137 offset0:14 offset1:15
	s_waitcnt lgkmcnt(2)
	v_pk_fma_f32 v[114:115], v[154:155], v[146:147], v[114:115] op_sel_hi:[0,1,1] neg_lo:[1,0,0] neg_hi:[1,0,0]
	v_pk_fma_f32 v[96:97], v[154:155], v[148:149], v[96:97] op_sel_hi:[0,1,1] neg_lo:[1,0,0] neg_hi:[1,0,0]
	s_waitcnt lgkmcnt(1)
	v_pk_fma_f32 v[112:113], v[154:155], v[150:151], v[112:113] op_sel_hi:[0,1,1] neg_lo:[1,0,0] neg_hi:[1,0,0]
	v_pk_fma_f32 v[94:95], v[154:155], v[152:153], v[94:95] op_sel_hi:[0,1,1] neg_lo:[1,0,0] neg_hi:[1,0,0]
	ds_read2_b64 v[146:149], v137 offset0:16 offset1:17
	s_waitcnt lgkmcnt(1)
	v_pk_fma_f32 v[110:111], v[154:155], v[142:143], v[110:111] op_sel_hi:[0,1,1] neg_lo:[1,0,0] neg_hi:[1,0,0]
	ds_read2_b64 v[150:153], v137 offset0:18 offset1:19
	v_pk_fma_f32 v[92:93], v[154:155], v[144:145], v[92:93] op_sel_hi:[0,1,1] neg_lo:[1,0,0] neg_hi:[1,0,0]
	ds_read2_b64 v[142:145], v137 offset0:20 offset1:21
	s_waitcnt lgkmcnt(2)
	v_pk_fma_f32 v[108:109], v[154:155], v[146:147], v[108:109] op_sel_hi:[0,1,1] neg_lo:[1,0,0] neg_hi:[1,0,0]
	v_pk_fma_f32 v[90:91], v[154:155], v[148:149], v[90:91] op_sel_hi:[0,1,1] neg_lo:[1,0,0] neg_hi:[1,0,0]
	s_waitcnt lgkmcnt(1)
	v_pk_fma_f32 v[106:107], v[154:155], v[150:151], v[106:107] op_sel_hi:[0,1,1] neg_lo:[1,0,0] neg_hi:[1,0,0]
	v_pk_fma_f32 v[88:89], v[154:155], v[152:153], v[88:89] op_sel_hi:[0,1,1] neg_lo:[1,0,0] neg_hi:[1,0,0]
	;; [unrolled: 3-line block ×3, first 2 shown]
.LBB87_21:
	s_or_b64 exec, exec, s[2:3]
	v_cmp_eq_u32_e32 vcc, 4, v133
	s_waitcnt lgkmcnt(0)
	s_barrier
	s_and_saveexec_b64 s[2:3], vcc
	s_cbranch_execz .LBB87_24
; %bb.22:
	s_waitcnt vmcnt(2)
	v_pk_mov_b32 v[142:143], v[128:129], v[124:125] op_sel:[1,0]
	ds_write_b32 v135, v128
	ds_write2_b32 v137, v142, v143 offset0:5 offset1:6
	v_pk_mov_b32 v[142:143], v[124:125], v[120:121] op_sel:[1,0]
	ds_write2_b32 v137, v142, v143 offset0:7 offset1:8
	v_pk_mov_b32 v[142:143], v[120:121], v[102:103] op_sel:[1,0]
	;; [unrolled: 2-line block ×18, first 2 shown]
	ds_write2_b32 v137, v142, v143 offset0:41 offset1:42
	ds_write_b32 v137, v123 offset:172
	ds_read_b32 v141, v135
	s_waitcnt lgkmcnt(0)
	v_cmp_neq_f32_e32 vcc, 0, v141
	s_and_b64 exec, exec, vcc
	s_cbranch_execz .LBB87_24
; %bb.23:
	v_div_scale_f32 v142, s[4:5], v141, v141, 1.0
	v_rcp_f32_e32 v143, v142
	v_div_scale_f32 v144, vcc, 1.0, v141, 1.0
	v_fma_f32 v145, -v142, v143, 1.0
	v_fmac_f32_e32 v143, v145, v143
	v_mul_f32_e32 v145, v144, v143
	v_fma_f32 v146, -v142, v145, v144
	v_fmac_f32_e32 v145, v146, v143
	v_fma_f32 v142, -v142, v145, v144
	v_div_fmas_f32 v142, v142, v143, v145
	v_div_fixup_f32 v141, v142, v141, 1.0
	ds_write_b32 v135, v141
.LBB87_24:
	s_or_b64 exec, exec, s[2:3]
	s_waitcnt lgkmcnt(0)
	s_barrier
	ds_read_b32 v141, v135
	v_cmp_lt_u32_e32 vcc, 4, v133
	s_and_saveexec_b64 s[2:3], vcc
	s_cbranch_execz .LBB87_26
; %bb.25:
	ds_read_b32 v154, v137 offset:20
	ds_read2_b64 v[142:145], v137 offset0:3 offset1:4
	s_waitcnt vmcnt(5) lgkmcnt(2)
	v_mul_f32_e32 v128, v141, v128
	ds_read2_b64 v[146:149], v137 offset0:5 offset1:6
	ds_read2_b64 v[150:153], v137 offset0:7 offset1:8
	s_waitcnt vmcnt(4) lgkmcnt(3)
	v_fma_f32 v129, -v128, v154, v129
	s_waitcnt vmcnt(2) lgkmcnt(2)
	v_pk_fma_f32 v[124:125], v[128:129], v[142:143], v[124:125] op_sel_hi:[0,1,1] neg_lo:[1,0,0] neg_hi:[1,0,0]
	v_pk_fma_f32 v[120:121], v[128:129], v[144:145], v[120:121] op_sel_hi:[0,1,1] neg_lo:[1,0,0] neg_hi:[1,0,0]
	ds_read2_b64 v[142:145], v137 offset0:9 offset1:10
	s_waitcnt lgkmcnt(2)
	v_pk_fma_f32 v[102:103], v[128:129], v[146:147], v[102:103] op_sel_hi:[0,1,1] neg_lo:[1,0,0] neg_hi:[1,0,0]
	v_pk_fma_f32 v[118:119], v[128:129], v[148:149], v[118:119] op_sel_hi:[0,1,1] neg_lo:[1,0,0] neg_hi:[1,0,0]
	s_waitcnt lgkmcnt(1)
	v_pk_fma_f32 v[100:101], v[128:129], v[150:151], v[100:101] op_sel_hi:[0,1,1] neg_lo:[1,0,0] neg_hi:[1,0,0]
	ds_read2_b64 v[146:149], v137 offset0:11 offset1:12
	v_pk_fma_f32 v[116:117], v[128:129], v[152:153], v[116:117] op_sel_hi:[0,1,1] neg_lo:[1,0,0] neg_hi:[1,0,0]
	s_waitcnt lgkmcnt(1)
	v_pk_fma_f32 v[98:99], v[128:129], v[142:143], v[98:99] op_sel_hi:[0,1,1] neg_lo:[1,0,0] neg_hi:[1,0,0]
	ds_read2_b64 v[150:153], v137 offset0:13 offset1:14
	v_pk_fma_f32 v[114:115], v[128:129], v[144:145], v[114:115] op_sel_hi:[0,1,1] neg_lo:[1,0,0] neg_hi:[1,0,0]
	ds_read2_b64 v[142:145], v137 offset0:15 offset1:16
	s_waitcnt lgkmcnt(2)
	v_pk_fma_f32 v[96:97], v[128:129], v[146:147], v[96:97] op_sel_hi:[0,1,1] neg_lo:[1,0,0] neg_hi:[1,0,0]
	v_pk_fma_f32 v[112:113], v[128:129], v[148:149], v[112:113] op_sel_hi:[0,1,1] neg_lo:[1,0,0] neg_hi:[1,0,0]
	s_waitcnt lgkmcnt(1)
	v_pk_fma_f32 v[94:95], v[128:129], v[150:151], v[94:95] op_sel_hi:[0,1,1] neg_lo:[1,0,0] neg_hi:[1,0,0]
	v_pk_fma_f32 v[110:111], v[128:129], v[152:153], v[110:111] op_sel_hi:[0,1,1] neg_lo:[1,0,0] neg_hi:[1,0,0]
	ds_read2_b64 v[146:149], v137 offset0:17 offset1:18
	ds_read2_b64 v[150:153], v137 offset0:19 offset1:20
	s_waitcnt lgkmcnt(2)
	v_pk_fma_f32 v[92:93], v[128:129], v[142:143], v[92:93] op_sel_hi:[0,1,1] neg_lo:[1,0,0] neg_hi:[1,0,0]
	ds_read_b64 v[142:143], v137 offset:168
	v_pk_fma_f32 v[108:109], v[128:129], v[144:145], v[108:109] op_sel_hi:[0,1,1] neg_lo:[1,0,0] neg_hi:[1,0,0]
	s_waitcnt lgkmcnt(2)
	v_pk_fma_f32 v[90:91], v[128:129], v[146:147], v[90:91] op_sel_hi:[0,1,1] neg_lo:[1,0,0] neg_hi:[1,0,0]
	v_pk_fma_f32 v[106:107], v[128:129], v[148:149], v[106:107] op_sel_hi:[0,1,1] neg_lo:[1,0,0] neg_hi:[1,0,0]
	s_waitcnt lgkmcnt(1)
	v_pk_fma_f32 v[88:89], v[128:129], v[150:151], v[88:89] op_sel_hi:[0,1,1] neg_lo:[1,0,0] neg_hi:[1,0,0]
	;; [unrolled: 3-line block ×3, first 2 shown]
.LBB87_26:
	s_or_b64 exec, exec, s[2:3]
	v_cmp_ne_u32_e32 vcc, 5, v133
	s_waitcnt lgkmcnt(0)
	s_barrier
	s_and_saveexec_b64 s[2:3], vcc
	s_xor_b64 s[2:3], exec, s[2:3]
	s_andn2_saveexec_b64 s[2:3], s[2:3]
	s_cbranch_execz .LBB87_30
; %bb.27:
	s_waitcnt vmcnt(4)
	ds_write_b32 v135, v129
	s_waitcnt vmcnt(2)
	ds_write2_b64 v137, v[124:125], v[120:121] offset0:3 offset1:4
	ds_write2_b64 v137, v[102:103], v[118:119] offset0:5 offset1:6
	;; [unrolled: 1-line block ×9, first 2 shown]
	ds_write_b64 v137, v[122:123] offset:168
	ds_read_b32 v142, v135
	s_waitcnt lgkmcnt(0)
	v_cmp_neq_f32_e32 vcc, 0, v142
	s_and_saveexec_b64 s[4:5], vcc
	s_cbranch_execz .LBB87_29
; %bb.28:
	v_div_scale_f32 v143, s[10:11], v142, v142, 1.0
	v_rcp_f32_e32 v144, v143
	v_div_scale_f32 v145, vcc, 1.0, v142, 1.0
	v_fma_f32 v146, -v143, v144, 1.0
	v_fmac_f32_e32 v144, v146, v144
	v_mul_f32_e32 v146, v145, v144
	v_fma_f32 v147, -v143, v146, v145
	v_fmac_f32_e32 v146, v147, v144
	v_fma_f32 v143, -v143, v146, v145
	v_div_fmas_f32 v143, v143, v144, v146
	v_div_fixup_f32 v142, v143, v142, 1.0
	ds_write_b32 v135, v142
.LBB87_29:
	s_or_b64 exec, exec, s[4:5]
.LBB87_30:
	s_or_b64 exec, exec, s[2:3]
	s_waitcnt lgkmcnt(0)
	s_barrier
	ds_read_b32 v142, v135
	v_cmp_lt_u32_e32 vcc, 5, v133
	s_and_saveexec_b64 s[2:3], vcc
	s_cbranch_execz .LBB87_32
; %bb.31:
	ds_read2_b64 v[144:147], v137 offset0:3 offset1:4
	ds_read2_b64 v[148:151], v137 offset0:5 offset1:6
	s_waitcnt vmcnt(4) lgkmcnt(2)
	v_mul_f32_e32 v156, v142, v129
	ds_read2_b64 v[152:155], v137 offset0:7 offset1:8
	v_mov_b32_e32 v129, v156
	s_waitcnt vmcnt(2) lgkmcnt(2)
	v_pk_fma_f32 v[124:125], v[156:157], v[144:145], v[124:125] op_sel_hi:[0,1,1] neg_lo:[1,0,0] neg_hi:[1,0,0]
	v_pk_fma_f32 v[120:121], v[156:157], v[146:147], v[120:121] op_sel_hi:[0,1,1] neg_lo:[1,0,0] neg_hi:[1,0,0]
	ds_read2_b64 v[144:147], v137 offset0:9 offset1:10
	s_waitcnt lgkmcnt(2)
	v_pk_fma_f32 v[102:103], v[156:157], v[148:149], v[102:103] op_sel_hi:[0,1,1] neg_lo:[1,0,0] neg_hi:[1,0,0]
	v_pk_fma_f32 v[118:119], v[156:157], v[150:151], v[118:119] op_sel_hi:[0,1,1] neg_lo:[1,0,0] neg_hi:[1,0,0]
	s_waitcnt lgkmcnt(1)
	v_pk_fma_f32 v[100:101], v[156:157], v[152:153], v[100:101] op_sel_hi:[0,1,1] neg_lo:[1,0,0] neg_hi:[1,0,0]
	ds_read2_b64 v[148:151], v137 offset0:11 offset1:12
	v_pk_fma_f32 v[116:117], v[156:157], v[154:155], v[116:117] op_sel_hi:[0,1,1] neg_lo:[1,0,0] neg_hi:[1,0,0]
	s_waitcnt lgkmcnt(1)
	v_pk_fma_f32 v[98:99], v[156:157], v[144:145], v[98:99] op_sel_hi:[0,1,1] neg_lo:[1,0,0] neg_hi:[1,0,0]
	ds_read2_b64 v[152:155], v137 offset0:13 offset1:14
	v_pk_fma_f32 v[114:115], v[156:157], v[146:147], v[114:115] op_sel_hi:[0,1,1] neg_lo:[1,0,0] neg_hi:[1,0,0]
	ds_read2_b64 v[144:147], v137 offset0:15 offset1:16
	s_waitcnt lgkmcnt(2)
	v_pk_fma_f32 v[96:97], v[156:157], v[148:149], v[96:97] op_sel_hi:[0,1,1] neg_lo:[1,0,0] neg_hi:[1,0,0]
	v_pk_fma_f32 v[112:113], v[156:157], v[150:151], v[112:113] op_sel_hi:[0,1,1] neg_lo:[1,0,0] neg_hi:[1,0,0]
	s_waitcnt lgkmcnt(1)
	v_pk_fma_f32 v[94:95], v[156:157], v[152:153], v[94:95] op_sel_hi:[0,1,1] neg_lo:[1,0,0] neg_hi:[1,0,0]
	v_pk_fma_f32 v[110:111], v[156:157], v[154:155], v[110:111] op_sel_hi:[0,1,1] neg_lo:[1,0,0] neg_hi:[1,0,0]
	ds_read2_b64 v[148:151], v137 offset0:17 offset1:18
	s_waitcnt lgkmcnt(1)
	v_pk_fma_f32 v[92:93], v[156:157], v[144:145], v[92:93] op_sel_hi:[0,1,1] neg_lo:[1,0,0] neg_hi:[1,0,0]
	ds_read2_b64 v[152:155], v137 offset0:19 offset1:20
	ds_read_b64 v[144:145], v137 offset:168
	v_pk_fma_f32 v[108:109], v[156:157], v[146:147], v[108:109] op_sel_hi:[0,1,1] neg_lo:[1,0,0] neg_hi:[1,0,0]
	s_waitcnt lgkmcnt(2)
	v_pk_fma_f32 v[90:91], v[156:157], v[148:149], v[90:91] op_sel_hi:[0,1,1] neg_lo:[1,0,0] neg_hi:[1,0,0]
	v_pk_fma_f32 v[106:107], v[156:157], v[150:151], v[106:107] op_sel_hi:[0,1,1] neg_lo:[1,0,0] neg_hi:[1,0,0]
	s_waitcnt lgkmcnt(1)
	v_pk_fma_f32 v[88:89], v[156:157], v[152:153], v[88:89] op_sel_hi:[0,1,1] neg_lo:[1,0,0] neg_hi:[1,0,0]
	;; [unrolled: 3-line block ×3, first 2 shown]
.LBB87_32:
	s_or_b64 exec, exec, s[2:3]
	v_cmp_eq_u32_e32 vcc, 6, v133
	s_waitcnt lgkmcnt(0)
	s_barrier
	s_and_saveexec_b64 s[2:3], vcc
	s_cbranch_execz .LBB87_35
; %bb.33:
	s_waitcnt vmcnt(2)
	v_pk_mov_b32 v[144:145], v[124:125], v[120:121] op_sel:[1,0]
	ds_write_b32 v135, v124
	ds_write2_b32 v137, v144, v145 offset0:7 offset1:8
	v_pk_mov_b32 v[144:145], v[120:121], v[102:103] op_sel:[1,0]
	ds_write2_b32 v137, v144, v145 offset0:9 offset1:10
	v_pk_mov_b32 v[144:145], v[102:103], v[118:119] op_sel:[1,0]
	;; [unrolled: 2-line block ×17, first 2 shown]
	ds_write2_b32 v137, v144, v145 offset0:41 offset1:42
	ds_write_b32 v137, v123 offset:172
	ds_read_b32 v143, v135
	s_waitcnt lgkmcnt(0)
	v_cmp_neq_f32_e32 vcc, 0, v143
	s_and_b64 exec, exec, vcc
	s_cbranch_execz .LBB87_35
; %bb.34:
	v_div_scale_f32 v144, s[4:5], v143, v143, 1.0
	v_rcp_f32_e32 v145, v144
	v_div_scale_f32 v146, vcc, 1.0, v143, 1.0
	v_fma_f32 v147, -v144, v145, 1.0
	v_fmac_f32_e32 v145, v147, v145
	v_mul_f32_e32 v147, v146, v145
	v_fma_f32 v148, -v144, v147, v146
	v_fmac_f32_e32 v147, v148, v145
	v_fma_f32 v144, -v144, v147, v146
	v_div_fmas_f32 v144, v144, v145, v147
	v_div_fixup_f32 v143, v144, v143, 1.0
	ds_write_b32 v135, v143
.LBB87_35:
	s_or_b64 exec, exec, s[2:3]
	s_waitcnt lgkmcnt(0)
	s_barrier
	ds_read_b32 v143, v135
	v_cmp_lt_u32_e32 vcc, 6, v133
	s_and_saveexec_b64 s[2:3], vcc
	s_cbranch_execz .LBB87_37
; %bb.36:
	ds_read_b32 v156, v137 offset:28
	ds_read2_b64 v[144:147], v137 offset0:4 offset1:5
	ds_read2_b64 v[148:151], v137 offset0:6 offset1:7
	;; [unrolled: 1-line block ×3, first 2 shown]
	s_waitcnt vmcnt(3) lgkmcnt(4)
	v_mul_f32_e32 v124, v143, v124
	s_waitcnt vmcnt(2) lgkmcnt(3)
	v_fma_f32 v125, -v124, v156, v125
	s_waitcnt lgkmcnt(2)
	v_pk_fma_f32 v[120:121], v[124:125], v[144:145], v[120:121] op_sel_hi:[0,1,1] neg_lo:[1,0,0] neg_hi:[1,0,0]
	v_pk_fma_f32 v[102:103], v[124:125], v[146:147], v[102:103] op_sel_hi:[0,1,1] neg_lo:[1,0,0] neg_hi:[1,0,0]
	s_waitcnt lgkmcnt(1)
	v_pk_fma_f32 v[118:119], v[124:125], v[148:149], v[118:119] op_sel_hi:[0,1,1] neg_lo:[1,0,0] neg_hi:[1,0,0]
	ds_read2_b64 v[144:147], v137 offset0:10 offset1:11
	v_pk_fma_f32 v[100:101], v[124:125], v[150:151], v[100:101] op_sel_hi:[0,1,1] neg_lo:[1,0,0] neg_hi:[1,0,0]
	s_waitcnt lgkmcnt(1)
	v_pk_fma_f32 v[116:117], v[124:125], v[152:153], v[116:117] op_sel_hi:[0,1,1] neg_lo:[1,0,0] neg_hi:[1,0,0]
	ds_read2_b64 v[148:151], v137 offset0:12 offset1:13
	v_pk_fma_f32 v[98:99], v[124:125], v[154:155], v[98:99] op_sel_hi:[0,1,1] neg_lo:[1,0,0] neg_hi:[1,0,0]
	ds_read2_b64 v[152:155], v137 offset0:14 offset1:15
	s_waitcnt lgkmcnt(2)
	v_pk_fma_f32 v[114:115], v[124:125], v[144:145], v[114:115] op_sel_hi:[0,1,1] neg_lo:[1,0,0] neg_hi:[1,0,0]
	v_pk_fma_f32 v[96:97], v[124:125], v[146:147], v[96:97] op_sel_hi:[0,1,1] neg_lo:[1,0,0] neg_hi:[1,0,0]
	s_waitcnt lgkmcnt(1)
	v_pk_fma_f32 v[112:113], v[124:125], v[148:149], v[112:113] op_sel_hi:[0,1,1] neg_lo:[1,0,0] neg_hi:[1,0,0]
	v_pk_fma_f32 v[94:95], v[124:125], v[150:151], v[94:95] op_sel_hi:[0,1,1] neg_lo:[1,0,0] neg_hi:[1,0,0]
	ds_read2_b64 v[144:147], v137 offset0:16 offset1:17
	s_waitcnt lgkmcnt(1)
	v_pk_fma_f32 v[110:111], v[124:125], v[152:153], v[110:111] op_sel_hi:[0,1,1] neg_lo:[1,0,0] neg_hi:[1,0,0]
	ds_read2_b64 v[148:151], v137 offset0:18 offset1:19
	v_pk_fma_f32 v[92:93], v[124:125], v[154:155], v[92:93] op_sel_hi:[0,1,1] neg_lo:[1,0,0] neg_hi:[1,0,0]
	ds_read2_b64 v[152:155], v137 offset0:20 offset1:21
	s_waitcnt lgkmcnt(2)
	v_pk_fma_f32 v[108:109], v[124:125], v[144:145], v[108:109] op_sel_hi:[0,1,1] neg_lo:[1,0,0] neg_hi:[1,0,0]
	v_pk_fma_f32 v[90:91], v[124:125], v[146:147], v[90:91] op_sel_hi:[0,1,1] neg_lo:[1,0,0] neg_hi:[1,0,0]
	s_waitcnt lgkmcnt(1)
	v_pk_fma_f32 v[106:107], v[124:125], v[148:149], v[106:107] op_sel_hi:[0,1,1] neg_lo:[1,0,0] neg_hi:[1,0,0]
	v_pk_fma_f32 v[88:89], v[124:125], v[150:151], v[88:89] op_sel_hi:[0,1,1] neg_lo:[1,0,0] neg_hi:[1,0,0]
	;; [unrolled: 3-line block ×3, first 2 shown]
.LBB87_37:
	s_or_b64 exec, exec, s[2:3]
	v_cmp_ne_u32_e32 vcc, 7, v133
	s_waitcnt lgkmcnt(0)
	s_barrier
	s_and_saveexec_b64 s[2:3], vcc
	s_xor_b64 s[2:3], exec, s[2:3]
	s_andn2_saveexec_b64 s[2:3], s[2:3]
	s_cbranch_execz .LBB87_41
; %bb.38:
	s_waitcnt vmcnt(43)
	v_mov_b32_e32 v144, v120
	s_waitcnt vmcnt(42)
	v_mov_b32_e32 v145, v121
	;; [unrolled: 2-line block ×4, first 2 shown]
	s_waitcnt vmcnt(2)
	ds_write_b32 v135, v125
	ds_write2_b64 v137, v[144:145], v[146:147] offset0:4 offset1:5
	v_mov_b32_e32 v144, v118
	v_mov_b32_e32 v145, v119
	v_mov_b32_e32 v146, v100
	v_mov_b32_e32 v147, v101
	ds_write2_b64 v137, v[144:145], v[146:147] offset0:6 offset1:7
	v_mov_b32_e32 v144, v116
	v_mov_b32_e32 v145, v117
	v_mov_b32_e32 v146, v98
	v_mov_b32_e32 v147, v99
	;; [unrolled: 5-line block ×7, first 2 shown]
	ds_write2_b64 v137, v[144:145], v[146:147] offset0:18 offset1:19
	v_mov_b32_e32 v144, v104
	v_mov_b32_e32 v145, v105
	ds_write2_b64 v137, v[144:145], v[122:123] offset0:20 offset1:21
	ds_read_b32 v144, v135
	s_waitcnt lgkmcnt(0)
	v_cmp_neq_f32_e32 vcc, 0, v144
	s_and_saveexec_b64 s[4:5], vcc
	s_cbranch_execz .LBB87_40
; %bb.39:
	v_div_scale_f32 v145, s[10:11], v144, v144, 1.0
	v_rcp_f32_e32 v146, v145
	v_div_scale_f32 v147, vcc, 1.0, v144, 1.0
	v_fma_f32 v148, -v145, v146, 1.0
	v_fmac_f32_e32 v146, v148, v146
	v_mul_f32_e32 v148, v147, v146
	v_fma_f32 v149, -v145, v148, v147
	v_fmac_f32_e32 v148, v149, v146
	v_fma_f32 v145, -v145, v148, v147
	v_div_fmas_f32 v145, v145, v146, v148
	v_div_fixup_f32 v144, v145, v144, 1.0
	ds_write_b32 v135, v144
.LBB87_40:
	s_or_b64 exec, exec, s[4:5]
.LBB87_41:
	s_or_b64 exec, exec, s[2:3]
	s_waitcnt lgkmcnt(0)
	s_barrier
	ds_read_b32 v144, v135
	v_cmp_lt_u32_e32 vcc, 7, v133
	s_and_saveexec_b64 s[2:3], vcc
	s_cbranch_execz .LBB87_43
; %bb.42:
	ds_read2_b64 v[146:149], v137 offset0:4 offset1:5
	ds_read2_b64 v[150:153], v137 offset0:6 offset1:7
	;; [unrolled: 1-line block ×3, first 2 shown]
	s_waitcnt vmcnt(2) lgkmcnt(3)
	v_mul_f32_e32 v158, v144, v125
	v_mov_b32_e32 v125, v158
	s_waitcnt lgkmcnt(2)
	v_pk_fma_f32 v[120:121], v[158:159], v[146:147], v[120:121] op_sel_hi:[0,1,1] neg_lo:[1,0,0] neg_hi:[1,0,0]
	v_pk_fma_f32 v[102:103], v[158:159], v[148:149], v[102:103] op_sel_hi:[0,1,1] neg_lo:[1,0,0] neg_hi:[1,0,0]
	s_waitcnt lgkmcnt(1)
	v_pk_fma_f32 v[118:119], v[158:159], v[150:151], v[118:119] op_sel_hi:[0,1,1] neg_lo:[1,0,0] neg_hi:[1,0,0]
	ds_read2_b64 v[146:149], v137 offset0:10 offset1:11
	v_pk_fma_f32 v[100:101], v[158:159], v[152:153], v[100:101] op_sel_hi:[0,1,1] neg_lo:[1,0,0] neg_hi:[1,0,0]
	s_waitcnt lgkmcnt(1)
	v_pk_fma_f32 v[116:117], v[158:159], v[154:155], v[116:117] op_sel_hi:[0,1,1] neg_lo:[1,0,0] neg_hi:[1,0,0]
	ds_read2_b64 v[150:153], v137 offset0:12 offset1:13
	v_pk_fma_f32 v[98:99], v[158:159], v[156:157], v[98:99] op_sel_hi:[0,1,1] neg_lo:[1,0,0] neg_hi:[1,0,0]
	ds_read2_b64 v[154:157], v137 offset0:14 offset1:15
	s_waitcnt lgkmcnt(2)
	v_pk_fma_f32 v[114:115], v[158:159], v[146:147], v[114:115] op_sel_hi:[0,1,1] neg_lo:[1,0,0] neg_hi:[1,0,0]
	v_pk_fma_f32 v[96:97], v[158:159], v[148:149], v[96:97] op_sel_hi:[0,1,1] neg_lo:[1,0,0] neg_hi:[1,0,0]
	s_waitcnt lgkmcnt(1)
	v_pk_fma_f32 v[112:113], v[158:159], v[150:151], v[112:113] op_sel_hi:[0,1,1] neg_lo:[1,0,0] neg_hi:[1,0,0]
	v_pk_fma_f32 v[94:95], v[158:159], v[152:153], v[94:95] op_sel_hi:[0,1,1] neg_lo:[1,0,0] neg_hi:[1,0,0]
	ds_read2_b64 v[146:149], v137 offset0:16 offset1:17
	ds_read2_b64 v[150:153], v137 offset0:18 offset1:19
	s_waitcnt lgkmcnt(2)
	v_pk_fma_f32 v[110:111], v[158:159], v[154:155], v[110:111] op_sel_hi:[0,1,1] neg_lo:[1,0,0] neg_hi:[1,0,0]
	v_pk_fma_f32 v[92:93], v[158:159], v[156:157], v[92:93] op_sel_hi:[0,1,1] neg_lo:[1,0,0] neg_hi:[1,0,0]
	ds_read2_b64 v[154:157], v137 offset0:20 offset1:21
	s_waitcnt lgkmcnt(2)
	v_pk_fma_f32 v[108:109], v[158:159], v[146:147], v[108:109] op_sel_hi:[0,1,1] neg_lo:[1,0,0] neg_hi:[1,0,0]
	v_pk_fma_f32 v[90:91], v[158:159], v[148:149], v[90:91] op_sel_hi:[0,1,1] neg_lo:[1,0,0] neg_hi:[1,0,0]
	s_waitcnt lgkmcnt(1)
	v_pk_fma_f32 v[106:107], v[158:159], v[150:151], v[106:107] op_sel_hi:[0,1,1] neg_lo:[1,0,0] neg_hi:[1,0,0]
	v_pk_fma_f32 v[88:89], v[158:159], v[152:153], v[88:89] op_sel_hi:[0,1,1] neg_lo:[1,0,0] neg_hi:[1,0,0]
	;; [unrolled: 3-line block ×3, first 2 shown]
.LBB87_43:
	s_or_b64 exec, exec, s[2:3]
	v_cmp_eq_u32_e32 vcc, 8, v133
	s_waitcnt lgkmcnt(0)
	s_barrier
	s_and_saveexec_b64 s[2:3], vcc
	s_cbranch_execz .LBB87_46
; %bb.44:
	s_waitcnt vmcnt(40)
	v_pk_mov_b32 v[146:147], v[120:121], v[102:103] op_sel:[1,0]
	ds_write_b32 v135, v120
	ds_write2_b32 v137, v146, v147 offset0:9 offset1:10
	s_waitcnt vmcnt(38)
	v_pk_mov_b32 v[146:147], v[102:103], v[118:119] op_sel:[1,0]
	ds_write2_b32 v137, v146, v147 offset0:11 offset1:12
	s_waitcnt vmcnt(36)
	v_pk_mov_b32 v[146:147], v[118:119], v[100:101] op_sel:[1,0]
	;; [unrolled: 3-line block ×16, first 2 shown]
	ds_write2_b32 v137, v146, v147 offset0:41 offset1:42
	ds_write_b32 v137, v123 offset:172
	ds_read_b32 v145, v135
	s_waitcnt lgkmcnt(0)
	v_cmp_neq_f32_e32 vcc, 0, v145
	s_and_b64 exec, exec, vcc
	s_cbranch_execz .LBB87_46
; %bb.45:
	v_div_scale_f32 v146, s[4:5], v145, v145, 1.0
	v_rcp_f32_e32 v147, v146
	v_div_scale_f32 v148, vcc, 1.0, v145, 1.0
	v_fma_f32 v149, -v146, v147, 1.0
	v_fmac_f32_e32 v147, v149, v147
	v_mul_f32_e32 v149, v148, v147
	v_fma_f32 v150, -v146, v149, v148
	v_fmac_f32_e32 v149, v150, v147
	v_fma_f32 v146, -v146, v149, v148
	v_div_fmas_f32 v146, v146, v147, v149
	v_div_fixup_f32 v145, v146, v145, 1.0
	ds_write_b32 v135, v145
.LBB87_46:
	s_or_b64 exec, exec, s[2:3]
	s_waitcnt lgkmcnt(0)
	s_barrier
	ds_read_b32 v145, v135
	v_cmp_lt_u32_e32 vcc, 8, v133
	s_and_saveexec_b64 s[2:3], vcc
	s_cbranch_execz .LBB87_48
; %bb.47:
	ds_read_b32 v158, v137 offset:36
	ds_read2_b64 v[146:149], v137 offset0:5 offset1:6
	ds_read2_b64 v[150:153], v137 offset0:7 offset1:8
	;; [unrolled: 1-line block ×3, first 2 shown]
	s_waitcnt vmcnt(43) lgkmcnt(4)
	v_mul_f32_e32 v120, v145, v120
	s_waitcnt vmcnt(42) lgkmcnt(3)
	v_fma_f32 v121, -v120, v158, v121
	s_waitcnt vmcnt(40) lgkmcnt(2)
	v_pk_fma_f32 v[102:103], v[120:121], v[146:147], v[102:103] op_sel_hi:[0,1,1] neg_lo:[1,0,0] neg_hi:[1,0,0]
	s_waitcnt vmcnt(38)
	v_pk_fma_f32 v[118:119], v[120:121], v[148:149], v[118:119] op_sel_hi:[0,1,1] neg_lo:[1,0,0] neg_hi:[1,0,0]
	s_waitcnt vmcnt(36) lgkmcnt(1)
	v_pk_fma_f32 v[100:101], v[120:121], v[150:151], v[100:101] op_sel_hi:[0,1,1] neg_lo:[1,0,0] neg_hi:[1,0,0]
	ds_read2_b64 v[146:149], v137 offset0:11 offset1:12
	s_waitcnt vmcnt(34)
	v_pk_fma_f32 v[116:117], v[120:121], v[152:153], v[116:117] op_sel_hi:[0,1,1] neg_lo:[1,0,0] neg_hi:[1,0,0]
	s_waitcnt vmcnt(32) lgkmcnt(1)
	v_pk_fma_f32 v[98:99], v[120:121], v[154:155], v[98:99] op_sel_hi:[0,1,1] neg_lo:[1,0,0] neg_hi:[1,0,0]
	ds_read2_b64 v[150:153], v137 offset0:13 offset1:14
	s_waitcnt vmcnt(30)
	v_pk_fma_f32 v[114:115], v[120:121], v[156:157], v[114:115] op_sel_hi:[0,1,1] neg_lo:[1,0,0] neg_hi:[1,0,0]
	ds_read2_b64 v[154:157], v137 offset0:15 offset1:16
	s_waitcnt vmcnt(28) lgkmcnt(2)
	v_pk_fma_f32 v[96:97], v[120:121], v[146:147], v[96:97] op_sel_hi:[0,1,1] neg_lo:[1,0,0] neg_hi:[1,0,0]
	s_waitcnt vmcnt(26)
	v_pk_fma_f32 v[112:113], v[120:121], v[148:149], v[112:113] op_sel_hi:[0,1,1] neg_lo:[1,0,0] neg_hi:[1,0,0]
	s_waitcnt vmcnt(24) lgkmcnt(1)
	v_pk_fma_f32 v[94:95], v[120:121], v[150:151], v[94:95] op_sel_hi:[0,1,1] neg_lo:[1,0,0] neg_hi:[1,0,0]
	s_waitcnt vmcnt(22)
	v_pk_fma_f32 v[110:111], v[120:121], v[152:153], v[110:111] op_sel_hi:[0,1,1] neg_lo:[1,0,0] neg_hi:[1,0,0]
	ds_read2_b64 v[146:149], v137 offset0:17 offset1:18
	s_waitcnt vmcnt(20) lgkmcnt(1)
	v_pk_fma_f32 v[92:93], v[120:121], v[154:155], v[92:93] op_sel_hi:[0,1,1] neg_lo:[1,0,0] neg_hi:[1,0,0]
	ds_read2_b64 v[150:153], v137 offset0:19 offset1:20
	ds_read_b64 v[154:155], v137 offset:168
	s_waitcnt vmcnt(18)
	v_pk_fma_f32 v[108:109], v[120:121], v[156:157], v[108:109] op_sel_hi:[0,1,1] neg_lo:[1,0,0] neg_hi:[1,0,0]
	s_waitcnt vmcnt(16) lgkmcnt(2)
	v_pk_fma_f32 v[90:91], v[120:121], v[146:147], v[90:91] op_sel_hi:[0,1,1] neg_lo:[1,0,0] neg_hi:[1,0,0]
	s_waitcnt vmcnt(14)
	v_pk_fma_f32 v[106:107], v[120:121], v[148:149], v[106:107] op_sel_hi:[0,1,1] neg_lo:[1,0,0] neg_hi:[1,0,0]
	s_waitcnt vmcnt(12) lgkmcnt(1)
	v_pk_fma_f32 v[88:89], v[120:121], v[150:151], v[88:89] op_sel_hi:[0,1,1] neg_lo:[1,0,0] neg_hi:[1,0,0]
	;; [unrolled: 4-line block ×3, first 2 shown]
.LBB87_48:
	s_or_b64 exec, exec, s[2:3]
	v_cmp_ne_u32_e32 vcc, 9, v133
	s_waitcnt lgkmcnt(0)
	s_barrier
	s_and_saveexec_b64 s[2:3], vcc
	s_xor_b64 s[2:3], exec, s[2:3]
	s_andn2_saveexec_b64 s[2:3], s[2:3]
	s_cbranch_execz .LBB87_52
; %bb.49:
	s_waitcnt vmcnt(42)
	ds_write_b32 v135, v121
	s_waitcnt vmcnt(38)
	ds_write2_b64 v137, v[102:103], v[118:119] offset0:5 offset1:6
	s_waitcnt vmcnt(34)
	ds_write2_b64 v137, v[100:101], v[116:117] offset0:7 offset1:8
	;; [unrolled: 2-line block ×8, first 2 shown]
	s_waitcnt vmcnt(8)
	ds_write_b64 v137, v[122:123] offset:168
	ds_read_b32 v146, v135
	s_waitcnt lgkmcnt(0)
	v_cmp_neq_f32_e32 vcc, 0, v146
	s_and_saveexec_b64 s[4:5], vcc
	s_cbranch_execz .LBB87_51
; %bb.50:
	v_div_scale_f32 v147, s[10:11], v146, v146, 1.0
	v_rcp_f32_e32 v148, v147
	v_div_scale_f32 v149, vcc, 1.0, v146, 1.0
	v_fma_f32 v150, -v147, v148, 1.0
	v_fmac_f32_e32 v148, v150, v148
	v_mul_f32_e32 v150, v149, v148
	v_fma_f32 v151, -v147, v150, v149
	v_fmac_f32_e32 v150, v151, v148
	v_fma_f32 v147, -v147, v150, v149
	v_div_fmas_f32 v147, v147, v148, v150
	v_div_fixup_f32 v146, v147, v146, 1.0
	ds_write_b32 v135, v146
.LBB87_51:
	s_or_b64 exec, exec, s[4:5]
.LBB87_52:
	s_or_b64 exec, exec, s[2:3]
	s_waitcnt lgkmcnt(0)
	s_barrier
	ds_read_b32 v146, v135
	v_cmp_lt_u32_e32 vcc, 9, v133
	s_and_saveexec_b64 s[2:3], vcc
	s_cbranch_execz .LBB87_54
; %bb.53:
	ds_read2_b64 v[148:151], v137 offset0:5 offset1:6
	ds_read2_b64 v[152:155], v137 offset0:7 offset1:8
	;; [unrolled: 1-line block ×3, first 2 shown]
	s_waitcnt vmcnt(42) lgkmcnt(3)
	v_mul_f32_e32 v160, v146, v121
	v_mov_b32_e32 v121, v160
	s_waitcnt vmcnt(40) lgkmcnt(2)
	v_pk_fma_f32 v[102:103], v[160:161], v[148:149], v[102:103] op_sel_hi:[0,1,1] neg_lo:[1,0,0] neg_hi:[1,0,0]
	s_waitcnt vmcnt(38)
	v_pk_fma_f32 v[118:119], v[160:161], v[150:151], v[118:119] op_sel_hi:[0,1,1] neg_lo:[1,0,0] neg_hi:[1,0,0]
	s_waitcnt vmcnt(36) lgkmcnt(1)
	v_pk_fma_f32 v[100:101], v[160:161], v[152:153], v[100:101] op_sel_hi:[0,1,1] neg_lo:[1,0,0] neg_hi:[1,0,0]
	ds_read2_b64 v[148:151], v137 offset0:11 offset1:12
	s_waitcnt vmcnt(34)
	v_pk_fma_f32 v[116:117], v[160:161], v[154:155], v[116:117] op_sel_hi:[0,1,1] neg_lo:[1,0,0] neg_hi:[1,0,0]
	s_waitcnt vmcnt(32) lgkmcnt(1)
	v_pk_fma_f32 v[98:99], v[160:161], v[156:157], v[98:99] op_sel_hi:[0,1,1] neg_lo:[1,0,0] neg_hi:[1,0,0]
	ds_read2_b64 v[152:155], v137 offset0:13 offset1:14
	s_waitcnt vmcnt(30)
	v_pk_fma_f32 v[114:115], v[160:161], v[158:159], v[114:115] op_sel_hi:[0,1,1] neg_lo:[1,0,0] neg_hi:[1,0,0]
	ds_read2_b64 v[156:159], v137 offset0:15 offset1:16
	s_waitcnt vmcnt(28) lgkmcnt(2)
	v_pk_fma_f32 v[96:97], v[160:161], v[148:149], v[96:97] op_sel_hi:[0,1,1] neg_lo:[1,0,0] neg_hi:[1,0,0]
	s_waitcnt vmcnt(26)
	v_pk_fma_f32 v[112:113], v[160:161], v[150:151], v[112:113] op_sel_hi:[0,1,1] neg_lo:[1,0,0] neg_hi:[1,0,0]
	s_waitcnt vmcnt(24) lgkmcnt(1)
	v_pk_fma_f32 v[94:95], v[160:161], v[152:153], v[94:95] op_sel_hi:[0,1,1] neg_lo:[1,0,0] neg_hi:[1,0,0]
	s_waitcnt vmcnt(22)
	v_pk_fma_f32 v[110:111], v[160:161], v[154:155], v[110:111] op_sel_hi:[0,1,1] neg_lo:[1,0,0] neg_hi:[1,0,0]
	ds_read2_b64 v[148:151], v137 offset0:17 offset1:18
	ds_read2_b64 v[152:155], v137 offset0:19 offset1:20
	s_waitcnt vmcnt(20) lgkmcnt(2)
	v_pk_fma_f32 v[92:93], v[160:161], v[156:157], v[92:93] op_sel_hi:[0,1,1] neg_lo:[1,0,0] neg_hi:[1,0,0]
	ds_read_b64 v[156:157], v137 offset:168
	s_waitcnt vmcnt(18)
	v_pk_fma_f32 v[108:109], v[160:161], v[158:159], v[108:109] op_sel_hi:[0,1,1] neg_lo:[1,0,0] neg_hi:[1,0,0]
	s_waitcnt vmcnt(16) lgkmcnt(2)
	v_pk_fma_f32 v[90:91], v[160:161], v[148:149], v[90:91] op_sel_hi:[0,1,1] neg_lo:[1,0,0] neg_hi:[1,0,0]
	s_waitcnt vmcnt(14)
	v_pk_fma_f32 v[106:107], v[160:161], v[150:151], v[106:107] op_sel_hi:[0,1,1] neg_lo:[1,0,0] neg_hi:[1,0,0]
	s_waitcnt vmcnt(12) lgkmcnt(1)
	v_pk_fma_f32 v[88:89], v[160:161], v[152:153], v[88:89] op_sel_hi:[0,1,1] neg_lo:[1,0,0] neg_hi:[1,0,0]
	;; [unrolled: 4-line block ×3, first 2 shown]
.LBB87_54:
	s_or_b64 exec, exec, s[2:3]
	v_cmp_eq_u32_e32 vcc, 10, v133
	s_waitcnt lgkmcnt(0)
	s_barrier
	s_and_saveexec_b64 s[2:3], vcc
	s_cbranch_execz .LBB87_57
; %bb.55:
	s_waitcnt vmcnt(38)
	v_pk_mov_b32 v[148:149], v[102:103], v[118:119] op_sel:[1,0]
	ds_write_b32 v135, v102
	ds_write2_b32 v137, v148, v149 offset0:11 offset1:12
	s_waitcnt vmcnt(36)
	v_pk_mov_b32 v[148:149], v[118:119], v[100:101] op_sel:[1,0]
	ds_write2_b32 v137, v148, v149 offset0:13 offset1:14
	s_waitcnt vmcnt(34)
	v_pk_mov_b32 v[148:149], v[100:101], v[116:117] op_sel:[1,0]
	ds_write2_b32 v137, v148, v149 offset0:15 offset1:16
	s_waitcnt vmcnt(32)
	v_pk_mov_b32 v[148:149], v[116:117], v[98:99] op_sel:[1,0]
	ds_write2_b32 v137, v148, v149 offset0:17 offset1:18
	s_waitcnt vmcnt(30)
	v_pk_mov_b32 v[148:149], v[98:99], v[114:115] op_sel:[1,0]
	ds_write2_b32 v137, v148, v149 offset0:19 offset1:20
	s_waitcnt vmcnt(28)
	v_pk_mov_b32 v[148:149], v[114:115], v[96:97] op_sel:[1,0]
	ds_write2_b32 v137, v148, v149 offset0:21 offset1:22
	s_waitcnt vmcnt(26)
	v_pk_mov_b32 v[148:149], v[96:97], v[112:113] op_sel:[1,0]
	ds_write2_b32 v137, v148, v149 offset0:23 offset1:24
	s_waitcnt vmcnt(24)
	v_pk_mov_b32 v[148:149], v[112:113], v[94:95] op_sel:[1,0]
	ds_write2_b32 v137, v148, v149 offset0:25 offset1:26
	s_waitcnt vmcnt(22)
	v_pk_mov_b32 v[148:149], v[94:95], v[110:111] op_sel:[1,0]
	ds_write2_b32 v137, v148, v149 offset0:27 offset1:28
	s_waitcnt vmcnt(20)
	v_pk_mov_b32 v[148:149], v[110:111], v[92:93] op_sel:[1,0]
	ds_write2_b32 v137, v148, v149 offset0:29 offset1:30
	s_waitcnt vmcnt(18)
	v_pk_mov_b32 v[148:149], v[92:93], v[108:109] op_sel:[1,0]
	ds_write2_b32 v137, v148, v149 offset0:31 offset1:32
	s_waitcnt vmcnt(16)
	v_pk_mov_b32 v[148:149], v[108:109], v[90:91] op_sel:[1,0]
	ds_write2_b32 v137, v148, v149 offset0:33 offset1:34
	s_waitcnt vmcnt(14)
	v_pk_mov_b32 v[148:149], v[90:91], v[106:107] op_sel:[1,0]
	ds_write2_b32 v137, v148, v149 offset0:35 offset1:36
	s_waitcnt vmcnt(12)
	v_pk_mov_b32 v[148:149], v[106:107], v[88:89] op_sel:[1,0]
	ds_write2_b32 v137, v148, v149 offset0:37 offset1:38
	s_waitcnt vmcnt(10)
	v_pk_mov_b32 v[148:149], v[88:89], v[104:105] op_sel:[1,0]
	ds_write2_b32 v137, v148, v149 offset0:39 offset1:40
	s_waitcnt vmcnt(8)
	v_pk_mov_b32 v[148:149], v[104:105], v[122:123] op_sel:[1,0]
	ds_write2_b32 v137, v148, v149 offset0:41 offset1:42
	ds_write_b32 v137, v123 offset:172
	ds_read_b32 v147, v135
	s_waitcnt lgkmcnt(0)
	v_cmp_neq_f32_e32 vcc, 0, v147
	s_and_b64 exec, exec, vcc
	s_cbranch_execz .LBB87_57
; %bb.56:
	v_div_scale_f32 v148, s[4:5], v147, v147, 1.0
	v_rcp_f32_e32 v149, v148
	v_div_scale_f32 v150, vcc, 1.0, v147, 1.0
	v_fma_f32 v151, -v148, v149, 1.0
	v_fmac_f32_e32 v149, v151, v149
	v_mul_f32_e32 v151, v150, v149
	v_fma_f32 v152, -v148, v151, v150
	v_fmac_f32_e32 v151, v152, v149
	v_fma_f32 v148, -v148, v151, v150
	v_div_fmas_f32 v148, v148, v149, v151
	v_div_fixup_f32 v147, v148, v147, 1.0
	ds_write_b32 v135, v147
.LBB87_57:
	s_or_b64 exec, exec, s[2:3]
	s_waitcnt lgkmcnt(0)
	s_barrier
	ds_read_b32 v147, v135
	v_cmp_lt_u32_e32 vcc, 10, v133
	s_and_saveexec_b64 s[2:3], vcc
	s_cbranch_execz .LBB87_59
; %bb.58:
	ds_read_b32 v160, v137 offset:44
	ds_read2_b64 v[148:151], v137 offset0:6 offset1:7
	ds_read2_b64 v[152:155], v137 offset0:8 offset1:9
	;; [unrolled: 1-line block ×3, first 2 shown]
	s_waitcnt vmcnt(41) lgkmcnt(4)
	v_mul_f32_e32 v102, v147, v102
	s_waitcnt vmcnt(40) lgkmcnt(3)
	v_fma_f32 v103, -v102, v160, v103
	s_waitcnt vmcnt(38) lgkmcnt(2)
	v_pk_fma_f32 v[118:119], v[102:103], v[148:149], v[118:119] op_sel_hi:[0,1,1] neg_lo:[1,0,0] neg_hi:[1,0,0]
	s_waitcnt vmcnt(36)
	v_pk_fma_f32 v[100:101], v[102:103], v[150:151], v[100:101] op_sel_hi:[0,1,1] neg_lo:[1,0,0] neg_hi:[1,0,0]
	s_waitcnt vmcnt(34) lgkmcnt(1)
	v_pk_fma_f32 v[116:117], v[102:103], v[152:153], v[116:117] op_sel_hi:[0,1,1] neg_lo:[1,0,0] neg_hi:[1,0,0]
	ds_read2_b64 v[148:151], v137 offset0:12 offset1:13
	s_waitcnt vmcnt(32)
	v_pk_fma_f32 v[98:99], v[102:103], v[154:155], v[98:99] op_sel_hi:[0,1,1] neg_lo:[1,0,0] neg_hi:[1,0,0]
	ds_read2_b64 v[152:155], v137 offset0:14 offset1:15
	s_waitcnt vmcnt(30) lgkmcnt(2)
	v_pk_fma_f32 v[114:115], v[102:103], v[156:157], v[114:115] op_sel_hi:[0,1,1] neg_lo:[1,0,0] neg_hi:[1,0,0]
	s_waitcnt vmcnt(28)
	v_pk_fma_f32 v[96:97], v[102:103], v[158:159], v[96:97] op_sel_hi:[0,1,1] neg_lo:[1,0,0] neg_hi:[1,0,0]
	s_waitcnt vmcnt(26) lgkmcnt(1)
	v_pk_fma_f32 v[112:113], v[102:103], v[148:149], v[112:113] op_sel_hi:[0,1,1] neg_lo:[1,0,0] neg_hi:[1,0,0]
	s_waitcnt vmcnt(24)
	v_pk_fma_f32 v[94:95], v[102:103], v[150:151], v[94:95] op_sel_hi:[0,1,1] neg_lo:[1,0,0] neg_hi:[1,0,0]
	ds_read2_b64 v[148:151], v137 offset0:16 offset1:17
	ds_read2_b64 v[156:159], v137 offset0:18 offset1:19
	s_waitcnt vmcnt(22) lgkmcnt(2)
	v_pk_fma_f32 v[110:111], v[102:103], v[152:153], v[110:111] op_sel_hi:[0,1,1] neg_lo:[1,0,0] neg_hi:[1,0,0]
	s_waitcnt vmcnt(20)
	v_pk_fma_f32 v[92:93], v[102:103], v[154:155], v[92:93] op_sel_hi:[0,1,1] neg_lo:[1,0,0] neg_hi:[1,0,0]
	ds_read2_b64 v[152:155], v137 offset0:20 offset1:21
	s_waitcnt vmcnt(18) lgkmcnt(2)
	v_pk_fma_f32 v[108:109], v[102:103], v[148:149], v[108:109] op_sel_hi:[0,1,1] neg_lo:[1,0,0] neg_hi:[1,0,0]
	s_waitcnt vmcnt(16)
	v_pk_fma_f32 v[90:91], v[102:103], v[150:151], v[90:91] op_sel_hi:[0,1,1] neg_lo:[1,0,0] neg_hi:[1,0,0]
	s_waitcnt vmcnt(14) lgkmcnt(1)
	v_pk_fma_f32 v[106:107], v[102:103], v[156:157], v[106:107] op_sel_hi:[0,1,1] neg_lo:[1,0,0] neg_hi:[1,0,0]
	s_waitcnt vmcnt(12)
	v_pk_fma_f32 v[88:89], v[102:103], v[158:159], v[88:89] op_sel_hi:[0,1,1] neg_lo:[1,0,0] neg_hi:[1,0,0]
	;; [unrolled: 4-line block ×3, first 2 shown]
.LBB87_59:
	s_or_b64 exec, exec, s[2:3]
	v_cmp_ne_u32_e32 vcc, 11, v133
	s_waitcnt lgkmcnt(0)
	s_barrier
	s_and_saveexec_b64 s[2:3], vcc
	s_xor_b64 s[2:3], exec, s[2:3]
	s_andn2_saveexec_b64 s[2:3], s[2:3]
	s_cbranch_execz .LBB87_63
; %bb.60:
	s_waitcnt vmcnt(39)
	v_mov_b32_e32 v148, v118
	s_waitcnt vmcnt(38)
	v_mov_b32_e32 v149, v119
	;; [unrolled: 2-line block ×4, first 2 shown]
	ds_write_b32 v135, v103
	ds_write2_b64 v137, v[148:149], v[150:151] offset0:6 offset1:7
	s_waitcnt vmcnt(35)
	v_mov_b32_e32 v148, v116
	s_waitcnt vmcnt(34)
	v_mov_b32_e32 v149, v117
	s_waitcnt vmcnt(33)
	v_mov_b32_e32 v150, v98
	s_waitcnt vmcnt(32)
	v_mov_b32_e32 v151, v99
	ds_write2_b64 v137, v[148:149], v[150:151] offset0:8 offset1:9
	s_waitcnt vmcnt(31)
	v_mov_b32_e32 v148, v114
	s_waitcnt vmcnt(30)
	v_mov_b32_e32 v149, v115
	s_waitcnt vmcnt(29)
	v_mov_b32_e32 v150, v96
	s_waitcnt vmcnt(28)
	v_mov_b32_e32 v151, v97
	;; [unrolled: 9-line block ×6, first 2 shown]
	ds_write2_b64 v137, v[148:149], v[150:151] offset0:18 offset1:19
	s_waitcnt vmcnt(11)
	v_mov_b32_e32 v148, v104
	s_waitcnt vmcnt(10)
	v_mov_b32_e32 v149, v105
	s_waitcnt vmcnt(8)
	ds_write2_b64 v137, v[148:149], v[122:123] offset0:20 offset1:21
	ds_read_b32 v148, v135
	s_waitcnt lgkmcnt(0)
	v_cmp_neq_f32_e32 vcc, 0, v148
	s_and_saveexec_b64 s[4:5], vcc
	s_cbranch_execz .LBB87_62
; %bb.61:
	v_div_scale_f32 v149, s[10:11], v148, v148, 1.0
	v_rcp_f32_e32 v150, v149
	v_div_scale_f32 v151, vcc, 1.0, v148, 1.0
	v_fma_f32 v152, -v149, v150, 1.0
	v_fmac_f32_e32 v150, v152, v150
	v_mul_f32_e32 v152, v151, v150
	v_fma_f32 v153, -v149, v152, v151
	v_fmac_f32_e32 v152, v153, v150
	v_fma_f32 v149, -v149, v152, v151
	v_div_fmas_f32 v149, v149, v150, v152
	v_div_fixup_f32 v148, v149, v148, 1.0
	ds_write_b32 v135, v148
.LBB87_62:
	s_or_b64 exec, exec, s[4:5]
.LBB87_63:
	s_or_b64 exec, exec, s[2:3]
	s_waitcnt lgkmcnt(0)
	s_barrier
	ds_read_b32 v148, v135
	v_cmp_lt_u32_e32 vcc, 11, v133
	s_and_saveexec_b64 s[2:3], vcc
	s_cbranch_execz .LBB87_65
; %bb.64:
	ds_read2_b64 v[150:153], v137 offset0:6 offset1:7
	ds_read2_b64 v[154:157], v137 offset0:8 offset1:9
	s_waitcnt vmcnt(40) lgkmcnt(2)
	v_mul_f32_e32 v162, v148, v103
	ds_read2_b64 v[158:161], v137 offset0:10 offset1:11
	v_mov_b32_e32 v103, v162
	s_waitcnt vmcnt(38) lgkmcnt(2)
	v_pk_fma_f32 v[118:119], v[162:163], v[150:151], v[118:119] op_sel_hi:[0,1,1] neg_lo:[1,0,0] neg_hi:[1,0,0]
	s_waitcnt vmcnt(36)
	v_pk_fma_f32 v[100:101], v[162:163], v[152:153], v[100:101] op_sel_hi:[0,1,1] neg_lo:[1,0,0] neg_hi:[1,0,0]
	s_waitcnt vmcnt(34) lgkmcnt(1)
	v_pk_fma_f32 v[116:117], v[162:163], v[154:155], v[116:117] op_sel_hi:[0,1,1] neg_lo:[1,0,0] neg_hi:[1,0,0]
	ds_read2_b64 v[150:153], v137 offset0:12 offset1:13
	s_waitcnt vmcnt(32)
	v_pk_fma_f32 v[98:99], v[162:163], v[156:157], v[98:99] op_sel_hi:[0,1,1] neg_lo:[1,0,0] neg_hi:[1,0,0]
	ds_read2_b64 v[154:157], v137 offset0:14 offset1:15
	s_waitcnt vmcnt(30) lgkmcnt(2)
	v_pk_fma_f32 v[114:115], v[162:163], v[158:159], v[114:115] op_sel_hi:[0,1,1] neg_lo:[1,0,0] neg_hi:[1,0,0]
	s_waitcnt vmcnt(28)
	v_pk_fma_f32 v[96:97], v[162:163], v[160:161], v[96:97] op_sel_hi:[0,1,1] neg_lo:[1,0,0] neg_hi:[1,0,0]
	s_waitcnt vmcnt(26) lgkmcnt(1)
	v_pk_fma_f32 v[112:113], v[162:163], v[150:151], v[112:113] op_sel_hi:[0,1,1] neg_lo:[1,0,0] neg_hi:[1,0,0]
	s_waitcnt vmcnt(24)
	v_pk_fma_f32 v[94:95], v[162:163], v[152:153], v[94:95] op_sel_hi:[0,1,1] neg_lo:[1,0,0] neg_hi:[1,0,0]
	ds_read2_b64 v[150:153], v137 offset0:16 offset1:17
	s_waitcnt vmcnt(22) lgkmcnt(1)
	v_pk_fma_f32 v[110:111], v[162:163], v[154:155], v[110:111] op_sel_hi:[0,1,1] neg_lo:[1,0,0] neg_hi:[1,0,0]
	ds_read2_b64 v[158:161], v137 offset0:18 offset1:19
	s_waitcnt vmcnt(20)
	v_pk_fma_f32 v[92:93], v[162:163], v[156:157], v[92:93] op_sel_hi:[0,1,1] neg_lo:[1,0,0] neg_hi:[1,0,0]
	ds_read2_b64 v[154:157], v137 offset0:20 offset1:21
	s_waitcnt vmcnt(18) lgkmcnt(2)
	v_pk_fma_f32 v[108:109], v[162:163], v[150:151], v[108:109] op_sel_hi:[0,1,1] neg_lo:[1,0,0] neg_hi:[1,0,0]
	s_waitcnt vmcnt(16)
	v_pk_fma_f32 v[90:91], v[162:163], v[152:153], v[90:91] op_sel_hi:[0,1,1] neg_lo:[1,0,0] neg_hi:[1,0,0]
	s_waitcnt vmcnt(14) lgkmcnt(1)
	v_pk_fma_f32 v[106:107], v[162:163], v[158:159], v[106:107] op_sel_hi:[0,1,1] neg_lo:[1,0,0] neg_hi:[1,0,0]
	s_waitcnt vmcnt(12)
	v_pk_fma_f32 v[88:89], v[162:163], v[160:161], v[88:89] op_sel_hi:[0,1,1] neg_lo:[1,0,0] neg_hi:[1,0,0]
	s_waitcnt vmcnt(10) lgkmcnt(0)
	v_pk_fma_f32 v[104:105], v[162:163], v[154:155], v[104:105] op_sel_hi:[0,1,1] neg_lo:[1,0,0] neg_hi:[1,0,0]
	s_waitcnt vmcnt(8)
	v_pk_fma_f32 v[122:123], v[162:163], v[156:157], v[122:123] op_sel_hi:[0,1,1] neg_lo:[1,0,0] neg_hi:[1,0,0]
.LBB87_65:
	s_or_b64 exec, exec, s[2:3]
	v_cmp_eq_u32_e32 vcc, 12, v133
	s_waitcnt lgkmcnt(0)
	s_barrier
	s_and_saveexec_b64 s[2:3], vcc
	s_cbranch_execz .LBB87_68
; %bb.66:
	s_waitcnt vmcnt(36)
	v_pk_mov_b32 v[150:151], v[118:119], v[100:101] op_sel:[1,0]
	ds_write_b32 v135, v118
	ds_write2_b32 v137, v150, v151 offset0:13 offset1:14
	s_waitcnt vmcnt(34)
	v_pk_mov_b32 v[150:151], v[100:101], v[116:117] op_sel:[1,0]
	ds_write2_b32 v137, v150, v151 offset0:15 offset1:16
	s_waitcnt vmcnt(32)
	v_pk_mov_b32 v[150:151], v[116:117], v[98:99] op_sel:[1,0]
	;; [unrolled: 3-line block ×14, first 2 shown]
	ds_write2_b32 v137, v150, v151 offset0:41 offset1:42
	ds_write_b32 v137, v123 offset:172
	ds_read_b32 v149, v135
	s_waitcnt lgkmcnt(0)
	v_cmp_neq_f32_e32 vcc, 0, v149
	s_and_b64 exec, exec, vcc
	s_cbranch_execz .LBB87_68
; %bb.67:
	v_div_scale_f32 v150, s[4:5], v149, v149, 1.0
	v_rcp_f32_e32 v151, v150
	v_div_scale_f32 v152, vcc, 1.0, v149, 1.0
	v_fma_f32 v153, -v150, v151, 1.0
	v_fmac_f32_e32 v151, v153, v151
	v_mul_f32_e32 v153, v152, v151
	v_fma_f32 v154, -v150, v153, v152
	v_fmac_f32_e32 v153, v154, v151
	v_fma_f32 v150, -v150, v153, v152
	v_div_fmas_f32 v150, v150, v151, v153
	v_div_fixup_f32 v149, v150, v149, 1.0
	ds_write_b32 v135, v149
.LBB87_68:
	s_or_b64 exec, exec, s[2:3]
	s_waitcnt lgkmcnt(0)
	s_barrier
	ds_read_b32 v149, v135
	v_cmp_lt_u32_e32 vcc, 12, v133
	s_and_saveexec_b64 s[2:3], vcc
	s_cbranch_execz .LBB87_70
; %bb.69:
	ds_read_b32 v162, v137 offset:52
	ds_read2_b64 v[150:153], v137 offset0:7 offset1:8
	ds_read2_b64 v[154:157], v137 offset0:9 offset1:10
	;; [unrolled: 1-line block ×3, first 2 shown]
	s_waitcnt vmcnt(39) lgkmcnt(4)
	v_mul_f32_e32 v118, v149, v118
	s_waitcnt vmcnt(38) lgkmcnt(3)
	v_fma_f32 v119, -v118, v162, v119
	s_waitcnt vmcnt(36) lgkmcnt(2)
	v_pk_fma_f32 v[100:101], v[118:119], v[150:151], v[100:101] op_sel_hi:[0,1,1] neg_lo:[1,0,0] neg_hi:[1,0,0]
	s_waitcnt vmcnt(34)
	v_pk_fma_f32 v[116:117], v[118:119], v[152:153], v[116:117] op_sel_hi:[0,1,1] neg_lo:[1,0,0] neg_hi:[1,0,0]
	s_waitcnt vmcnt(32) lgkmcnt(1)
	v_pk_fma_f32 v[98:99], v[118:119], v[154:155], v[98:99] op_sel_hi:[0,1,1] neg_lo:[1,0,0] neg_hi:[1,0,0]
	ds_read2_b64 v[150:153], v137 offset0:13 offset1:14
	s_waitcnt vmcnt(30)
	v_pk_fma_f32 v[114:115], v[118:119], v[156:157], v[114:115] op_sel_hi:[0,1,1] neg_lo:[1,0,0] neg_hi:[1,0,0]
	ds_read2_b64 v[154:157], v137 offset0:15 offset1:16
	s_waitcnt vmcnt(28) lgkmcnt(2)
	v_pk_fma_f32 v[96:97], v[118:119], v[158:159], v[96:97] op_sel_hi:[0,1,1] neg_lo:[1,0,0] neg_hi:[1,0,0]
	s_waitcnt vmcnt(26)
	v_pk_fma_f32 v[112:113], v[118:119], v[160:161], v[112:113] op_sel_hi:[0,1,1] neg_lo:[1,0,0] neg_hi:[1,0,0]
	s_waitcnt vmcnt(24) lgkmcnt(1)
	v_pk_fma_f32 v[94:95], v[118:119], v[150:151], v[94:95] op_sel_hi:[0,1,1] neg_lo:[1,0,0] neg_hi:[1,0,0]
	s_waitcnt vmcnt(22)
	v_pk_fma_f32 v[110:111], v[118:119], v[152:153], v[110:111] op_sel_hi:[0,1,1] neg_lo:[1,0,0] neg_hi:[1,0,0]
	ds_read2_b64 v[150:153], v137 offset0:17 offset1:18
	ds_read2_b64 v[158:161], v137 offset0:19 offset1:20
	s_waitcnt vmcnt(20) lgkmcnt(2)
	v_pk_fma_f32 v[92:93], v[118:119], v[154:155], v[92:93] op_sel_hi:[0,1,1] neg_lo:[1,0,0] neg_hi:[1,0,0]
	ds_read_b64 v[154:155], v137 offset:168
	s_waitcnt vmcnt(18)
	v_pk_fma_f32 v[108:109], v[118:119], v[156:157], v[108:109] op_sel_hi:[0,1,1] neg_lo:[1,0,0] neg_hi:[1,0,0]
	s_waitcnt vmcnt(16) lgkmcnt(2)
	v_pk_fma_f32 v[90:91], v[118:119], v[150:151], v[90:91] op_sel_hi:[0,1,1] neg_lo:[1,0,0] neg_hi:[1,0,0]
	s_waitcnt vmcnt(14)
	v_pk_fma_f32 v[106:107], v[118:119], v[152:153], v[106:107] op_sel_hi:[0,1,1] neg_lo:[1,0,0] neg_hi:[1,0,0]
	s_waitcnt vmcnt(12) lgkmcnt(1)
	v_pk_fma_f32 v[88:89], v[118:119], v[158:159], v[88:89] op_sel_hi:[0,1,1] neg_lo:[1,0,0] neg_hi:[1,0,0]
	;; [unrolled: 4-line block ×3, first 2 shown]
.LBB87_70:
	s_or_b64 exec, exec, s[2:3]
	v_cmp_ne_u32_e32 vcc, 13, v133
	s_waitcnt lgkmcnt(0)
	s_barrier
	s_and_saveexec_b64 s[2:3], vcc
	s_xor_b64 s[2:3], exec, s[2:3]
	s_andn2_saveexec_b64 s[2:3], s[2:3]
	s_cbranch_execz .LBB87_74
; %bb.71:
	s_waitcnt vmcnt(38)
	ds_write_b32 v135, v119
	s_waitcnt vmcnt(34)
	ds_write2_b64 v137, v[100:101], v[116:117] offset0:7 offset1:8
	s_waitcnt vmcnt(30)
	ds_write2_b64 v137, v[98:99], v[114:115] offset0:9 offset1:10
	;; [unrolled: 2-line block ×7, first 2 shown]
	s_waitcnt vmcnt(8)
	ds_write_b64 v137, v[122:123] offset:168
	ds_read_b32 v150, v135
	s_waitcnt lgkmcnt(0)
	v_cmp_neq_f32_e32 vcc, 0, v150
	s_and_saveexec_b64 s[4:5], vcc
	s_cbranch_execz .LBB87_73
; %bb.72:
	v_div_scale_f32 v151, s[10:11], v150, v150, 1.0
	v_rcp_f32_e32 v152, v151
	v_div_scale_f32 v153, vcc, 1.0, v150, 1.0
	v_fma_f32 v154, -v151, v152, 1.0
	v_fmac_f32_e32 v152, v154, v152
	v_mul_f32_e32 v154, v153, v152
	v_fma_f32 v155, -v151, v154, v153
	v_fmac_f32_e32 v154, v155, v152
	v_fma_f32 v151, -v151, v154, v153
	v_div_fmas_f32 v151, v151, v152, v154
	v_div_fixup_f32 v150, v151, v150, 1.0
	ds_write_b32 v135, v150
.LBB87_73:
	s_or_b64 exec, exec, s[4:5]
.LBB87_74:
	s_or_b64 exec, exec, s[2:3]
	s_waitcnt lgkmcnt(0)
	s_barrier
	ds_read_b32 v150, v135
	v_cmp_lt_u32_e32 vcc, 13, v133
	s_and_saveexec_b64 s[2:3], vcc
	s_cbranch_execz .LBB87_76
; %bb.75:
	ds_read2_b64 v[152:155], v137 offset0:7 offset1:8
	ds_read2_b64 v[156:159], v137 offset0:9 offset1:10
	s_waitcnt vmcnt(38) lgkmcnt(2)
	v_mul_f32_e32 v164, v150, v119
	ds_read2_b64 v[160:163], v137 offset0:11 offset1:12
	v_mov_b32_e32 v119, v164
	s_waitcnt vmcnt(36) lgkmcnt(2)
	v_pk_fma_f32 v[100:101], v[164:165], v[152:153], v[100:101] op_sel_hi:[0,1,1] neg_lo:[1,0,0] neg_hi:[1,0,0]
	s_waitcnt vmcnt(34)
	v_pk_fma_f32 v[116:117], v[164:165], v[154:155], v[116:117] op_sel_hi:[0,1,1] neg_lo:[1,0,0] neg_hi:[1,0,0]
	s_waitcnt vmcnt(32) lgkmcnt(1)
	v_pk_fma_f32 v[98:99], v[164:165], v[156:157], v[98:99] op_sel_hi:[0,1,1] neg_lo:[1,0,0] neg_hi:[1,0,0]
	ds_read2_b64 v[152:155], v137 offset0:13 offset1:14
	s_waitcnt vmcnt(30)
	v_pk_fma_f32 v[114:115], v[164:165], v[158:159], v[114:115] op_sel_hi:[0,1,1] neg_lo:[1,0,0] neg_hi:[1,0,0]
	ds_read2_b64 v[156:159], v137 offset0:15 offset1:16
	s_waitcnt vmcnt(28) lgkmcnt(2)
	v_pk_fma_f32 v[96:97], v[164:165], v[160:161], v[96:97] op_sel_hi:[0,1,1] neg_lo:[1,0,0] neg_hi:[1,0,0]
	s_waitcnt vmcnt(26)
	v_pk_fma_f32 v[112:113], v[164:165], v[162:163], v[112:113] op_sel_hi:[0,1,1] neg_lo:[1,0,0] neg_hi:[1,0,0]
	s_waitcnt vmcnt(24) lgkmcnt(1)
	v_pk_fma_f32 v[94:95], v[164:165], v[152:153], v[94:95] op_sel_hi:[0,1,1] neg_lo:[1,0,0] neg_hi:[1,0,0]
	s_waitcnt vmcnt(22)
	v_pk_fma_f32 v[110:111], v[164:165], v[154:155], v[110:111] op_sel_hi:[0,1,1] neg_lo:[1,0,0] neg_hi:[1,0,0]
	ds_read2_b64 v[152:155], v137 offset0:17 offset1:18
	s_waitcnt vmcnt(20) lgkmcnt(1)
	v_pk_fma_f32 v[92:93], v[164:165], v[156:157], v[92:93] op_sel_hi:[0,1,1] neg_lo:[1,0,0] neg_hi:[1,0,0]
	ds_read2_b64 v[160:163], v137 offset0:19 offset1:20
	ds_read_b64 v[156:157], v137 offset:168
	s_waitcnt vmcnt(18)
	v_pk_fma_f32 v[108:109], v[164:165], v[158:159], v[108:109] op_sel_hi:[0,1,1] neg_lo:[1,0,0] neg_hi:[1,0,0]
	s_waitcnt vmcnt(16) lgkmcnt(2)
	v_pk_fma_f32 v[90:91], v[164:165], v[152:153], v[90:91] op_sel_hi:[0,1,1] neg_lo:[1,0,0] neg_hi:[1,0,0]
	s_waitcnt vmcnt(14)
	v_pk_fma_f32 v[106:107], v[164:165], v[154:155], v[106:107] op_sel_hi:[0,1,1] neg_lo:[1,0,0] neg_hi:[1,0,0]
	s_waitcnt vmcnt(12) lgkmcnt(1)
	v_pk_fma_f32 v[88:89], v[164:165], v[160:161], v[88:89] op_sel_hi:[0,1,1] neg_lo:[1,0,0] neg_hi:[1,0,0]
	;; [unrolled: 4-line block ×3, first 2 shown]
.LBB87_76:
	s_or_b64 exec, exec, s[2:3]
	v_cmp_eq_u32_e32 vcc, 14, v133
	s_waitcnt lgkmcnt(0)
	s_barrier
	s_and_saveexec_b64 s[2:3], vcc
	s_cbranch_execz .LBB87_79
; %bb.77:
	s_waitcnt vmcnt(34)
	v_pk_mov_b32 v[152:153], v[100:101], v[116:117] op_sel:[1,0]
	ds_write_b32 v135, v100
	ds_write2_b32 v137, v152, v153 offset0:15 offset1:16
	s_waitcnt vmcnt(32)
	v_pk_mov_b32 v[152:153], v[116:117], v[98:99] op_sel:[1,0]
	ds_write2_b32 v137, v152, v153 offset0:17 offset1:18
	s_waitcnt vmcnt(30)
	v_pk_mov_b32 v[152:153], v[98:99], v[114:115] op_sel:[1,0]
	;; [unrolled: 3-line block ×13, first 2 shown]
	ds_write2_b32 v137, v152, v153 offset0:41 offset1:42
	ds_write_b32 v137, v123 offset:172
	ds_read_b32 v151, v135
	s_waitcnt lgkmcnt(0)
	v_cmp_neq_f32_e32 vcc, 0, v151
	s_and_b64 exec, exec, vcc
	s_cbranch_execz .LBB87_79
; %bb.78:
	v_div_scale_f32 v152, s[4:5], v151, v151, 1.0
	v_rcp_f32_e32 v153, v152
	v_div_scale_f32 v154, vcc, 1.0, v151, 1.0
	v_fma_f32 v155, -v152, v153, 1.0
	v_fmac_f32_e32 v153, v155, v153
	v_mul_f32_e32 v155, v154, v153
	v_fma_f32 v156, -v152, v155, v154
	v_fmac_f32_e32 v155, v156, v153
	v_fma_f32 v152, -v152, v155, v154
	v_div_fmas_f32 v152, v152, v153, v155
	v_div_fixup_f32 v151, v152, v151, 1.0
	ds_write_b32 v135, v151
.LBB87_79:
	s_or_b64 exec, exec, s[2:3]
	s_waitcnt lgkmcnt(0)
	s_barrier
	ds_read_b32 v151, v135
	v_cmp_lt_u32_e32 vcc, 14, v133
	s_and_saveexec_b64 s[2:3], vcc
	s_cbranch_execz .LBB87_81
; %bb.80:
	ds_read_b32 v164, v137 offset:60
	ds_read2_b64 v[152:155], v137 offset0:8 offset1:9
	s_waitcnt vmcnt(37) lgkmcnt(2)
	v_mul_f32_e32 v100, v151, v100
	ds_read2_b64 v[156:159], v137 offset0:10 offset1:11
	ds_read2_b64 v[160:163], v137 offset0:12 offset1:13
	s_waitcnt vmcnt(36) lgkmcnt(3)
	v_fma_f32 v101, -v100, v164, v101
	s_waitcnt vmcnt(34) lgkmcnt(2)
	v_pk_fma_f32 v[116:117], v[100:101], v[152:153], v[116:117] op_sel_hi:[0,1,1] neg_lo:[1,0,0] neg_hi:[1,0,0]
	s_waitcnt vmcnt(32)
	v_pk_fma_f32 v[98:99], v[100:101], v[154:155], v[98:99] op_sel_hi:[0,1,1] neg_lo:[1,0,0] neg_hi:[1,0,0]
	ds_read2_b64 v[152:155], v137 offset0:14 offset1:15
	s_waitcnt vmcnt(30) lgkmcnt(2)
	v_pk_fma_f32 v[114:115], v[100:101], v[156:157], v[114:115] op_sel_hi:[0,1,1] neg_lo:[1,0,0] neg_hi:[1,0,0]
	s_waitcnt vmcnt(28)
	v_pk_fma_f32 v[96:97], v[100:101], v[158:159], v[96:97] op_sel_hi:[0,1,1] neg_lo:[1,0,0] neg_hi:[1,0,0]
	s_waitcnt vmcnt(26) lgkmcnt(1)
	v_pk_fma_f32 v[112:113], v[100:101], v[160:161], v[112:113] op_sel_hi:[0,1,1] neg_lo:[1,0,0] neg_hi:[1,0,0]
	s_waitcnt vmcnt(24)
	v_pk_fma_f32 v[94:95], v[100:101], v[162:163], v[94:95] op_sel_hi:[0,1,1] neg_lo:[1,0,0] neg_hi:[1,0,0]
	ds_read2_b64 v[156:159], v137 offset0:16 offset1:17
	s_waitcnt vmcnt(22) lgkmcnt(1)
	v_pk_fma_f32 v[110:111], v[100:101], v[152:153], v[110:111] op_sel_hi:[0,1,1] neg_lo:[1,0,0] neg_hi:[1,0,0]
	ds_read2_b64 v[160:163], v137 offset0:18 offset1:19
	s_waitcnt vmcnt(20)
	v_pk_fma_f32 v[92:93], v[100:101], v[154:155], v[92:93] op_sel_hi:[0,1,1] neg_lo:[1,0,0] neg_hi:[1,0,0]
	ds_read2_b64 v[152:155], v137 offset0:20 offset1:21
	s_waitcnt vmcnt(18) lgkmcnt(2)
	v_pk_fma_f32 v[108:109], v[100:101], v[156:157], v[108:109] op_sel_hi:[0,1,1] neg_lo:[1,0,0] neg_hi:[1,0,0]
	s_waitcnt vmcnt(16)
	v_pk_fma_f32 v[90:91], v[100:101], v[158:159], v[90:91] op_sel_hi:[0,1,1] neg_lo:[1,0,0] neg_hi:[1,0,0]
	s_waitcnt vmcnt(14) lgkmcnt(1)
	v_pk_fma_f32 v[106:107], v[100:101], v[160:161], v[106:107] op_sel_hi:[0,1,1] neg_lo:[1,0,0] neg_hi:[1,0,0]
	s_waitcnt vmcnt(12)
	v_pk_fma_f32 v[88:89], v[100:101], v[162:163], v[88:89] op_sel_hi:[0,1,1] neg_lo:[1,0,0] neg_hi:[1,0,0]
	;; [unrolled: 4-line block ×3, first 2 shown]
.LBB87_81:
	s_or_b64 exec, exec, s[2:3]
	v_cmp_ne_u32_e32 vcc, 15, v133
	s_waitcnt lgkmcnt(0)
	s_barrier
	s_and_saveexec_b64 s[2:3], vcc
	s_xor_b64 s[2:3], exec, s[2:3]
	s_andn2_saveexec_b64 s[2:3], s[2:3]
	s_cbranch_execz .LBB87_85
; %bb.82:
	s_waitcnt vmcnt(35)
	v_mov_b32_e32 v152, v116
	s_waitcnt vmcnt(34)
	v_mov_b32_e32 v153, v117
	;; [unrolled: 2-line block ×4, first 2 shown]
	ds_write_b32 v135, v101
	ds_write2_b64 v137, v[152:153], v[154:155] offset0:8 offset1:9
	s_waitcnt vmcnt(31)
	v_mov_b32_e32 v152, v114
	s_waitcnt vmcnt(30)
	v_mov_b32_e32 v153, v115
	s_waitcnt vmcnt(29)
	v_mov_b32_e32 v154, v96
	s_waitcnt vmcnt(28)
	v_mov_b32_e32 v155, v97
	ds_write2_b64 v137, v[152:153], v[154:155] offset0:10 offset1:11
	s_waitcnt vmcnt(27)
	v_mov_b32_e32 v152, v112
	s_waitcnt vmcnt(26)
	v_mov_b32_e32 v153, v113
	s_waitcnt vmcnt(25)
	v_mov_b32_e32 v154, v94
	s_waitcnt vmcnt(24)
	v_mov_b32_e32 v155, v95
	;; [unrolled: 9-line block ×5, first 2 shown]
	ds_write2_b64 v137, v[152:153], v[154:155] offset0:18 offset1:19
	s_waitcnt vmcnt(11)
	v_mov_b32_e32 v152, v104
	s_waitcnt vmcnt(10)
	v_mov_b32_e32 v153, v105
	s_waitcnt vmcnt(8)
	ds_write2_b64 v137, v[152:153], v[122:123] offset0:20 offset1:21
	ds_read_b32 v152, v135
	s_waitcnt lgkmcnt(0)
	v_cmp_neq_f32_e32 vcc, 0, v152
	s_and_saveexec_b64 s[4:5], vcc
	s_cbranch_execz .LBB87_84
; %bb.83:
	v_div_scale_f32 v153, s[10:11], v152, v152, 1.0
	v_rcp_f32_e32 v154, v153
	v_div_scale_f32 v155, vcc, 1.0, v152, 1.0
	v_fma_f32 v156, -v153, v154, 1.0
	v_fmac_f32_e32 v154, v156, v154
	v_mul_f32_e32 v156, v155, v154
	v_fma_f32 v157, -v153, v156, v155
	v_fmac_f32_e32 v156, v157, v154
	v_fma_f32 v153, -v153, v156, v155
	v_div_fmas_f32 v153, v153, v154, v156
	v_div_fixup_f32 v152, v153, v152, 1.0
	ds_write_b32 v135, v152
.LBB87_84:
	s_or_b64 exec, exec, s[4:5]
.LBB87_85:
	s_or_b64 exec, exec, s[2:3]
	s_waitcnt lgkmcnt(0)
	s_barrier
	ds_read_b32 v152, v135
	v_cmp_lt_u32_e32 vcc, 15, v133
	s_and_saveexec_b64 s[2:3], vcc
	s_cbranch_execz .LBB87_87
; %bb.86:
	ds_read2_b64 v[154:157], v137 offset0:8 offset1:9
	ds_read2_b64 v[158:161], v137 offset0:10 offset1:11
	s_waitcnt vmcnt(36) lgkmcnt(2)
	v_mul_f32_e32 v166, v152, v101
	ds_read2_b64 v[162:165], v137 offset0:12 offset1:13
	v_mov_b32_e32 v101, v166
	s_waitcnt vmcnt(34) lgkmcnt(2)
	v_pk_fma_f32 v[116:117], v[166:167], v[154:155], v[116:117] op_sel_hi:[0,1,1] neg_lo:[1,0,0] neg_hi:[1,0,0]
	s_waitcnt vmcnt(32)
	v_pk_fma_f32 v[98:99], v[166:167], v[156:157], v[98:99] op_sel_hi:[0,1,1] neg_lo:[1,0,0] neg_hi:[1,0,0]
	ds_read2_b64 v[154:157], v137 offset0:14 offset1:15
	s_waitcnt vmcnt(30) lgkmcnt(2)
	v_pk_fma_f32 v[114:115], v[166:167], v[158:159], v[114:115] op_sel_hi:[0,1,1] neg_lo:[1,0,0] neg_hi:[1,0,0]
	s_waitcnt vmcnt(28)
	v_pk_fma_f32 v[96:97], v[166:167], v[160:161], v[96:97] op_sel_hi:[0,1,1] neg_lo:[1,0,0] neg_hi:[1,0,0]
	s_waitcnt vmcnt(26) lgkmcnt(1)
	v_pk_fma_f32 v[112:113], v[166:167], v[162:163], v[112:113] op_sel_hi:[0,1,1] neg_lo:[1,0,0] neg_hi:[1,0,0]
	s_waitcnt vmcnt(24)
	v_pk_fma_f32 v[94:95], v[166:167], v[164:165], v[94:95] op_sel_hi:[0,1,1] neg_lo:[1,0,0] neg_hi:[1,0,0]
	ds_read2_b64 v[158:161], v137 offset0:16 offset1:17
	ds_read2_b64 v[162:165], v137 offset0:18 offset1:19
	s_waitcnt vmcnt(22) lgkmcnt(2)
	v_pk_fma_f32 v[110:111], v[166:167], v[154:155], v[110:111] op_sel_hi:[0,1,1] neg_lo:[1,0,0] neg_hi:[1,0,0]
	s_waitcnt vmcnt(20)
	v_pk_fma_f32 v[92:93], v[166:167], v[156:157], v[92:93] op_sel_hi:[0,1,1] neg_lo:[1,0,0] neg_hi:[1,0,0]
	ds_read2_b64 v[154:157], v137 offset0:20 offset1:21
	s_waitcnt vmcnt(18) lgkmcnt(2)
	v_pk_fma_f32 v[108:109], v[166:167], v[158:159], v[108:109] op_sel_hi:[0,1,1] neg_lo:[1,0,0] neg_hi:[1,0,0]
	s_waitcnt vmcnt(16)
	v_pk_fma_f32 v[90:91], v[166:167], v[160:161], v[90:91] op_sel_hi:[0,1,1] neg_lo:[1,0,0] neg_hi:[1,0,0]
	s_waitcnt vmcnt(14) lgkmcnt(1)
	v_pk_fma_f32 v[106:107], v[166:167], v[162:163], v[106:107] op_sel_hi:[0,1,1] neg_lo:[1,0,0] neg_hi:[1,0,0]
	s_waitcnt vmcnt(12)
	v_pk_fma_f32 v[88:89], v[166:167], v[164:165], v[88:89] op_sel_hi:[0,1,1] neg_lo:[1,0,0] neg_hi:[1,0,0]
	;; [unrolled: 4-line block ×3, first 2 shown]
.LBB87_87:
	s_or_b64 exec, exec, s[2:3]
	v_cmp_eq_u32_e32 vcc, 16, v133
	s_waitcnt lgkmcnt(0)
	s_barrier
	s_and_saveexec_b64 s[2:3], vcc
	s_cbranch_execz .LBB87_90
; %bb.88:
	s_waitcnt vmcnt(32)
	v_pk_mov_b32 v[154:155], v[116:117], v[98:99] op_sel:[1,0]
	ds_write_b32 v135, v116
	ds_write2_b32 v137, v154, v155 offset0:17 offset1:18
	s_waitcnt vmcnt(30)
	v_pk_mov_b32 v[154:155], v[98:99], v[114:115] op_sel:[1,0]
	ds_write2_b32 v137, v154, v155 offset0:19 offset1:20
	s_waitcnt vmcnt(28)
	v_pk_mov_b32 v[154:155], v[114:115], v[96:97] op_sel:[1,0]
	;; [unrolled: 3-line block ×12, first 2 shown]
	ds_write2_b32 v137, v154, v155 offset0:41 offset1:42
	ds_write_b32 v137, v123 offset:172
	ds_read_b32 v153, v135
	s_waitcnt lgkmcnt(0)
	v_cmp_neq_f32_e32 vcc, 0, v153
	s_and_b64 exec, exec, vcc
	s_cbranch_execz .LBB87_90
; %bb.89:
	v_div_scale_f32 v154, s[4:5], v153, v153, 1.0
	v_rcp_f32_e32 v155, v154
	v_div_scale_f32 v156, vcc, 1.0, v153, 1.0
	v_fma_f32 v157, -v154, v155, 1.0
	v_fmac_f32_e32 v155, v157, v155
	v_mul_f32_e32 v157, v156, v155
	v_fma_f32 v158, -v154, v157, v156
	v_fmac_f32_e32 v157, v158, v155
	v_fma_f32 v154, -v154, v157, v156
	v_div_fmas_f32 v154, v154, v155, v157
	v_div_fixup_f32 v153, v154, v153, 1.0
	ds_write_b32 v135, v153
.LBB87_90:
	s_or_b64 exec, exec, s[2:3]
	s_waitcnt lgkmcnt(0)
	s_barrier
	ds_read_b32 v153, v135
	v_cmp_lt_u32_e32 vcc, 16, v133
	s_and_saveexec_b64 s[2:3], vcc
	s_cbranch_execz .LBB87_92
; %bb.91:
	ds_read_b32 v166, v137 offset:68
	ds_read2_b64 v[154:157], v137 offset0:9 offset1:10
	s_waitcnt vmcnt(35) lgkmcnt(2)
	v_mul_f32_e32 v116, v153, v116
	ds_read2_b64 v[158:161], v137 offset0:11 offset1:12
	ds_read2_b64 v[162:165], v137 offset0:13 offset1:14
	s_waitcnt vmcnt(34) lgkmcnt(3)
	v_fma_f32 v117, -v116, v166, v117
	s_waitcnt vmcnt(32) lgkmcnt(2)
	v_pk_fma_f32 v[98:99], v[116:117], v[154:155], v[98:99] op_sel_hi:[0,1,1] neg_lo:[1,0,0] neg_hi:[1,0,0]
	s_waitcnt vmcnt(30)
	v_pk_fma_f32 v[114:115], v[116:117], v[156:157], v[114:115] op_sel_hi:[0,1,1] neg_lo:[1,0,0] neg_hi:[1,0,0]
	ds_read2_b64 v[154:157], v137 offset0:15 offset1:16
	s_waitcnt vmcnt(28) lgkmcnt(2)
	v_pk_fma_f32 v[96:97], v[116:117], v[158:159], v[96:97] op_sel_hi:[0,1,1] neg_lo:[1,0,0] neg_hi:[1,0,0]
	s_waitcnt vmcnt(26)
	v_pk_fma_f32 v[112:113], v[116:117], v[160:161], v[112:113] op_sel_hi:[0,1,1] neg_lo:[1,0,0] neg_hi:[1,0,0]
	s_waitcnt vmcnt(24) lgkmcnt(1)
	v_pk_fma_f32 v[94:95], v[116:117], v[162:163], v[94:95] op_sel_hi:[0,1,1] neg_lo:[1,0,0] neg_hi:[1,0,0]
	s_waitcnt vmcnt(22)
	v_pk_fma_f32 v[110:111], v[116:117], v[164:165], v[110:111] op_sel_hi:[0,1,1] neg_lo:[1,0,0] neg_hi:[1,0,0]
	ds_read2_b64 v[158:161], v137 offset0:17 offset1:18
	s_waitcnt vmcnt(20) lgkmcnt(1)
	v_pk_fma_f32 v[92:93], v[116:117], v[154:155], v[92:93] op_sel_hi:[0,1,1] neg_lo:[1,0,0] neg_hi:[1,0,0]
	ds_read2_b64 v[162:165], v137 offset0:19 offset1:20
	ds_read_b64 v[154:155], v137 offset:168
	s_waitcnt vmcnt(18)
	v_pk_fma_f32 v[108:109], v[116:117], v[156:157], v[108:109] op_sel_hi:[0,1,1] neg_lo:[1,0,0] neg_hi:[1,0,0]
	s_waitcnt vmcnt(16) lgkmcnt(2)
	v_pk_fma_f32 v[90:91], v[116:117], v[158:159], v[90:91] op_sel_hi:[0,1,1] neg_lo:[1,0,0] neg_hi:[1,0,0]
	s_waitcnt vmcnt(14)
	v_pk_fma_f32 v[106:107], v[116:117], v[160:161], v[106:107] op_sel_hi:[0,1,1] neg_lo:[1,0,0] neg_hi:[1,0,0]
	s_waitcnt vmcnt(12) lgkmcnt(1)
	v_pk_fma_f32 v[88:89], v[116:117], v[162:163], v[88:89] op_sel_hi:[0,1,1] neg_lo:[1,0,0] neg_hi:[1,0,0]
	;; [unrolled: 4-line block ×3, first 2 shown]
.LBB87_92:
	s_or_b64 exec, exec, s[2:3]
	v_cmp_ne_u32_e32 vcc, 17, v133
	s_waitcnt lgkmcnt(0)
	s_barrier
	s_and_saveexec_b64 s[2:3], vcc
	s_xor_b64 s[2:3], exec, s[2:3]
	s_andn2_saveexec_b64 s[2:3], s[2:3]
	s_cbranch_execz .LBB87_96
; %bb.93:
	s_waitcnt vmcnt(34)
	ds_write_b32 v135, v117
	s_waitcnt vmcnt(30)
	ds_write2_b64 v137, v[98:99], v[114:115] offset0:9 offset1:10
	s_waitcnt vmcnt(26)
	ds_write2_b64 v137, v[96:97], v[112:113] offset0:11 offset1:12
	;; [unrolled: 2-line block ×6, first 2 shown]
	s_waitcnt vmcnt(8)
	ds_write_b64 v137, v[122:123] offset:168
	ds_read_b32 v154, v135
	s_waitcnt lgkmcnt(0)
	v_cmp_neq_f32_e32 vcc, 0, v154
	s_and_saveexec_b64 s[4:5], vcc
	s_cbranch_execz .LBB87_95
; %bb.94:
	v_div_scale_f32 v155, s[10:11], v154, v154, 1.0
	v_rcp_f32_e32 v156, v155
	v_div_scale_f32 v157, vcc, 1.0, v154, 1.0
	v_fma_f32 v158, -v155, v156, 1.0
	v_fmac_f32_e32 v156, v158, v156
	v_mul_f32_e32 v158, v157, v156
	v_fma_f32 v159, -v155, v158, v157
	v_fmac_f32_e32 v158, v159, v156
	v_fma_f32 v155, -v155, v158, v157
	v_div_fmas_f32 v155, v155, v156, v158
	v_div_fixup_f32 v154, v155, v154, 1.0
	ds_write_b32 v135, v154
.LBB87_95:
	s_or_b64 exec, exec, s[4:5]
.LBB87_96:
	s_or_b64 exec, exec, s[2:3]
	s_waitcnt lgkmcnt(0)
	s_barrier
	ds_read_b32 v154, v135
	v_cmp_lt_u32_e32 vcc, 17, v133
	s_and_saveexec_b64 s[2:3], vcc
	s_cbranch_execz .LBB87_98
; %bb.97:
	ds_read2_b64 v[156:159], v137 offset0:9 offset1:10
	ds_read2_b64 v[160:163], v137 offset0:11 offset1:12
	s_waitcnt vmcnt(34) lgkmcnt(2)
	v_mul_f32_e32 v168, v154, v117
	ds_read2_b64 v[164:167], v137 offset0:13 offset1:14
	v_mov_b32_e32 v117, v168
	s_waitcnt vmcnt(32) lgkmcnt(2)
	v_pk_fma_f32 v[98:99], v[168:169], v[156:157], v[98:99] op_sel_hi:[0,1,1] neg_lo:[1,0,0] neg_hi:[1,0,0]
	s_waitcnt vmcnt(30)
	v_pk_fma_f32 v[114:115], v[168:169], v[158:159], v[114:115] op_sel_hi:[0,1,1] neg_lo:[1,0,0] neg_hi:[1,0,0]
	ds_read2_b64 v[156:159], v137 offset0:15 offset1:16
	s_waitcnt vmcnt(28) lgkmcnt(2)
	v_pk_fma_f32 v[96:97], v[168:169], v[160:161], v[96:97] op_sel_hi:[0,1,1] neg_lo:[1,0,0] neg_hi:[1,0,0]
	s_waitcnt vmcnt(26)
	v_pk_fma_f32 v[112:113], v[168:169], v[162:163], v[112:113] op_sel_hi:[0,1,1] neg_lo:[1,0,0] neg_hi:[1,0,0]
	s_waitcnt vmcnt(24) lgkmcnt(1)
	v_pk_fma_f32 v[94:95], v[168:169], v[164:165], v[94:95] op_sel_hi:[0,1,1] neg_lo:[1,0,0] neg_hi:[1,0,0]
	s_waitcnt vmcnt(22)
	v_pk_fma_f32 v[110:111], v[168:169], v[166:167], v[110:111] op_sel_hi:[0,1,1] neg_lo:[1,0,0] neg_hi:[1,0,0]
	ds_read2_b64 v[160:163], v137 offset0:17 offset1:18
	ds_read2_b64 v[164:167], v137 offset0:19 offset1:20
	s_waitcnt vmcnt(20) lgkmcnt(2)
	v_pk_fma_f32 v[92:93], v[168:169], v[156:157], v[92:93] op_sel_hi:[0,1,1] neg_lo:[1,0,0] neg_hi:[1,0,0]
	ds_read_b64 v[156:157], v137 offset:168
	s_waitcnt vmcnt(18)
	v_pk_fma_f32 v[108:109], v[168:169], v[158:159], v[108:109] op_sel_hi:[0,1,1] neg_lo:[1,0,0] neg_hi:[1,0,0]
	s_waitcnt vmcnt(16) lgkmcnt(2)
	v_pk_fma_f32 v[90:91], v[168:169], v[160:161], v[90:91] op_sel_hi:[0,1,1] neg_lo:[1,0,0] neg_hi:[1,0,0]
	s_waitcnt vmcnt(14)
	v_pk_fma_f32 v[106:107], v[168:169], v[162:163], v[106:107] op_sel_hi:[0,1,1] neg_lo:[1,0,0] neg_hi:[1,0,0]
	s_waitcnt vmcnt(12) lgkmcnt(1)
	v_pk_fma_f32 v[88:89], v[168:169], v[164:165], v[88:89] op_sel_hi:[0,1,1] neg_lo:[1,0,0] neg_hi:[1,0,0]
	;; [unrolled: 4-line block ×3, first 2 shown]
.LBB87_98:
	s_or_b64 exec, exec, s[2:3]
	v_cmp_eq_u32_e32 vcc, 18, v133
	s_waitcnt lgkmcnt(0)
	s_barrier
	s_and_saveexec_b64 s[2:3], vcc
	s_cbranch_execz .LBB87_101
; %bb.99:
	s_waitcnt vmcnt(30)
	v_pk_mov_b32 v[156:157], v[98:99], v[114:115] op_sel:[1,0]
	ds_write_b32 v135, v98
	ds_write2_b32 v137, v156, v157 offset0:19 offset1:20
	s_waitcnt vmcnt(28)
	v_pk_mov_b32 v[156:157], v[114:115], v[96:97] op_sel:[1,0]
	ds_write2_b32 v137, v156, v157 offset0:21 offset1:22
	s_waitcnt vmcnt(26)
	v_pk_mov_b32 v[156:157], v[96:97], v[112:113] op_sel:[1,0]
	ds_write2_b32 v137, v156, v157 offset0:23 offset1:24
	s_waitcnt vmcnt(24)
	v_pk_mov_b32 v[156:157], v[112:113], v[94:95] op_sel:[1,0]
	ds_write2_b32 v137, v156, v157 offset0:25 offset1:26
	s_waitcnt vmcnt(22)
	v_pk_mov_b32 v[156:157], v[94:95], v[110:111] op_sel:[1,0]
	ds_write2_b32 v137, v156, v157 offset0:27 offset1:28
	s_waitcnt vmcnt(20)
	v_pk_mov_b32 v[156:157], v[110:111], v[92:93] op_sel:[1,0]
	ds_write2_b32 v137, v156, v157 offset0:29 offset1:30
	s_waitcnt vmcnt(18)
	v_pk_mov_b32 v[156:157], v[92:93], v[108:109] op_sel:[1,0]
	ds_write2_b32 v137, v156, v157 offset0:31 offset1:32
	s_waitcnt vmcnt(16)
	v_pk_mov_b32 v[156:157], v[108:109], v[90:91] op_sel:[1,0]
	ds_write2_b32 v137, v156, v157 offset0:33 offset1:34
	s_waitcnt vmcnt(14)
	v_pk_mov_b32 v[156:157], v[90:91], v[106:107] op_sel:[1,0]
	ds_write2_b32 v137, v156, v157 offset0:35 offset1:36
	s_waitcnt vmcnt(12)
	v_pk_mov_b32 v[156:157], v[106:107], v[88:89] op_sel:[1,0]
	ds_write2_b32 v137, v156, v157 offset0:37 offset1:38
	s_waitcnt vmcnt(10)
	v_pk_mov_b32 v[156:157], v[88:89], v[104:105] op_sel:[1,0]
	ds_write2_b32 v137, v156, v157 offset0:39 offset1:40
	s_waitcnt vmcnt(8)
	v_pk_mov_b32 v[156:157], v[104:105], v[122:123] op_sel:[1,0]
	ds_write2_b32 v137, v156, v157 offset0:41 offset1:42
	ds_write_b32 v137, v123 offset:172
	ds_read_b32 v155, v135
	s_waitcnt lgkmcnt(0)
	v_cmp_neq_f32_e32 vcc, 0, v155
	s_and_b64 exec, exec, vcc
	s_cbranch_execz .LBB87_101
; %bb.100:
	v_div_scale_f32 v156, s[4:5], v155, v155, 1.0
	v_rcp_f32_e32 v157, v156
	v_div_scale_f32 v158, vcc, 1.0, v155, 1.0
	v_fma_f32 v159, -v156, v157, 1.0
	v_fmac_f32_e32 v157, v159, v157
	v_mul_f32_e32 v159, v158, v157
	v_fma_f32 v160, -v156, v159, v158
	v_fmac_f32_e32 v159, v160, v157
	v_fma_f32 v156, -v156, v159, v158
	v_div_fmas_f32 v156, v156, v157, v159
	v_div_fixup_f32 v155, v156, v155, 1.0
	ds_write_b32 v135, v155
.LBB87_101:
	s_or_b64 exec, exec, s[2:3]
	s_waitcnt lgkmcnt(0)
	s_barrier
	ds_read_b32 v155, v135
	v_cmp_lt_u32_e32 vcc, 18, v133
	s_and_saveexec_b64 s[2:3], vcc
	s_cbranch_execz .LBB87_103
; %bb.102:
	ds_read_b32 v156, v137 offset:76
	s_waitcnt vmcnt(33) lgkmcnt(1)
	v_mul_f32_e32 v98, v155, v98
	s_waitcnt vmcnt(32) lgkmcnt(0)
	v_fma_f32 v99, -v98, v156, v99
	ds_read2_b64 v[156:159], v137 offset0:10 offset1:11
	s_waitcnt vmcnt(30) lgkmcnt(0)
	v_pk_fma_f32 v[114:115], v[98:99], v[156:157], v[114:115] op_sel_hi:[0,1,1] neg_lo:[1,0,0] neg_hi:[1,0,0]
	s_waitcnt vmcnt(28)
	v_pk_fma_f32 v[96:97], v[98:99], v[158:159], v[96:97] op_sel_hi:[0,1,1] neg_lo:[1,0,0] neg_hi:[1,0,0]
	ds_read2_b64 v[156:159], v137 offset0:12 offset1:13
	s_waitcnt vmcnt(26) lgkmcnt(0)
	v_pk_fma_f32 v[112:113], v[98:99], v[156:157], v[112:113] op_sel_hi:[0,1,1] neg_lo:[1,0,0] neg_hi:[1,0,0]
	s_waitcnt vmcnt(24)
	v_pk_fma_f32 v[94:95], v[98:99], v[158:159], v[94:95] op_sel_hi:[0,1,1] neg_lo:[1,0,0] neg_hi:[1,0,0]
	;; [unrolled: 5-line block ×6, first 2 shown]
.LBB87_103:
	s_or_b64 exec, exec, s[2:3]
	v_cmp_ne_u32_e32 vcc, 19, v133
	s_waitcnt lgkmcnt(0)
	s_barrier
	s_and_saveexec_b64 s[2:3], vcc
	s_xor_b64 s[2:3], exec, s[2:3]
	s_andn2_saveexec_b64 s[2:3], s[2:3]
	s_cbranch_execz .LBB87_107
; %bb.104:
	s_waitcnt vmcnt(31)
	v_mov_b32_e32 v156, v114
	s_waitcnt vmcnt(30)
	v_mov_b32_e32 v157, v115
	;; [unrolled: 2-line block ×4, first 2 shown]
	ds_write_b32 v135, v99
	ds_write2_b64 v137, v[156:157], v[158:159] offset0:10 offset1:11
	s_waitcnt vmcnt(27)
	v_mov_b32_e32 v156, v112
	s_waitcnt vmcnt(26)
	v_mov_b32_e32 v157, v113
	s_waitcnt vmcnt(25)
	v_mov_b32_e32 v158, v94
	s_waitcnt vmcnt(24)
	v_mov_b32_e32 v159, v95
	ds_write2_b64 v137, v[156:157], v[158:159] offset0:12 offset1:13
	s_waitcnt vmcnt(23)
	v_mov_b32_e32 v156, v110
	s_waitcnt vmcnt(22)
	v_mov_b32_e32 v157, v111
	s_waitcnt vmcnt(21)
	v_mov_b32_e32 v158, v92
	s_waitcnt vmcnt(20)
	v_mov_b32_e32 v159, v93
	;; [unrolled: 9-line block ×4, first 2 shown]
	ds_write2_b64 v137, v[156:157], v[158:159] offset0:18 offset1:19
	s_waitcnt vmcnt(11)
	v_mov_b32_e32 v156, v104
	s_waitcnt vmcnt(10)
	v_mov_b32_e32 v157, v105
	s_waitcnt vmcnt(8)
	ds_write2_b64 v137, v[156:157], v[122:123] offset0:20 offset1:21
	ds_read_b32 v156, v135
	s_waitcnt lgkmcnt(0)
	v_cmp_neq_f32_e32 vcc, 0, v156
	s_and_saveexec_b64 s[4:5], vcc
	s_cbranch_execz .LBB87_106
; %bb.105:
	v_div_scale_f32 v157, s[10:11], v156, v156, 1.0
	v_rcp_f32_e32 v158, v157
	v_div_scale_f32 v159, vcc, 1.0, v156, 1.0
	v_fma_f32 v160, -v157, v158, 1.0
	v_fmac_f32_e32 v158, v160, v158
	v_mul_f32_e32 v160, v159, v158
	v_fma_f32 v161, -v157, v160, v159
	v_fmac_f32_e32 v160, v161, v158
	v_fma_f32 v157, -v157, v160, v159
	v_div_fmas_f32 v157, v157, v158, v160
	v_div_fixup_f32 v156, v157, v156, 1.0
	ds_write_b32 v135, v156
.LBB87_106:
	s_or_b64 exec, exec, s[4:5]
.LBB87_107:
	s_or_b64 exec, exec, s[2:3]
	s_waitcnt lgkmcnt(0)
	s_barrier
	ds_read_b32 v156, v135
	v_cmp_lt_u32_e32 vcc, 19, v133
	s_and_saveexec_b64 s[2:3], vcc
	s_cbranch_execz .LBB87_109
; %bb.108:
	ds_read2_b64 v[158:161], v137 offset0:10 offset1:11
	s_waitcnt vmcnt(32) lgkmcnt(1)
	v_mul_f32_e32 v162, v156, v99
	v_mov_b32_e32 v99, v162
	s_waitcnt vmcnt(30) lgkmcnt(0)
	v_pk_fma_f32 v[114:115], v[162:163], v[158:159], v[114:115] op_sel_hi:[0,1,1] neg_lo:[1,0,0] neg_hi:[1,0,0]
	s_waitcnt vmcnt(28)
	v_pk_fma_f32 v[96:97], v[162:163], v[160:161], v[96:97] op_sel_hi:[0,1,1] neg_lo:[1,0,0] neg_hi:[1,0,0]
	ds_read2_b64 v[158:161], v137 offset0:12 offset1:13
	s_waitcnt vmcnt(26) lgkmcnt(0)
	v_pk_fma_f32 v[112:113], v[162:163], v[158:159], v[112:113] op_sel_hi:[0,1,1] neg_lo:[1,0,0] neg_hi:[1,0,0]
	s_waitcnt vmcnt(24)
	v_pk_fma_f32 v[94:95], v[162:163], v[160:161], v[94:95] op_sel_hi:[0,1,1] neg_lo:[1,0,0] neg_hi:[1,0,0]
	ds_read2_b64 v[158:161], v137 offset0:14 offset1:15
	;; [unrolled: 5-line block ×5, first 2 shown]
	s_waitcnt vmcnt(10) lgkmcnt(0)
	v_pk_fma_f32 v[104:105], v[162:163], v[158:159], v[104:105] op_sel_hi:[0,1,1] neg_lo:[1,0,0] neg_hi:[1,0,0]
	s_waitcnt vmcnt(8)
	v_pk_fma_f32 v[122:123], v[162:163], v[160:161], v[122:123] op_sel_hi:[0,1,1] neg_lo:[1,0,0] neg_hi:[1,0,0]
.LBB87_109:
	s_or_b64 exec, exec, s[2:3]
	v_cmp_eq_u32_e32 vcc, 20, v133
	s_waitcnt lgkmcnt(0)
	s_barrier
	s_and_saveexec_b64 s[2:3], vcc
	s_cbranch_execz .LBB87_112
; %bb.110:
	s_waitcnt vmcnt(28)
	v_pk_mov_b32 v[158:159], v[114:115], v[96:97] op_sel:[1,0]
	ds_write_b32 v135, v114
	ds_write2_b32 v137, v158, v159 offset0:21 offset1:22
	s_waitcnt vmcnt(26)
	v_pk_mov_b32 v[158:159], v[96:97], v[112:113] op_sel:[1,0]
	ds_write2_b32 v137, v158, v159 offset0:23 offset1:24
	s_waitcnt vmcnt(24)
	v_pk_mov_b32 v[158:159], v[112:113], v[94:95] op_sel:[1,0]
	;; [unrolled: 3-line block ×10, first 2 shown]
	ds_write2_b32 v137, v158, v159 offset0:41 offset1:42
	ds_write_b32 v137, v123 offset:172
	ds_read_b32 v157, v135
	s_waitcnt lgkmcnt(0)
	v_cmp_neq_f32_e32 vcc, 0, v157
	s_and_b64 exec, exec, vcc
	s_cbranch_execz .LBB87_112
; %bb.111:
	v_div_scale_f32 v158, s[4:5], v157, v157, 1.0
	v_rcp_f32_e32 v159, v158
	v_div_scale_f32 v160, vcc, 1.0, v157, 1.0
	v_fma_f32 v161, -v158, v159, 1.0
	v_fmac_f32_e32 v159, v161, v159
	v_mul_f32_e32 v161, v160, v159
	v_fma_f32 v162, -v158, v161, v160
	v_fmac_f32_e32 v161, v162, v159
	v_fma_f32 v158, -v158, v161, v160
	v_div_fmas_f32 v158, v158, v159, v161
	v_div_fixup_f32 v157, v158, v157, 1.0
	ds_write_b32 v135, v157
.LBB87_112:
	s_or_b64 exec, exec, s[2:3]
	s_waitcnt lgkmcnt(0)
	s_barrier
	ds_read_b32 v157, v135
	v_cmp_lt_u32_e32 vcc, 20, v133
	s_and_saveexec_b64 s[2:3], vcc
	s_cbranch_execz .LBB87_114
; %bb.113:
	ds_read_b32 v158, v137 offset:84
	s_waitcnt vmcnt(31) lgkmcnt(1)
	v_mul_f32_e32 v114, v157, v114
	s_waitcnt vmcnt(30) lgkmcnt(0)
	v_fma_f32 v115, -v114, v158, v115
	ds_read2_b64 v[158:161], v137 offset0:11 offset1:12
	s_waitcnt vmcnt(28) lgkmcnt(0)
	v_pk_fma_f32 v[96:97], v[114:115], v[158:159], v[96:97] op_sel_hi:[0,1,1] neg_lo:[1,0,0] neg_hi:[1,0,0]
	s_waitcnt vmcnt(26)
	v_pk_fma_f32 v[112:113], v[114:115], v[160:161], v[112:113] op_sel_hi:[0,1,1] neg_lo:[1,0,0] neg_hi:[1,0,0]
	ds_read2_b64 v[158:161], v137 offset0:13 offset1:14
	s_waitcnt vmcnt(24) lgkmcnt(0)
	v_pk_fma_f32 v[94:95], v[114:115], v[158:159], v[94:95] op_sel_hi:[0,1,1] neg_lo:[1,0,0] neg_hi:[1,0,0]
	s_waitcnt vmcnt(22)
	v_pk_fma_f32 v[110:111], v[114:115], v[160:161], v[110:111] op_sel_hi:[0,1,1] neg_lo:[1,0,0] neg_hi:[1,0,0]
	ds_read2_b64 v[158:161], v137 offset0:15 offset1:16
	s_waitcnt vmcnt(20) lgkmcnt(0)
	v_pk_fma_f32 v[92:93], v[114:115], v[158:159], v[92:93] op_sel_hi:[0,1,1] neg_lo:[1,0,0] neg_hi:[1,0,0]
	s_waitcnt vmcnt(18)
	v_pk_fma_f32 v[108:109], v[114:115], v[160:161], v[108:109] op_sel_hi:[0,1,1] neg_lo:[1,0,0] neg_hi:[1,0,0]
	ds_read2_b64 v[158:161], v137 offset0:17 offset1:18
	s_waitcnt vmcnt(16) lgkmcnt(0)
	v_pk_fma_f32 v[90:91], v[114:115], v[158:159], v[90:91] op_sel_hi:[0,1,1] neg_lo:[1,0,0] neg_hi:[1,0,0]
	s_waitcnt vmcnt(14)
	v_pk_fma_f32 v[106:107], v[114:115], v[160:161], v[106:107] op_sel_hi:[0,1,1] neg_lo:[1,0,0] neg_hi:[1,0,0]
	ds_read2_b64 v[158:161], v137 offset0:19 offset1:20
	s_waitcnt vmcnt(12) lgkmcnt(0)
	v_pk_fma_f32 v[88:89], v[114:115], v[158:159], v[88:89] op_sel_hi:[0,1,1] neg_lo:[1,0,0] neg_hi:[1,0,0]
	ds_read_b64 v[158:159], v137 offset:168
	s_waitcnt vmcnt(10)
	v_pk_fma_f32 v[104:105], v[114:115], v[160:161], v[104:105] op_sel_hi:[0,1,1] neg_lo:[1,0,0] neg_hi:[1,0,0]
	s_waitcnt vmcnt(8) lgkmcnt(0)
	v_pk_fma_f32 v[122:123], v[114:115], v[158:159], v[122:123] op_sel_hi:[0,1,1] neg_lo:[1,0,0] neg_hi:[1,0,0]
.LBB87_114:
	s_or_b64 exec, exec, s[2:3]
	v_cmp_ne_u32_e32 vcc, 21, v133
	s_waitcnt lgkmcnt(0)
	s_barrier
	s_and_saveexec_b64 s[2:3], vcc
	s_xor_b64 s[2:3], exec, s[2:3]
	s_andn2_saveexec_b64 s[2:3], s[2:3]
	s_cbranch_execz .LBB87_118
; %bb.115:
	s_waitcnt vmcnt(30)
	ds_write_b32 v135, v115
	s_waitcnt vmcnt(26)
	ds_write2_b64 v137, v[96:97], v[112:113] offset0:11 offset1:12
	s_waitcnt vmcnt(22)
	ds_write2_b64 v137, v[94:95], v[110:111] offset0:13 offset1:14
	;; [unrolled: 2-line block ×5, first 2 shown]
	s_waitcnt vmcnt(8)
	ds_write_b64 v137, v[122:123] offset:168
	ds_read_b32 v158, v135
	s_waitcnt lgkmcnt(0)
	v_cmp_neq_f32_e32 vcc, 0, v158
	s_and_saveexec_b64 s[4:5], vcc
	s_cbranch_execz .LBB87_117
; %bb.116:
	v_div_scale_f32 v159, s[10:11], v158, v158, 1.0
	v_rcp_f32_e32 v160, v159
	v_div_scale_f32 v161, vcc, 1.0, v158, 1.0
	v_fma_f32 v162, -v159, v160, 1.0
	v_fmac_f32_e32 v160, v162, v160
	v_mul_f32_e32 v162, v161, v160
	v_fma_f32 v163, -v159, v162, v161
	v_fmac_f32_e32 v162, v163, v160
	v_fma_f32 v159, -v159, v162, v161
	v_div_fmas_f32 v159, v159, v160, v162
	v_div_fixup_f32 v158, v159, v158, 1.0
	ds_write_b32 v135, v158
.LBB87_117:
	s_or_b64 exec, exec, s[4:5]
.LBB87_118:
	s_or_b64 exec, exec, s[2:3]
	s_waitcnt lgkmcnt(0)
	s_barrier
	ds_read_b32 v158, v135
	v_cmp_lt_u32_e32 vcc, 21, v133
	s_and_saveexec_b64 s[2:3], vcc
	s_cbranch_execz .LBB87_120
; %bb.119:
	ds_read2_b64 v[160:163], v137 offset0:11 offset1:12
	s_waitcnt vmcnt(30) lgkmcnt(1)
	v_mul_f32_e32 v164, v158, v115
	v_mov_b32_e32 v115, v164
	s_waitcnt vmcnt(28) lgkmcnt(0)
	v_pk_fma_f32 v[96:97], v[164:165], v[160:161], v[96:97] op_sel_hi:[0,1,1] neg_lo:[1,0,0] neg_hi:[1,0,0]
	s_waitcnt vmcnt(26)
	v_pk_fma_f32 v[112:113], v[164:165], v[162:163], v[112:113] op_sel_hi:[0,1,1] neg_lo:[1,0,0] neg_hi:[1,0,0]
	ds_read2_b64 v[160:163], v137 offset0:13 offset1:14
	s_waitcnt vmcnt(24) lgkmcnt(0)
	v_pk_fma_f32 v[94:95], v[164:165], v[160:161], v[94:95] op_sel_hi:[0,1,1] neg_lo:[1,0,0] neg_hi:[1,0,0]
	s_waitcnt vmcnt(22)
	v_pk_fma_f32 v[110:111], v[164:165], v[162:163], v[110:111] op_sel_hi:[0,1,1] neg_lo:[1,0,0] neg_hi:[1,0,0]
	ds_read2_b64 v[160:163], v137 offset0:15 offset1:16
	;; [unrolled: 5-line block ×4, first 2 shown]
	s_waitcnt vmcnt(12) lgkmcnt(0)
	v_pk_fma_f32 v[88:89], v[164:165], v[160:161], v[88:89] op_sel_hi:[0,1,1] neg_lo:[1,0,0] neg_hi:[1,0,0]
	ds_read_b64 v[160:161], v137 offset:168
	s_waitcnt vmcnt(10)
	v_pk_fma_f32 v[104:105], v[164:165], v[162:163], v[104:105] op_sel_hi:[0,1,1] neg_lo:[1,0,0] neg_hi:[1,0,0]
	s_waitcnt vmcnt(8) lgkmcnt(0)
	v_pk_fma_f32 v[122:123], v[164:165], v[160:161], v[122:123] op_sel_hi:[0,1,1] neg_lo:[1,0,0] neg_hi:[1,0,0]
.LBB87_120:
	s_or_b64 exec, exec, s[2:3]
	v_cmp_eq_u32_e32 vcc, 22, v133
	s_waitcnt lgkmcnt(0)
	s_barrier
	s_and_saveexec_b64 s[2:3], vcc
	s_cbranch_execz .LBB87_123
; %bb.121:
	s_waitcnt vmcnt(26)
	v_pk_mov_b32 v[160:161], v[96:97], v[112:113] op_sel:[1,0]
	ds_write_b32 v135, v96
	ds_write2_b32 v137, v160, v161 offset0:23 offset1:24
	s_waitcnt vmcnt(24)
	v_pk_mov_b32 v[160:161], v[112:113], v[94:95] op_sel:[1,0]
	ds_write2_b32 v137, v160, v161 offset0:25 offset1:26
	s_waitcnt vmcnt(22)
	v_pk_mov_b32 v[160:161], v[94:95], v[110:111] op_sel:[1,0]
	;; [unrolled: 3-line block ×9, first 2 shown]
	ds_write2_b32 v137, v160, v161 offset0:41 offset1:42
	ds_write_b32 v137, v123 offset:172
	ds_read_b32 v159, v135
	s_waitcnt lgkmcnt(0)
	v_cmp_neq_f32_e32 vcc, 0, v159
	s_and_b64 exec, exec, vcc
	s_cbranch_execz .LBB87_123
; %bb.122:
	v_div_scale_f32 v160, s[4:5], v159, v159, 1.0
	v_rcp_f32_e32 v161, v160
	v_div_scale_f32 v162, vcc, 1.0, v159, 1.0
	v_fma_f32 v163, -v160, v161, 1.0
	v_fmac_f32_e32 v161, v163, v161
	v_mul_f32_e32 v163, v162, v161
	v_fma_f32 v164, -v160, v163, v162
	v_fmac_f32_e32 v163, v164, v161
	v_fma_f32 v160, -v160, v163, v162
	v_div_fmas_f32 v160, v160, v161, v163
	v_div_fixup_f32 v159, v160, v159, 1.0
	ds_write_b32 v135, v159
.LBB87_123:
	s_or_b64 exec, exec, s[2:3]
	s_waitcnt lgkmcnt(0)
	s_barrier
	ds_read_b32 v159, v135
	v_cmp_lt_u32_e32 vcc, 22, v133
	s_and_saveexec_b64 s[2:3], vcc
	s_cbranch_execz .LBB87_125
; %bb.124:
	ds_read_b32 v160, v137 offset:92
	s_waitcnt vmcnt(29) lgkmcnt(1)
	v_mul_f32_e32 v96, v159, v96
	s_waitcnt vmcnt(28) lgkmcnt(0)
	v_fma_f32 v97, -v96, v160, v97
	ds_read2_b64 v[160:163], v137 offset0:12 offset1:13
	s_waitcnt vmcnt(26) lgkmcnt(0)
	v_pk_fma_f32 v[112:113], v[96:97], v[160:161], v[112:113] op_sel_hi:[0,1,1] neg_lo:[1,0,0] neg_hi:[1,0,0]
	s_waitcnt vmcnt(24)
	v_pk_fma_f32 v[94:95], v[96:97], v[162:163], v[94:95] op_sel_hi:[0,1,1] neg_lo:[1,0,0] neg_hi:[1,0,0]
	ds_read2_b64 v[160:163], v137 offset0:14 offset1:15
	s_waitcnt vmcnt(22) lgkmcnt(0)
	v_pk_fma_f32 v[110:111], v[96:97], v[160:161], v[110:111] op_sel_hi:[0,1,1] neg_lo:[1,0,0] neg_hi:[1,0,0]
	s_waitcnt vmcnt(20)
	v_pk_fma_f32 v[92:93], v[96:97], v[162:163], v[92:93] op_sel_hi:[0,1,1] neg_lo:[1,0,0] neg_hi:[1,0,0]
	;; [unrolled: 5-line block ×5, first 2 shown]
.LBB87_125:
	s_or_b64 exec, exec, s[2:3]
	v_cmp_ne_u32_e32 vcc, 23, v133
	s_waitcnt lgkmcnt(0)
	s_barrier
	s_and_saveexec_b64 s[2:3], vcc
	s_xor_b64 s[2:3], exec, s[2:3]
	s_andn2_saveexec_b64 s[2:3], s[2:3]
	s_cbranch_execz .LBB87_129
; %bb.126:
	s_waitcnt vmcnt(27)
	v_mov_b32_e32 v160, v112
	s_waitcnt vmcnt(26)
	v_mov_b32_e32 v161, v113
	;; [unrolled: 2-line block ×4, first 2 shown]
	ds_write_b32 v135, v97
	ds_write2_b64 v137, v[160:161], v[162:163] offset0:12 offset1:13
	s_waitcnt vmcnt(23)
	v_mov_b32_e32 v160, v110
	s_waitcnt vmcnt(22)
	v_mov_b32_e32 v161, v111
	s_waitcnt vmcnt(21)
	v_mov_b32_e32 v162, v92
	s_waitcnt vmcnt(20)
	v_mov_b32_e32 v163, v93
	ds_write2_b64 v137, v[160:161], v[162:163] offset0:14 offset1:15
	s_waitcnt vmcnt(19)
	v_mov_b32_e32 v160, v108
	s_waitcnt vmcnt(18)
	v_mov_b32_e32 v161, v109
	s_waitcnt vmcnt(17)
	v_mov_b32_e32 v162, v90
	s_waitcnt vmcnt(16)
	v_mov_b32_e32 v163, v91
	;; [unrolled: 9-line block ×3, first 2 shown]
	ds_write2_b64 v137, v[160:161], v[162:163] offset0:18 offset1:19
	s_waitcnt vmcnt(11)
	v_mov_b32_e32 v160, v104
	s_waitcnt vmcnt(10)
	v_mov_b32_e32 v161, v105
	s_waitcnt vmcnt(8)
	ds_write2_b64 v137, v[160:161], v[122:123] offset0:20 offset1:21
	ds_read_b32 v160, v135
	s_waitcnt lgkmcnt(0)
	v_cmp_neq_f32_e32 vcc, 0, v160
	s_and_saveexec_b64 s[4:5], vcc
	s_cbranch_execz .LBB87_128
; %bb.127:
	v_div_scale_f32 v161, s[10:11], v160, v160, 1.0
	v_rcp_f32_e32 v162, v161
	v_div_scale_f32 v163, vcc, 1.0, v160, 1.0
	v_fma_f32 v164, -v161, v162, 1.0
	v_fmac_f32_e32 v162, v164, v162
	v_mul_f32_e32 v164, v163, v162
	v_fma_f32 v165, -v161, v164, v163
	v_fmac_f32_e32 v164, v165, v162
	v_fma_f32 v161, -v161, v164, v163
	v_div_fmas_f32 v161, v161, v162, v164
	v_div_fixup_f32 v160, v161, v160, 1.0
	ds_write_b32 v135, v160
.LBB87_128:
	s_or_b64 exec, exec, s[4:5]
.LBB87_129:
	s_or_b64 exec, exec, s[2:3]
	s_waitcnt lgkmcnt(0)
	s_barrier
	ds_read_b32 v160, v135
	v_cmp_lt_u32_e32 vcc, 23, v133
	s_and_saveexec_b64 s[2:3], vcc
	s_cbranch_execz .LBB87_131
; %bb.130:
	ds_read2_b64 v[162:165], v137 offset0:12 offset1:13
	s_waitcnt vmcnt(28) lgkmcnt(1)
	v_mul_f32_e32 v166, v160, v97
	v_mov_b32_e32 v97, v166
	s_waitcnt vmcnt(26) lgkmcnt(0)
	v_pk_fma_f32 v[112:113], v[166:167], v[162:163], v[112:113] op_sel_hi:[0,1,1] neg_lo:[1,0,0] neg_hi:[1,0,0]
	s_waitcnt vmcnt(24)
	v_pk_fma_f32 v[94:95], v[166:167], v[164:165], v[94:95] op_sel_hi:[0,1,1] neg_lo:[1,0,0] neg_hi:[1,0,0]
	ds_read2_b64 v[162:165], v137 offset0:14 offset1:15
	s_waitcnt vmcnt(22) lgkmcnt(0)
	v_pk_fma_f32 v[110:111], v[166:167], v[162:163], v[110:111] op_sel_hi:[0,1,1] neg_lo:[1,0,0] neg_hi:[1,0,0]
	s_waitcnt vmcnt(20)
	v_pk_fma_f32 v[92:93], v[166:167], v[164:165], v[92:93] op_sel_hi:[0,1,1] neg_lo:[1,0,0] neg_hi:[1,0,0]
	ds_read2_b64 v[162:165], v137 offset0:16 offset1:17
	;; [unrolled: 5-line block ×4, first 2 shown]
	s_waitcnt vmcnt(10) lgkmcnt(0)
	v_pk_fma_f32 v[104:105], v[166:167], v[162:163], v[104:105] op_sel_hi:[0,1,1] neg_lo:[1,0,0] neg_hi:[1,0,0]
	s_waitcnt vmcnt(8)
	v_pk_fma_f32 v[122:123], v[166:167], v[164:165], v[122:123] op_sel_hi:[0,1,1] neg_lo:[1,0,0] neg_hi:[1,0,0]
.LBB87_131:
	s_or_b64 exec, exec, s[2:3]
	v_cmp_eq_u32_e32 vcc, 24, v133
	s_waitcnt lgkmcnt(0)
	s_barrier
	s_and_saveexec_b64 s[2:3], vcc
	s_cbranch_execz .LBB87_134
; %bb.132:
	s_waitcnt vmcnt(24)
	v_pk_mov_b32 v[162:163], v[112:113], v[94:95] op_sel:[1,0]
	ds_write_b32 v135, v112
	ds_write2_b32 v137, v162, v163 offset0:25 offset1:26
	s_waitcnt vmcnt(22)
	v_pk_mov_b32 v[162:163], v[94:95], v[110:111] op_sel:[1,0]
	ds_write2_b32 v137, v162, v163 offset0:27 offset1:28
	s_waitcnt vmcnt(20)
	v_pk_mov_b32 v[162:163], v[110:111], v[92:93] op_sel:[1,0]
	;; [unrolled: 3-line block ×8, first 2 shown]
	ds_write2_b32 v137, v162, v163 offset0:41 offset1:42
	ds_write_b32 v137, v123 offset:172
	ds_read_b32 v161, v135
	s_waitcnt lgkmcnt(0)
	v_cmp_neq_f32_e32 vcc, 0, v161
	s_and_b64 exec, exec, vcc
	s_cbranch_execz .LBB87_134
; %bb.133:
	v_div_scale_f32 v162, s[4:5], v161, v161, 1.0
	v_rcp_f32_e32 v163, v162
	v_div_scale_f32 v164, vcc, 1.0, v161, 1.0
	v_fma_f32 v165, -v162, v163, 1.0
	v_fmac_f32_e32 v163, v165, v163
	v_mul_f32_e32 v165, v164, v163
	v_fma_f32 v166, -v162, v165, v164
	v_fmac_f32_e32 v165, v166, v163
	v_fma_f32 v162, -v162, v165, v164
	v_div_fmas_f32 v162, v162, v163, v165
	v_div_fixup_f32 v161, v162, v161, 1.0
	ds_write_b32 v135, v161
.LBB87_134:
	s_or_b64 exec, exec, s[2:3]
	s_waitcnt lgkmcnt(0)
	s_barrier
	ds_read_b32 v161, v135
	v_cmp_lt_u32_e32 vcc, 24, v133
	s_and_saveexec_b64 s[2:3], vcc
	s_cbranch_execz .LBB87_136
; %bb.135:
	ds_read_b32 v162, v137 offset:100
	s_waitcnt vmcnt(27) lgkmcnt(1)
	v_mul_f32_e32 v112, v161, v112
	s_waitcnt vmcnt(26) lgkmcnt(0)
	v_fma_f32 v113, -v112, v162, v113
	ds_read2_b64 v[162:165], v137 offset0:13 offset1:14
	s_waitcnt vmcnt(24) lgkmcnt(0)
	v_pk_fma_f32 v[94:95], v[112:113], v[162:163], v[94:95] op_sel_hi:[0,1,1] neg_lo:[1,0,0] neg_hi:[1,0,0]
	s_waitcnt vmcnt(22)
	v_pk_fma_f32 v[110:111], v[112:113], v[164:165], v[110:111] op_sel_hi:[0,1,1] neg_lo:[1,0,0] neg_hi:[1,0,0]
	ds_read2_b64 v[162:165], v137 offset0:15 offset1:16
	s_waitcnt vmcnt(20) lgkmcnt(0)
	v_pk_fma_f32 v[92:93], v[112:113], v[162:163], v[92:93] op_sel_hi:[0,1,1] neg_lo:[1,0,0] neg_hi:[1,0,0]
	s_waitcnt vmcnt(18)
	v_pk_fma_f32 v[108:109], v[112:113], v[164:165], v[108:109] op_sel_hi:[0,1,1] neg_lo:[1,0,0] neg_hi:[1,0,0]
	;; [unrolled: 5-line block ×3, first 2 shown]
	ds_read2_b64 v[162:165], v137 offset0:19 offset1:20
	s_waitcnt vmcnt(12) lgkmcnt(0)
	v_pk_fma_f32 v[88:89], v[112:113], v[162:163], v[88:89] op_sel_hi:[0,1,1] neg_lo:[1,0,0] neg_hi:[1,0,0]
	ds_read_b64 v[162:163], v137 offset:168
	s_waitcnt vmcnt(10)
	v_pk_fma_f32 v[104:105], v[112:113], v[164:165], v[104:105] op_sel_hi:[0,1,1] neg_lo:[1,0,0] neg_hi:[1,0,0]
	s_waitcnt vmcnt(8) lgkmcnt(0)
	v_pk_fma_f32 v[122:123], v[112:113], v[162:163], v[122:123] op_sel_hi:[0,1,1] neg_lo:[1,0,0] neg_hi:[1,0,0]
.LBB87_136:
	s_or_b64 exec, exec, s[2:3]
	v_cmp_ne_u32_e32 vcc, 25, v133
	s_waitcnt lgkmcnt(0)
	s_barrier
	s_and_saveexec_b64 s[2:3], vcc
	s_xor_b64 s[2:3], exec, s[2:3]
	s_andn2_saveexec_b64 s[2:3], s[2:3]
	s_cbranch_execz .LBB87_140
; %bb.137:
	s_waitcnt vmcnt(26)
	ds_write_b32 v135, v113
	s_waitcnt vmcnt(22)
	ds_write2_b64 v137, v[94:95], v[110:111] offset0:13 offset1:14
	s_waitcnt vmcnt(18)
	ds_write2_b64 v137, v[92:93], v[108:109] offset0:15 offset1:16
	;; [unrolled: 2-line block ×4, first 2 shown]
	s_waitcnt vmcnt(8)
	ds_write_b64 v137, v[122:123] offset:168
	ds_read_b32 v162, v135
	s_waitcnt lgkmcnt(0)
	v_cmp_neq_f32_e32 vcc, 0, v162
	s_and_saveexec_b64 s[4:5], vcc
	s_cbranch_execz .LBB87_139
; %bb.138:
	v_div_scale_f32 v163, s[10:11], v162, v162, 1.0
	v_rcp_f32_e32 v164, v163
	v_div_scale_f32 v165, vcc, 1.0, v162, 1.0
	v_fma_f32 v166, -v163, v164, 1.0
	v_fmac_f32_e32 v164, v166, v164
	v_mul_f32_e32 v166, v165, v164
	v_fma_f32 v167, -v163, v166, v165
	v_fmac_f32_e32 v166, v167, v164
	v_fma_f32 v163, -v163, v166, v165
	v_div_fmas_f32 v163, v163, v164, v166
	v_div_fixup_f32 v162, v163, v162, 1.0
	ds_write_b32 v135, v162
.LBB87_139:
	s_or_b64 exec, exec, s[4:5]
.LBB87_140:
	s_or_b64 exec, exec, s[2:3]
	s_waitcnt lgkmcnt(0)
	s_barrier
	ds_read_b32 v162, v135
	v_cmp_lt_u32_e32 vcc, 25, v133
	s_and_saveexec_b64 s[2:3], vcc
	s_cbranch_execz .LBB87_142
; %bb.141:
	ds_read2_b64 v[164:167], v137 offset0:13 offset1:14
	s_waitcnt vmcnt(26) lgkmcnt(1)
	v_mul_f32_e32 v168, v162, v113
	v_mov_b32_e32 v113, v168
	s_waitcnt vmcnt(24) lgkmcnt(0)
	v_pk_fma_f32 v[94:95], v[168:169], v[164:165], v[94:95] op_sel_hi:[0,1,1] neg_lo:[1,0,0] neg_hi:[1,0,0]
	s_waitcnt vmcnt(22)
	v_pk_fma_f32 v[110:111], v[168:169], v[166:167], v[110:111] op_sel_hi:[0,1,1] neg_lo:[1,0,0] neg_hi:[1,0,0]
	ds_read2_b64 v[164:167], v137 offset0:15 offset1:16
	s_waitcnt vmcnt(20) lgkmcnt(0)
	v_pk_fma_f32 v[92:93], v[168:169], v[164:165], v[92:93] op_sel_hi:[0,1,1] neg_lo:[1,0,0] neg_hi:[1,0,0]
	s_waitcnt vmcnt(18)
	v_pk_fma_f32 v[108:109], v[168:169], v[166:167], v[108:109] op_sel_hi:[0,1,1] neg_lo:[1,0,0] neg_hi:[1,0,0]
	ds_read2_b64 v[164:167], v137 offset0:17 offset1:18
	;; [unrolled: 5-line block ×3, first 2 shown]
	s_waitcnt vmcnt(12) lgkmcnt(0)
	v_pk_fma_f32 v[88:89], v[168:169], v[164:165], v[88:89] op_sel_hi:[0,1,1] neg_lo:[1,0,0] neg_hi:[1,0,0]
	ds_read_b64 v[164:165], v137 offset:168
	s_waitcnt vmcnt(10)
	v_pk_fma_f32 v[104:105], v[168:169], v[166:167], v[104:105] op_sel_hi:[0,1,1] neg_lo:[1,0,0] neg_hi:[1,0,0]
	s_waitcnt vmcnt(8) lgkmcnt(0)
	v_pk_fma_f32 v[122:123], v[168:169], v[164:165], v[122:123] op_sel_hi:[0,1,1] neg_lo:[1,0,0] neg_hi:[1,0,0]
.LBB87_142:
	s_or_b64 exec, exec, s[2:3]
	v_cmp_eq_u32_e32 vcc, 26, v133
	s_waitcnt lgkmcnt(0)
	s_barrier
	s_and_saveexec_b64 s[2:3], vcc
	s_cbranch_execz .LBB87_145
; %bb.143:
	s_waitcnt vmcnt(22)
	v_pk_mov_b32 v[164:165], v[94:95], v[110:111] op_sel:[1,0]
	ds_write_b32 v135, v94
	ds_write2_b32 v137, v164, v165 offset0:27 offset1:28
	s_waitcnt vmcnt(20)
	v_pk_mov_b32 v[164:165], v[110:111], v[92:93] op_sel:[1,0]
	ds_write2_b32 v137, v164, v165 offset0:29 offset1:30
	s_waitcnt vmcnt(18)
	v_pk_mov_b32 v[164:165], v[92:93], v[108:109] op_sel:[1,0]
	;; [unrolled: 3-line block ×7, first 2 shown]
	ds_write2_b32 v137, v164, v165 offset0:41 offset1:42
	ds_write_b32 v137, v123 offset:172
	ds_read_b32 v163, v135
	s_waitcnt lgkmcnt(0)
	v_cmp_neq_f32_e32 vcc, 0, v163
	s_and_b64 exec, exec, vcc
	s_cbranch_execz .LBB87_145
; %bb.144:
	v_div_scale_f32 v164, s[4:5], v163, v163, 1.0
	v_rcp_f32_e32 v165, v164
	v_div_scale_f32 v166, vcc, 1.0, v163, 1.0
	v_fma_f32 v167, -v164, v165, 1.0
	v_fmac_f32_e32 v165, v167, v165
	v_mul_f32_e32 v167, v166, v165
	v_fma_f32 v168, -v164, v167, v166
	v_fmac_f32_e32 v167, v168, v165
	v_fma_f32 v164, -v164, v167, v166
	v_div_fmas_f32 v164, v164, v165, v167
	v_div_fixup_f32 v163, v164, v163, 1.0
	ds_write_b32 v135, v163
.LBB87_145:
	s_or_b64 exec, exec, s[2:3]
	s_waitcnt lgkmcnt(0)
	s_barrier
	ds_read_b32 v163, v135
	v_cmp_lt_u32_e32 vcc, 26, v133
	s_and_saveexec_b64 s[2:3], vcc
	s_cbranch_execz .LBB87_147
; %bb.146:
	ds_read_b32 v176, v137 offset:108
	ds_read2_b64 v[164:167], v137 offset0:14 offset1:15
	s_waitcnt vmcnt(25) lgkmcnt(2)
	v_mul_f32_e32 v94, v163, v94
	ds_read2_b64 v[168:171], v137 offset0:16 offset1:17
	ds_read2_b64 v[172:175], v137 offset0:18 offset1:19
	s_waitcnt vmcnt(24) lgkmcnt(3)
	v_fma_f32 v95, -v94, v176, v95
	s_waitcnt vmcnt(22) lgkmcnt(2)
	v_pk_fma_f32 v[110:111], v[94:95], v[164:165], v[110:111] op_sel_hi:[0,1,1] neg_lo:[1,0,0] neg_hi:[1,0,0]
	s_waitcnt vmcnt(20)
	v_pk_fma_f32 v[92:93], v[94:95], v[166:167], v[92:93] op_sel_hi:[0,1,1] neg_lo:[1,0,0] neg_hi:[1,0,0]
	ds_read2_b64 v[164:167], v137 offset0:20 offset1:21
	s_waitcnt vmcnt(18) lgkmcnt(2)
	v_pk_fma_f32 v[108:109], v[94:95], v[168:169], v[108:109] op_sel_hi:[0,1,1] neg_lo:[1,0,0] neg_hi:[1,0,0]
	s_waitcnt vmcnt(16)
	v_pk_fma_f32 v[90:91], v[94:95], v[170:171], v[90:91] op_sel_hi:[0,1,1] neg_lo:[1,0,0] neg_hi:[1,0,0]
	s_waitcnt vmcnt(14) lgkmcnt(1)
	v_pk_fma_f32 v[106:107], v[94:95], v[172:173], v[106:107] op_sel_hi:[0,1,1] neg_lo:[1,0,0] neg_hi:[1,0,0]
	s_waitcnt vmcnt(12)
	v_pk_fma_f32 v[88:89], v[94:95], v[174:175], v[88:89] op_sel_hi:[0,1,1] neg_lo:[1,0,0] neg_hi:[1,0,0]
	s_waitcnt vmcnt(10) lgkmcnt(0)
	v_pk_fma_f32 v[104:105], v[94:95], v[164:165], v[104:105] op_sel_hi:[0,1,1] neg_lo:[1,0,0] neg_hi:[1,0,0]
	s_waitcnt vmcnt(8)
	v_pk_fma_f32 v[122:123], v[94:95], v[166:167], v[122:123] op_sel_hi:[0,1,1] neg_lo:[1,0,0] neg_hi:[1,0,0]
.LBB87_147:
	s_or_b64 exec, exec, s[2:3]
	v_cmp_ne_u32_e32 vcc, 27, v133
	s_waitcnt lgkmcnt(0)
	s_barrier
	s_and_saveexec_b64 s[2:3], vcc
	s_xor_b64 s[2:3], exec, s[2:3]
	s_andn2_saveexec_b64 s[2:3], s[2:3]
	s_cbranch_execz .LBB87_151
; %bb.148:
	s_waitcnt vmcnt(23)
	v_mov_b32_e32 v164, v110
	s_waitcnt vmcnt(22)
	v_mov_b32_e32 v165, v111
	;; [unrolled: 2-line block ×4, first 2 shown]
	ds_write_b32 v135, v95
	ds_write2_b64 v137, v[164:165], v[166:167] offset0:14 offset1:15
	s_waitcnt vmcnt(19)
	v_mov_b32_e32 v164, v108
	s_waitcnt vmcnt(18)
	v_mov_b32_e32 v165, v109
	;; [unrolled: 2-line block ×4, first 2 shown]
	ds_write2_b64 v137, v[164:165], v[166:167] offset0:16 offset1:17
	s_waitcnt vmcnt(15)
	v_mov_b32_e32 v164, v106
	s_waitcnt vmcnt(14)
	v_mov_b32_e32 v165, v107
	;; [unrolled: 2-line block ×4, first 2 shown]
	ds_write2_b64 v137, v[164:165], v[166:167] offset0:18 offset1:19
	s_waitcnt vmcnt(11)
	v_mov_b32_e32 v164, v104
	s_waitcnt vmcnt(10)
	v_mov_b32_e32 v165, v105
	s_waitcnt vmcnt(8)
	ds_write2_b64 v137, v[164:165], v[122:123] offset0:20 offset1:21
	ds_read_b32 v164, v135
	s_waitcnt lgkmcnt(0)
	v_cmp_neq_f32_e32 vcc, 0, v164
	s_and_saveexec_b64 s[4:5], vcc
	s_cbranch_execz .LBB87_150
; %bb.149:
	v_div_scale_f32 v165, s[10:11], v164, v164, 1.0
	v_rcp_f32_e32 v166, v165
	v_div_scale_f32 v167, vcc, 1.0, v164, 1.0
	v_fma_f32 v168, -v165, v166, 1.0
	v_fmac_f32_e32 v166, v168, v166
	v_mul_f32_e32 v168, v167, v166
	v_fma_f32 v169, -v165, v168, v167
	v_fmac_f32_e32 v168, v169, v166
	v_fma_f32 v165, -v165, v168, v167
	v_div_fmas_f32 v165, v165, v166, v168
	v_div_fixup_f32 v164, v165, v164, 1.0
	ds_write_b32 v135, v164
.LBB87_150:
	s_or_b64 exec, exec, s[4:5]
.LBB87_151:
	s_or_b64 exec, exec, s[2:3]
	s_waitcnt lgkmcnt(0)
	s_barrier
	ds_read_b32 v164, v135
	v_cmp_lt_u32_e32 vcc, 27, v133
	s_and_saveexec_b64 s[2:3], vcc
	s_cbranch_execz .LBB87_153
; %bb.152:
	ds_read2_b64 v[166:169], v137 offset0:14 offset1:15
	s_waitcnt vmcnt(24) lgkmcnt(1)
	v_mul_f32_e32 v178, v164, v95
	ds_read2_b64 v[170:173], v137 offset0:16 offset1:17
	ds_read2_b64 v[174:177], v137 offset0:18 offset1:19
	v_mov_b32_e32 v95, v178
	s_waitcnt vmcnt(22) lgkmcnt(2)
	v_pk_fma_f32 v[110:111], v[178:179], v[166:167], v[110:111] op_sel_hi:[0,1,1] neg_lo:[1,0,0] neg_hi:[1,0,0]
	s_waitcnt vmcnt(20)
	v_pk_fma_f32 v[92:93], v[178:179], v[168:169], v[92:93] op_sel_hi:[0,1,1] neg_lo:[1,0,0] neg_hi:[1,0,0]
	ds_read2_b64 v[166:169], v137 offset0:20 offset1:21
	s_waitcnt vmcnt(18) lgkmcnt(2)
	v_pk_fma_f32 v[108:109], v[178:179], v[170:171], v[108:109] op_sel_hi:[0,1,1] neg_lo:[1,0,0] neg_hi:[1,0,0]
	s_waitcnt vmcnt(16)
	v_pk_fma_f32 v[90:91], v[178:179], v[172:173], v[90:91] op_sel_hi:[0,1,1] neg_lo:[1,0,0] neg_hi:[1,0,0]
	s_waitcnt vmcnt(14) lgkmcnt(1)
	v_pk_fma_f32 v[106:107], v[178:179], v[174:175], v[106:107] op_sel_hi:[0,1,1] neg_lo:[1,0,0] neg_hi:[1,0,0]
	s_waitcnt vmcnt(12)
	v_pk_fma_f32 v[88:89], v[178:179], v[176:177], v[88:89] op_sel_hi:[0,1,1] neg_lo:[1,0,0] neg_hi:[1,0,0]
	;; [unrolled: 4-line block ×3, first 2 shown]
.LBB87_153:
	s_or_b64 exec, exec, s[2:3]
	v_cmp_eq_u32_e32 vcc, 28, v133
	s_waitcnt lgkmcnt(0)
	s_barrier
	s_and_saveexec_b64 s[2:3], vcc
	s_cbranch_execz .LBB87_156
; %bb.154:
	s_waitcnt vmcnt(20)
	v_pk_mov_b32 v[166:167], v[110:111], v[92:93] op_sel:[1,0]
	ds_write_b32 v135, v110
	ds_write2_b32 v137, v166, v167 offset0:29 offset1:30
	s_waitcnt vmcnt(18)
	v_pk_mov_b32 v[166:167], v[92:93], v[108:109] op_sel:[1,0]
	ds_write2_b32 v137, v166, v167 offset0:31 offset1:32
	s_waitcnt vmcnt(16)
	v_pk_mov_b32 v[166:167], v[108:109], v[90:91] op_sel:[1,0]
	;; [unrolled: 3-line block ×6, first 2 shown]
	ds_write2_b32 v137, v166, v167 offset0:41 offset1:42
	ds_write_b32 v137, v123 offset:172
	ds_read_b32 v165, v135
	s_waitcnt lgkmcnt(0)
	v_cmp_neq_f32_e32 vcc, 0, v165
	s_and_b64 exec, exec, vcc
	s_cbranch_execz .LBB87_156
; %bb.155:
	v_div_scale_f32 v166, s[4:5], v165, v165, 1.0
	v_rcp_f32_e32 v167, v166
	v_div_scale_f32 v168, vcc, 1.0, v165, 1.0
	v_fma_f32 v169, -v166, v167, 1.0
	v_fmac_f32_e32 v167, v169, v167
	v_mul_f32_e32 v169, v168, v167
	v_fma_f32 v170, -v166, v169, v168
	v_fmac_f32_e32 v169, v170, v167
	v_fma_f32 v166, -v166, v169, v168
	v_div_fmas_f32 v166, v166, v167, v169
	v_div_fixup_f32 v165, v166, v165, 1.0
	ds_write_b32 v135, v165
.LBB87_156:
	s_or_b64 exec, exec, s[2:3]
	s_waitcnt lgkmcnt(0)
	s_barrier
	ds_read_b32 v165, v135
	v_cmp_lt_u32_e32 vcc, 28, v133
	s_and_saveexec_b64 s[2:3], vcc
	s_cbranch_execz .LBB87_158
; %bb.157:
	ds_read_b32 v174, v137 offset:116
	s_waitcnt vmcnt(23) lgkmcnt(1)
	v_mul_f32_e32 v110, v165, v110
	ds_read2_b64 v[166:169], v137 offset0:15 offset1:16
	ds_read_b64 v[178:179], v137 offset:168
	ds_read2_b64 v[170:173], v137 offset0:17 offset1:18
	s_waitcnt vmcnt(22) lgkmcnt(3)
	v_fma_f32 v111, -v110, v174, v111
	ds_read2_b64 v[174:177], v137 offset0:19 offset1:20
	s_waitcnt vmcnt(20) lgkmcnt(3)
	v_pk_fma_f32 v[92:93], v[110:111], v[166:167], v[92:93] op_sel_hi:[0,1,1] neg_lo:[1,0,0] neg_hi:[1,0,0]
	s_waitcnt vmcnt(18)
	v_pk_fma_f32 v[108:109], v[110:111], v[168:169], v[108:109] op_sel_hi:[0,1,1] neg_lo:[1,0,0] neg_hi:[1,0,0]
	s_waitcnt vmcnt(16) lgkmcnt(1)
	v_pk_fma_f32 v[90:91], v[110:111], v[170:171], v[90:91] op_sel_hi:[0,1,1] neg_lo:[1,0,0] neg_hi:[1,0,0]
	s_waitcnt vmcnt(14)
	v_pk_fma_f32 v[106:107], v[110:111], v[172:173], v[106:107] op_sel_hi:[0,1,1] neg_lo:[1,0,0] neg_hi:[1,0,0]
	;; [unrolled: 4-line block ×3, first 2 shown]
	s_waitcnt vmcnt(8)
	v_pk_fma_f32 v[122:123], v[110:111], v[178:179], v[122:123] op_sel_hi:[0,1,1] neg_lo:[1,0,0] neg_hi:[1,0,0]
.LBB87_158:
	s_or_b64 exec, exec, s[2:3]
	v_cmp_ne_u32_e32 vcc, 29, v133
	s_waitcnt lgkmcnt(0)
	s_barrier
	s_and_saveexec_b64 s[2:3], vcc
	s_xor_b64 s[2:3], exec, s[2:3]
	s_andn2_saveexec_b64 s[2:3], s[2:3]
	s_cbranch_execz .LBB87_162
; %bb.159:
	s_waitcnt vmcnt(22)
	ds_write_b32 v135, v111
	s_waitcnt vmcnt(18)
	ds_write2_b64 v137, v[92:93], v[108:109] offset0:15 offset1:16
	s_waitcnt vmcnt(14)
	ds_write2_b64 v137, v[90:91], v[106:107] offset0:17 offset1:18
	;; [unrolled: 2-line block ×3, first 2 shown]
	s_waitcnt vmcnt(8)
	ds_write_b64 v137, v[122:123] offset:168
	ds_read_b32 v166, v135
	s_waitcnt lgkmcnt(0)
	v_cmp_neq_f32_e32 vcc, 0, v166
	s_and_saveexec_b64 s[4:5], vcc
	s_cbranch_execz .LBB87_161
; %bb.160:
	v_div_scale_f32 v167, s[10:11], v166, v166, 1.0
	v_rcp_f32_e32 v168, v167
	v_div_scale_f32 v169, vcc, 1.0, v166, 1.0
	v_fma_f32 v170, -v167, v168, 1.0
	v_fmac_f32_e32 v168, v170, v168
	v_mul_f32_e32 v170, v169, v168
	v_fma_f32 v171, -v167, v170, v169
	v_fmac_f32_e32 v170, v171, v168
	v_fma_f32 v167, -v167, v170, v169
	v_div_fmas_f32 v167, v167, v168, v170
	v_div_fixup_f32 v166, v167, v166, 1.0
	ds_write_b32 v135, v166
.LBB87_161:
	s_or_b64 exec, exec, s[4:5]
.LBB87_162:
	s_or_b64 exec, exec, s[2:3]
	s_waitcnt lgkmcnt(0)
	s_barrier
	ds_read_b32 v166, v135
	v_cmp_lt_u32_e32 vcc, 29, v133
	s_and_saveexec_b64 s[2:3], vcc
	s_cbranch_execz .LBB87_164
; %bb.163:
	ds_read2_b64 v[168:171], v137 offset0:15 offset1:16
	s_waitcnt vmcnt(22) lgkmcnt(1)
	v_mul_f32_e32 v180, v166, v111
	ds_read2_b64 v[172:175], v137 offset0:17 offset1:18
	ds_read2_b64 v[176:179], v137 offset0:19 offset1:20
	v_mov_b32_e32 v111, v180
	s_waitcnt vmcnt(20) lgkmcnt(2)
	v_pk_fma_f32 v[92:93], v[180:181], v[168:169], v[92:93] op_sel_hi:[0,1,1] neg_lo:[1,0,0] neg_hi:[1,0,0]
	ds_read_b64 v[168:169], v137 offset:168
	s_waitcnt vmcnt(18)
	v_pk_fma_f32 v[108:109], v[180:181], v[170:171], v[108:109] op_sel_hi:[0,1,1] neg_lo:[1,0,0] neg_hi:[1,0,0]
	s_waitcnt vmcnt(16) lgkmcnt(2)
	v_pk_fma_f32 v[90:91], v[180:181], v[172:173], v[90:91] op_sel_hi:[0,1,1] neg_lo:[1,0,0] neg_hi:[1,0,0]
	s_waitcnt vmcnt(14)
	v_pk_fma_f32 v[106:107], v[180:181], v[174:175], v[106:107] op_sel_hi:[0,1,1] neg_lo:[1,0,0] neg_hi:[1,0,0]
	s_waitcnt vmcnt(12) lgkmcnt(1)
	v_pk_fma_f32 v[88:89], v[180:181], v[176:177], v[88:89] op_sel_hi:[0,1,1] neg_lo:[1,0,0] neg_hi:[1,0,0]
	;; [unrolled: 4-line block ×3, first 2 shown]
.LBB87_164:
	s_or_b64 exec, exec, s[2:3]
	v_cmp_eq_u32_e32 vcc, 30, v133
	s_waitcnt lgkmcnt(0)
	s_barrier
	s_and_saveexec_b64 s[2:3], vcc
	s_cbranch_execz .LBB87_167
; %bb.165:
	s_waitcnt vmcnt(18)
	v_pk_mov_b32 v[168:169], v[92:93], v[108:109] op_sel:[1,0]
	ds_write_b32 v135, v92
	ds_write2_b32 v137, v168, v169 offset0:31 offset1:32
	s_waitcnt vmcnt(16)
	v_pk_mov_b32 v[168:169], v[108:109], v[90:91] op_sel:[1,0]
	ds_write2_b32 v137, v168, v169 offset0:33 offset1:34
	s_waitcnt vmcnt(14)
	v_pk_mov_b32 v[168:169], v[90:91], v[106:107] op_sel:[1,0]
	;; [unrolled: 3-line block ×5, first 2 shown]
	ds_write2_b32 v137, v168, v169 offset0:41 offset1:42
	ds_write_b32 v137, v123 offset:172
	ds_read_b32 v167, v135
	s_waitcnt lgkmcnt(0)
	v_cmp_neq_f32_e32 vcc, 0, v167
	s_and_b64 exec, exec, vcc
	s_cbranch_execz .LBB87_167
; %bb.166:
	v_div_scale_f32 v168, s[4:5], v167, v167, 1.0
	v_rcp_f32_e32 v169, v168
	v_div_scale_f32 v170, vcc, 1.0, v167, 1.0
	v_fma_f32 v171, -v168, v169, 1.0
	v_fmac_f32_e32 v169, v171, v169
	v_mul_f32_e32 v171, v170, v169
	v_fma_f32 v172, -v168, v171, v170
	v_fmac_f32_e32 v171, v172, v169
	v_fma_f32 v168, -v168, v171, v170
	v_div_fmas_f32 v168, v168, v169, v171
	v_div_fixup_f32 v167, v168, v167, 1.0
	ds_write_b32 v135, v167
.LBB87_167:
	s_or_b64 exec, exec, s[2:3]
	s_waitcnt lgkmcnt(0)
	s_barrier
	ds_read_b32 v167, v135
	v_cmp_lt_u32_e32 vcc, 30, v133
	s_and_saveexec_b64 s[2:3], vcc
	s_cbranch_execz .LBB87_169
; %bb.168:
	ds_read_b32 v180, v137 offset:124
	ds_read2_b64 v[168:171], v137 offset0:16 offset1:17
	ds_read2_b64 v[172:175], v137 offset0:18 offset1:19
	;; [unrolled: 1-line block ×3, first 2 shown]
	s_waitcnt vmcnt(21) lgkmcnt(4)
	v_mul_f32_e32 v92, v167, v92
	s_waitcnt vmcnt(20) lgkmcnt(3)
	v_fma_f32 v93, -v92, v180, v93
	s_waitcnt vmcnt(18) lgkmcnt(2)
	v_pk_fma_f32 v[108:109], v[92:93], v[168:169], v[108:109] op_sel_hi:[0,1,1] neg_lo:[1,0,0] neg_hi:[1,0,0]
	s_waitcnt vmcnt(16)
	v_pk_fma_f32 v[90:91], v[92:93], v[170:171], v[90:91] op_sel_hi:[0,1,1] neg_lo:[1,0,0] neg_hi:[1,0,0]
	s_waitcnt vmcnt(14) lgkmcnt(1)
	v_pk_fma_f32 v[106:107], v[92:93], v[172:173], v[106:107] op_sel_hi:[0,1,1] neg_lo:[1,0,0] neg_hi:[1,0,0]
	s_waitcnt vmcnt(12)
	v_pk_fma_f32 v[88:89], v[92:93], v[174:175], v[88:89] op_sel_hi:[0,1,1] neg_lo:[1,0,0] neg_hi:[1,0,0]
	;; [unrolled: 4-line block ×3, first 2 shown]
.LBB87_169:
	s_or_b64 exec, exec, s[2:3]
	v_cmp_ne_u32_e32 vcc, 31, v133
	s_waitcnt lgkmcnt(0)
	s_barrier
	s_and_saveexec_b64 s[2:3], vcc
	s_xor_b64 s[2:3], exec, s[2:3]
	s_andn2_saveexec_b64 s[2:3], s[2:3]
	s_cbranch_execz .LBB87_173
; %bb.170:
	s_waitcnt vmcnt(19)
	v_mov_b32_e32 v168, v108
	s_waitcnt vmcnt(18)
	v_mov_b32_e32 v169, v109
	;; [unrolled: 2-line block ×4, first 2 shown]
	ds_write_b32 v135, v93
	ds_write2_b64 v137, v[168:169], v[170:171] offset0:16 offset1:17
	s_waitcnt vmcnt(15)
	v_mov_b32_e32 v168, v106
	s_waitcnt vmcnt(14)
	v_mov_b32_e32 v169, v107
	;; [unrolled: 2-line block ×4, first 2 shown]
	ds_write2_b64 v137, v[168:169], v[170:171] offset0:18 offset1:19
	s_waitcnt vmcnt(11)
	v_mov_b32_e32 v168, v104
	s_waitcnt vmcnt(10)
	v_mov_b32_e32 v169, v105
	s_waitcnt vmcnt(8)
	ds_write2_b64 v137, v[168:169], v[122:123] offset0:20 offset1:21
	ds_read_b32 v168, v135
	s_waitcnt lgkmcnt(0)
	v_cmp_neq_f32_e32 vcc, 0, v168
	s_and_saveexec_b64 s[4:5], vcc
	s_cbranch_execz .LBB87_172
; %bb.171:
	v_div_scale_f32 v169, s[10:11], v168, v168, 1.0
	v_rcp_f32_e32 v170, v169
	v_div_scale_f32 v171, vcc, 1.0, v168, 1.0
	v_fma_f32 v172, -v169, v170, 1.0
	v_fmac_f32_e32 v170, v172, v170
	v_mul_f32_e32 v172, v171, v170
	v_fma_f32 v173, -v169, v172, v171
	v_fmac_f32_e32 v172, v173, v170
	v_fma_f32 v169, -v169, v172, v171
	v_div_fmas_f32 v169, v169, v170, v172
	v_div_fixup_f32 v168, v169, v168, 1.0
	ds_write_b32 v135, v168
.LBB87_172:
	s_or_b64 exec, exec, s[4:5]
.LBB87_173:
	s_or_b64 exec, exec, s[2:3]
	s_waitcnt lgkmcnt(0)
	s_barrier
	ds_read_b32 v168, v135
	v_cmp_lt_u32_e32 vcc, 31, v133
	s_and_saveexec_b64 s[2:3], vcc
	s_cbranch_execz .LBB87_175
; %bb.174:
	ds_read2_b64 v[170:173], v137 offset0:16 offset1:17
	ds_read2_b64 v[174:177], v137 offset0:18 offset1:19
	;; [unrolled: 1-line block ×3, first 2 shown]
	s_waitcnt vmcnt(20) lgkmcnt(3)
	v_mul_f32_e32 v182, v168, v93
	v_mov_b32_e32 v93, v182
	s_waitcnt vmcnt(18) lgkmcnt(2)
	v_pk_fma_f32 v[108:109], v[182:183], v[170:171], v[108:109] op_sel_hi:[0,1,1] neg_lo:[1,0,0] neg_hi:[1,0,0]
	s_waitcnt vmcnt(16)
	v_pk_fma_f32 v[90:91], v[182:183], v[172:173], v[90:91] op_sel_hi:[0,1,1] neg_lo:[1,0,0] neg_hi:[1,0,0]
	s_waitcnt vmcnt(14) lgkmcnt(1)
	v_pk_fma_f32 v[106:107], v[182:183], v[174:175], v[106:107] op_sel_hi:[0,1,1] neg_lo:[1,0,0] neg_hi:[1,0,0]
	s_waitcnt vmcnt(12)
	v_pk_fma_f32 v[88:89], v[182:183], v[176:177], v[88:89] op_sel_hi:[0,1,1] neg_lo:[1,0,0] neg_hi:[1,0,0]
	;; [unrolled: 4-line block ×3, first 2 shown]
.LBB87_175:
	s_or_b64 exec, exec, s[2:3]
	v_cmp_eq_u32_e32 vcc, 32, v133
	s_waitcnt lgkmcnt(0)
	s_barrier
	s_and_saveexec_b64 s[2:3], vcc
	s_cbranch_execz .LBB87_178
; %bb.176:
	s_waitcnt vmcnt(16)
	v_pk_mov_b32 v[170:171], v[108:109], v[90:91] op_sel:[1,0]
	ds_write_b32 v135, v108
	ds_write2_b32 v137, v170, v171 offset0:33 offset1:34
	s_waitcnt vmcnt(14)
	v_pk_mov_b32 v[170:171], v[90:91], v[106:107] op_sel:[1,0]
	ds_write2_b32 v137, v170, v171 offset0:35 offset1:36
	s_waitcnt vmcnt(12)
	v_pk_mov_b32 v[170:171], v[106:107], v[88:89] op_sel:[1,0]
	;; [unrolled: 3-line block ×4, first 2 shown]
	ds_write2_b32 v137, v170, v171 offset0:41 offset1:42
	ds_write_b32 v137, v123 offset:172
	ds_read_b32 v169, v135
	s_waitcnt lgkmcnt(0)
	v_cmp_neq_f32_e32 vcc, 0, v169
	s_and_b64 exec, exec, vcc
	s_cbranch_execz .LBB87_178
; %bb.177:
	v_div_scale_f32 v170, s[4:5], v169, v169, 1.0
	v_rcp_f32_e32 v171, v170
	v_div_scale_f32 v172, vcc, 1.0, v169, 1.0
	v_fma_f32 v173, -v170, v171, 1.0
	v_fmac_f32_e32 v171, v173, v171
	v_mul_f32_e32 v173, v172, v171
	v_fma_f32 v174, -v170, v173, v172
	v_fmac_f32_e32 v173, v174, v171
	v_fma_f32 v170, -v170, v173, v172
	v_div_fmas_f32 v170, v170, v171, v173
	v_div_fixup_f32 v169, v170, v169, 1.0
	ds_write_b32 v135, v169
.LBB87_178:
	s_or_b64 exec, exec, s[2:3]
	s_waitcnt lgkmcnt(0)
	s_barrier
	ds_read_b32 v169, v135
	v_cmp_lt_u32_e32 vcc, 32, v133
	s_and_saveexec_b64 s[2:3], vcc
	s_cbranch_execz .LBB87_180
; %bb.179:
	ds_read_b32 v180, v137 offset:132
	ds_read2_b64 v[170:173], v137 offset0:17 offset1:18
	ds_read_b64 v[178:179], v137 offset:168
	ds_read2_b64 v[174:177], v137 offset0:19 offset1:20
	s_waitcnt vmcnt(19) lgkmcnt(4)
	v_mul_f32_e32 v108, v169, v108
	s_waitcnt vmcnt(18) lgkmcnt(3)
	v_fma_f32 v109, -v108, v180, v109
	s_waitcnt vmcnt(16) lgkmcnt(2)
	v_pk_fma_f32 v[90:91], v[108:109], v[170:171], v[90:91] op_sel_hi:[0,1,1] neg_lo:[1,0,0] neg_hi:[1,0,0]
	s_waitcnt vmcnt(14)
	v_pk_fma_f32 v[106:107], v[108:109], v[172:173], v[106:107] op_sel_hi:[0,1,1] neg_lo:[1,0,0] neg_hi:[1,0,0]
	s_waitcnt vmcnt(12) lgkmcnt(0)
	v_pk_fma_f32 v[88:89], v[108:109], v[174:175], v[88:89] op_sel_hi:[0,1,1] neg_lo:[1,0,0] neg_hi:[1,0,0]
	s_waitcnt vmcnt(10)
	v_pk_fma_f32 v[104:105], v[108:109], v[176:177], v[104:105] op_sel_hi:[0,1,1] neg_lo:[1,0,0] neg_hi:[1,0,0]
	s_waitcnt vmcnt(8)
	v_pk_fma_f32 v[122:123], v[108:109], v[178:179], v[122:123] op_sel_hi:[0,1,1] neg_lo:[1,0,0] neg_hi:[1,0,0]
.LBB87_180:
	s_or_b64 exec, exec, s[2:3]
	v_cmp_ne_u32_e32 vcc, 33, v133
	s_waitcnt lgkmcnt(0)
	s_barrier
	s_and_saveexec_b64 s[2:3], vcc
	s_xor_b64 s[2:3], exec, s[2:3]
	s_andn2_saveexec_b64 s[2:3], s[2:3]
	s_cbranch_execz .LBB87_184
; %bb.181:
	s_waitcnt vmcnt(18)
	ds_write_b32 v135, v109
	s_waitcnt vmcnt(14)
	ds_write2_b64 v137, v[90:91], v[106:107] offset0:17 offset1:18
	s_waitcnt vmcnt(10)
	ds_write2_b64 v137, v[88:89], v[104:105] offset0:19 offset1:20
	s_waitcnt vmcnt(8)
	ds_write_b64 v137, v[122:123] offset:168
	ds_read_b32 v170, v135
	s_waitcnt lgkmcnt(0)
	v_cmp_neq_f32_e32 vcc, 0, v170
	s_and_saveexec_b64 s[4:5], vcc
	s_cbranch_execz .LBB87_183
; %bb.182:
	v_div_scale_f32 v171, s[10:11], v170, v170, 1.0
	v_rcp_f32_e32 v172, v171
	v_div_scale_f32 v173, vcc, 1.0, v170, 1.0
	v_fma_f32 v174, -v171, v172, 1.0
	v_fmac_f32_e32 v172, v174, v172
	v_mul_f32_e32 v174, v173, v172
	v_fma_f32 v175, -v171, v174, v173
	v_fmac_f32_e32 v174, v175, v172
	v_fma_f32 v171, -v171, v174, v173
	v_div_fmas_f32 v171, v171, v172, v174
	v_div_fixup_f32 v170, v171, v170, 1.0
	ds_write_b32 v135, v170
.LBB87_183:
	s_or_b64 exec, exec, s[4:5]
.LBB87_184:
	s_or_b64 exec, exec, s[2:3]
	s_waitcnt lgkmcnt(0)
	s_barrier
	ds_read_b32 v170, v135
	v_cmp_lt_u32_e32 vcc, 33, v133
	s_and_saveexec_b64 s[2:3], vcc
	s_cbranch_execz .LBB87_186
; %bb.185:
	ds_read2_b64 v[172:175], v137 offset0:17 offset1:18
	ds_read2_b64 v[176:179], v137 offset0:19 offset1:20
	ds_read_b64 v[182:183], v137 offset:168
	s_waitcnt vmcnt(18) lgkmcnt(3)
	v_mul_f32_e32 v180, v170, v109
	v_mov_b32_e32 v109, v180
	s_waitcnt vmcnt(16) lgkmcnt(2)
	v_pk_fma_f32 v[90:91], v[180:181], v[172:173], v[90:91] op_sel_hi:[0,1,1] neg_lo:[1,0,0] neg_hi:[1,0,0]
	s_waitcnt vmcnt(14)
	v_pk_fma_f32 v[106:107], v[180:181], v[174:175], v[106:107] op_sel_hi:[0,1,1] neg_lo:[1,0,0] neg_hi:[1,0,0]
	s_waitcnt vmcnt(12) lgkmcnt(1)
	v_pk_fma_f32 v[88:89], v[180:181], v[176:177], v[88:89] op_sel_hi:[0,1,1] neg_lo:[1,0,0] neg_hi:[1,0,0]
	s_waitcnt vmcnt(10)
	v_pk_fma_f32 v[104:105], v[180:181], v[178:179], v[104:105] op_sel_hi:[0,1,1] neg_lo:[1,0,0] neg_hi:[1,0,0]
	s_waitcnt vmcnt(8) lgkmcnt(0)
	v_pk_fma_f32 v[122:123], v[180:181], v[182:183], v[122:123] op_sel_hi:[0,1,1] neg_lo:[1,0,0] neg_hi:[1,0,0]
.LBB87_186:
	s_or_b64 exec, exec, s[2:3]
	v_cmp_eq_u32_e32 vcc, 34, v133
	s_waitcnt lgkmcnt(0)
	s_barrier
	s_and_saveexec_b64 s[2:3], vcc
	s_cbranch_execz .LBB87_189
; %bb.187:
	s_waitcnt vmcnt(14)
	v_pk_mov_b32 v[172:173], v[90:91], v[106:107] op_sel:[1,0]
	ds_write_b32 v135, v90
	ds_write2_b32 v137, v172, v173 offset0:35 offset1:36
	s_waitcnt vmcnt(12)
	v_pk_mov_b32 v[172:173], v[106:107], v[88:89] op_sel:[1,0]
	ds_write2_b32 v137, v172, v173 offset0:37 offset1:38
	s_waitcnt vmcnt(10)
	v_pk_mov_b32 v[172:173], v[88:89], v[104:105] op_sel:[1,0]
	;; [unrolled: 3-line block ×3, first 2 shown]
	ds_write2_b32 v137, v172, v173 offset0:41 offset1:42
	ds_write_b32 v137, v123 offset:172
	ds_read_b32 v171, v135
	s_waitcnt lgkmcnt(0)
	v_cmp_neq_f32_e32 vcc, 0, v171
	s_and_b64 exec, exec, vcc
	s_cbranch_execz .LBB87_189
; %bb.188:
	v_div_scale_f32 v172, s[4:5], v171, v171, 1.0
	v_rcp_f32_e32 v173, v172
	v_div_scale_f32 v174, vcc, 1.0, v171, 1.0
	v_fma_f32 v175, -v172, v173, 1.0
	v_fmac_f32_e32 v173, v175, v173
	v_mul_f32_e32 v175, v174, v173
	v_fma_f32 v176, -v172, v175, v174
	v_fmac_f32_e32 v175, v176, v173
	v_fma_f32 v172, -v172, v175, v174
	v_div_fmas_f32 v172, v172, v173, v175
	v_div_fixup_f32 v171, v172, v171, 1.0
	ds_write_b32 v135, v171
.LBB87_189:
	s_or_b64 exec, exec, s[2:3]
	s_waitcnt lgkmcnt(0)
	s_barrier
	ds_read_b32 v171, v135
	v_cmp_lt_u32_e32 vcc, 34, v133
	s_and_saveexec_b64 s[2:3], vcc
	s_cbranch_execz .LBB87_191
; %bb.190:
	ds_read_b32 v180, v137 offset:140
	ds_read2_b64 v[172:175], v137 offset0:18 offset1:19
	ds_read2_b64 v[176:179], v137 offset0:20 offset1:21
	s_waitcnt vmcnt(17) lgkmcnt(3)
	v_mul_f32_e32 v90, v171, v90
	s_waitcnt vmcnt(16) lgkmcnt(2)
	v_fma_f32 v91, -v90, v180, v91
	s_waitcnt vmcnt(14) lgkmcnt(1)
	v_pk_fma_f32 v[106:107], v[90:91], v[172:173], v[106:107] op_sel_hi:[0,1,1] neg_lo:[1,0,0] neg_hi:[1,0,0]
	s_waitcnt vmcnt(12)
	v_pk_fma_f32 v[88:89], v[90:91], v[174:175], v[88:89] op_sel_hi:[0,1,1] neg_lo:[1,0,0] neg_hi:[1,0,0]
	s_waitcnt vmcnt(10) lgkmcnt(0)
	v_pk_fma_f32 v[104:105], v[90:91], v[176:177], v[104:105] op_sel_hi:[0,1,1] neg_lo:[1,0,0] neg_hi:[1,0,0]
	s_waitcnt vmcnt(8)
	v_pk_fma_f32 v[122:123], v[90:91], v[178:179], v[122:123] op_sel_hi:[0,1,1] neg_lo:[1,0,0] neg_hi:[1,0,0]
.LBB87_191:
	s_or_b64 exec, exec, s[2:3]
	v_cmp_ne_u32_e32 vcc, 35, v133
	s_waitcnt lgkmcnt(0)
	s_barrier
	s_and_saveexec_b64 s[2:3], vcc
	s_xor_b64 s[2:3], exec, s[2:3]
	s_andn2_saveexec_b64 s[2:3], s[2:3]
	s_cbranch_execz .LBB87_195
; %bb.192:
	s_waitcnt vmcnt(15)
	v_mov_b32_e32 v172, v106
	s_waitcnt vmcnt(14)
	v_mov_b32_e32 v173, v107
	s_waitcnt vmcnt(13)
	v_mov_b32_e32 v174, v88
	s_waitcnt vmcnt(12)
	v_mov_b32_e32 v175, v89
	ds_write_b32 v135, v91
	ds_write2_b64 v137, v[172:173], v[174:175] offset0:18 offset1:19
	s_waitcnt vmcnt(11)
	v_mov_b32_e32 v172, v104
	s_waitcnt vmcnt(10)
	v_mov_b32_e32 v173, v105
	s_waitcnt vmcnt(8)
	ds_write2_b64 v137, v[172:173], v[122:123] offset0:20 offset1:21
	ds_read_b32 v172, v135
	s_waitcnt lgkmcnt(0)
	v_cmp_neq_f32_e32 vcc, 0, v172
	s_and_saveexec_b64 s[4:5], vcc
	s_cbranch_execz .LBB87_194
; %bb.193:
	v_div_scale_f32 v173, s[10:11], v172, v172, 1.0
	v_rcp_f32_e32 v174, v173
	v_div_scale_f32 v175, vcc, 1.0, v172, 1.0
	v_fma_f32 v176, -v173, v174, 1.0
	v_fmac_f32_e32 v174, v176, v174
	v_mul_f32_e32 v176, v175, v174
	v_fma_f32 v177, -v173, v176, v175
	v_fmac_f32_e32 v176, v177, v174
	v_fma_f32 v173, -v173, v176, v175
	v_div_fmas_f32 v173, v173, v174, v176
	v_div_fixup_f32 v172, v173, v172, 1.0
	ds_write_b32 v135, v172
.LBB87_194:
	s_or_b64 exec, exec, s[4:5]
.LBB87_195:
	s_or_b64 exec, exec, s[2:3]
	s_waitcnt lgkmcnt(0)
	s_barrier
	ds_read_b32 v172, v135
	v_cmp_lt_u32_e32 vcc, 35, v133
	s_and_saveexec_b64 s[2:3], vcc
	s_cbranch_execz .LBB87_197
; %bb.196:
	ds_read2_b64 v[174:177], v137 offset0:18 offset1:19
	ds_read2_b64 v[178:181], v137 offset0:20 offset1:21
	s_waitcnt vmcnt(16) lgkmcnt(2)
	v_mul_f32_e32 v182, v172, v91
	v_mov_b32_e32 v91, v182
	s_waitcnt vmcnt(14) lgkmcnt(1)
	v_pk_fma_f32 v[106:107], v[182:183], v[174:175], v[106:107] op_sel_hi:[0,1,1] neg_lo:[1,0,0] neg_hi:[1,0,0]
	s_waitcnt vmcnt(12)
	v_pk_fma_f32 v[88:89], v[182:183], v[176:177], v[88:89] op_sel_hi:[0,1,1] neg_lo:[1,0,0] neg_hi:[1,0,0]
	s_waitcnt vmcnt(10) lgkmcnt(0)
	v_pk_fma_f32 v[104:105], v[182:183], v[178:179], v[104:105] op_sel_hi:[0,1,1] neg_lo:[1,0,0] neg_hi:[1,0,0]
	s_waitcnt vmcnt(8)
	v_pk_fma_f32 v[122:123], v[182:183], v[180:181], v[122:123] op_sel_hi:[0,1,1] neg_lo:[1,0,0] neg_hi:[1,0,0]
.LBB87_197:
	s_or_b64 exec, exec, s[2:3]
	v_cmp_eq_u32_e32 vcc, 36, v133
	s_waitcnt lgkmcnt(0)
	s_barrier
	s_and_saveexec_b64 s[2:3], vcc
	s_cbranch_execz .LBB87_200
; %bb.198:
	s_waitcnt vmcnt(12)
	v_pk_mov_b32 v[174:175], v[106:107], v[88:89] op_sel:[1,0]
	ds_write_b32 v135, v106
	ds_write2_b32 v137, v174, v175 offset0:37 offset1:38
	s_waitcnt vmcnt(10)
	v_pk_mov_b32 v[174:175], v[88:89], v[104:105] op_sel:[1,0]
	ds_write2_b32 v137, v174, v175 offset0:39 offset1:40
	s_waitcnt vmcnt(8)
	v_pk_mov_b32 v[174:175], v[104:105], v[122:123] op_sel:[1,0]
	ds_write2_b32 v137, v174, v175 offset0:41 offset1:42
	ds_write_b32 v137, v123 offset:172
	ds_read_b32 v173, v135
	s_waitcnt lgkmcnt(0)
	v_cmp_neq_f32_e32 vcc, 0, v173
	s_and_b64 exec, exec, vcc
	s_cbranch_execz .LBB87_200
; %bb.199:
	v_div_scale_f32 v174, s[4:5], v173, v173, 1.0
	v_rcp_f32_e32 v175, v174
	v_div_scale_f32 v176, vcc, 1.0, v173, 1.0
	v_fma_f32 v177, -v174, v175, 1.0
	v_fmac_f32_e32 v175, v177, v175
	v_mul_f32_e32 v177, v176, v175
	v_fma_f32 v178, -v174, v177, v176
	v_fmac_f32_e32 v177, v178, v175
	v_fma_f32 v174, -v174, v177, v176
	v_div_fmas_f32 v174, v174, v175, v177
	v_div_fixup_f32 v173, v174, v173, 1.0
	ds_write_b32 v135, v173
.LBB87_200:
	s_or_b64 exec, exec, s[2:3]
	s_waitcnt lgkmcnt(0)
	s_barrier
	ds_read_b32 v173, v135
	v_cmp_lt_u32_e32 vcc, 36, v133
	s_and_saveexec_b64 s[2:3], vcc
	s_cbranch_execz .LBB87_202
; %bb.201:
	ds_read_b32 v180, v137 offset:148
	ds_read2_b64 v[174:177], v137 offset0:19 offset1:20
	ds_read_b64 v[178:179], v137 offset:168
	s_waitcnt vmcnt(15) lgkmcnt(3)
	v_mul_f32_e32 v106, v173, v106
	s_waitcnt vmcnt(14) lgkmcnt(2)
	v_fma_f32 v107, -v106, v180, v107
	s_waitcnt vmcnt(12) lgkmcnt(1)
	v_pk_fma_f32 v[88:89], v[106:107], v[174:175], v[88:89] op_sel_hi:[0,1,1] neg_lo:[1,0,0] neg_hi:[1,0,0]
	s_waitcnt vmcnt(10)
	v_pk_fma_f32 v[104:105], v[106:107], v[176:177], v[104:105] op_sel_hi:[0,1,1] neg_lo:[1,0,0] neg_hi:[1,0,0]
	s_waitcnt vmcnt(8) lgkmcnt(0)
	v_pk_fma_f32 v[122:123], v[106:107], v[178:179], v[122:123] op_sel_hi:[0,1,1] neg_lo:[1,0,0] neg_hi:[1,0,0]
.LBB87_202:
	s_or_b64 exec, exec, s[2:3]
	v_cmp_ne_u32_e32 vcc, 37, v133
	s_waitcnt lgkmcnt(0)
	s_barrier
	s_and_saveexec_b64 s[2:3], vcc
	s_xor_b64 s[2:3], exec, s[2:3]
	s_andn2_saveexec_b64 s[2:3], s[2:3]
	s_cbranch_execz .LBB87_206
; %bb.203:
	s_waitcnt vmcnt(14)
	ds_write_b32 v135, v107
	s_waitcnt vmcnt(10)
	ds_write2_b64 v137, v[88:89], v[104:105] offset0:19 offset1:20
	s_waitcnt vmcnt(8)
	ds_write_b64 v137, v[122:123] offset:168
	ds_read_b32 v174, v135
	s_waitcnt lgkmcnt(0)
	v_cmp_neq_f32_e32 vcc, 0, v174
	s_and_saveexec_b64 s[4:5], vcc
	s_cbranch_execz .LBB87_205
; %bb.204:
	v_div_scale_f32 v175, s[10:11], v174, v174, 1.0
	v_rcp_f32_e32 v176, v175
	v_div_scale_f32 v177, vcc, 1.0, v174, 1.0
	v_fma_f32 v178, -v175, v176, 1.0
	v_fmac_f32_e32 v176, v178, v176
	v_mul_f32_e32 v178, v177, v176
	v_fma_f32 v179, -v175, v178, v177
	v_fmac_f32_e32 v178, v179, v176
	v_fma_f32 v175, -v175, v178, v177
	v_div_fmas_f32 v175, v175, v176, v178
	v_div_fixup_f32 v174, v175, v174, 1.0
	ds_write_b32 v135, v174
.LBB87_205:
	s_or_b64 exec, exec, s[4:5]
.LBB87_206:
	s_or_b64 exec, exec, s[2:3]
	s_waitcnt lgkmcnt(0)
	s_barrier
	ds_read_b32 v174, v135
	v_cmp_lt_u32_e32 vcc, 37, v133
	s_and_saveexec_b64 s[2:3], vcc
	s_cbranch_execz .LBB87_208
; %bb.207:
	ds_read2_b64 v[176:179], v137 offset0:19 offset1:20
	ds_read_b64 v[180:181], v137 offset:168
	s_waitcnt vmcnt(14) lgkmcnt(2)
	v_mul_f32_e32 v182, v174, v107
	v_mov_b32_e32 v107, v182
	s_waitcnt vmcnt(12) lgkmcnt(1)
	v_pk_fma_f32 v[88:89], v[182:183], v[176:177], v[88:89] op_sel_hi:[0,1,1] neg_lo:[1,0,0] neg_hi:[1,0,0]
	s_waitcnt vmcnt(10)
	v_pk_fma_f32 v[104:105], v[182:183], v[178:179], v[104:105] op_sel_hi:[0,1,1] neg_lo:[1,0,0] neg_hi:[1,0,0]
	s_waitcnt vmcnt(8) lgkmcnt(0)
	v_pk_fma_f32 v[122:123], v[182:183], v[180:181], v[122:123] op_sel_hi:[0,1,1] neg_lo:[1,0,0] neg_hi:[1,0,0]
.LBB87_208:
	s_or_b64 exec, exec, s[2:3]
	v_cmp_eq_u32_e32 vcc, 38, v133
	s_waitcnt lgkmcnt(0)
	s_barrier
	s_and_saveexec_b64 s[2:3], vcc
	s_cbranch_execz .LBB87_211
; %bb.209:
	s_waitcnt vmcnt(10)
	v_pk_mov_b32 v[176:177], v[88:89], v[104:105] op_sel:[1,0]
	ds_write_b32 v135, v88
	ds_write2_b32 v137, v176, v177 offset0:39 offset1:40
	s_waitcnt vmcnt(8)
	v_pk_mov_b32 v[176:177], v[104:105], v[122:123] op_sel:[1,0]
	ds_write2_b32 v137, v176, v177 offset0:41 offset1:42
	ds_write_b32 v137, v123 offset:172
	ds_read_b32 v175, v135
	s_waitcnt lgkmcnt(0)
	v_cmp_neq_f32_e32 vcc, 0, v175
	s_and_b64 exec, exec, vcc
	s_cbranch_execz .LBB87_211
; %bb.210:
	v_div_scale_f32 v176, s[4:5], v175, v175, 1.0
	v_rcp_f32_e32 v177, v176
	v_div_scale_f32 v178, vcc, 1.0, v175, 1.0
	v_fma_f32 v179, -v176, v177, 1.0
	v_fmac_f32_e32 v177, v179, v177
	v_mul_f32_e32 v179, v178, v177
	v_fma_f32 v180, -v176, v179, v178
	v_fmac_f32_e32 v179, v180, v177
	v_fma_f32 v176, -v176, v179, v178
	v_div_fmas_f32 v176, v176, v177, v179
	v_div_fixup_f32 v175, v176, v175, 1.0
	ds_write_b32 v135, v175
.LBB87_211:
	s_or_b64 exec, exec, s[2:3]
	s_waitcnt lgkmcnt(0)
	s_barrier
	ds_read_b32 v175, v135
	v_cmp_lt_u32_e32 vcc, 38, v133
	s_and_saveexec_b64 s[2:3], vcc
	s_cbranch_execz .LBB87_213
; %bb.212:
	ds_read_b32 v180, v137 offset:156
	ds_read2_b64 v[176:179], v137 offset0:20 offset1:21
	s_waitcnt vmcnt(13) lgkmcnt(2)
	v_mul_f32_e32 v88, v175, v88
	s_waitcnt vmcnt(12) lgkmcnt(1)
	v_fma_f32 v89, -v88, v180, v89
	s_waitcnt vmcnt(10) lgkmcnt(0)
	v_pk_fma_f32 v[104:105], v[88:89], v[176:177], v[104:105] op_sel_hi:[0,1,1] neg_lo:[1,0,0] neg_hi:[1,0,0]
	s_waitcnt vmcnt(8)
	v_pk_fma_f32 v[122:123], v[88:89], v[178:179], v[122:123] op_sel_hi:[0,1,1] neg_lo:[1,0,0] neg_hi:[1,0,0]
.LBB87_213:
	s_or_b64 exec, exec, s[2:3]
	v_cmp_ne_u32_e32 vcc, 39, v133
	s_waitcnt lgkmcnt(0)
	s_barrier
	s_and_saveexec_b64 s[2:3], vcc
	s_xor_b64 s[2:3], exec, s[2:3]
	s_andn2_saveexec_b64 s[2:3], s[2:3]
	s_cbranch_execz .LBB87_217
; %bb.214:
	s_waitcnt vmcnt(11)
	v_mov_b32_e32 v176, v104
	s_waitcnt vmcnt(10)
	v_mov_b32_e32 v177, v105
	ds_write_b32 v135, v89
	s_waitcnt vmcnt(8)
	ds_write2_b64 v137, v[176:177], v[122:123] offset0:20 offset1:21
	ds_read_b32 v176, v135
	s_waitcnt lgkmcnt(0)
	v_cmp_neq_f32_e32 vcc, 0, v176
	s_and_saveexec_b64 s[4:5], vcc
	s_cbranch_execz .LBB87_216
; %bb.215:
	v_div_scale_f32 v177, s[10:11], v176, v176, 1.0
	v_rcp_f32_e32 v178, v177
	v_div_scale_f32 v179, vcc, 1.0, v176, 1.0
	v_fma_f32 v180, -v177, v178, 1.0
	v_fmac_f32_e32 v178, v180, v178
	v_mul_f32_e32 v180, v179, v178
	v_fma_f32 v181, -v177, v180, v179
	v_fmac_f32_e32 v180, v181, v178
	v_fma_f32 v177, -v177, v180, v179
	v_div_fmas_f32 v177, v177, v178, v180
	v_div_fixup_f32 v176, v177, v176, 1.0
	ds_write_b32 v135, v176
.LBB87_216:
	s_or_b64 exec, exec, s[4:5]
.LBB87_217:
	s_or_b64 exec, exec, s[2:3]
	s_waitcnt lgkmcnt(0)
	s_barrier
	ds_read_b32 v176, v135
	v_cmp_lt_u32_e32 vcc, 39, v133
	s_and_saveexec_b64 s[2:3], vcc
	s_cbranch_execz .LBB87_219
; %bb.218:
	ds_read2_b64 v[178:181], v137 offset0:20 offset1:21
	s_waitcnt vmcnt(12) lgkmcnt(1)
	v_mul_f32_e32 v182, v176, v89
	v_mov_b32_e32 v89, v182
	s_waitcnt vmcnt(10) lgkmcnt(0)
	v_pk_fma_f32 v[104:105], v[182:183], v[178:179], v[104:105] op_sel_hi:[0,1,1] neg_lo:[1,0,0] neg_hi:[1,0,0]
	s_waitcnt vmcnt(8)
	v_pk_fma_f32 v[122:123], v[182:183], v[180:181], v[122:123] op_sel_hi:[0,1,1] neg_lo:[1,0,0] neg_hi:[1,0,0]
.LBB87_219:
	s_or_b64 exec, exec, s[2:3]
	v_cmp_eq_u32_e32 vcc, 40, v133
	s_waitcnt lgkmcnt(0)
	s_barrier
	s_and_saveexec_b64 s[2:3], vcc
	s_cbranch_execz .LBB87_222
; %bb.220:
	s_waitcnt vmcnt(8)
	v_pk_mov_b32 v[178:179], v[104:105], v[122:123] op_sel:[1,0]
	ds_write_b32 v135, v104
	ds_write2_b32 v137, v178, v179 offset0:41 offset1:42
	ds_write_b32 v137, v123 offset:172
	ds_read_b32 v177, v135
	s_waitcnt lgkmcnt(0)
	v_cmp_neq_f32_e32 vcc, 0, v177
	s_and_b64 exec, exec, vcc
	s_cbranch_execz .LBB87_222
; %bb.221:
	v_div_scale_f32 v178, s[4:5], v177, v177, 1.0
	v_rcp_f32_e32 v179, v178
	v_div_scale_f32 v180, vcc, 1.0, v177, 1.0
	v_fma_f32 v181, -v178, v179, 1.0
	v_fmac_f32_e32 v179, v181, v179
	v_mul_f32_e32 v181, v180, v179
	v_fma_f32 v182, -v178, v181, v180
	v_fmac_f32_e32 v181, v182, v179
	v_fma_f32 v178, -v178, v181, v180
	v_div_fmas_f32 v178, v178, v179, v181
	v_div_fixup_f32 v177, v178, v177, 1.0
	ds_write_b32 v135, v177
.LBB87_222:
	s_or_b64 exec, exec, s[2:3]
	s_waitcnt lgkmcnt(0)
	s_barrier
	ds_read_b32 v177, v135
	v_cmp_lt_u32_e32 vcc, 40, v133
	s_and_saveexec_b64 s[2:3], vcc
	s_cbranch_execz .LBB87_224
; %bb.223:
	ds_read_b32 v180, v137 offset:164
	ds_read_b64 v[178:179], v137 offset:168
	s_waitcnt vmcnt(11) lgkmcnt(2)
	v_mul_f32_e32 v104, v177, v104
	s_waitcnt vmcnt(10) lgkmcnt(1)
	v_fma_f32 v105, -v104, v180, v105
	s_waitcnt vmcnt(8) lgkmcnt(0)
	v_pk_fma_f32 v[122:123], v[104:105], v[178:179], v[122:123] op_sel_hi:[0,1,1] neg_lo:[1,0,0] neg_hi:[1,0,0]
.LBB87_224:
	s_or_b64 exec, exec, s[2:3]
	v_cmp_ne_u32_e32 vcc, 41, v133
	s_waitcnt lgkmcnt(0)
	s_barrier
	s_and_saveexec_b64 s[2:3], vcc
	s_xor_b64 s[2:3], exec, s[2:3]
	s_andn2_saveexec_b64 s[2:3], s[2:3]
	s_cbranch_execz .LBB87_228
; %bb.225:
	s_waitcnt vmcnt(10)
	ds_write_b32 v135, v105
	s_waitcnt vmcnt(8)
	ds_write_b64 v137, v[122:123] offset:168
	ds_read_b32 v178, v135
	s_waitcnt lgkmcnt(0)
	v_cmp_neq_f32_e32 vcc, 0, v178
	s_and_saveexec_b64 s[4:5], vcc
	s_cbranch_execz .LBB87_227
; %bb.226:
	v_div_scale_f32 v179, s[10:11], v178, v178, 1.0
	v_rcp_f32_e32 v180, v179
	v_div_scale_f32 v181, vcc, 1.0, v178, 1.0
	v_fma_f32 v182, -v179, v180, 1.0
	v_fmac_f32_e32 v180, v182, v180
	v_mul_f32_e32 v182, v181, v180
	v_fma_f32 v183, -v179, v182, v181
	v_fmac_f32_e32 v182, v183, v180
	v_fma_f32 v179, -v179, v182, v181
	v_div_fmas_f32 v179, v179, v180, v182
	v_div_fixup_f32 v178, v179, v178, 1.0
	ds_write_b32 v135, v178
.LBB87_227:
	s_or_b64 exec, exec, s[4:5]
.LBB87_228:
	s_or_b64 exec, exec, s[2:3]
	s_waitcnt lgkmcnt(0)
	s_barrier
	ds_read_b32 v178, v135
	v_cmp_lt_u32_e32 vcc, 41, v133
	s_and_saveexec_b64 s[2:3], vcc
	s_cbranch_execz .LBB87_230
; %bb.229:
	ds_read_b64 v[180:181], v137 offset:168
	s_waitcnt vmcnt(10) lgkmcnt(1)
	v_mul_f32_e32 v182, v178, v105
	v_mov_b32_e32 v105, v182
	s_waitcnt vmcnt(8) lgkmcnt(0)
	v_pk_fma_f32 v[122:123], v[182:183], v[180:181], v[122:123] op_sel_hi:[0,1,1] neg_lo:[1,0,0] neg_hi:[1,0,0]
.LBB87_230:
	s_or_b64 exec, exec, s[2:3]
	v_cmp_eq_u32_e32 vcc, 42, v133
	s_waitcnt lgkmcnt(0)
	s_barrier
	s_and_saveexec_b64 s[2:3], vcc
	s_cbranch_execz .LBB87_233
; %bb.231:
	s_waitcnt vmcnt(9)
	ds_write_b32 v135, v122
	s_waitcnt vmcnt(8)
	ds_write_b32 v137, v123 offset:172
	ds_read_b32 v179, v135
	s_waitcnt lgkmcnt(0)
	v_cmp_neq_f32_e32 vcc, 0, v179
	s_and_b64 exec, exec, vcc
	s_cbranch_execz .LBB87_233
; %bb.232:
	v_div_scale_f32 v180, s[4:5], v179, v179, 1.0
	v_rcp_f32_e32 v181, v180
	v_div_scale_f32 v182, vcc, 1.0, v179, 1.0
	v_fma_f32 v183, -v180, v181, 1.0
	v_fmac_f32_e32 v181, v183, v181
	v_mul_f32_e32 v183, v182, v181
	v_fma_f32 v184, -v180, v183, v182
	v_fmac_f32_e32 v183, v184, v181
	v_fma_f32 v180, -v180, v183, v182
	v_div_fmas_f32 v180, v180, v181, v183
	v_div_fixup_f32 v179, v180, v179, 1.0
	ds_write_b32 v135, v179
.LBB87_233:
	s_or_b64 exec, exec, s[2:3]
	s_waitcnt lgkmcnt(0)
	s_barrier
	ds_read_b32 v179, v135
	v_cmp_lt_u32_e32 vcc, 42, v133
	s_and_saveexec_b64 s[2:3], vcc
	s_cbranch_execz .LBB87_235
; %bb.234:
	ds_read_b32 v137, v137 offset:172
	s_waitcnt vmcnt(9) lgkmcnt(1)
	v_mul_f32_e32 v122, v179, v122
	s_waitcnt vmcnt(8) lgkmcnt(0)
	v_fma_f32 v123, -v122, v137, v123
.LBB87_235:
	s_or_b64 exec, exec, s[2:3]
	v_cmp_ne_u32_e32 vcc, 43, v133
	s_waitcnt lgkmcnt(0)
	s_barrier
	s_and_saveexec_b64 s[2:3], vcc
	s_xor_b64 s[2:3], exec, s[2:3]
	s_andn2_saveexec_b64 s[2:3], s[2:3]
	s_cbranch_execz .LBB87_239
; %bb.236:
	s_waitcnt vmcnt(8)
	v_cmp_neq_f32_e32 vcc, 0, v123
	ds_write_b32 v135, v123
	s_and_saveexec_b64 s[4:5], vcc
	s_cbranch_execz .LBB87_238
; %bb.237:
	v_div_scale_f32 v137, s[10:11], v123, v123, 1.0
	v_rcp_f32_e32 v180, v137
	v_div_scale_f32 v181, vcc, 1.0, v123, 1.0
	v_fma_f32 v182, -v137, v180, 1.0
	v_fmac_f32_e32 v180, v182, v180
	v_mul_f32_e32 v182, v181, v180
	v_fma_f32 v183, -v137, v182, v181
	v_fmac_f32_e32 v182, v183, v180
	v_fma_f32 v137, -v137, v182, v181
	v_div_fmas_f32 v137, v137, v180, v182
	v_div_fixup_f32 v137, v137, v123, 1.0
	ds_write_b32 v135, v137
.LBB87_238:
	s_or_b64 exec, exec, s[4:5]
.LBB87_239:
	s_or_b64 exec, exec, s[2:3]
	s_waitcnt lgkmcnt(0)
	s_barrier
	ds_read_b32 v135, v135
	s_waitcnt lgkmcnt(0)
	s_barrier
	s_and_saveexec_b64 s[2:3], s[0:1]
	s_cbranch_execz .LBB87_242
; %bb.240:
	v_cmp_eq_f32_e32 vcc, 0, v136
	v_cmp_neq_f32_e64 s[0:1], 0, v138
	v_mov_b32_e32 v137, s7
	v_cndmask_b32_e64 v136, 0, 1, vcc
	s_or_b64 vcc, s[0:1], vcc
	v_cndmask_b32_e32 v136, 2, v136, vcc
	v_cmp_eq_f32_e32 vcc, 0, v139
	v_cmp_eq_u32_e64 s[0:1], 0, v136
	s_and_b64 s[0:1], vcc, s[0:1]
	v_cmp_eq_f32_e32 vcc, 0, v140
	v_cndmask_b32_e64 v136, v136, 3, s[0:1]
	v_cmp_eq_u32_e64 s[0:1], 0, v136
	s_and_b64 s[0:1], vcc, s[0:1]
	v_cmp_eq_f32_e32 vcc, 0, v141
	v_cndmask_b32_e64 v136, v136, 4, s[0:1]
	;; [unrolled: 4-line block ×22, first 2 shown]
	v_mov_b32_e32 v136, s6
	v_lshl_add_u64 v[24:25], v[24:25], 2, v[136:137]
	global_load_dword v137, v[24:25], off
	v_cmp_eq_u32_e64 s[0:1], 0, v138
	s_and_b64 s[0:1], vcc, s[0:1]
	v_cmp_eq_f32_e32 vcc, 0, v162
	v_cndmask_b32_e64 v136, v138, 25, s[0:1]
	v_cmp_eq_u32_e64 s[0:1], 0, v136
	s_and_b64 s[0:1], vcc, s[0:1]
	v_cmp_eq_f32_e32 vcc, 0, v163
	v_cndmask_b32_e64 v136, v136, 26, s[0:1]
	;; [unrolled: 4-line block ×19, first 2 shown]
	v_cmp_eq_u32_e64 s[0:1], 0, v136
	s_and_b64 s[0:1], vcc, s[0:1]
	s_waitcnt vmcnt(0)
	v_cmp_eq_u32_e32 vcc, 0, v137
	v_cndmask_b32_e64 v136, v136, 44, s[0:1]
	v_cmp_ne_u32_e64 s[0:1], 0, v136
	s_and_b64 s[0:1], vcc, s[0:1]
	s_and_b64 exec, exec, s[0:1]
	s_cbranch_execz .LBB87_242
; %bb.241:
	v_add_u32_e32 v136, s9, v136
	global_store_dword v[24:25], v136, off
.LBB87_242:
	s_or_b64 exec, exec, s[2:3]
	s_waitcnt vmcnt(8)
	v_mul_f32_e32 v24, v135, v123
	v_cmp_lt_u32_e32 vcc, 43, v133
	s_nop 1
	v_cndmask_b32_e32 v24, v123, v24, vcc
	s_waitcnt vmcnt(1)
	global_store_dword v[0:1], v132, off
	s_waitcnt vmcnt(1)
	global_store_dword v[130:131], v134, off
	global_store_dword v[2:3], v126, off
	;; [unrolled: 1-line block ×43, first 2 shown]
.LBB87_243:
	s_endpgm
	.section	.rodata,"a",@progbits
	.p2align	6, 0x0
	.amdhsa_kernel _ZN9rocsolver6v33100L23getf2_npvt_small_kernelILi44EfiiPfEEvT1_T3_lS3_lPT2_S3_S3_
		.amdhsa_group_segment_fixed_size 0
		.amdhsa_private_segment_fixed_size 0
		.amdhsa_kernarg_size 312
		.amdhsa_user_sgpr_count 2
		.amdhsa_user_sgpr_dispatch_ptr 0
		.amdhsa_user_sgpr_queue_ptr 0
		.amdhsa_user_sgpr_kernarg_segment_ptr 1
		.amdhsa_user_sgpr_dispatch_id 0
		.amdhsa_user_sgpr_kernarg_preload_length 0
		.amdhsa_user_sgpr_kernarg_preload_offset 0
		.amdhsa_user_sgpr_private_segment_size 0
		.amdhsa_uses_dynamic_stack 0
		.amdhsa_enable_private_segment 0
		.amdhsa_system_sgpr_workgroup_id_x 1
		.amdhsa_system_sgpr_workgroup_id_y 1
		.amdhsa_system_sgpr_workgroup_id_z 0
		.amdhsa_system_sgpr_workgroup_info 0
		.amdhsa_system_vgpr_workitem_id 1
		.amdhsa_next_free_vgpr 185
		.amdhsa_next_free_sgpr 16
		.amdhsa_accum_offset 188
		.amdhsa_reserve_vcc 1
		.amdhsa_float_round_mode_32 0
		.amdhsa_float_round_mode_16_64 0
		.amdhsa_float_denorm_mode_32 3
		.amdhsa_float_denorm_mode_16_64 3
		.amdhsa_dx10_clamp 1
		.amdhsa_ieee_mode 1
		.amdhsa_fp16_overflow 0
		.amdhsa_tg_split 0
		.amdhsa_exception_fp_ieee_invalid_op 0
		.amdhsa_exception_fp_denorm_src 0
		.amdhsa_exception_fp_ieee_div_zero 0
		.amdhsa_exception_fp_ieee_overflow 0
		.amdhsa_exception_fp_ieee_underflow 0
		.amdhsa_exception_fp_ieee_inexact 0
		.amdhsa_exception_int_div_zero 0
	.end_amdhsa_kernel
	.section	.text._ZN9rocsolver6v33100L23getf2_npvt_small_kernelILi44EfiiPfEEvT1_T3_lS3_lPT2_S3_S3_,"axG",@progbits,_ZN9rocsolver6v33100L23getf2_npvt_small_kernelILi44EfiiPfEEvT1_T3_lS3_lPT2_S3_S3_,comdat
.Lfunc_end87:
	.size	_ZN9rocsolver6v33100L23getf2_npvt_small_kernelILi44EfiiPfEEvT1_T3_lS3_lPT2_S3_S3_, .Lfunc_end87-_ZN9rocsolver6v33100L23getf2_npvt_small_kernelILi44EfiiPfEEvT1_T3_lS3_lPT2_S3_S3_
                                        ; -- End function
	.set _ZN9rocsolver6v33100L23getf2_npvt_small_kernelILi44EfiiPfEEvT1_T3_lS3_lPT2_S3_S3_.num_vgpr, 185
	.set _ZN9rocsolver6v33100L23getf2_npvt_small_kernelILi44EfiiPfEEvT1_T3_lS3_lPT2_S3_S3_.num_agpr, 0
	.set _ZN9rocsolver6v33100L23getf2_npvt_small_kernelILi44EfiiPfEEvT1_T3_lS3_lPT2_S3_S3_.numbered_sgpr, 16
	.set _ZN9rocsolver6v33100L23getf2_npvt_small_kernelILi44EfiiPfEEvT1_T3_lS3_lPT2_S3_S3_.num_named_barrier, 0
	.set _ZN9rocsolver6v33100L23getf2_npvt_small_kernelILi44EfiiPfEEvT1_T3_lS3_lPT2_S3_S3_.private_seg_size, 0
	.set _ZN9rocsolver6v33100L23getf2_npvt_small_kernelILi44EfiiPfEEvT1_T3_lS3_lPT2_S3_S3_.uses_vcc, 1
	.set _ZN9rocsolver6v33100L23getf2_npvt_small_kernelILi44EfiiPfEEvT1_T3_lS3_lPT2_S3_S3_.uses_flat_scratch, 0
	.set _ZN9rocsolver6v33100L23getf2_npvt_small_kernelILi44EfiiPfEEvT1_T3_lS3_lPT2_S3_S3_.has_dyn_sized_stack, 0
	.set _ZN9rocsolver6v33100L23getf2_npvt_small_kernelILi44EfiiPfEEvT1_T3_lS3_lPT2_S3_S3_.has_recursion, 0
	.set _ZN9rocsolver6v33100L23getf2_npvt_small_kernelILi44EfiiPfEEvT1_T3_lS3_lPT2_S3_S3_.has_indirect_call, 0
	.section	.AMDGPU.csdata,"",@progbits
; Kernel info:
; codeLenInByte = 25316
; TotalNumSgprs: 22
; NumVgprs: 185
; NumAgprs: 0
; TotalNumVgprs: 185
; ScratchSize: 0
; MemoryBound: 0
; FloatMode: 240
; IeeeMode: 1
; LDSByteSize: 0 bytes/workgroup (compile time only)
; SGPRBlocks: 2
; VGPRBlocks: 23
; NumSGPRsForWavesPerEU: 22
; NumVGPRsForWavesPerEU: 185
; AccumOffset: 188
; Occupancy: 2
; WaveLimiterHint : 0
; COMPUTE_PGM_RSRC2:SCRATCH_EN: 0
; COMPUTE_PGM_RSRC2:USER_SGPR: 2
; COMPUTE_PGM_RSRC2:TRAP_HANDLER: 0
; COMPUTE_PGM_RSRC2:TGID_X_EN: 1
; COMPUTE_PGM_RSRC2:TGID_Y_EN: 1
; COMPUTE_PGM_RSRC2:TGID_Z_EN: 0
; COMPUTE_PGM_RSRC2:TIDIG_COMP_CNT: 1
; COMPUTE_PGM_RSRC3_GFX90A:ACCUM_OFFSET: 46
; COMPUTE_PGM_RSRC3_GFX90A:TG_SPLIT: 0
	.section	.text._ZN9rocsolver6v33100L18getf2_small_kernelILi45EfiiPfEEvT1_T3_lS3_lPS3_llPT2_S3_S3_S5_l,"axG",@progbits,_ZN9rocsolver6v33100L18getf2_small_kernelILi45EfiiPfEEvT1_T3_lS3_lPS3_llPT2_S3_S3_S5_l,comdat
	.globl	_ZN9rocsolver6v33100L18getf2_small_kernelILi45EfiiPfEEvT1_T3_lS3_lPS3_llPT2_S3_S3_S5_l ; -- Begin function _ZN9rocsolver6v33100L18getf2_small_kernelILi45EfiiPfEEvT1_T3_lS3_lPS3_llPT2_S3_S3_S5_l
	.p2align	8
	.type	_ZN9rocsolver6v33100L18getf2_small_kernelILi45EfiiPfEEvT1_T3_lS3_lPS3_llPT2_S3_S3_S5_l,@function
_ZN9rocsolver6v33100L18getf2_small_kernelILi45EfiiPfEEvT1_T3_lS3_lPS3_llPT2_S3_S3_S5_l: ; @_ZN9rocsolver6v33100L18getf2_small_kernelILi45EfiiPfEEvT1_T3_lS3_lPS3_llPT2_S3_S3_S5_l
; %bb.0:
	s_load_dword s2, s[0:1], 0x6c
	s_load_dwordx2 s[14:15], s[0:1], 0x48
	v_bfe_u32 v21, v0, 10, 10
	s_waitcnt lgkmcnt(0)
	s_lshr_b32 s2, s2, 16
	s_mul_i32 s3, s3, s2
	v_add_u32_e32 v4, s3, v21
	v_cmp_gt_i32_e32 vcc, s14, v4
	s_and_saveexec_b64 s[2:3], vcc
	s_cbranch_execz .LBB88_762
; %bb.1:
	s_load_dwordx4 s[4:7], s[0:1], 0x50
	v_ashrrev_i32_e32 v5, 31, v4
	v_mov_b64_e32 v[22:23], 0
	s_waitcnt lgkmcnt(0)
	s_cmp_eq_u64 s[4:5], 0
	s_cselect_b64 s[16:17], -1, 0
	s_and_b64 vcc, exec, s[16:17]
	s_cbranch_vccnz .LBB88_3
; %bb.2:
	v_mul_lo_u32 v1, s7, v4
	v_mul_lo_u32 v6, s6, v5
	v_mad_u64_u32 v[2:3], s[2:3], s6, v4, 0
	v_add3_u32 v3, v3, v6, v1
	v_lshl_add_u64 v[22:23], v[2:3], 2, s[4:5]
.LBB88_3:
	s_load_dwordx4 s[20:23], s[0:1], 0x8
	s_load_dwordx8 s[4:11], s[0:1], 0x20
	s_load_dword s12, s[0:1], 0x18
	v_and_b32_e32 v56, 0x3ff, v0
	v_lshlrev_b32_e32 v52, 2, v56
	s_waitcnt lgkmcnt(0)
	v_mov_b32_e32 v2, s20
	v_mul_lo_u32 v1, s5, v4
	v_mul_lo_u32 v8, s4, v5
	v_mad_u64_u32 v[6:7], s[2:3], s4, v4, 0
	v_mov_b32_e32 v3, s21
	v_add3_u32 v7, v7, v8, v1
	s_add_i32 s14, s12, s12
	v_lshl_add_u64 v[2:3], v[6:7], 2, v[2:3]
	v_add_u32_e32 v0, s14, v56
	v_lshl_add_u64 v[2:3], s[22:23], 2, v[2:3]
	v_ashrrev_i32_e32 v1, 31, v0
	v_lshl_add_u64 v[16:17], v[0:1], 2, v[2:3]
	v_add_u32_e32 v0, s12, v0
	v_ashrrev_i32_e32 v1, 31, v0
	v_lshl_add_u64 v[18:19], v[0:1], 2, v[2:3]
	v_add_u32_e32 v0, s12, v0
	;; [unrolled: 3-line block ×4, first 2 shown]
	v_mov_b32_e32 v53, 0
	v_add_u32_e32 v30, s12, v0
	v_lshl_add_u64 v[8:9], v[2:3], 0, v[52:53]
	s_ashr_i32 s13, s12, 31
	v_ashrrev_i32_e32 v1, 31, v0
	v_ashrrev_i32_e32 v31, 31, v30
	v_lshl_add_u64 v[12:13], s[12:13], 2, v[8:9]
	v_lshl_add_u64 v[28:29], v[0:1], 2, v[2:3]
	;; [unrolled: 1-line block ×3, first 2 shown]
	global_load_dword v20, v[8:9], off
	global_load_dword v14, v[12:13], off
	global_load_dword v15, v[16:17], off
	global_load_dword v10, v[18:19], off
	global_load_dword v11, v[24:25], off
	global_load_dword v6, v[26:27], off
	global_load_dword v7, v[28:29], off
	global_load_dword v0, v[32:33], off
	v_add_u32_e32 v8, s12, v30
	v_ashrrev_i32_e32 v9, 31, v8
	v_lshl_add_u64 v[16:17], v[8:9], 2, v[2:3]
	v_add_u32_e32 v8, s12, v8
	v_ashrrev_i32_e32 v9, 31, v8
	v_lshl_add_u64 v[24:25], v[8:9], 2, v[2:3]
	v_add_u32_e32 v8, s12, v8
	v_ashrrev_i32_e32 v9, 31, v8
	v_lshl_add_u64 v[26:27], v[8:9], 2, v[2:3]
	v_add_u32_e32 v8, s12, v8
	v_ashrrev_i32_e32 v9, 31, v8
	v_lshl_add_u64 v[30:31], v[8:9], 2, v[2:3]
	v_add_u32_e32 v8, s12, v8
	v_ashrrev_i32_e32 v9, 31, v8
	v_lshl_add_u64 v[32:33], v[8:9], 2, v[2:3]
	v_add_u32_e32 v8, s12, v8
	v_ashrrev_i32_e32 v9, 31, v8
	v_lshl_add_u64 v[34:35], v[8:9], 2, v[2:3]
	v_add_u32_e32 v8, s12, v8
	v_add_u32_e32 v38, s12, v8
	v_ashrrev_i32_e32 v9, 31, v8
	v_ashrrev_i32_e32 v39, 31, v38
	v_lshl_add_u64 v[36:37], v[8:9], 2, v[2:3]
	v_lshl_add_u64 v[40:41], v[38:39], 2, v[2:3]
	global_load_dword v1, v[16:17], off
	global_load_dword v28, v[24:25], off
	global_load_dword v29, v[26:27], off
	global_load_dword v18, v[30:31], off
	global_load_dword v19, v[32:33], off
	global_load_dword v12, v[34:35], off
	global_load_dword v13, v[36:37], off
	global_load_dword v8, v[40:41], off
	v_add_u32_e32 v16, s12, v38
	v_ashrrev_i32_e32 v17, 31, v16
	v_lshl_add_u64 v[26:27], v[16:17], 2, v[2:3]
	v_add_u32_e32 v16, s12, v16
	v_ashrrev_i32_e32 v17, 31, v16
	v_lshl_add_u64 v[32:33], v[16:17], 2, v[2:3]
	v_add_u32_e32 v16, s12, v16
	v_ashrrev_i32_e32 v17, 31, v16
	v_lshl_add_u64 v[36:37], v[16:17], 2, v[2:3]
	v_add_u32_e32 v16, s12, v16
	v_ashrrev_i32_e32 v17, 31, v16
	v_lshl_add_u64 v[38:39], v[16:17], 2, v[2:3]
	v_add_u32_e32 v16, s12, v16
	v_ashrrev_i32_e32 v17, 31, v16
	v_lshl_add_u64 v[40:41], v[16:17], 2, v[2:3]
	v_add_u32_e32 v16, s12, v16
	v_ashrrev_i32_e32 v17, 31, v16
	v_lshl_add_u64 v[42:43], v[16:17], 2, v[2:3]
	v_add_u32_e32 v16, s12, v16
	v_add_u32_e32 v46, s12, v16
	v_ashrrev_i32_e32 v17, 31, v16
	v_ashrrev_i32_e32 v47, 31, v46
	v_lshl_add_u64 v[44:45], v[16:17], 2, v[2:3]
	v_lshl_add_u64 v[48:49], v[46:47], 2, v[2:3]
	;; [unrolled: 32-line block ×4, first 2 shown]
	global_load_dword v27, v[40:41], off
	global_load_dword v50, v[46:47], off
	;; [unrolled: 1-line block ×5, first 2 shown]
                                        ; kill: killed $vgpr40_vgpr41
                                        ; kill: killed $vgpr46_vgpr47
                                        ; kill: killed $vgpr48_vgpr49
                                        ; kill: killed $vgpr54_vgpr55
                                        ; kill: killed $vgpr58_vgpr59
	s_nop 0
	global_load_dword v40, v[60:61], off
	global_load_dword v41, v[62:63], off
	;; [unrolled: 1-line block ×3, first 2 shown]
	v_add_u32_e32 v46, s12, v64
	v_ashrrev_i32_e32 v47, 31, v46
	v_lshl_add_u64 v[54:55], v[46:47], 2, v[2:3]
	v_add_u32_e32 v46, s12, v46
	v_ashrrev_i32_e32 v47, 31, v46
	v_lshl_add_u64 v[58:59], v[46:47], 2, v[2:3]
	;; [unrolled: 3-line block ×5, first 2 shown]
	global_load_dword v39, v[54:55], off
	global_load_dword v48, v[58:59], off
	;; [unrolled: 1-line block ×4, first 2 shown]
                                        ; kill: killed $vgpr58_vgpr59
                                        ; kill: killed $vgpr60_vgpr61
                                        ; kill: killed $vgpr62_vgpr63
                                        ; kill: killed $vgpr54_vgpr55
	global_load_dword v47, v[64:65], off
	s_load_dword s22, s[0:1], 0x0
	s_load_dwordx2 s[4:5], s[0:1], 0x40
	s_waitcnt lgkmcnt(0)
	s_max_i32 s0, s22, 45
	v_mul_lo_u32 v54, s0, v21
	v_lshl_add_u32 v21, v54, 2, 0
	v_add_u32_e32 v52, v21, v52
	s_waitcnt vmcnt(44)
	ds_write_b32 v52, v20
	s_waitcnt lgkmcnt(0)
	s_barrier
	ds_read_b32 v52, v21
	s_cmp_lt_i32 s22, 2
	v_lshlrev_b32_e32 v54, 2, v54
	s_cbranch_scc1 .LBB88_6
; %bb.4:
	v_add3_u32 v55, v54, 0, 4
	v_mov_b32_e32 v53, 0
	s_mov_b32 s0, 1
.LBB88_5:                               ; =>This Inner Loop Header: Depth=1
	ds_read_b32 v57, v55
	v_mov_b32_e32 v58, s0
	s_add_i32 s0, s0, 1
	v_add_u32_e32 v55, 4, v55
	s_cmp_eq_u32 s22, s0
	s_waitcnt lgkmcnt(0)
	v_cmp_lt_f32_e64 vcc, |v52|, |v57|
	s_nop 1
	v_cndmask_b32_e32 v52, v52, v57, vcc
	v_cndmask_b32_e32 v53, v53, v58, vcc
	s_cbranch_scc0 .LBB88_5
.LBB88_6:
	v_cmp_ne_u32_e32 vcc, v56, v53
                                        ; implicit-def: $vgpr55
	s_and_saveexec_b64 s[0:1], vcc
	s_xor_b64 s[0:1], exec, s[0:1]
	s_cbranch_execz .LBB88_12
; %bb.7:
	v_cmp_eq_u32_e32 vcc, 0, v56
	s_and_saveexec_b64 s[2:3], vcc
	s_cbranch_execz .LBB88_11
; %bb.8:
	v_cmp_ne_u32_e32 vcc, 0, v53
	s_xor_b64 s[18:19], s[16:17], -1
	s_and_b64 s[20:21], s[18:19], vcc
	s_and_saveexec_b64 s[18:19], s[20:21]
	s_cbranch_execz .LBB88_10
; %bb.9:
	v_ashrrev_i32_e32 v57, 31, v53
	v_mov_b32_e32 v56, v53
	v_lshl_add_u64 v[56:57], v[56:57], 2, v[22:23]
	global_load_dword v55, v[56:57], off
	global_load_dword v58, v[22:23], off
	s_waitcnt vmcnt(1)
	global_store_dword v[22:23], v55, off
	s_waitcnt vmcnt(1)
	global_store_dword v[56:57], v58, off
.LBB88_10:
	s_or_b64 exec, exec, s[18:19]
	v_mov_b32_e32 v56, v53
.LBB88_11:
	s_or_b64 exec, exec, s[2:3]
	v_mov_b32_e32 v55, v56
                                        ; implicit-def: $vgpr56
.LBB88_12:
	s_or_saveexec_b64 s[0:1], s[0:1]
	v_mov_b32_e32 v53, v55
	s_xor_b64 exec, exec, s[0:1]
	s_cbranch_execz .LBB88_14
; %bb.13:
	v_mov_b32_e32 v55, 0
	v_mov_b32_e32 v53, v56
	s_waitcnt vmcnt(42)
	ds_write2_b32 v21, v14, v15 offset0:1 offset1:2
	s_waitcnt vmcnt(40)
	ds_write2_b32 v21, v10, v11 offset0:3 offset1:4
	;; [unrolled: 2-line block ×22, first 2 shown]
.LBB88_14:
	s_or_b64 exec, exec, s[0:1]
	s_waitcnt lgkmcnt(0)
	v_cmp_eq_f32_e64 s[0:1], 0, v52
	v_cmp_lt_i32_e32 vcc, 0, v55
	s_barrier
	s_and_saveexec_b64 s[2:3], vcc
	s_cbranch_execz .LBB88_16
; %bb.15:
	v_div_scale_f32 v56, s[18:19], v52, v52, 1.0
	v_rcp_f32_e32 v57, v56
	s_nop 0
	v_fma_f32 v58, -v56, v57, 1.0
	v_fmac_f32_e32 v57, v58, v57
	v_div_scale_f32 v58, vcc, 1.0, v52, 1.0
	v_mul_f32_e32 v59, v58, v57
	v_fma_f32 v60, -v56, v59, v58
	v_fmac_f32_e32 v59, v60, v57
	v_fma_f32 v56, -v56, v59, v58
	v_div_fmas_f32 v56, v56, v57, v59
	v_div_fixup_f32 v56, v56, v52, 1.0
	v_cndmask_b32_e64 v52, v56, v52, s[0:1]
	ds_read2_b32 v[56:57], v21 offset0:1 offset1:2
	v_mul_f32_e32 v20, v52, v20
	s_waitcnt vmcnt(42) lgkmcnt(0)
	v_pk_fma_f32 v[14:15], v[20:21], v[56:57], v[14:15] op_sel_hi:[0,1,1] neg_lo:[1,0,0] neg_hi:[1,0,0]
	ds_read2_b32 v[56:57], v21 offset0:3 offset1:4
	s_waitcnt vmcnt(40) lgkmcnt(0)
	v_pk_fma_f32 v[10:11], v[20:21], v[56:57], v[10:11] op_sel_hi:[0,1,1] neg_lo:[1,0,0] neg_hi:[1,0,0]
	ds_read2_b32 v[56:57], v21 offset0:5 offset1:6
	;; [unrolled: 3-line block ×21, first 2 shown]
	s_waitcnt vmcnt(0) lgkmcnt(0)
	v_pk_fma_f32 v[46:47], v[20:21], v[56:57], v[46:47] op_sel_hi:[0,1,1] neg_lo:[1,0,0] neg_hi:[1,0,0]
.LBB88_16:
	s_or_b64 exec, exec, s[2:3]
	v_lshl_add_u32 v52, v55, 2, v21
	s_barrier
	s_waitcnt vmcnt(43)
	ds_write_b32 v52, v14
	s_waitcnt lgkmcnt(0)
	s_barrier
	ds_read_b32 v56, v21 offset:4
	s_mov_b32 s2, 2
	s_cmp_lt_i32 s22, 3
	v_mov_b32_e32 v52, 1
	s_cbranch_scc1 .LBB88_19
; %bb.17:
	v_add3_u32 v57, v54, 0, 8
	v_mov_b32_e32 v52, 1
.LBB88_18:                              ; =>This Inner Loop Header: Depth=1
	ds_read_b32 v58, v57
	v_mov_b32_e32 v59, s2
	s_add_i32 s2, s2, 1
	v_add_u32_e32 v57, 4, v57
	s_cmp_lg_u32 s22, s2
	s_waitcnt lgkmcnt(0)
	v_cmp_lt_f32_e64 vcc, |v56|, |v58|
	s_nop 1
	v_cndmask_b32_e32 v56, v56, v58, vcc
	v_cndmask_b32_e32 v52, v52, v59, vcc
	s_cbranch_scc1 .LBB88_18
.LBB88_19:
	v_cmp_ne_u32_e32 vcc, v55, v52
	s_and_saveexec_b64 s[2:3], vcc
	s_xor_b64 s[2:3], exec, s[2:3]
	s_cbranch_execz .LBB88_25
; %bb.20:
	v_cmp_eq_u32_e32 vcc, 1, v55
	s_and_saveexec_b64 s[18:19], vcc
	s_cbranch_execz .LBB88_24
; %bb.21:
	v_cmp_ne_u32_e32 vcc, 1, v52
	s_xor_b64 s[20:21], s[16:17], -1
	s_and_b64 s[24:25], s[20:21], vcc
	s_and_saveexec_b64 s[20:21], s[24:25]
	s_cbranch_execz .LBB88_23
; %bb.22:
	v_ashrrev_i32_e32 v53, 31, v52
	v_lshl_add_u64 v[58:59], v[52:53], 2, v[22:23]
	global_load_dword v53, v[58:59], off
	global_load_dword v55, v[22:23], off offset:4
	s_waitcnt vmcnt(1)
	global_store_dword v[22:23], v53, off offset:4
	s_waitcnt vmcnt(1)
	global_store_dword v[58:59], v55, off
.LBB88_23:
	s_or_b64 exec, exec, s[20:21]
	v_mov_b32_e32 v53, v52
	v_mov_b32_e32 v55, v52
.LBB88_24:
	s_or_b64 exec, exec, s[18:19]
.LBB88_25:
	s_andn2_saveexec_b64 s[2:3], s[2:3]
	s_cbranch_execz .LBB88_27
; %bb.26:
	s_waitcnt vmcnt(40)
	v_pk_mov_b32 v[58:59], v[14:15], v[10:11] op_sel:[1,0]
	ds_write2_b32 v21, v58, v59 offset0:2 offset1:3
	s_waitcnt vmcnt(38)
	v_pk_mov_b32 v[58:59], v[10:11], v[6:7] op_sel:[1,0]
	ds_write2_b32 v21, v58, v59 offset0:4 offset1:5
	;; [unrolled: 3-line block ×20, first 2 shown]
	s_waitcnt vmcnt(0)
	v_pk_mov_b32 v[58:59], v[48:49], v[46:47] op_sel:[1,0]
	v_mov_b32_e32 v55, 1
	ds_write2_b32 v21, v58, v59 offset0:42 offset1:43
	ds_write_b32 v21, v47 offset:176
.LBB88_27:
	s_or_b64 exec, exec, s[2:3]
	s_waitcnt lgkmcnt(0)
	v_cmp_neq_f32_e64 s[2:3], 0, v56
	v_cmp_lt_i32_e32 vcc, 1, v55
	s_barrier
	s_and_saveexec_b64 s[18:19], vcc
	s_cbranch_execz .LBB88_29
; %bb.28:
	v_div_scale_f32 v52, s[20:21], v56, v56, 1.0
	v_rcp_f32_e32 v57, v52
	s_nop 0
	v_fma_f32 v58, -v52, v57, 1.0
	v_fmac_f32_e32 v57, v58, v57
	v_div_scale_f32 v58, vcc, 1.0, v56, 1.0
	v_mul_f32_e32 v59, v58, v57
	v_fma_f32 v60, -v52, v59, v58
	v_fmac_f32_e32 v59, v60, v57
	v_fma_f32 v52, -v52, v59, v58
	v_div_fmas_f32 v52, v52, v57, v59
	v_div_fixup_f32 v52, v52, v56, 1.0
	v_cndmask_b32_e64 v52, v56, v52, s[2:3]
	v_mul_f32_e32 v14, v52, v14
	ds_read_b32 v52, v21 offset:8
	ds_read2_b32 v[56:57], v21 offset0:3 offset1:4
	s_waitcnt vmcnt(42) lgkmcnt(1)
	v_fma_f32 v15, -v14, v52, v15
	s_waitcnt vmcnt(40) lgkmcnt(0)
	v_pk_fma_f32 v[10:11], v[14:15], v[56:57], v[10:11] op_sel_hi:[0,1,1] neg_lo:[1,0,0] neg_hi:[1,0,0]
	ds_read2_b32 v[56:57], v21 offset0:5 offset1:6
	s_waitcnt vmcnt(38) lgkmcnt(0)
	v_pk_fma_f32 v[6:7], v[14:15], v[56:57], v[6:7] op_sel_hi:[0,1,1] neg_lo:[1,0,0] neg_hi:[1,0,0]
	ds_read2_b32 v[56:57], v21 offset0:7 offset1:8
	;; [unrolled: 3-line block ×20, first 2 shown]
	s_waitcnt vmcnt(0) lgkmcnt(0)
	v_pk_fma_f32 v[46:47], v[14:15], v[56:57], v[46:47] op_sel_hi:[0,1,1] neg_lo:[1,0,0] neg_hi:[1,0,0]
.LBB88_29:
	s_or_b64 exec, exec, s[18:19]
	v_lshl_add_u32 v52, v55, 2, v21
	s_barrier
	s_waitcnt vmcnt(42)
	ds_write_b32 v52, v15
	s_waitcnt lgkmcnt(0)
	s_barrier
	ds_read_b32 v57, v21 offset:8
	s_cmp_lt_i32 s22, 4
	v_mov_b32_e32 v52, 2
	s_cbranch_scc1 .LBB88_32
; %bb.30:
	v_mov_b32_e32 v52, 2
	v_add3_u32 v56, v54, 0, 12
	s_mov_b32 s18, 3
.LBB88_31:                              ; =>This Inner Loop Header: Depth=1
	ds_read_b32 v58, v56
	v_mov_b32_e32 v59, s18
	s_add_i32 s18, s18, 1
	v_add_u32_e32 v56, 4, v56
	s_cmp_lg_u32 s22, s18
	s_waitcnt lgkmcnt(0)
	v_cmp_lt_f32_e64 vcc, |v57|, |v58|
	s_nop 1
	v_cndmask_b32_e32 v57, v57, v58, vcc
	v_cndmask_b32_e32 v52, v52, v59, vcc
	s_cbranch_scc1 .LBB88_31
.LBB88_32:
	v_cndmask_b32_e64 v56, 2, 1, s[0:1]
	v_cndmask_b32_e64 v58, 0, 1, s[0:1]
	;; [unrolled: 1-line block ×3, first 2 shown]
	s_waitcnt lgkmcnt(0)
	v_cmp_eq_f32_e32 vcc, 0, v57
	s_and_saveexec_b64 s[0:1], vcc
	s_xor_b64 s[0:1], exec, s[0:1]
; %bb.33:
	v_cmp_ne_u32_e32 vcc, 0, v56
	s_nop 1
	v_cndmask_b32_e32 v56, 3, v56, vcc
; %bb.34:
	s_andn2_saveexec_b64 s[0:1], s[0:1]
	s_cbranch_execz .LBB88_36
; %bb.35:
	v_div_scale_f32 v58, s[2:3], v57, v57, 1.0
	v_rcp_f32_e32 v59, v58
	v_div_scale_f32 v60, vcc, 1.0, v57, 1.0
	v_fma_f32 v61, -v58, v59, 1.0
	v_fmac_f32_e32 v59, v61, v59
	v_mul_f32_e32 v61, v60, v59
	v_fma_f32 v62, -v58, v61, v60
	v_fmac_f32_e32 v61, v62, v59
	v_fma_f32 v58, -v58, v61, v60
	v_div_fmas_f32 v58, v58, v59, v61
	v_div_fixup_f32 v57, v58, v57, 1.0
.LBB88_36:
	s_or_b64 exec, exec, s[0:1]
	v_cmp_ne_u32_e32 vcc, v55, v52
	s_and_saveexec_b64 s[0:1], vcc
	s_xor_b64 s[0:1], exec, s[0:1]
	s_cbranch_execz .LBB88_42
; %bb.37:
	v_cmp_eq_u32_e32 vcc, 2, v55
	s_and_saveexec_b64 s[2:3], vcc
	s_cbranch_execz .LBB88_41
; %bb.38:
	v_cmp_ne_u32_e32 vcc, 2, v52
	s_xor_b64 s[18:19], s[16:17], -1
	s_and_b64 s[20:21], s[18:19], vcc
	s_and_saveexec_b64 s[18:19], s[20:21]
	s_cbranch_execz .LBB88_40
; %bb.39:
	v_ashrrev_i32_e32 v53, 31, v52
	v_lshl_add_u64 v[58:59], v[52:53], 2, v[22:23]
	global_load_dword v53, v[58:59], off
	global_load_dword v55, v[22:23], off offset:8
	s_waitcnt vmcnt(1)
	global_store_dword v[22:23], v53, off offset:8
	s_waitcnt vmcnt(1)
	global_store_dword v[58:59], v55, off
.LBB88_40:
	s_or_b64 exec, exec, s[18:19]
	v_mov_b32_e32 v53, v52
	v_mov_b32_e32 v55, v52
.LBB88_41:
	s_or_b64 exec, exec, s[2:3]
.LBB88_42:
	s_andn2_saveexec_b64 s[0:1], s[0:1]
	s_cbranch_execz .LBB88_44
; %bb.43:
	v_mov_b32_e32 v55, 2
	s_waitcnt vmcnt(40)
	ds_write2_b32 v21, v10, v11 offset0:3 offset1:4
	s_waitcnt vmcnt(38)
	ds_write2_b32 v21, v6, v7 offset0:5 offset1:6
	;; [unrolled: 2-line block ×21, first 2 shown]
.LBB88_44:
	s_or_b64 exec, exec, s[0:1]
	v_cmp_lt_i32_e32 vcc, 2, v55
	s_waitcnt lgkmcnt(0)
	s_barrier
	s_and_saveexec_b64 s[0:1], vcc
	s_cbranch_execz .LBB88_46
; %bb.45:
	ds_read2_b32 v[58:59], v21 offset0:3 offset1:4
	v_mul_f32_e32 v52, v57, v15
	v_mov_b32_e32 v15, v52
	s_waitcnt vmcnt(40) lgkmcnt(0)
	v_pk_fma_f32 v[10:11], v[52:53], v[58:59], v[10:11] op_sel_hi:[0,1,1] neg_lo:[1,0,0] neg_hi:[1,0,0]
	ds_read2_b32 v[58:59], v21 offset0:5 offset1:6
	s_waitcnt vmcnt(38) lgkmcnt(0)
	v_pk_fma_f32 v[6:7], v[52:53], v[58:59], v[6:7] op_sel_hi:[0,1,1] neg_lo:[1,0,0] neg_hi:[1,0,0]
	ds_read2_b32 v[58:59], v21 offset0:7 offset1:8
	;; [unrolled: 3-line block ×20, first 2 shown]
	s_waitcnt vmcnt(0) lgkmcnt(0)
	v_pk_fma_f32 v[46:47], v[52:53], v[58:59], v[46:47] op_sel_hi:[0,1,1] neg_lo:[1,0,0] neg_hi:[1,0,0]
.LBB88_46:
	s_or_b64 exec, exec, s[0:1]
	v_lshl_add_u32 v52, v55, 2, v21
	s_barrier
	s_waitcnt vmcnt(41)
	ds_write_b32 v52, v10
	s_waitcnt lgkmcnt(0)
	s_barrier
	ds_read_b32 v57, v21 offset:12
	s_cmp_lt_i32 s22, 5
	v_mov_b32_e32 v52, 3
	s_cbranch_scc1 .LBB88_49
; %bb.47:
	v_add3_u32 v58, v54, 0, 16
	v_mov_b32_e32 v52, 3
	s_mov_b32 s0, 4
.LBB88_48:                              ; =>This Inner Loop Header: Depth=1
	ds_read_b32 v59, v58
	v_mov_b32_e32 v60, s0
	s_add_i32 s0, s0, 1
	v_add_u32_e32 v58, 4, v58
	s_cmp_lg_u32 s22, s0
	s_waitcnt lgkmcnt(0)
	v_cmp_lt_f32_e64 vcc, |v57|, |v59|
	s_nop 1
	v_cndmask_b32_e32 v57, v57, v59, vcc
	v_cndmask_b32_e32 v52, v52, v60, vcc
	s_cbranch_scc1 .LBB88_48
.LBB88_49:
	s_waitcnt lgkmcnt(0)
	v_cmp_eq_f32_e32 vcc, 0, v57
	s_and_saveexec_b64 s[0:1], vcc
	s_xor_b64 s[0:1], exec, s[0:1]
; %bb.50:
	v_cmp_ne_u32_e32 vcc, 0, v56
	s_nop 1
	v_cndmask_b32_e32 v56, 4, v56, vcc
; %bb.51:
	s_andn2_saveexec_b64 s[0:1], s[0:1]
	s_cbranch_execz .LBB88_53
; %bb.52:
	v_div_scale_f32 v58, s[2:3], v57, v57, 1.0
	v_rcp_f32_e32 v59, v58
	v_div_scale_f32 v60, vcc, 1.0, v57, 1.0
	v_fma_f32 v61, -v58, v59, 1.0
	v_fmac_f32_e32 v59, v61, v59
	v_mul_f32_e32 v61, v60, v59
	v_fma_f32 v62, -v58, v61, v60
	v_fmac_f32_e32 v61, v62, v59
	v_fma_f32 v58, -v58, v61, v60
	v_div_fmas_f32 v58, v58, v59, v61
	v_div_fixup_f32 v57, v58, v57, 1.0
.LBB88_53:
	s_or_b64 exec, exec, s[0:1]
	v_cmp_ne_u32_e32 vcc, v55, v52
	s_and_saveexec_b64 s[0:1], vcc
	s_xor_b64 s[0:1], exec, s[0:1]
	s_cbranch_execz .LBB88_59
; %bb.54:
	v_cmp_eq_u32_e32 vcc, 3, v55
	s_and_saveexec_b64 s[2:3], vcc
	s_cbranch_execz .LBB88_58
; %bb.55:
	v_cmp_ne_u32_e32 vcc, 3, v52
	s_xor_b64 s[18:19], s[16:17], -1
	s_and_b64 s[20:21], s[18:19], vcc
	s_and_saveexec_b64 s[18:19], s[20:21]
	s_cbranch_execz .LBB88_57
; %bb.56:
	v_ashrrev_i32_e32 v53, 31, v52
	v_lshl_add_u64 v[58:59], v[52:53], 2, v[22:23]
	global_load_dword v53, v[58:59], off
	global_load_dword v55, v[22:23], off offset:12
	s_waitcnt vmcnt(1)
	global_store_dword v[22:23], v53, off offset:12
	s_waitcnt vmcnt(1)
	global_store_dword v[58:59], v55, off
.LBB88_57:
	s_or_b64 exec, exec, s[18:19]
	v_mov_b32_e32 v53, v52
	v_mov_b32_e32 v55, v52
.LBB88_58:
	s_or_b64 exec, exec, s[2:3]
.LBB88_59:
	s_andn2_saveexec_b64 s[0:1], s[0:1]
	s_cbranch_execz .LBB88_61
; %bb.60:
	s_waitcnt vmcnt(38)
	v_pk_mov_b32 v[58:59], v[10:11], v[6:7] op_sel:[1,0]
	ds_write2_b32 v21, v58, v59 offset0:4 offset1:5
	s_waitcnt vmcnt(36)
	v_pk_mov_b32 v[58:59], v[6:7], v[0:1] op_sel:[1,0]
	ds_write2_b32 v21, v58, v59 offset0:6 offset1:7
	;; [unrolled: 3-line block ×19, first 2 shown]
	s_waitcnt vmcnt(0)
	v_pk_mov_b32 v[58:59], v[48:49], v[46:47] op_sel:[1,0]
	v_mov_b32_e32 v55, 3
	ds_write2_b32 v21, v58, v59 offset0:42 offset1:43
	ds_write_b32 v21, v47 offset:176
.LBB88_61:
	s_or_b64 exec, exec, s[0:1]
	v_cmp_lt_i32_e32 vcc, 3, v55
	s_waitcnt lgkmcnt(0)
	s_barrier
	s_and_saveexec_b64 s[0:1], vcc
	s_cbranch_execz .LBB88_63
; %bb.62:
	ds_read_b32 v52, v21 offset:16
	ds_read2_b32 v[58:59], v21 offset0:5 offset1:6
	v_mul_f32_e32 v10, v57, v10
	s_waitcnt vmcnt(40) lgkmcnt(1)
	v_fma_f32 v11, -v10, v52, v11
	s_waitcnt vmcnt(38) lgkmcnt(0)
	v_pk_fma_f32 v[6:7], v[10:11], v[58:59], v[6:7] op_sel_hi:[0,1,1] neg_lo:[1,0,0] neg_hi:[1,0,0]
	ds_read2_b32 v[58:59], v21 offset0:7 offset1:8
	s_waitcnt vmcnt(36) lgkmcnt(0)
	v_pk_fma_f32 v[0:1], v[10:11], v[58:59], v[0:1] op_sel_hi:[0,1,1] neg_lo:[1,0,0] neg_hi:[1,0,0]
	ds_read2_b32 v[58:59], v21 offset0:9 offset1:10
	;; [unrolled: 3-line block ×19, first 2 shown]
	s_waitcnt vmcnt(0) lgkmcnt(0)
	v_pk_fma_f32 v[46:47], v[10:11], v[58:59], v[46:47] op_sel_hi:[0,1,1] neg_lo:[1,0,0] neg_hi:[1,0,0]
.LBB88_63:
	s_or_b64 exec, exec, s[0:1]
	v_lshl_add_u32 v52, v55, 2, v21
	s_barrier
	s_waitcnt vmcnt(40)
	ds_write_b32 v52, v11
	s_waitcnt lgkmcnt(0)
	s_barrier
	ds_read_b32 v57, v21 offset:16
	s_cmp_lt_i32 s22, 6
	v_mov_b32_e32 v52, 4
	s_cbranch_scc1 .LBB88_66
; %bb.64:
	v_add3_u32 v58, v54, 0, 20
	v_mov_b32_e32 v52, 4
	s_mov_b32 s0, 5
.LBB88_65:                              ; =>This Inner Loop Header: Depth=1
	ds_read_b32 v59, v58
	v_mov_b32_e32 v60, s0
	s_add_i32 s0, s0, 1
	v_add_u32_e32 v58, 4, v58
	s_cmp_lg_u32 s22, s0
	s_waitcnt lgkmcnt(0)
	v_cmp_lt_f32_e64 vcc, |v57|, |v59|
	s_nop 1
	v_cndmask_b32_e32 v57, v57, v59, vcc
	v_cndmask_b32_e32 v52, v52, v60, vcc
	s_cbranch_scc1 .LBB88_65
.LBB88_66:
	s_waitcnt lgkmcnt(0)
	v_cmp_eq_f32_e32 vcc, 0, v57
	s_and_saveexec_b64 s[0:1], vcc
	s_xor_b64 s[0:1], exec, s[0:1]
; %bb.67:
	v_cmp_ne_u32_e32 vcc, 0, v56
	s_nop 1
	v_cndmask_b32_e32 v56, 5, v56, vcc
; %bb.68:
	s_andn2_saveexec_b64 s[0:1], s[0:1]
	s_cbranch_execz .LBB88_70
; %bb.69:
	v_div_scale_f32 v58, s[2:3], v57, v57, 1.0
	v_rcp_f32_e32 v59, v58
	v_div_scale_f32 v60, vcc, 1.0, v57, 1.0
	v_fma_f32 v61, -v58, v59, 1.0
	v_fmac_f32_e32 v59, v61, v59
	v_mul_f32_e32 v61, v60, v59
	v_fma_f32 v62, -v58, v61, v60
	v_fmac_f32_e32 v61, v62, v59
	v_fma_f32 v58, -v58, v61, v60
	v_div_fmas_f32 v58, v58, v59, v61
	v_div_fixup_f32 v57, v58, v57, 1.0
.LBB88_70:
	s_or_b64 exec, exec, s[0:1]
	v_cmp_ne_u32_e32 vcc, v55, v52
	s_and_saveexec_b64 s[0:1], vcc
	s_xor_b64 s[0:1], exec, s[0:1]
	s_cbranch_execz .LBB88_76
; %bb.71:
	v_cmp_eq_u32_e32 vcc, 4, v55
	s_and_saveexec_b64 s[2:3], vcc
	s_cbranch_execz .LBB88_75
; %bb.72:
	v_cmp_ne_u32_e32 vcc, 4, v52
	s_xor_b64 s[18:19], s[16:17], -1
	s_and_b64 s[20:21], s[18:19], vcc
	s_and_saveexec_b64 s[18:19], s[20:21]
	s_cbranch_execz .LBB88_74
; %bb.73:
	v_ashrrev_i32_e32 v53, 31, v52
	v_lshl_add_u64 v[58:59], v[52:53], 2, v[22:23]
	global_load_dword v53, v[58:59], off
	global_load_dword v55, v[22:23], off offset:16
	s_waitcnt vmcnt(1)
	global_store_dword v[22:23], v53, off offset:16
	s_waitcnt vmcnt(1)
	global_store_dword v[58:59], v55, off
.LBB88_74:
	s_or_b64 exec, exec, s[18:19]
	v_mov_b32_e32 v53, v52
	v_mov_b32_e32 v55, v52
.LBB88_75:
	s_or_b64 exec, exec, s[2:3]
.LBB88_76:
	s_andn2_saveexec_b64 s[0:1], s[0:1]
	s_cbranch_execz .LBB88_78
; %bb.77:
	v_mov_b32_e32 v55, 4
	s_waitcnt vmcnt(38)
	ds_write2_b32 v21, v6, v7 offset0:5 offset1:6
	s_waitcnt vmcnt(36)
	ds_write2_b32 v21, v0, v1 offset0:7 offset1:8
	;; [unrolled: 2-line block ×20, first 2 shown]
.LBB88_78:
	s_or_b64 exec, exec, s[0:1]
	v_cmp_lt_i32_e32 vcc, 4, v55
	s_waitcnt lgkmcnt(0)
	s_barrier
	s_and_saveexec_b64 s[0:1], vcc
	s_cbranch_execz .LBB88_80
; %bb.79:
	ds_read2_b32 v[58:59], v21 offset0:5 offset1:6
	v_mul_f32_e32 v52, v57, v11
	v_mov_b32_e32 v11, v52
	s_waitcnt vmcnt(38) lgkmcnt(0)
	v_pk_fma_f32 v[6:7], v[52:53], v[58:59], v[6:7] op_sel_hi:[0,1,1] neg_lo:[1,0,0] neg_hi:[1,0,0]
	ds_read2_b32 v[58:59], v21 offset0:7 offset1:8
	s_waitcnt vmcnt(36) lgkmcnt(0)
	v_pk_fma_f32 v[0:1], v[52:53], v[58:59], v[0:1] op_sel_hi:[0,1,1] neg_lo:[1,0,0] neg_hi:[1,0,0]
	ds_read2_b32 v[58:59], v21 offset0:9 offset1:10
	s_waitcnt vmcnt(34) lgkmcnt(0)
	v_pk_fma_f32 v[28:29], v[52:53], v[58:59], v[28:29] op_sel_hi:[0,1,1] neg_lo:[1,0,0] neg_hi:[1,0,0]
	ds_read2_b32 v[58:59], v21 offset0:11 offset1:12
	s_waitcnt vmcnt(32) lgkmcnt(0)
	v_pk_fma_f32 v[18:19], v[52:53], v[58:59], v[18:19] op_sel_hi:[0,1,1] neg_lo:[1,0,0] neg_hi:[1,0,0]
	ds_read2_b32 v[58:59], v21 offset0:13 offset1:14
	s_waitcnt vmcnt(30) lgkmcnt(0)
	v_pk_fma_f32 v[12:13], v[52:53], v[58:59], v[12:13] op_sel_hi:[0,1,1] neg_lo:[1,0,0] neg_hi:[1,0,0]
	ds_read2_b32 v[58:59], v21 offset0:15 offset1:16
	s_waitcnt vmcnt(28) lgkmcnt(0)
	v_pk_fma_f32 v[8:9], v[52:53], v[58:59], v[8:9] op_sel_hi:[0,1,1] neg_lo:[1,0,0] neg_hi:[1,0,0]
	ds_read2_b32 v[58:59], v21 offset0:17 offset1:18
	s_waitcnt vmcnt(26) lgkmcnt(0)
	v_pk_fma_f32 v[34:35], v[52:53], v[58:59], v[34:35] op_sel_hi:[0,1,1] neg_lo:[1,0,0] neg_hi:[1,0,0]
	ds_read2_b32 v[58:59], v21 offset0:19 offset1:20
	s_waitcnt vmcnt(24) lgkmcnt(0)
	v_pk_fma_f32 v[30:31], v[52:53], v[58:59], v[30:31] op_sel_hi:[0,1,1] neg_lo:[1,0,0] neg_hi:[1,0,0]
	ds_read2_b32 v[58:59], v21 offset0:21 offset1:22
	s_waitcnt vmcnt(22) lgkmcnt(0)
	v_pk_fma_f32 v[24:25], v[52:53], v[58:59], v[24:25] op_sel_hi:[0,1,1] neg_lo:[1,0,0] neg_hi:[1,0,0]
	ds_read2_b32 v[58:59], v21 offset0:23 offset1:24
	s_waitcnt vmcnt(20) lgkmcnt(0)
	v_pk_fma_f32 v[16:17], v[52:53], v[58:59], v[16:17] op_sel_hi:[0,1,1] neg_lo:[1,0,0] neg_hi:[1,0,0]
	ds_read2_b32 v[58:59], v21 offset0:25 offset1:26
	s_waitcnt vmcnt(18) lgkmcnt(0)
	v_pk_fma_f32 v[42:43], v[52:53], v[58:59], v[42:43] op_sel_hi:[0,1,1] neg_lo:[1,0,0] neg_hi:[1,0,0]
	ds_read2_b32 v[58:59], v21 offset0:27 offset1:28
	s_waitcnt vmcnt(16) lgkmcnt(0)
	v_pk_fma_f32 v[36:37], v[52:53], v[58:59], v[36:37] op_sel_hi:[0,1,1] neg_lo:[1,0,0] neg_hi:[1,0,0]
	ds_read2_b32 v[58:59], v21 offset0:29 offset1:30
	s_waitcnt vmcnt(14) lgkmcnt(0)
	v_pk_fma_f32 v[32:33], v[52:53], v[58:59], v[32:33] op_sel_hi:[0,1,1] neg_lo:[1,0,0] neg_hi:[1,0,0]
	ds_read2_b32 v[58:59], v21 offset0:31 offset1:32
	s_waitcnt vmcnt(12) lgkmcnt(0)
	v_pk_fma_f32 v[26:27], v[52:53], v[58:59], v[26:27] op_sel_hi:[0,1,1] neg_lo:[1,0,0] neg_hi:[1,0,0]
	ds_read2_b32 v[58:59], v21 offset0:33 offset1:34
	s_waitcnt vmcnt(10) lgkmcnt(0)
	v_pk_fma_f32 v[50:51], v[52:53], v[58:59], v[50:51] op_sel_hi:[0,1,1] neg_lo:[1,0,0] neg_hi:[1,0,0]
	ds_read2_b32 v[58:59], v21 offset0:35 offset1:36
	s_waitcnt vmcnt(8) lgkmcnt(0)
	v_pk_fma_f32 v[44:45], v[52:53], v[58:59], v[44:45] op_sel_hi:[0,1,1] neg_lo:[1,0,0] neg_hi:[1,0,0]
	ds_read2_b32 v[58:59], v21 offset0:37 offset1:38
	s_waitcnt vmcnt(6) lgkmcnt(0)
	v_pk_fma_f32 v[40:41], v[52:53], v[58:59], v[40:41] op_sel_hi:[0,1,1] neg_lo:[1,0,0] neg_hi:[1,0,0]
	ds_read2_b32 v[58:59], v21 offset0:39 offset1:40
	s_waitcnt vmcnt(4) lgkmcnt(0)
	v_pk_fma_f32 v[38:39], v[52:53], v[58:59], v[38:39] op_sel_hi:[0,1,1] neg_lo:[1,0,0] neg_hi:[1,0,0]
	ds_read2_b32 v[58:59], v21 offset0:41 offset1:42
	s_waitcnt vmcnt(2) lgkmcnt(0)
	v_pk_fma_f32 v[48:49], v[52:53], v[58:59], v[48:49] op_sel_hi:[0,1,1] neg_lo:[1,0,0] neg_hi:[1,0,0]
	ds_read2_b32 v[58:59], v21 offset0:43 offset1:44
	s_waitcnt vmcnt(0) lgkmcnt(0)
	v_pk_fma_f32 v[46:47], v[52:53], v[58:59], v[46:47] op_sel_hi:[0,1,1] neg_lo:[1,0,0] neg_hi:[1,0,0]
.LBB88_80:
	s_or_b64 exec, exec, s[0:1]
	v_lshl_add_u32 v52, v55, 2, v21
	s_barrier
	s_waitcnt vmcnt(39)
	ds_write_b32 v52, v6
	s_waitcnt lgkmcnt(0)
	s_barrier
	ds_read_b32 v57, v21 offset:20
	s_cmp_lt_i32 s22, 7
	v_mov_b32_e32 v52, 5
	s_cbranch_scc1 .LBB88_83
; %bb.81:
	v_add3_u32 v58, v54, 0, 24
	v_mov_b32_e32 v52, 5
	s_mov_b32 s0, 6
.LBB88_82:                              ; =>This Inner Loop Header: Depth=1
	ds_read_b32 v59, v58
	v_mov_b32_e32 v60, s0
	s_add_i32 s0, s0, 1
	v_add_u32_e32 v58, 4, v58
	s_cmp_lg_u32 s22, s0
	s_waitcnt lgkmcnt(0)
	v_cmp_lt_f32_e64 vcc, |v57|, |v59|
	s_nop 1
	v_cndmask_b32_e32 v57, v57, v59, vcc
	v_cndmask_b32_e32 v52, v52, v60, vcc
	s_cbranch_scc1 .LBB88_82
.LBB88_83:
	s_waitcnt lgkmcnt(0)
	v_cmp_eq_f32_e32 vcc, 0, v57
	s_and_saveexec_b64 s[0:1], vcc
	s_xor_b64 s[0:1], exec, s[0:1]
; %bb.84:
	v_cmp_ne_u32_e32 vcc, 0, v56
	s_nop 1
	v_cndmask_b32_e32 v56, 6, v56, vcc
; %bb.85:
	s_andn2_saveexec_b64 s[0:1], s[0:1]
	s_cbranch_execz .LBB88_87
; %bb.86:
	v_div_scale_f32 v58, s[2:3], v57, v57, 1.0
	v_rcp_f32_e32 v59, v58
	v_div_scale_f32 v60, vcc, 1.0, v57, 1.0
	v_fma_f32 v61, -v58, v59, 1.0
	v_fmac_f32_e32 v59, v61, v59
	v_mul_f32_e32 v61, v60, v59
	v_fma_f32 v62, -v58, v61, v60
	v_fmac_f32_e32 v61, v62, v59
	v_fma_f32 v58, -v58, v61, v60
	v_div_fmas_f32 v58, v58, v59, v61
	v_div_fixup_f32 v57, v58, v57, 1.0
.LBB88_87:
	s_or_b64 exec, exec, s[0:1]
	v_cmp_ne_u32_e32 vcc, v55, v52
	s_and_saveexec_b64 s[0:1], vcc
	s_xor_b64 s[0:1], exec, s[0:1]
	s_cbranch_execz .LBB88_93
; %bb.88:
	v_cmp_eq_u32_e32 vcc, 5, v55
	s_and_saveexec_b64 s[2:3], vcc
	s_cbranch_execz .LBB88_92
; %bb.89:
	v_cmp_ne_u32_e32 vcc, 5, v52
	s_xor_b64 s[18:19], s[16:17], -1
	s_and_b64 s[20:21], s[18:19], vcc
	s_and_saveexec_b64 s[18:19], s[20:21]
	s_cbranch_execz .LBB88_91
; %bb.90:
	v_ashrrev_i32_e32 v53, 31, v52
	v_lshl_add_u64 v[58:59], v[52:53], 2, v[22:23]
	global_load_dword v53, v[58:59], off
	global_load_dword v55, v[22:23], off offset:20
	s_waitcnt vmcnt(1)
	global_store_dword v[22:23], v53, off offset:20
	s_waitcnt vmcnt(1)
	global_store_dword v[58:59], v55, off
.LBB88_91:
	s_or_b64 exec, exec, s[18:19]
	v_mov_b32_e32 v53, v52
	v_mov_b32_e32 v55, v52
.LBB88_92:
	s_or_b64 exec, exec, s[2:3]
.LBB88_93:
	s_andn2_saveexec_b64 s[0:1], s[0:1]
	s_cbranch_execz .LBB88_95
; %bb.94:
	s_waitcnt vmcnt(36)
	v_pk_mov_b32 v[58:59], v[6:7], v[0:1] op_sel:[1,0]
	ds_write2_b32 v21, v58, v59 offset0:6 offset1:7
	s_waitcnt vmcnt(34)
	v_pk_mov_b32 v[58:59], v[0:1], v[28:29] op_sel:[1,0]
	ds_write2_b32 v21, v58, v59 offset0:8 offset1:9
	;; [unrolled: 3-line block ×18, first 2 shown]
	s_waitcnt vmcnt(0)
	v_pk_mov_b32 v[58:59], v[48:49], v[46:47] op_sel:[1,0]
	v_mov_b32_e32 v55, 5
	ds_write2_b32 v21, v58, v59 offset0:42 offset1:43
	ds_write_b32 v21, v47 offset:176
.LBB88_95:
	s_or_b64 exec, exec, s[0:1]
	v_cmp_lt_i32_e32 vcc, 5, v55
	s_waitcnt lgkmcnt(0)
	s_barrier
	s_and_saveexec_b64 s[0:1], vcc
	s_cbranch_execz .LBB88_97
; %bb.96:
	ds_read_b32 v52, v21 offset:24
	ds_read2_b32 v[58:59], v21 offset0:7 offset1:8
	v_mul_f32_e32 v6, v57, v6
	s_waitcnt vmcnt(38) lgkmcnt(1)
	v_fma_f32 v7, -v6, v52, v7
	s_waitcnt vmcnt(36) lgkmcnt(0)
	v_pk_fma_f32 v[0:1], v[6:7], v[58:59], v[0:1] op_sel_hi:[0,1,1] neg_lo:[1,0,0] neg_hi:[1,0,0]
	ds_read2_b32 v[58:59], v21 offset0:9 offset1:10
	s_waitcnt vmcnt(34) lgkmcnt(0)
	v_pk_fma_f32 v[28:29], v[6:7], v[58:59], v[28:29] op_sel_hi:[0,1,1] neg_lo:[1,0,0] neg_hi:[1,0,0]
	ds_read2_b32 v[58:59], v21 offset0:11 offset1:12
	;; [unrolled: 3-line block ×18, first 2 shown]
	s_waitcnt vmcnt(0) lgkmcnt(0)
	v_pk_fma_f32 v[46:47], v[6:7], v[58:59], v[46:47] op_sel_hi:[0,1,1] neg_lo:[1,0,0] neg_hi:[1,0,0]
.LBB88_97:
	s_or_b64 exec, exec, s[0:1]
	v_lshl_add_u32 v52, v55, 2, v21
	s_barrier
	s_waitcnt vmcnt(38)
	ds_write_b32 v52, v7
	s_waitcnt lgkmcnt(0)
	s_barrier
	ds_read_b32 v57, v21 offset:24
	s_cmp_lt_i32 s22, 8
	v_mov_b32_e32 v52, 6
	s_cbranch_scc1 .LBB88_100
; %bb.98:
	v_add3_u32 v58, v54, 0, 28
	v_mov_b32_e32 v52, 6
	s_mov_b32 s0, 7
.LBB88_99:                              ; =>This Inner Loop Header: Depth=1
	ds_read_b32 v59, v58
	v_mov_b32_e32 v60, s0
	s_add_i32 s0, s0, 1
	v_add_u32_e32 v58, 4, v58
	s_cmp_lg_u32 s22, s0
	s_waitcnt lgkmcnt(0)
	v_cmp_lt_f32_e64 vcc, |v57|, |v59|
	s_nop 1
	v_cndmask_b32_e32 v57, v57, v59, vcc
	v_cndmask_b32_e32 v52, v52, v60, vcc
	s_cbranch_scc1 .LBB88_99
.LBB88_100:
	s_waitcnt lgkmcnt(0)
	v_cmp_eq_f32_e32 vcc, 0, v57
	s_and_saveexec_b64 s[0:1], vcc
	s_xor_b64 s[0:1], exec, s[0:1]
; %bb.101:
	v_cmp_ne_u32_e32 vcc, 0, v56
	s_nop 1
	v_cndmask_b32_e32 v56, 7, v56, vcc
; %bb.102:
	s_andn2_saveexec_b64 s[0:1], s[0:1]
	s_cbranch_execz .LBB88_104
; %bb.103:
	v_div_scale_f32 v58, s[2:3], v57, v57, 1.0
	v_rcp_f32_e32 v59, v58
	v_div_scale_f32 v60, vcc, 1.0, v57, 1.0
	v_fma_f32 v61, -v58, v59, 1.0
	v_fmac_f32_e32 v59, v61, v59
	v_mul_f32_e32 v61, v60, v59
	v_fma_f32 v62, -v58, v61, v60
	v_fmac_f32_e32 v61, v62, v59
	v_fma_f32 v58, -v58, v61, v60
	v_div_fmas_f32 v58, v58, v59, v61
	v_div_fixup_f32 v57, v58, v57, 1.0
.LBB88_104:
	s_or_b64 exec, exec, s[0:1]
	v_cmp_ne_u32_e32 vcc, v55, v52
	s_and_saveexec_b64 s[0:1], vcc
	s_xor_b64 s[0:1], exec, s[0:1]
	s_cbranch_execz .LBB88_110
; %bb.105:
	v_cmp_eq_u32_e32 vcc, 6, v55
	s_and_saveexec_b64 s[2:3], vcc
	s_cbranch_execz .LBB88_109
; %bb.106:
	v_cmp_ne_u32_e32 vcc, 6, v52
	s_xor_b64 s[18:19], s[16:17], -1
	s_and_b64 s[20:21], s[18:19], vcc
	s_and_saveexec_b64 s[18:19], s[20:21]
	s_cbranch_execz .LBB88_108
; %bb.107:
	v_ashrrev_i32_e32 v53, 31, v52
	v_lshl_add_u64 v[58:59], v[52:53], 2, v[22:23]
	global_load_dword v53, v[58:59], off
	global_load_dword v55, v[22:23], off offset:24
	s_waitcnt vmcnt(1)
	global_store_dword v[22:23], v53, off offset:24
	s_waitcnt vmcnt(1)
	global_store_dword v[58:59], v55, off
.LBB88_108:
	s_or_b64 exec, exec, s[18:19]
	v_mov_b32_e32 v53, v52
	v_mov_b32_e32 v55, v52
.LBB88_109:
	s_or_b64 exec, exec, s[2:3]
.LBB88_110:
	s_andn2_saveexec_b64 s[0:1], s[0:1]
	s_cbranch_execz .LBB88_112
; %bb.111:
	v_mov_b32_e32 v55, 6
	s_waitcnt vmcnt(36)
	ds_write2_b32 v21, v0, v1 offset0:7 offset1:8
	s_waitcnt vmcnt(34)
	ds_write2_b32 v21, v28, v29 offset0:9 offset1:10
	;; [unrolled: 2-line block ×19, first 2 shown]
.LBB88_112:
	s_or_b64 exec, exec, s[0:1]
	v_cmp_lt_i32_e32 vcc, 6, v55
	s_waitcnt lgkmcnt(0)
	s_barrier
	s_and_saveexec_b64 s[0:1], vcc
	s_cbranch_execz .LBB88_114
; %bb.113:
	ds_read2_b32 v[58:59], v21 offset0:7 offset1:8
	v_mul_f32_e32 v52, v57, v7
	v_mov_b32_e32 v7, v52
	s_waitcnt vmcnt(36) lgkmcnt(0)
	v_pk_fma_f32 v[0:1], v[52:53], v[58:59], v[0:1] op_sel_hi:[0,1,1] neg_lo:[1,0,0] neg_hi:[1,0,0]
	ds_read2_b32 v[58:59], v21 offset0:9 offset1:10
	s_waitcnt vmcnt(34) lgkmcnt(0)
	v_pk_fma_f32 v[28:29], v[52:53], v[58:59], v[28:29] op_sel_hi:[0,1,1] neg_lo:[1,0,0] neg_hi:[1,0,0]
	ds_read2_b32 v[58:59], v21 offset0:11 offset1:12
	s_waitcnt vmcnt(32) lgkmcnt(0)
	v_pk_fma_f32 v[18:19], v[52:53], v[58:59], v[18:19] op_sel_hi:[0,1,1] neg_lo:[1,0,0] neg_hi:[1,0,0]
	ds_read2_b32 v[58:59], v21 offset0:13 offset1:14
	s_waitcnt vmcnt(30) lgkmcnt(0)
	v_pk_fma_f32 v[12:13], v[52:53], v[58:59], v[12:13] op_sel_hi:[0,1,1] neg_lo:[1,0,0] neg_hi:[1,0,0]
	ds_read2_b32 v[58:59], v21 offset0:15 offset1:16
	s_waitcnt vmcnt(28) lgkmcnt(0)
	v_pk_fma_f32 v[8:9], v[52:53], v[58:59], v[8:9] op_sel_hi:[0,1,1] neg_lo:[1,0,0] neg_hi:[1,0,0]
	ds_read2_b32 v[58:59], v21 offset0:17 offset1:18
	s_waitcnt vmcnt(26) lgkmcnt(0)
	v_pk_fma_f32 v[34:35], v[52:53], v[58:59], v[34:35] op_sel_hi:[0,1,1] neg_lo:[1,0,0] neg_hi:[1,0,0]
	ds_read2_b32 v[58:59], v21 offset0:19 offset1:20
	s_waitcnt vmcnt(24) lgkmcnt(0)
	v_pk_fma_f32 v[30:31], v[52:53], v[58:59], v[30:31] op_sel_hi:[0,1,1] neg_lo:[1,0,0] neg_hi:[1,0,0]
	ds_read2_b32 v[58:59], v21 offset0:21 offset1:22
	s_waitcnt vmcnt(22) lgkmcnt(0)
	v_pk_fma_f32 v[24:25], v[52:53], v[58:59], v[24:25] op_sel_hi:[0,1,1] neg_lo:[1,0,0] neg_hi:[1,0,0]
	ds_read2_b32 v[58:59], v21 offset0:23 offset1:24
	s_waitcnt vmcnt(20) lgkmcnt(0)
	v_pk_fma_f32 v[16:17], v[52:53], v[58:59], v[16:17] op_sel_hi:[0,1,1] neg_lo:[1,0,0] neg_hi:[1,0,0]
	ds_read2_b32 v[58:59], v21 offset0:25 offset1:26
	s_waitcnt vmcnt(18) lgkmcnt(0)
	v_pk_fma_f32 v[42:43], v[52:53], v[58:59], v[42:43] op_sel_hi:[0,1,1] neg_lo:[1,0,0] neg_hi:[1,0,0]
	ds_read2_b32 v[58:59], v21 offset0:27 offset1:28
	s_waitcnt vmcnt(16) lgkmcnt(0)
	v_pk_fma_f32 v[36:37], v[52:53], v[58:59], v[36:37] op_sel_hi:[0,1,1] neg_lo:[1,0,0] neg_hi:[1,0,0]
	ds_read2_b32 v[58:59], v21 offset0:29 offset1:30
	s_waitcnt vmcnt(14) lgkmcnt(0)
	v_pk_fma_f32 v[32:33], v[52:53], v[58:59], v[32:33] op_sel_hi:[0,1,1] neg_lo:[1,0,0] neg_hi:[1,0,0]
	ds_read2_b32 v[58:59], v21 offset0:31 offset1:32
	s_waitcnt vmcnt(12) lgkmcnt(0)
	v_pk_fma_f32 v[26:27], v[52:53], v[58:59], v[26:27] op_sel_hi:[0,1,1] neg_lo:[1,0,0] neg_hi:[1,0,0]
	ds_read2_b32 v[58:59], v21 offset0:33 offset1:34
	s_waitcnt vmcnt(10) lgkmcnt(0)
	v_pk_fma_f32 v[50:51], v[52:53], v[58:59], v[50:51] op_sel_hi:[0,1,1] neg_lo:[1,0,0] neg_hi:[1,0,0]
	ds_read2_b32 v[58:59], v21 offset0:35 offset1:36
	s_waitcnt vmcnt(8) lgkmcnt(0)
	v_pk_fma_f32 v[44:45], v[52:53], v[58:59], v[44:45] op_sel_hi:[0,1,1] neg_lo:[1,0,0] neg_hi:[1,0,0]
	ds_read2_b32 v[58:59], v21 offset0:37 offset1:38
	s_waitcnt vmcnt(6) lgkmcnt(0)
	v_pk_fma_f32 v[40:41], v[52:53], v[58:59], v[40:41] op_sel_hi:[0,1,1] neg_lo:[1,0,0] neg_hi:[1,0,0]
	ds_read2_b32 v[58:59], v21 offset0:39 offset1:40
	s_waitcnt vmcnt(4) lgkmcnt(0)
	v_pk_fma_f32 v[38:39], v[52:53], v[58:59], v[38:39] op_sel_hi:[0,1,1] neg_lo:[1,0,0] neg_hi:[1,0,0]
	ds_read2_b32 v[58:59], v21 offset0:41 offset1:42
	s_waitcnt vmcnt(2) lgkmcnt(0)
	v_pk_fma_f32 v[48:49], v[52:53], v[58:59], v[48:49] op_sel_hi:[0,1,1] neg_lo:[1,0,0] neg_hi:[1,0,0]
	ds_read2_b32 v[58:59], v21 offset0:43 offset1:44
	s_waitcnt vmcnt(0) lgkmcnt(0)
	v_pk_fma_f32 v[46:47], v[52:53], v[58:59], v[46:47] op_sel_hi:[0,1,1] neg_lo:[1,0,0] neg_hi:[1,0,0]
.LBB88_114:
	s_or_b64 exec, exec, s[0:1]
	v_lshl_add_u32 v52, v55, 2, v21
	s_barrier
	s_waitcnt vmcnt(37)
	ds_write_b32 v52, v0
	s_waitcnt lgkmcnt(0)
	s_barrier
	ds_read_b32 v57, v21 offset:28
	s_cmp_lt_i32 s22, 9
	v_mov_b32_e32 v52, 7
	s_cbranch_scc1 .LBB88_117
; %bb.115:
	v_add3_u32 v58, v54, 0, 32
	v_mov_b32_e32 v52, 7
	s_mov_b32 s0, 8
.LBB88_116:                             ; =>This Inner Loop Header: Depth=1
	ds_read_b32 v59, v58
	v_mov_b32_e32 v60, s0
	s_add_i32 s0, s0, 1
	v_add_u32_e32 v58, 4, v58
	s_cmp_lg_u32 s22, s0
	s_waitcnt lgkmcnt(0)
	v_cmp_lt_f32_e64 vcc, |v57|, |v59|
	s_nop 1
	v_cndmask_b32_e32 v57, v57, v59, vcc
	v_cndmask_b32_e32 v52, v52, v60, vcc
	s_cbranch_scc1 .LBB88_116
.LBB88_117:
	s_waitcnt lgkmcnt(0)
	v_cmp_eq_f32_e32 vcc, 0, v57
	s_and_saveexec_b64 s[0:1], vcc
	s_xor_b64 s[0:1], exec, s[0:1]
; %bb.118:
	v_cmp_ne_u32_e32 vcc, 0, v56
	s_nop 1
	v_cndmask_b32_e32 v56, 8, v56, vcc
; %bb.119:
	s_andn2_saveexec_b64 s[0:1], s[0:1]
	s_cbranch_execz .LBB88_121
; %bb.120:
	v_div_scale_f32 v58, s[2:3], v57, v57, 1.0
	v_rcp_f32_e32 v59, v58
	v_div_scale_f32 v60, vcc, 1.0, v57, 1.0
	v_fma_f32 v61, -v58, v59, 1.0
	v_fmac_f32_e32 v59, v61, v59
	v_mul_f32_e32 v61, v60, v59
	v_fma_f32 v62, -v58, v61, v60
	v_fmac_f32_e32 v61, v62, v59
	v_fma_f32 v58, -v58, v61, v60
	v_div_fmas_f32 v58, v58, v59, v61
	v_div_fixup_f32 v57, v58, v57, 1.0
.LBB88_121:
	s_or_b64 exec, exec, s[0:1]
	v_cmp_ne_u32_e32 vcc, v55, v52
	s_and_saveexec_b64 s[0:1], vcc
	s_xor_b64 s[0:1], exec, s[0:1]
	s_cbranch_execz .LBB88_127
; %bb.122:
	v_cmp_eq_u32_e32 vcc, 7, v55
	s_and_saveexec_b64 s[2:3], vcc
	s_cbranch_execz .LBB88_126
; %bb.123:
	v_cmp_ne_u32_e32 vcc, 7, v52
	s_xor_b64 s[18:19], s[16:17], -1
	s_and_b64 s[20:21], s[18:19], vcc
	s_and_saveexec_b64 s[18:19], s[20:21]
	s_cbranch_execz .LBB88_125
; %bb.124:
	v_ashrrev_i32_e32 v53, 31, v52
	v_lshl_add_u64 v[58:59], v[52:53], 2, v[22:23]
	global_load_dword v53, v[58:59], off
	global_load_dword v55, v[22:23], off offset:28
	s_waitcnt vmcnt(1)
	global_store_dword v[22:23], v53, off offset:28
	s_waitcnt vmcnt(1)
	global_store_dword v[58:59], v55, off
.LBB88_125:
	s_or_b64 exec, exec, s[18:19]
	v_mov_b32_e32 v53, v52
	v_mov_b32_e32 v55, v52
.LBB88_126:
	s_or_b64 exec, exec, s[2:3]
.LBB88_127:
	s_andn2_saveexec_b64 s[0:1], s[0:1]
	s_cbranch_execz .LBB88_129
; %bb.128:
	s_waitcnt vmcnt(34)
	v_pk_mov_b32 v[58:59], v[0:1], v[28:29] op_sel:[1,0]
	ds_write2_b32 v21, v58, v59 offset0:8 offset1:9
	s_waitcnt vmcnt(32)
	v_pk_mov_b32 v[58:59], v[28:29], v[18:19] op_sel:[1,0]
	ds_write2_b32 v21, v58, v59 offset0:10 offset1:11
	;; [unrolled: 3-line block ×17, first 2 shown]
	s_waitcnt vmcnt(0)
	v_pk_mov_b32 v[58:59], v[48:49], v[46:47] op_sel:[1,0]
	v_mov_b32_e32 v55, 7
	ds_write2_b32 v21, v58, v59 offset0:42 offset1:43
	ds_write_b32 v21, v47 offset:176
.LBB88_129:
	s_or_b64 exec, exec, s[0:1]
	v_cmp_lt_i32_e32 vcc, 7, v55
	s_waitcnt lgkmcnt(0)
	s_barrier
	s_and_saveexec_b64 s[0:1], vcc
	s_cbranch_execz .LBB88_131
; %bb.130:
	ds_read_b32 v52, v21 offset:32
	ds_read2_b32 v[58:59], v21 offset0:9 offset1:10
	v_mul_f32_e32 v0, v57, v0
	s_waitcnt vmcnt(36) lgkmcnt(1)
	v_fma_f32 v1, -v0, v52, v1
	s_waitcnt vmcnt(34) lgkmcnt(0)
	v_pk_fma_f32 v[28:29], v[0:1], v[58:59], v[28:29] op_sel_hi:[0,1,1] neg_lo:[1,0,0] neg_hi:[1,0,0]
	ds_read2_b32 v[58:59], v21 offset0:11 offset1:12
	s_waitcnt vmcnt(32) lgkmcnt(0)
	v_pk_fma_f32 v[18:19], v[0:1], v[58:59], v[18:19] op_sel_hi:[0,1,1] neg_lo:[1,0,0] neg_hi:[1,0,0]
	ds_read2_b32 v[58:59], v21 offset0:13 offset1:14
	s_waitcnt vmcnt(30) lgkmcnt(0)
	v_pk_fma_f32 v[12:13], v[0:1], v[58:59], v[12:13] op_sel_hi:[0,1,1] neg_lo:[1,0,0] neg_hi:[1,0,0]
	ds_read2_b32 v[58:59], v21 offset0:15 offset1:16
	s_waitcnt vmcnt(28) lgkmcnt(0)
	v_pk_fma_f32 v[8:9], v[0:1], v[58:59], v[8:9] op_sel_hi:[0,1,1] neg_lo:[1,0,0] neg_hi:[1,0,0]
	ds_read2_b32 v[58:59], v21 offset0:17 offset1:18
	s_waitcnt vmcnt(26) lgkmcnt(0)
	v_pk_fma_f32 v[34:35], v[0:1], v[58:59], v[34:35] op_sel_hi:[0,1,1] neg_lo:[1,0,0] neg_hi:[1,0,0]
	ds_read2_b32 v[58:59], v21 offset0:19 offset1:20
	s_waitcnt vmcnt(24) lgkmcnt(0)
	v_pk_fma_f32 v[30:31], v[0:1], v[58:59], v[30:31] op_sel_hi:[0,1,1] neg_lo:[1,0,0] neg_hi:[1,0,0]
	ds_read2_b32 v[58:59], v21 offset0:21 offset1:22
	s_waitcnt vmcnt(22) lgkmcnt(0)
	v_pk_fma_f32 v[24:25], v[0:1], v[58:59], v[24:25] op_sel_hi:[0,1,1] neg_lo:[1,0,0] neg_hi:[1,0,0]
	ds_read2_b32 v[58:59], v21 offset0:23 offset1:24
	s_waitcnt vmcnt(20) lgkmcnt(0)
	v_pk_fma_f32 v[16:17], v[0:1], v[58:59], v[16:17] op_sel_hi:[0,1,1] neg_lo:[1,0,0] neg_hi:[1,0,0]
	ds_read2_b32 v[58:59], v21 offset0:25 offset1:26
	s_waitcnt vmcnt(18) lgkmcnt(0)
	v_pk_fma_f32 v[42:43], v[0:1], v[58:59], v[42:43] op_sel_hi:[0,1,1] neg_lo:[1,0,0] neg_hi:[1,0,0]
	ds_read2_b32 v[58:59], v21 offset0:27 offset1:28
	s_waitcnt vmcnt(16) lgkmcnt(0)
	v_pk_fma_f32 v[36:37], v[0:1], v[58:59], v[36:37] op_sel_hi:[0,1,1] neg_lo:[1,0,0] neg_hi:[1,0,0]
	ds_read2_b32 v[58:59], v21 offset0:29 offset1:30
	s_waitcnt vmcnt(14) lgkmcnt(0)
	v_pk_fma_f32 v[32:33], v[0:1], v[58:59], v[32:33] op_sel_hi:[0,1,1] neg_lo:[1,0,0] neg_hi:[1,0,0]
	ds_read2_b32 v[58:59], v21 offset0:31 offset1:32
	s_waitcnt vmcnt(12) lgkmcnt(0)
	v_pk_fma_f32 v[26:27], v[0:1], v[58:59], v[26:27] op_sel_hi:[0,1,1] neg_lo:[1,0,0] neg_hi:[1,0,0]
	ds_read2_b32 v[58:59], v21 offset0:33 offset1:34
	s_waitcnt vmcnt(10) lgkmcnt(0)
	v_pk_fma_f32 v[50:51], v[0:1], v[58:59], v[50:51] op_sel_hi:[0,1,1] neg_lo:[1,0,0] neg_hi:[1,0,0]
	ds_read2_b32 v[58:59], v21 offset0:35 offset1:36
	s_waitcnt vmcnt(8) lgkmcnt(0)
	v_pk_fma_f32 v[44:45], v[0:1], v[58:59], v[44:45] op_sel_hi:[0,1,1] neg_lo:[1,0,0] neg_hi:[1,0,0]
	ds_read2_b32 v[58:59], v21 offset0:37 offset1:38
	s_waitcnt vmcnt(6) lgkmcnt(0)
	v_pk_fma_f32 v[40:41], v[0:1], v[58:59], v[40:41] op_sel_hi:[0,1,1] neg_lo:[1,0,0] neg_hi:[1,0,0]
	ds_read2_b32 v[58:59], v21 offset0:39 offset1:40
	s_waitcnt vmcnt(4) lgkmcnt(0)
	v_pk_fma_f32 v[38:39], v[0:1], v[58:59], v[38:39] op_sel_hi:[0,1,1] neg_lo:[1,0,0] neg_hi:[1,0,0]
	ds_read2_b32 v[58:59], v21 offset0:41 offset1:42
	s_waitcnt vmcnt(2) lgkmcnt(0)
	v_pk_fma_f32 v[48:49], v[0:1], v[58:59], v[48:49] op_sel_hi:[0,1,1] neg_lo:[1,0,0] neg_hi:[1,0,0]
	ds_read2_b32 v[58:59], v21 offset0:43 offset1:44
	s_waitcnt vmcnt(0) lgkmcnt(0)
	v_pk_fma_f32 v[46:47], v[0:1], v[58:59], v[46:47] op_sel_hi:[0,1,1] neg_lo:[1,0,0] neg_hi:[1,0,0]
.LBB88_131:
	s_or_b64 exec, exec, s[0:1]
	v_lshl_add_u32 v52, v55, 2, v21
	s_barrier
	s_waitcnt vmcnt(36)
	ds_write_b32 v52, v1
	s_waitcnt lgkmcnt(0)
	s_barrier
	ds_read_b32 v57, v21 offset:32
	s_cmp_lt_i32 s22, 10
	v_mov_b32_e32 v52, 8
	s_cbranch_scc1 .LBB88_134
; %bb.132:
	v_add3_u32 v58, v54, 0, 36
	v_mov_b32_e32 v52, 8
	s_mov_b32 s0, 9
.LBB88_133:                             ; =>This Inner Loop Header: Depth=1
	ds_read_b32 v59, v58
	v_mov_b32_e32 v60, s0
	s_add_i32 s0, s0, 1
	v_add_u32_e32 v58, 4, v58
	s_cmp_lg_u32 s22, s0
	s_waitcnt lgkmcnt(0)
	v_cmp_lt_f32_e64 vcc, |v57|, |v59|
	s_nop 1
	v_cndmask_b32_e32 v57, v57, v59, vcc
	v_cndmask_b32_e32 v52, v52, v60, vcc
	s_cbranch_scc1 .LBB88_133
.LBB88_134:
	s_waitcnt lgkmcnt(0)
	v_cmp_eq_f32_e32 vcc, 0, v57
	s_and_saveexec_b64 s[0:1], vcc
	s_xor_b64 s[0:1], exec, s[0:1]
; %bb.135:
	v_cmp_ne_u32_e32 vcc, 0, v56
	s_nop 1
	v_cndmask_b32_e32 v56, 9, v56, vcc
; %bb.136:
	s_andn2_saveexec_b64 s[0:1], s[0:1]
	s_cbranch_execz .LBB88_138
; %bb.137:
	v_div_scale_f32 v58, s[2:3], v57, v57, 1.0
	v_rcp_f32_e32 v59, v58
	v_div_scale_f32 v60, vcc, 1.0, v57, 1.0
	v_fma_f32 v61, -v58, v59, 1.0
	v_fmac_f32_e32 v59, v61, v59
	v_mul_f32_e32 v61, v60, v59
	v_fma_f32 v62, -v58, v61, v60
	v_fmac_f32_e32 v61, v62, v59
	v_fma_f32 v58, -v58, v61, v60
	v_div_fmas_f32 v58, v58, v59, v61
	v_div_fixup_f32 v57, v58, v57, 1.0
.LBB88_138:
	s_or_b64 exec, exec, s[0:1]
	v_cmp_ne_u32_e32 vcc, v55, v52
	s_and_saveexec_b64 s[0:1], vcc
	s_xor_b64 s[0:1], exec, s[0:1]
	s_cbranch_execz .LBB88_144
; %bb.139:
	v_cmp_eq_u32_e32 vcc, 8, v55
	s_and_saveexec_b64 s[2:3], vcc
	s_cbranch_execz .LBB88_143
; %bb.140:
	v_cmp_ne_u32_e32 vcc, 8, v52
	s_xor_b64 s[18:19], s[16:17], -1
	s_and_b64 s[20:21], s[18:19], vcc
	s_and_saveexec_b64 s[18:19], s[20:21]
	s_cbranch_execz .LBB88_142
; %bb.141:
	v_ashrrev_i32_e32 v53, 31, v52
	v_lshl_add_u64 v[58:59], v[52:53], 2, v[22:23]
	global_load_dword v53, v[58:59], off
	global_load_dword v55, v[22:23], off offset:32
	s_waitcnt vmcnt(1)
	global_store_dword v[22:23], v53, off offset:32
	s_waitcnt vmcnt(1)
	global_store_dword v[58:59], v55, off
.LBB88_142:
	s_or_b64 exec, exec, s[18:19]
	v_mov_b32_e32 v53, v52
	v_mov_b32_e32 v55, v52
.LBB88_143:
	s_or_b64 exec, exec, s[2:3]
.LBB88_144:
	s_andn2_saveexec_b64 s[0:1], s[0:1]
	s_cbranch_execz .LBB88_146
; %bb.145:
	v_mov_b32_e32 v55, 8
	s_waitcnt vmcnt(34)
	ds_write2_b32 v21, v28, v29 offset0:9 offset1:10
	s_waitcnt vmcnt(32)
	ds_write2_b32 v21, v18, v19 offset0:11 offset1:12
	;; [unrolled: 2-line block ×18, first 2 shown]
.LBB88_146:
	s_or_b64 exec, exec, s[0:1]
	v_cmp_lt_i32_e32 vcc, 8, v55
	s_waitcnt lgkmcnt(0)
	s_barrier
	s_and_saveexec_b64 s[0:1], vcc
	s_cbranch_execz .LBB88_148
; %bb.147:
	ds_read2_b32 v[58:59], v21 offset0:9 offset1:10
	v_mul_f32_e32 v52, v57, v1
	v_mov_b32_e32 v1, v52
	s_waitcnt vmcnt(34) lgkmcnt(0)
	v_pk_fma_f32 v[28:29], v[52:53], v[58:59], v[28:29] op_sel_hi:[0,1,1] neg_lo:[1,0,0] neg_hi:[1,0,0]
	ds_read2_b32 v[58:59], v21 offset0:11 offset1:12
	s_waitcnt vmcnt(32) lgkmcnt(0)
	v_pk_fma_f32 v[18:19], v[52:53], v[58:59], v[18:19] op_sel_hi:[0,1,1] neg_lo:[1,0,0] neg_hi:[1,0,0]
	ds_read2_b32 v[58:59], v21 offset0:13 offset1:14
	;; [unrolled: 3-line block ×17, first 2 shown]
	s_waitcnt vmcnt(0) lgkmcnt(0)
	v_pk_fma_f32 v[46:47], v[52:53], v[58:59], v[46:47] op_sel_hi:[0,1,1] neg_lo:[1,0,0] neg_hi:[1,0,0]
.LBB88_148:
	s_or_b64 exec, exec, s[0:1]
	v_lshl_add_u32 v52, v55, 2, v21
	s_barrier
	s_waitcnt vmcnt(35)
	ds_write_b32 v52, v28
	s_waitcnt lgkmcnt(0)
	s_barrier
	ds_read_b32 v57, v21 offset:36
	s_cmp_lt_i32 s22, 11
	v_mov_b32_e32 v52, 9
	s_cbranch_scc1 .LBB88_151
; %bb.149:
	v_add3_u32 v58, v54, 0, 40
	v_mov_b32_e32 v52, 9
	s_mov_b32 s0, 10
.LBB88_150:                             ; =>This Inner Loop Header: Depth=1
	ds_read_b32 v59, v58
	v_mov_b32_e32 v60, s0
	s_add_i32 s0, s0, 1
	v_add_u32_e32 v58, 4, v58
	s_cmp_lg_u32 s22, s0
	s_waitcnt lgkmcnt(0)
	v_cmp_lt_f32_e64 vcc, |v57|, |v59|
	s_nop 1
	v_cndmask_b32_e32 v57, v57, v59, vcc
	v_cndmask_b32_e32 v52, v52, v60, vcc
	s_cbranch_scc1 .LBB88_150
.LBB88_151:
	s_waitcnt lgkmcnt(0)
	v_cmp_eq_f32_e32 vcc, 0, v57
	s_and_saveexec_b64 s[0:1], vcc
	s_xor_b64 s[0:1], exec, s[0:1]
; %bb.152:
	v_cmp_ne_u32_e32 vcc, 0, v56
	s_nop 1
	v_cndmask_b32_e32 v56, 10, v56, vcc
; %bb.153:
	s_andn2_saveexec_b64 s[0:1], s[0:1]
	s_cbranch_execz .LBB88_155
; %bb.154:
	v_div_scale_f32 v58, s[2:3], v57, v57, 1.0
	v_rcp_f32_e32 v59, v58
	v_div_scale_f32 v60, vcc, 1.0, v57, 1.0
	v_fma_f32 v61, -v58, v59, 1.0
	v_fmac_f32_e32 v59, v61, v59
	v_mul_f32_e32 v61, v60, v59
	v_fma_f32 v62, -v58, v61, v60
	v_fmac_f32_e32 v61, v62, v59
	v_fma_f32 v58, -v58, v61, v60
	v_div_fmas_f32 v58, v58, v59, v61
	v_div_fixup_f32 v57, v58, v57, 1.0
.LBB88_155:
	s_or_b64 exec, exec, s[0:1]
	v_cmp_ne_u32_e32 vcc, v55, v52
	s_and_saveexec_b64 s[0:1], vcc
	s_xor_b64 s[0:1], exec, s[0:1]
	s_cbranch_execz .LBB88_161
; %bb.156:
	v_cmp_eq_u32_e32 vcc, 9, v55
	s_and_saveexec_b64 s[2:3], vcc
	s_cbranch_execz .LBB88_160
; %bb.157:
	v_cmp_ne_u32_e32 vcc, 9, v52
	s_xor_b64 s[18:19], s[16:17], -1
	s_and_b64 s[20:21], s[18:19], vcc
	s_and_saveexec_b64 s[18:19], s[20:21]
	s_cbranch_execz .LBB88_159
; %bb.158:
	v_ashrrev_i32_e32 v53, 31, v52
	v_lshl_add_u64 v[58:59], v[52:53], 2, v[22:23]
	global_load_dword v53, v[58:59], off
	global_load_dword v55, v[22:23], off offset:36
	s_waitcnt vmcnt(1)
	global_store_dword v[22:23], v53, off offset:36
	s_waitcnt vmcnt(1)
	global_store_dword v[58:59], v55, off
.LBB88_159:
	s_or_b64 exec, exec, s[18:19]
	v_mov_b32_e32 v53, v52
	v_mov_b32_e32 v55, v52
.LBB88_160:
	s_or_b64 exec, exec, s[2:3]
.LBB88_161:
	s_andn2_saveexec_b64 s[0:1], s[0:1]
	s_cbranch_execz .LBB88_163
; %bb.162:
	s_waitcnt vmcnt(32)
	v_pk_mov_b32 v[58:59], v[28:29], v[18:19] op_sel:[1,0]
	ds_write2_b32 v21, v58, v59 offset0:10 offset1:11
	s_waitcnt vmcnt(30)
	v_pk_mov_b32 v[58:59], v[18:19], v[12:13] op_sel:[1,0]
	ds_write2_b32 v21, v58, v59 offset0:12 offset1:13
	;; [unrolled: 3-line block ×16, first 2 shown]
	s_waitcnt vmcnt(0)
	v_pk_mov_b32 v[58:59], v[48:49], v[46:47] op_sel:[1,0]
	v_mov_b32_e32 v55, 9
	ds_write2_b32 v21, v58, v59 offset0:42 offset1:43
	ds_write_b32 v21, v47 offset:176
.LBB88_163:
	s_or_b64 exec, exec, s[0:1]
	v_cmp_lt_i32_e32 vcc, 9, v55
	s_waitcnt lgkmcnt(0)
	s_barrier
	s_and_saveexec_b64 s[0:1], vcc
	s_cbranch_execz .LBB88_165
; %bb.164:
	ds_read_b32 v52, v21 offset:40
	ds_read2_b32 v[58:59], v21 offset0:11 offset1:12
	v_mul_f32_e32 v28, v57, v28
	s_waitcnt vmcnt(34) lgkmcnt(1)
	v_fma_f32 v29, -v28, v52, v29
	s_waitcnt vmcnt(32) lgkmcnt(0)
	v_pk_fma_f32 v[18:19], v[28:29], v[58:59], v[18:19] op_sel_hi:[0,1,1] neg_lo:[1,0,0] neg_hi:[1,0,0]
	ds_read2_b32 v[58:59], v21 offset0:13 offset1:14
	s_waitcnt vmcnt(30) lgkmcnt(0)
	v_pk_fma_f32 v[12:13], v[28:29], v[58:59], v[12:13] op_sel_hi:[0,1,1] neg_lo:[1,0,0] neg_hi:[1,0,0]
	ds_read2_b32 v[58:59], v21 offset0:15 offset1:16
	;; [unrolled: 3-line block ×16, first 2 shown]
	s_waitcnt vmcnt(0) lgkmcnt(0)
	v_pk_fma_f32 v[46:47], v[28:29], v[58:59], v[46:47] op_sel_hi:[0,1,1] neg_lo:[1,0,0] neg_hi:[1,0,0]
.LBB88_165:
	s_or_b64 exec, exec, s[0:1]
	v_lshl_add_u32 v52, v55, 2, v21
	s_barrier
	s_waitcnt vmcnt(34)
	ds_write_b32 v52, v29
	s_waitcnt lgkmcnt(0)
	s_barrier
	ds_read_b32 v57, v21 offset:40
	s_cmp_lt_i32 s22, 12
	v_mov_b32_e32 v52, 10
	s_cbranch_scc1 .LBB88_168
; %bb.166:
	v_add3_u32 v58, v54, 0, 44
	v_mov_b32_e32 v52, 10
	s_mov_b32 s0, 11
.LBB88_167:                             ; =>This Inner Loop Header: Depth=1
	ds_read_b32 v59, v58
	v_mov_b32_e32 v60, s0
	s_add_i32 s0, s0, 1
	v_add_u32_e32 v58, 4, v58
	s_cmp_lg_u32 s22, s0
	s_waitcnt lgkmcnt(0)
	v_cmp_lt_f32_e64 vcc, |v57|, |v59|
	s_nop 1
	v_cndmask_b32_e32 v57, v57, v59, vcc
	v_cndmask_b32_e32 v52, v52, v60, vcc
	s_cbranch_scc1 .LBB88_167
.LBB88_168:
	s_waitcnt lgkmcnt(0)
	v_cmp_eq_f32_e32 vcc, 0, v57
	s_and_saveexec_b64 s[0:1], vcc
	s_xor_b64 s[0:1], exec, s[0:1]
; %bb.169:
	v_cmp_ne_u32_e32 vcc, 0, v56
	s_nop 1
	v_cndmask_b32_e32 v56, 11, v56, vcc
; %bb.170:
	s_andn2_saveexec_b64 s[0:1], s[0:1]
	s_cbranch_execz .LBB88_172
; %bb.171:
	v_div_scale_f32 v58, s[2:3], v57, v57, 1.0
	v_rcp_f32_e32 v59, v58
	v_div_scale_f32 v60, vcc, 1.0, v57, 1.0
	v_fma_f32 v61, -v58, v59, 1.0
	v_fmac_f32_e32 v59, v61, v59
	v_mul_f32_e32 v61, v60, v59
	v_fma_f32 v62, -v58, v61, v60
	v_fmac_f32_e32 v61, v62, v59
	v_fma_f32 v58, -v58, v61, v60
	v_div_fmas_f32 v58, v58, v59, v61
	v_div_fixup_f32 v57, v58, v57, 1.0
.LBB88_172:
	s_or_b64 exec, exec, s[0:1]
	v_cmp_ne_u32_e32 vcc, v55, v52
	s_and_saveexec_b64 s[0:1], vcc
	s_xor_b64 s[0:1], exec, s[0:1]
	s_cbranch_execz .LBB88_178
; %bb.173:
	v_cmp_eq_u32_e32 vcc, 10, v55
	s_and_saveexec_b64 s[2:3], vcc
	s_cbranch_execz .LBB88_177
; %bb.174:
	v_cmp_ne_u32_e32 vcc, 10, v52
	s_xor_b64 s[18:19], s[16:17], -1
	s_and_b64 s[20:21], s[18:19], vcc
	s_and_saveexec_b64 s[18:19], s[20:21]
	s_cbranch_execz .LBB88_176
; %bb.175:
	v_ashrrev_i32_e32 v53, 31, v52
	v_lshl_add_u64 v[58:59], v[52:53], 2, v[22:23]
	global_load_dword v53, v[58:59], off
	global_load_dword v55, v[22:23], off offset:40
	s_waitcnt vmcnt(1)
	global_store_dword v[22:23], v53, off offset:40
	s_waitcnt vmcnt(1)
	global_store_dword v[58:59], v55, off
.LBB88_176:
	s_or_b64 exec, exec, s[18:19]
	v_mov_b32_e32 v53, v52
	v_mov_b32_e32 v55, v52
.LBB88_177:
	s_or_b64 exec, exec, s[2:3]
.LBB88_178:
	s_andn2_saveexec_b64 s[0:1], s[0:1]
	s_cbranch_execz .LBB88_180
; %bb.179:
	v_mov_b32_e32 v55, 10
	s_waitcnt vmcnt(32)
	ds_write2_b32 v21, v18, v19 offset0:11 offset1:12
	s_waitcnt vmcnt(30)
	ds_write2_b32 v21, v12, v13 offset0:13 offset1:14
	s_waitcnt vmcnt(28)
	ds_write2_b32 v21, v8, v9 offset0:15 offset1:16
	s_waitcnt vmcnt(26)
	ds_write2_b32 v21, v34, v35 offset0:17 offset1:18
	s_waitcnt vmcnt(24)
	ds_write2_b32 v21, v30, v31 offset0:19 offset1:20
	s_waitcnt vmcnt(22)
	ds_write2_b32 v21, v24, v25 offset0:21 offset1:22
	s_waitcnt vmcnt(20)
	ds_write2_b32 v21, v16, v17 offset0:23 offset1:24
	s_waitcnt vmcnt(18)
	ds_write2_b32 v21, v42, v43 offset0:25 offset1:26
	s_waitcnt vmcnt(16)
	ds_write2_b32 v21, v36, v37 offset0:27 offset1:28
	s_waitcnt vmcnt(14)
	ds_write2_b32 v21, v32, v33 offset0:29 offset1:30
	s_waitcnt vmcnt(12)
	ds_write2_b32 v21, v26, v27 offset0:31 offset1:32
	s_waitcnt vmcnt(10)
	ds_write2_b32 v21, v50, v51 offset0:33 offset1:34
	s_waitcnt vmcnt(8)
	ds_write2_b32 v21, v44, v45 offset0:35 offset1:36
	s_waitcnt vmcnt(6)
	ds_write2_b32 v21, v40, v41 offset0:37 offset1:38
	s_waitcnt vmcnt(4)
	ds_write2_b32 v21, v38, v39 offset0:39 offset1:40
	s_waitcnt vmcnt(2)
	ds_write2_b32 v21, v48, v49 offset0:41 offset1:42
	s_waitcnt vmcnt(0)
	ds_write2_b32 v21, v46, v47 offset0:43 offset1:44
.LBB88_180:
	s_or_b64 exec, exec, s[0:1]
	v_cmp_lt_i32_e32 vcc, 10, v55
	s_waitcnt lgkmcnt(0)
	s_barrier
	s_and_saveexec_b64 s[0:1], vcc
	s_cbranch_execz .LBB88_182
; %bb.181:
	ds_read2_b32 v[58:59], v21 offset0:11 offset1:12
	v_mul_f32_e32 v52, v57, v29
	v_mov_b32_e32 v29, v52
	s_waitcnt vmcnt(32) lgkmcnt(0)
	v_pk_fma_f32 v[18:19], v[52:53], v[58:59], v[18:19] op_sel_hi:[0,1,1] neg_lo:[1,0,0] neg_hi:[1,0,0]
	ds_read2_b32 v[58:59], v21 offset0:13 offset1:14
	s_waitcnt vmcnt(30) lgkmcnt(0)
	v_pk_fma_f32 v[12:13], v[52:53], v[58:59], v[12:13] op_sel_hi:[0,1,1] neg_lo:[1,0,0] neg_hi:[1,0,0]
	ds_read2_b32 v[58:59], v21 offset0:15 offset1:16
	;; [unrolled: 3-line block ×16, first 2 shown]
	s_waitcnt vmcnt(0) lgkmcnt(0)
	v_pk_fma_f32 v[46:47], v[52:53], v[58:59], v[46:47] op_sel_hi:[0,1,1] neg_lo:[1,0,0] neg_hi:[1,0,0]
.LBB88_182:
	s_or_b64 exec, exec, s[0:1]
	v_lshl_add_u32 v52, v55, 2, v21
	s_barrier
	s_waitcnt vmcnt(33)
	ds_write_b32 v52, v18
	s_waitcnt lgkmcnt(0)
	s_barrier
	ds_read_b32 v57, v21 offset:44
	s_cmp_lt_i32 s22, 13
	v_mov_b32_e32 v52, 11
	s_cbranch_scc1 .LBB88_185
; %bb.183:
	v_add3_u32 v58, v54, 0, 48
	v_mov_b32_e32 v52, 11
	s_mov_b32 s0, 12
.LBB88_184:                             ; =>This Inner Loop Header: Depth=1
	ds_read_b32 v59, v58
	v_mov_b32_e32 v60, s0
	s_add_i32 s0, s0, 1
	v_add_u32_e32 v58, 4, v58
	s_cmp_lg_u32 s22, s0
	s_waitcnt lgkmcnt(0)
	v_cmp_lt_f32_e64 vcc, |v57|, |v59|
	s_nop 1
	v_cndmask_b32_e32 v57, v57, v59, vcc
	v_cndmask_b32_e32 v52, v52, v60, vcc
	s_cbranch_scc1 .LBB88_184
.LBB88_185:
	s_waitcnt lgkmcnt(0)
	v_cmp_eq_f32_e32 vcc, 0, v57
	s_and_saveexec_b64 s[0:1], vcc
	s_xor_b64 s[0:1], exec, s[0:1]
; %bb.186:
	v_cmp_ne_u32_e32 vcc, 0, v56
	s_nop 1
	v_cndmask_b32_e32 v56, 12, v56, vcc
; %bb.187:
	s_andn2_saveexec_b64 s[0:1], s[0:1]
	s_cbranch_execz .LBB88_189
; %bb.188:
	v_div_scale_f32 v58, s[2:3], v57, v57, 1.0
	v_rcp_f32_e32 v59, v58
	v_div_scale_f32 v60, vcc, 1.0, v57, 1.0
	v_fma_f32 v61, -v58, v59, 1.0
	v_fmac_f32_e32 v59, v61, v59
	v_mul_f32_e32 v61, v60, v59
	v_fma_f32 v62, -v58, v61, v60
	v_fmac_f32_e32 v61, v62, v59
	v_fma_f32 v58, -v58, v61, v60
	v_div_fmas_f32 v58, v58, v59, v61
	v_div_fixup_f32 v57, v58, v57, 1.0
.LBB88_189:
	s_or_b64 exec, exec, s[0:1]
	v_cmp_ne_u32_e32 vcc, v55, v52
	s_and_saveexec_b64 s[0:1], vcc
	s_xor_b64 s[0:1], exec, s[0:1]
	s_cbranch_execz .LBB88_195
; %bb.190:
	v_cmp_eq_u32_e32 vcc, 11, v55
	s_and_saveexec_b64 s[2:3], vcc
	s_cbranch_execz .LBB88_194
; %bb.191:
	v_cmp_ne_u32_e32 vcc, 11, v52
	s_xor_b64 s[18:19], s[16:17], -1
	s_and_b64 s[20:21], s[18:19], vcc
	s_and_saveexec_b64 s[18:19], s[20:21]
	s_cbranch_execz .LBB88_193
; %bb.192:
	v_ashrrev_i32_e32 v53, 31, v52
	v_lshl_add_u64 v[58:59], v[52:53], 2, v[22:23]
	global_load_dword v53, v[58:59], off
	global_load_dword v55, v[22:23], off offset:44
	s_waitcnt vmcnt(1)
	global_store_dword v[22:23], v53, off offset:44
	s_waitcnt vmcnt(1)
	global_store_dword v[58:59], v55, off
.LBB88_193:
	s_or_b64 exec, exec, s[18:19]
	v_mov_b32_e32 v53, v52
	v_mov_b32_e32 v55, v52
.LBB88_194:
	s_or_b64 exec, exec, s[2:3]
.LBB88_195:
	s_andn2_saveexec_b64 s[0:1], s[0:1]
	s_cbranch_execz .LBB88_197
; %bb.196:
	s_waitcnt vmcnt(30)
	v_pk_mov_b32 v[58:59], v[18:19], v[12:13] op_sel:[1,0]
	ds_write2_b32 v21, v58, v59 offset0:12 offset1:13
	s_waitcnt vmcnt(28)
	v_pk_mov_b32 v[58:59], v[12:13], v[8:9] op_sel:[1,0]
	ds_write2_b32 v21, v58, v59 offset0:14 offset1:15
	;; [unrolled: 3-line block ×15, first 2 shown]
	s_waitcnt vmcnt(0)
	v_pk_mov_b32 v[58:59], v[48:49], v[46:47] op_sel:[1,0]
	v_mov_b32_e32 v55, 11
	ds_write2_b32 v21, v58, v59 offset0:42 offset1:43
	ds_write_b32 v21, v47 offset:176
.LBB88_197:
	s_or_b64 exec, exec, s[0:1]
	v_cmp_lt_i32_e32 vcc, 11, v55
	s_waitcnt lgkmcnt(0)
	s_barrier
	s_and_saveexec_b64 s[0:1], vcc
	s_cbranch_execz .LBB88_199
; %bb.198:
	ds_read_b32 v52, v21 offset:48
	ds_read2_b32 v[58:59], v21 offset0:13 offset1:14
	v_mul_f32_e32 v18, v57, v18
	s_waitcnt vmcnt(32) lgkmcnt(1)
	v_fma_f32 v19, -v18, v52, v19
	s_waitcnt vmcnt(30) lgkmcnt(0)
	v_pk_fma_f32 v[12:13], v[18:19], v[58:59], v[12:13] op_sel_hi:[0,1,1] neg_lo:[1,0,0] neg_hi:[1,0,0]
	ds_read2_b32 v[58:59], v21 offset0:15 offset1:16
	s_waitcnt vmcnt(28) lgkmcnt(0)
	v_pk_fma_f32 v[8:9], v[18:19], v[58:59], v[8:9] op_sel_hi:[0,1,1] neg_lo:[1,0,0] neg_hi:[1,0,0]
	ds_read2_b32 v[58:59], v21 offset0:17 offset1:18
	;; [unrolled: 3-line block ×15, first 2 shown]
	s_waitcnt vmcnt(0) lgkmcnt(0)
	v_pk_fma_f32 v[46:47], v[18:19], v[58:59], v[46:47] op_sel_hi:[0,1,1] neg_lo:[1,0,0] neg_hi:[1,0,0]
.LBB88_199:
	s_or_b64 exec, exec, s[0:1]
	v_lshl_add_u32 v52, v55, 2, v21
	s_barrier
	s_waitcnt vmcnt(32)
	ds_write_b32 v52, v19
	s_waitcnt lgkmcnt(0)
	s_barrier
	ds_read_b32 v57, v21 offset:48
	s_cmp_lt_i32 s22, 14
	v_mov_b32_e32 v52, 12
	s_cbranch_scc1 .LBB88_202
; %bb.200:
	v_add3_u32 v58, v54, 0, 52
	v_mov_b32_e32 v52, 12
	s_mov_b32 s0, 13
.LBB88_201:                             ; =>This Inner Loop Header: Depth=1
	ds_read_b32 v59, v58
	v_mov_b32_e32 v60, s0
	s_add_i32 s0, s0, 1
	v_add_u32_e32 v58, 4, v58
	s_cmp_lg_u32 s22, s0
	s_waitcnt lgkmcnt(0)
	v_cmp_lt_f32_e64 vcc, |v57|, |v59|
	s_nop 1
	v_cndmask_b32_e32 v57, v57, v59, vcc
	v_cndmask_b32_e32 v52, v52, v60, vcc
	s_cbranch_scc1 .LBB88_201
.LBB88_202:
	s_waitcnt lgkmcnt(0)
	v_cmp_eq_f32_e32 vcc, 0, v57
	s_and_saveexec_b64 s[0:1], vcc
	s_xor_b64 s[0:1], exec, s[0:1]
; %bb.203:
	v_cmp_ne_u32_e32 vcc, 0, v56
	s_nop 1
	v_cndmask_b32_e32 v56, 13, v56, vcc
; %bb.204:
	s_andn2_saveexec_b64 s[0:1], s[0:1]
	s_cbranch_execz .LBB88_206
; %bb.205:
	v_div_scale_f32 v58, s[2:3], v57, v57, 1.0
	v_rcp_f32_e32 v59, v58
	v_div_scale_f32 v60, vcc, 1.0, v57, 1.0
	v_fma_f32 v61, -v58, v59, 1.0
	v_fmac_f32_e32 v59, v61, v59
	v_mul_f32_e32 v61, v60, v59
	v_fma_f32 v62, -v58, v61, v60
	v_fmac_f32_e32 v61, v62, v59
	v_fma_f32 v58, -v58, v61, v60
	v_div_fmas_f32 v58, v58, v59, v61
	v_div_fixup_f32 v57, v58, v57, 1.0
.LBB88_206:
	s_or_b64 exec, exec, s[0:1]
	v_cmp_ne_u32_e32 vcc, v55, v52
	s_and_saveexec_b64 s[0:1], vcc
	s_xor_b64 s[0:1], exec, s[0:1]
	s_cbranch_execz .LBB88_212
; %bb.207:
	v_cmp_eq_u32_e32 vcc, 12, v55
	s_and_saveexec_b64 s[2:3], vcc
	s_cbranch_execz .LBB88_211
; %bb.208:
	v_cmp_ne_u32_e32 vcc, 12, v52
	s_xor_b64 s[18:19], s[16:17], -1
	s_and_b64 s[20:21], s[18:19], vcc
	s_and_saveexec_b64 s[18:19], s[20:21]
	s_cbranch_execz .LBB88_210
; %bb.209:
	v_ashrrev_i32_e32 v53, 31, v52
	v_lshl_add_u64 v[58:59], v[52:53], 2, v[22:23]
	global_load_dword v53, v[58:59], off
	global_load_dword v55, v[22:23], off offset:48
	s_waitcnt vmcnt(1)
	global_store_dword v[22:23], v53, off offset:48
	s_waitcnt vmcnt(1)
	global_store_dword v[58:59], v55, off
.LBB88_210:
	s_or_b64 exec, exec, s[18:19]
	v_mov_b32_e32 v53, v52
	v_mov_b32_e32 v55, v52
.LBB88_211:
	s_or_b64 exec, exec, s[2:3]
.LBB88_212:
	s_andn2_saveexec_b64 s[0:1], s[0:1]
	s_cbranch_execz .LBB88_214
; %bb.213:
	v_mov_b32_e32 v55, 12
	s_waitcnt vmcnt(30)
	ds_write2_b32 v21, v12, v13 offset0:13 offset1:14
	s_waitcnt vmcnt(28)
	ds_write2_b32 v21, v8, v9 offset0:15 offset1:16
	;; [unrolled: 2-line block ×16, first 2 shown]
.LBB88_214:
	s_or_b64 exec, exec, s[0:1]
	v_cmp_lt_i32_e32 vcc, 12, v55
	s_waitcnt lgkmcnt(0)
	s_barrier
	s_and_saveexec_b64 s[0:1], vcc
	s_cbranch_execz .LBB88_216
; %bb.215:
	ds_read2_b32 v[58:59], v21 offset0:13 offset1:14
	v_mul_f32_e32 v52, v57, v19
	v_mov_b32_e32 v19, v52
	s_waitcnt vmcnt(30) lgkmcnt(0)
	v_pk_fma_f32 v[12:13], v[52:53], v[58:59], v[12:13] op_sel_hi:[0,1,1] neg_lo:[1,0,0] neg_hi:[1,0,0]
	ds_read2_b32 v[58:59], v21 offset0:15 offset1:16
	s_waitcnt vmcnt(28) lgkmcnt(0)
	v_pk_fma_f32 v[8:9], v[52:53], v[58:59], v[8:9] op_sel_hi:[0,1,1] neg_lo:[1,0,0] neg_hi:[1,0,0]
	ds_read2_b32 v[58:59], v21 offset0:17 offset1:18
	;; [unrolled: 3-line block ×15, first 2 shown]
	s_waitcnt vmcnt(0) lgkmcnt(0)
	v_pk_fma_f32 v[46:47], v[52:53], v[58:59], v[46:47] op_sel_hi:[0,1,1] neg_lo:[1,0,0] neg_hi:[1,0,0]
.LBB88_216:
	s_or_b64 exec, exec, s[0:1]
	v_lshl_add_u32 v52, v55, 2, v21
	s_barrier
	s_waitcnt vmcnt(31)
	ds_write_b32 v52, v12
	s_waitcnt lgkmcnt(0)
	s_barrier
	ds_read_b32 v57, v21 offset:52
	s_cmp_lt_i32 s22, 15
	v_mov_b32_e32 v52, 13
	s_cbranch_scc1 .LBB88_219
; %bb.217:
	v_add3_u32 v58, v54, 0, 56
	v_mov_b32_e32 v52, 13
	s_mov_b32 s0, 14
.LBB88_218:                             ; =>This Inner Loop Header: Depth=1
	ds_read_b32 v59, v58
	v_mov_b32_e32 v60, s0
	s_add_i32 s0, s0, 1
	v_add_u32_e32 v58, 4, v58
	s_cmp_lg_u32 s22, s0
	s_waitcnt lgkmcnt(0)
	v_cmp_lt_f32_e64 vcc, |v57|, |v59|
	s_nop 1
	v_cndmask_b32_e32 v57, v57, v59, vcc
	v_cndmask_b32_e32 v52, v52, v60, vcc
	s_cbranch_scc1 .LBB88_218
.LBB88_219:
	s_waitcnt lgkmcnt(0)
	v_cmp_eq_f32_e32 vcc, 0, v57
	s_and_saveexec_b64 s[0:1], vcc
	s_xor_b64 s[0:1], exec, s[0:1]
; %bb.220:
	v_cmp_ne_u32_e32 vcc, 0, v56
	s_nop 1
	v_cndmask_b32_e32 v56, 14, v56, vcc
; %bb.221:
	s_andn2_saveexec_b64 s[0:1], s[0:1]
	s_cbranch_execz .LBB88_223
; %bb.222:
	v_div_scale_f32 v58, s[2:3], v57, v57, 1.0
	v_rcp_f32_e32 v59, v58
	v_div_scale_f32 v60, vcc, 1.0, v57, 1.0
	v_fma_f32 v61, -v58, v59, 1.0
	v_fmac_f32_e32 v59, v61, v59
	v_mul_f32_e32 v61, v60, v59
	v_fma_f32 v62, -v58, v61, v60
	v_fmac_f32_e32 v61, v62, v59
	v_fma_f32 v58, -v58, v61, v60
	v_div_fmas_f32 v58, v58, v59, v61
	v_div_fixup_f32 v57, v58, v57, 1.0
.LBB88_223:
	s_or_b64 exec, exec, s[0:1]
	v_cmp_ne_u32_e32 vcc, v55, v52
	s_and_saveexec_b64 s[0:1], vcc
	s_xor_b64 s[0:1], exec, s[0:1]
	s_cbranch_execz .LBB88_229
; %bb.224:
	v_cmp_eq_u32_e32 vcc, 13, v55
	s_and_saveexec_b64 s[2:3], vcc
	s_cbranch_execz .LBB88_228
; %bb.225:
	v_cmp_ne_u32_e32 vcc, 13, v52
	s_xor_b64 s[18:19], s[16:17], -1
	s_and_b64 s[20:21], s[18:19], vcc
	s_and_saveexec_b64 s[18:19], s[20:21]
	s_cbranch_execz .LBB88_227
; %bb.226:
	v_ashrrev_i32_e32 v53, 31, v52
	v_lshl_add_u64 v[58:59], v[52:53], 2, v[22:23]
	global_load_dword v53, v[58:59], off
	global_load_dword v55, v[22:23], off offset:52
	s_waitcnt vmcnt(1)
	global_store_dword v[22:23], v53, off offset:52
	s_waitcnt vmcnt(1)
	global_store_dword v[58:59], v55, off
.LBB88_227:
	s_or_b64 exec, exec, s[18:19]
	v_mov_b32_e32 v53, v52
	v_mov_b32_e32 v55, v52
.LBB88_228:
	s_or_b64 exec, exec, s[2:3]
.LBB88_229:
	s_andn2_saveexec_b64 s[0:1], s[0:1]
	s_cbranch_execz .LBB88_231
; %bb.230:
	s_waitcnt vmcnt(28)
	v_pk_mov_b32 v[58:59], v[12:13], v[8:9] op_sel:[1,0]
	ds_write2_b32 v21, v58, v59 offset0:14 offset1:15
	s_waitcnt vmcnt(26)
	v_pk_mov_b32 v[58:59], v[8:9], v[34:35] op_sel:[1,0]
	ds_write2_b32 v21, v58, v59 offset0:16 offset1:17
	;; [unrolled: 3-line block ×14, first 2 shown]
	s_waitcnt vmcnt(0)
	v_pk_mov_b32 v[58:59], v[48:49], v[46:47] op_sel:[1,0]
	v_mov_b32_e32 v55, 13
	ds_write2_b32 v21, v58, v59 offset0:42 offset1:43
	ds_write_b32 v21, v47 offset:176
.LBB88_231:
	s_or_b64 exec, exec, s[0:1]
	v_cmp_lt_i32_e32 vcc, 13, v55
	s_waitcnt lgkmcnt(0)
	s_barrier
	s_and_saveexec_b64 s[0:1], vcc
	s_cbranch_execz .LBB88_233
; %bb.232:
	ds_read_b32 v52, v21 offset:56
	ds_read2_b32 v[58:59], v21 offset0:15 offset1:16
	v_mul_f32_e32 v12, v57, v12
	s_waitcnt vmcnt(30) lgkmcnt(1)
	v_fma_f32 v13, -v12, v52, v13
	s_waitcnt vmcnt(28) lgkmcnt(0)
	v_pk_fma_f32 v[8:9], v[12:13], v[58:59], v[8:9] op_sel_hi:[0,1,1] neg_lo:[1,0,0] neg_hi:[1,0,0]
	ds_read2_b32 v[58:59], v21 offset0:17 offset1:18
	s_waitcnt vmcnt(26) lgkmcnt(0)
	v_pk_fma_f32 v[34:35], v[12:13], v[58:59], v[34:35] op_sel_hi:[0,1,1] neg_lo:[1,0,0] neg_hi:[1,0,0]
	ds_read2_b32 v[58:59], v21 offset0:19 offset1:20
	;; [unrolled: 3-line block ×14, first 2 shown]
	s_waitcnt vmcnt(0) lgkmcnt(0)
	v_pk_fma_f32 v[46:47], v[12:13], v[58:59], v[46:47] op_sel_hi:[0,1,1] neg_lo:[1,0,0] neg_hi:[1,0,0]
.LBB88_233:
	s_or_b64 exec, exec, s[0:1]
	v_lshl_add_u32 v52, v55, 2, v21
	s_barrier
	s_waitcnt vmcnt(30)
	ds_write_b32 v52, v13
	s_waitcnt lgkmcnt(0)
	s_barrier
	ds_read_b32 v57, v21 offset:56
	s_cmp_lt_i32 s22, 16
	v_mov_b32_e32 v52, 14
	s_cbranch_scc1 .LBB88_236
; %bb.234:
	v_add3_u32 v58, v54, 0, 60
	v_mov_b32_e32 v52, 14
	s_mov_b32 s0, 15
.LBB88_235:                             ; =>This Inner Loop Header: Depth=1
	ds_read_b32 v59, v58
	v_mov_b32_e32 v60, s0
	s_add_i32 s0, s0, 1
	v_add_u32_e32 v58, 4, v58
	s_cmp_lg_u32 s22, s0
	s_waitcnt lgkmcnt(0)
	v_cmp_lt_f32_e64 vcc, |v57|, |v59|
	s_nop 1
	v_cndmask_b32_e32 v57, v57, v59, vcc
	v_cndmask_b32_e32 v52, v52, v60, vcc
	s_cbranch_scc1 .LBB88_235
.LBB88_236:
	s_waitcnt lgkmcnt(0)
	v_cmp_eq_f32_e32 vcc, 0, v57
	s_and_saveexec_b64 s[0:1], vcc
	s_xor_b64 s[0:1], exec, s[0:1]
; %bb.237:
	v_cmp_ne_u32_e32 vcc, 0, v56
	s_nop 1
	v_cndmask_b32_e32 v56, 15, v56, vcc
; %bb.238:
	s_andn2_saveexec_b64 s[0:1], s[0:1]
	s_cbranch_execz .LBB88_240
; %bb.239:
	v_div_scale_f32 v58, s[2:3], v57, v57, 1.0
	v_rcp_f32_e32 v59, v58
	v_div_scale_f32 v60, vcc, 1.0, v57, 1.0
	v_fma_f32 v61, -v58, v59, 1.0
	v_fmac_f32_e32 v59, v61, v59
	v_mul_f32_e32 v61, v60, v59
	v_fma_f32 v62, -v58, v61, v60
	v_fmac_f32_e32 v61, v62, v59
	v_fma_f32 v58, -v58, v61, v60
	v_div_fmas_f32 v58, v58, v59, v61
	v_div_fixup_f32 v57, v58, v57, 1.0
.LBB88_240:
	s_or_b64 exec, exec, s[0:1]
	v_cmp_ne_u32_e32 vcc, v55, v52
	s_and_saveexec_b64 s[0:1], vcc
	s_xor_b64 s[0:1], exec, s[0:1]
	s_cbranch_execz .LBB88_246
; %bb.241:
	v_cmp_eq_u32_e32 vcc, 14, v55
	s_and_saveexec_b64 s[2:3], vcc
	s_cbranch_execz .LBB88_245
; %bb.242:
	v_cmp_ne_u32_e32 vcc, 14, v52
	s_xor_b64 s[18:19], s[16:17], -1
	s_and_b64 s[20:21], s[18:19], vcc
	s_and_saveexec_b64 s[18:19], s[20:21]
	s_cbranch_execz .LBB88_244
; %bb.243:
	v_ashrrev_i32_e32 v53, 31, v52
	v_lshl_add_u64 v[58:59], v[52:53], 2, v[22:23]
	global_load_dword v53, v[58:59], off
	global_load_dword v55, v[22:23], off offset:56
	s_waitcnt vmcnt(1)
	global_store_dword v[22:23], v53, off offset:56
	s_waitcnt vmcnt(1)
	global_store_dword v[58:59], v55, off
.LBB88_244:
	s_or_b64 exec, exec, s[18:19]
	v_mov_b32_e32 v53, v52
	v_mov_b32_e32 v55, v52
.LBB88_245:
	s_or_b64 exec, exec, s[2:3]
.LBB88_246:
	s_andn2_saveexec_b64 s[0:1], s[0:1]
	s_cbranch_execz .LBB88_248
; %bb.247:
	v_mov_b32_e32 v55, 14
	s_waitcnt vmcnt(28)
	ds_write2_b32 v21, v8, v9 offset0:15 offset1:16
	s_waitcnt vmcnt(26)
	ds_write2_b32 v21, v34, v35 offset0:17 offset1:18
	;; [unrolled: 2-line block ×15, first 2 shown]
.LBB88_248:
	s_or_b64 exec, exec, s[0:1]
	v_cmp_lt_i32_e32 vcc, 14, v55
	s_waitcnt lgkmcnt(0)
	s_barrier
	s_and_saveexec_b64 s[0:1], vcc
	s_cbranch_execz .LBB88_250
; %bb.249:
	ds_read2_b32 v[58:59], v21 offset0:15 offset1:16
	v_mul_f32_e32 v52, v57, v13
	v_mov_b32_e32 v13, v52
	s_waitcnt vmcnt(28) lgkmcnt(0)
	v_pk_fma_f32 v[8:9], v[52:53], v[58:59], v[8:9] op_sel_hi:[0,1,1] neg_lo:[1,0,0] neg_hi:[1,0,0]
	ds_read2_b32 v[58:59], v21 offset0:17 offset1:18
	s_waitcnt vmcnt(26) lgkmcnt(0)
	v_pk_fma_f32 v[34:35], v[52:53], v[58:59], v[34:35] op_sel_hi:[0,1,1] neg_lo:[1,0,0] neg_hi:[1,0,0]
	ds_read2_b32 v[58:59], v21 offset0:19 offset1:20
	;; [unrolled: 3-line block ×14, first 2 shown]
	s_waitcnt vmcnt(0) lgkmcnt(0)
	v_pk_fma_f32 v[46:47], v[52:53], v[58:59], v[46:47] op_sel_hi:[0,1,1] neg_lo:[1,0,0] neg_hi:[1,0,0]
.LBB88_250:
	s_or_b64 exec, exec, s[0:1]
	v_lshl_add_u32 v52, v55, 2, v21
	s_barrier
	s_waitcnt vmcnt(29)
	ds_write_b32 v52, v8
	s_waitcnt lgkmcnt(0)
	s_barrier
	ds_read_b32 v57, v21 offset:60
	s_cmp_lt_i32 s22, 17
	v_mov_b32_e32 v52, 15
	s_cbranch_scc1 .LBB88_253
; %bb.251:
	v_add3_u32 v54, v54, 0, 64
	v_mov_b32_e32 v52, 15
	s_mov_b32 s0, 16
.LBB88_252:                             ; =>This Inner Loop Header: Depth=1
	ds_read_b32 v58, v54
	v_mov_b32_e32 v59, s0
	s_add_i32 s0, s0, 1
	v_add_u32_e32 v54, 4, v54
	s_cmp_lg_u32 s22, s0
	s_waitcnt lgkmcnt(0)
	v_cmp_lt_f32_e64 vcc, |v57|, |v58|
	s_nop 1
	v_cndmask_b32_e32 v57, v57, v58, vcc
	v_cndmask_b32_e32 v52, v52, v59, vcc
	s_cbranch_scc1 .LBB88_252
.LBB88_253:
	s_waitcnt lgkmcnt(0)
	v_cmp_eq_f32_e32 vcc, 0, v57
	s_and_saveexec_b64 s[0:1], vcc
	s_xor_b64 s[0:1], exec, s[0:1]
; %bb.254:
	v_cmp_ne_u32_e32 vcc, 0, v56
	s_nop 1
	v_cndmask_b32_e32 v56, 16, v56, vcc
; %bb.255:
	s_andn2_saveexec_b64 s[0:1], s[0:1]
	s_cbranch_execz .LBB88_257
; %bb.256:
	v_div_scale_f32 v54, s[2:3], v57, v57, 1.0
	v_rcp_f32_e32 v58, v54
	v_div_scale_f32 v59, vcc, 1.0, v57, 1.0
	v_fma_f32 v60, -v54, v58, 1.0
	v_fmac_f32_e32 v58, v60, v58
	v_mul_f32_e32 v60, v59, v58
	v_fma_f32 v61, -v54, v60, v59
	v_fmac_f32_e32 v60, v61, v58
	v_fma_f32 v54, -v54, v60, v59
	v_div_fmas_f32 v54, v54, v58, v60
	v_div_fixup_f32 v57, v54, v57, 1.0
.LBB88_257:
	s_or_b64 exec, exec, s[0:1]
	v_cmp_ne_u32_e32 vcc, v55, v52
	s_and_saveexec_b64 s[0:1], vcc
	s_xor_b64 s[0:1], exec, s[0:1]
	s_cbranch_execz .LBB88_263
; %bb.258:
	v_cmp_eq_u32_e32 vcc, 15, v55
	s_and_saveexec_b64 s[2:3], vcc
	s_cbranch_execz .LBB88_262
; %bb.259:
	v_cmp_ne_u32_e32 vcc, 15, v52
	s_xor_b64 s[18:19], s[16:17], -1
	s_and_b64 s[20:21], s[18:19], vcc
	s_and_saveexec_b64 s[18:19], s[20:21]
	s_cbranch_execz .LBB88_261
; %bb.260:
	v_ashrrev_i32_e32 v53, 31, v52
	v_lshl_add_u64 v[54:55], v[52:53], 2, v[22:23]
	global_load_dword v53, v[54:55], off
	global_load_dword v58, v[22:23], off offset:60
	s_waitcnt vmcnt(1)
	global_store_dword v[22:23], v53, off offset:60
	s_waitcnt vmcnt(1)
	global_store_dword v[54:55], v58, off
.LBB88_261:
	s_or_b64 exec, exec, s[18:19]
	v_mov_b32_e32 v53, v52
	v_mov_b32_e32 v55, v52
.LBB88_262:
	s_or_b64 exec, exec, s[2:3]
.LBB88_263:
	s_andn2_saveexec_b64 s[0:1], s[0:1]
	s_cbranch_execz .LBB88_265
; %bb.264:
	s_waitcnt vmcnt(26)
	v_pk_mov_b32 v[54:55], v[8:9], v[34:35] op_sel:[1,0]
	ds_write2_b32 v21, v54, v55 offset0:16 offset1:17
	s_waitcnt vmcnt(24)
	v_pk_mov_b32 v[54:55], v[34:35], v[30:31] op_sel:[1,0]
	ds_write2_b32 v21, v54, v55 offset0:18 offset1:19
	s_waitcnt vmcnt(22)
	v_pk_mov_b32 v[54:55], v[30:31], v[24:25] op_sel:[1,0]
	ds_write2_b32 v21, v54, v55 offset0:20 offset1:21
	s_waitcnt vmcnt(20)
	v_pk_mov_b32 v[54:55], v[24:25], v[16:17] op_sel:[1,0]
	ds_write2_b32 v21, v54, v55 offset0:22 offset1:23
	s_waitcnt vmcnt(18)
	v_pk_mov_b32 v[54:55], v[16:17], v[42:43] op_sel:[1,0]
	ds_write2_b32 v21, v54, v55 offset0:24 offset1:25
	s_waitcnt vmcnt(16)
	v_pk_mov_b32 v[54:55], v[42:43], v[36:37] op_sel:[1,0]
	ds_write2_b32 v21, v54, v55 offset0:26 offset1:27
	s_waitcnt vmcnt(14)
	v_pk_mov_b32 v[54:55], v[36:37], v[32:33] op_sel:[1,0]
	ds_write2_b32 v21, v54, v55 offset0:28 offset1:29
	s_waitcnt vmcnt(12)
	v_pk_mov_b32 v[54:55], v[32:33], v[26:27] op_sel:[1,0]
	ds_write2_b32 v21, v54, v55 offset0:30 offset1:31
	s_waitcnt vmcnt(10)
	v_pk_mov_b32 v[54:55], v[26:27], v[50:51] op_sel:[1,0]
	ds_write2_b32 v21, v54, v55 offset0:32 offset1:33
	s_waitcnt vmcnt(8)
	v_pk_mov_b32 v[54:55], v[50:51], v[44:45] op_sel:[1,0]
	ds_write2_b32 v21, v54, v55 offset0:34 offset1:35
	s_waitcnt vmcnt(6)
	v_pk_mov_b32 v[54:55], v[44:45], v[40:41] op_sel:[1,0]
	ds_write2_b32 v21, v54, v55 offset0:36 offset1:37
	s_waitcnt vmcnt(4)
	v_pk_mov_b32 v[54:55], v[40:41], v[38:39] op_sel:[1,0]
	ds_write2_b32 v21, v54, v55 offset0:38 offset1:39
	s_waitcnt vmcnt(2)
	v_pk_mov_b32 v[54:55], v[38:39], v[48:49] op_sel:[1,0]
	ds_write2_b32 v21, v54, v55 offset0:40 offset1:41
	s_waitcnt vmcnt(0)
	v_pk_mov_b32 v[54:55], v[48:49], v[46:47] op_sel:[1,0]
	ds_write2_b32 v21, v54, v55 offset0:42 offset1:43
	ds_write_b32 v21, v47 offset:176
	v_mov_b32_e32 v55, 15
.LBB88_265:
	s_or_b64 exec, exec, s[0:1]
	v_cmp_lt_i32_e32 vcc, 15, v55
	s_waitcnt lgkmcnt(0)
	s_barrier
	s_and_saveexec_b64 s[0:1], vcc
	s_cbranch_execz .LBB88_267
; %bb.266:
	ds_read_b32 v52, v21 offset:64
	ds_read2_b32 v[58:59], v21 offset0:17 offset1:18
	v_mul_f32_e32 v8, v57, v8
	s_waitcnt vmcnt(28) lgkmcnt(1)
	v_fma_f32 v9, -v8, v52, v9
	s_waitcnt vmcnt(26) lgkmcnt(0)
	v_pk_fma_f32 v[34:35], v[8:9], v[58:59], v[34:35] op_sel_hi:[0,1,1] neg_lo:[1,0,0] neg_hi:[1,0,0]
	ds_read2_b32 v[58:59], v21 offset0:19 offset1:20
	s_waitcnt vmcnt(24) lgkmcnt(0)
	v_pk_fma_f32 v[30:31], v[8:9], v[58:59], v[30:31] op_sel_hi:[0,1,1] neg_lo:[1,0,0] neg_hi:[1,0,0]
	ds_read2_b32 v[58:59], v21 offset0:21 offset1:22
	;; [unrolled: 3-line block ×13, first 2 shown]
	s_waitcnt vmcnt(0) lgkmcnt(0)
	v_pk_fma_f32 v[46:47], v[8:9], v[58:59], v[46:47] op_sel_hi:[0,1,1] neg_lo:[1,0,0] neg_hi:[1,0,0]
.LBB88_267:
	s_or_b64 exec, exec, s[0:1]
	v_lshl_add_u32 v52, v55, 2, v21
	s_barrier
	s_waitcnt vmcnt(28)
	ds_write_b32 v52, v9
	s_waitcnt lgkmcnt(0)
	s_barrier
	ds_read_b32 v54, v21 offset:64
	s_cmp_lt_i32 s22, 18
	v_mov_b32_e32 v52, 16
	s_cbranch_scc1 .LBB88_270
; %bb.268:
	v_add_u32_e32 v57, 0x44, v21
	v_mov_b32_e32 v52, 16
	s_mov_b32 s0, 17
.LBB88_269:                             ; =>This Inner Loop Header: Depth=1
	ds_read_b32 v58, v57
	v_mov_b32_e32 v59, s0
	s_add_i32 s0, s0, 1
	v_add_u32_e32 v57, 4, v57
	s_cmp_lg_u32 s22, s0
	s_waitcnt lgkmcnt(0)
	v_cmp_lt_f32_e64 vcc, |v54|, |v58|
	s_nop 1
	v_cndmask_b32_e32 v54, v54, v58, vcc
	v_cndmask_b32_e32 v52, v52, v59, vcc
	s_cbranch_scc1 .LBB88_269
.LBB88_270:
	s_waitcnt lgkmcnt(0)
	v_cmp_eq_f32_e32 vcc, 0, v54
	s_and_saveexec_b64 s[0:1], vcc
	s_xor_b64 s[0:1], exec, s[0:1]
; %bb.271:
	v_cmp_ne_u32_e32 vcc, 0, v56
	s_nop 1
	v_cndmask_b32_e32 v56, 17, v56, vcc
; %bb.272:
	s_andn2_saveexec_b64 s[0:1], s[0:1]
	s_cbranch_execz .LBB88_274
; %bb.273:
	v_div_scale_f32 v57, s[2:3], v54, v54, 1.0
	v_rcp_f32_e32 v58, v57
	v_div_scale_f32 v59, vcc, 1.0, v54, 1.0
	v_fma_f32 v60, -v57, v58, 1.0
	v_fmac_f32_e32 v58, v60, v58
	v_mul_f32_e32 v60, v59, v58
	v_fma_f32 v61, -v57, v60, v59
	v_fmac_f32_e32 v60, v61, v58
	v_fma_f32 v57, -v57, v60, v59
	v_div_fmas_f32 v57, v57, v58, v60
	v_div_fixup_f32 v54, v57, v54, 1.0
.LBB88_274:
	s_or_b64 exec, exec, s[0:1]
	v_cmp_ne_u32_e32 vcc, v55, v52
	s_and_saveexec_b64 s[0:1], vcc
	s_xor_b64 s[0:1], exec, s[0:1]
	s_cbranch_execz .LBB88_280
; %bb.275:
	v_cmp_eq_u32_e32 vcc, 16, v55
	s_and_saveexec_b64 s[2:3], vcc
	s_cbranch_execz .LBB88_279
; %bb.276:
	v_cmp_ne_u32_e32 vcc, 16, v52
	s_xor_b64 s[18:19], s[16:17], -1
	s_and_b64 s[20:21], s[18:19], vcc
	s_and_saveexec_b64 s[18:19], s[20:21]
	s_cbranch_execz .LBB88_278
; %bb.277:
	v_ashrrev_i32_e32 v53, 31, v52
	v_lshl_add_u64 v[58:59], v[52:53], 2, v[22:23]
	global_load_dword v53, v[58:59], off
	global_load_dword v55, v[22:23], off offset:64
	s_waitcnt vmcnt(1)
	global_store_dword v[22:23], v53, off offset:64
	s_waitcnt vmcnt(1)
	global_store_dword v[58:59], v55, off
.LBB88_278:
	s_or_b64 exec, exec, s[18:19]
	v_mov_b32_e32 v53, v52
	v_mov_b32_e32 v55, v52
.LBB88_279:
	s_or_b64 exec, exec, s[2:3]
.LBB88_280:
	s_andn2_saveexec_b64 s[0:1], s[0:1]
	s_cbranch_execz .LBB88_282
; %bb.281:
	v_mov_b32_e32 v55, 16
	s_waitcnt vmcnt(26)
	ds_write2_b32 v21, v34, v35 offset0:17 offset1:18
	s_waitcnt vmcnt(24)
	ds_write2_b32 v21, v30, v31 offset0:19 offset1:20
	;; [unrolled: 2-line block ×14, first 2 shown]
.LBB88_282:
	s_or_b64 exec, exec, s[0:1]
	v_cmp_lt_i32_e32 vcc, 16, v55
	s_waitcnt lgkmcnt(0)
	s_barrier
	s_and_saveexec_b64 s[0:1], vcc
	s_cbranch_execz .LBB88_284
; %bb.283:
	ds_read2_b32 v[58:59], v21 offset0:17 offset1:18
	v_mul_f32_e32 v52, v54, v9
	v_mov_b32_e32 v9, v52
	s_waitcnt vmcnt(26) lgkmcnt(0)
	v_pk_fma_f32 v[34:35], v[52:53], v[58:59], v[34:35] op_sel_hi:[0,1,1] neg_lo:[1,0,0] neg_hi:[1,0,0]
	ds_read2_b32 v[58:59], v21 offset0:19 offset1:20
	s_waitcnt vmcnt(24) lgkmcnt(0)
	v_pk_fma_f32 v[30:31], v[52:53], v[58:59], v[30:31] op_sel_hi:[0,1,1] neg_lo:[1,0,0] neg_hi:[1,0,0]
	ds_read2_b32 v[58:59], v21 offset0:21 offset1:22
	;; [unrolled: 3-line block ×13, first 2 shown]
	s_waitcnt vmcnt(0) lgkmcnt(0)
	v_pk_fma_f32 v[46:47], v[52:53], v[58:59], v[46:47] op_sel_hi:[0,1,1] neg_lo:[1,0,0] neg_hi:[1,0,0]
.LBB88_284:
	s_or_b64 exec, exec, s[0:1]
	v_lshl_add_u32 v52, v55, 2, v21
	s_barrier
	s_waitcnt vmcnt(27)
	ds_write_b32 v52, v34
	s_waitcnt lgkmcnt(0)
	s_barrier
	ds_read_b32 v54, v21 offset:68
	s_cmp_lt_i32 s22, 19
	v_mov_b32_e32 v52, 17
	s_cbranch_scc1 .LBB88_287
; %bb.285:
	v_add_u32_e32 v57, 0x48, v21
	v_mov_b32_e32 v52, 17
	s_mov_b32 s0, 18
.LBB88_286:                             ; =>This Inner Loop Header: Depth=1
	ds_read_b32 v58, v57
	v_mov_b32_e32 v59, s0
	s_add_i32 s0, s0, 1
	v_add_u32_e32 v57, 4, v57
	s_cmp_lg_u32 s22, s0
	s_waitcnt lgkmcnt(0)
	v_cmp_lt_f32_e64 vcc, |v54|, |v58|
	s_nop 1
	v_cndmask_b32_e32 v54, v54, v58, vcc
	v_cndmask_b32_e32 v52, v52, v59, vcc
	s_cbranch_scc1 .LBB88_286
.LBB88_287:
	s_waitcnt lgkmcnt(0)
	v_cmp_eq_f32_e32 vcc, 0, v54
	s_and_saveexec_b64 s[0:1], vcc
	s_xor_b64 s[0:1], exec, s[0:1]
; %bb.288:
	v_cmp_ne_u32_e32 vcc, 0, v56
	s_nop 1
	v_cndmask_b32_e32 v56, 18, v56, vcc
; %bb.289:
	s_andn2_saveexec_b64 s[0:1], s[0:1]
	s_cbranch_execz .LBB88_291
; %bb.290:
	v_div_scale_f32 v57, s[2:3], v54, v54, 1.0
	v_rcp_f32_e32 v58, v57
	v_div_scale_f32 v59, vcc, 1.0, v54, 1.0
	v_fma_f32 v60, -v57, v58, 1.0
	v_fmac_f32_e32 v58, v60, v58
	v_mul_f32_e32 v60, v59, v58
	v_fma_f32 v61, -v57, v60, v59
	v_fmac_f32_e32 v60, v61, v58
	v_fma_f32 v57, -v57, v60, v59
	v_div_fmas_f32 v57, v57, v58, v60
	v_div_fixup_f32 v54, v57, v54, 1.0
.LBB88_291:
	s_or_b64 exec, exec, s[0:1]
	v_cmp_ne_u32_e32 vcc, v55, v52
	s_and_saveexec_b64 s[0:1], vcc
	s_xor_b64 s[0:1], exec, s[0:1]
	s_cbranch_execz .LBB88_297
; %bb.292:
	v_cmp_eq_u32_e32 vcc, 17, v55
	s_and_saveexec_b64 s[2:3], vcc
	s_cbranch_execz .LBB88_296
; %bb.293:
	v_cmp_ne_u32_e32 vcc, 17, v52
	s_xor_b64 s[18:19], s[16:17], -1
	s_and_b64 s[20:21], s[18:19], vcc
	s_and_saveexec_b64 s[18:19], s[20:21]
	s_cbranch_execz .LBB88_295
; %bb.294:
	v_ashrrev_i32_e32 v53, 31, v52
	v_lshl_add_u64 v[58:59], v[52:53], 2, v[22:23]
	global_load_dword v53, v[58:59], off
	global_load_dword v55, v[22:23], off offset:68
	s_waitcnt vmcnt(1)
	global_store_dword v[22:23], v53, off offset:68
	s_waitcnt vmcnt(1)
	global_store_dword v[58:59], v55, off
.LBB88_295:
	s_or_b64 exec, exec, s[18:19]
	v_mov_b32_e32 v53, v52
	v_mov_b32_e32 v55, v52
.LBB88_296:
	s_or_b64 exec, exec, s[2:3]
.LBB88_297:
	s_andn2_saveexec_b64 s[0:1], s[0:1]
	s_cbranch_execz .LBB88_299
; %bb.298:
	s_waitcnt vmcnt(24)
	v_pk_mov_b32 v[58:59], v[34:35], v[30:31] op_sel:[1,0]
	ds_write2_b32 v21, v58, v59 offset0:18 offset1:19
	s_waitcnt vmcnt(22)
	v_pk_mov_b32 v[58:59], v[30:31], v[24:25] op_sel:[1,0]
	ds_write2_b32 v21, v58, v59 offset0:20 offset1:21
	;; [unrolled: 3-line block ×12, first 2 shown]
	s_waitcnt vmcnt(0)
	v_pk_mov_b32 v[58:59], v[48:49], v[46:47] op_sel:[1,0]
	v_mov_b32_e32 v55, 17
	ds_write2_b32 v21, v58, v59 offset0:42 offset1:43
	ds_write_b32 v21, v47 offset:176
.LBB88_299:
	s_or_b64 exec, exec, s[0:1]
	v_cmp_lt_i32_e32 vcc, 17, v55
	s_waitcnt lgkmcnt(0)
	s_barrier
	s_and_saveexec_b64 s[0:1], vcc
	s_cbranch_execz .LBB88_301
; %bb.300:
	ds_read_b32 v52, v21 offset:72
	ds_read2_b32 v[58:59], v21 offset0:19 offset1:20
	v_mul_f32_e32 v34, v54, v34
	s_waitcnt vmcnt(26) lgkmcnt(1)
	v_fma_f32 v35, -v34, v52, v35
	s_waitcnt vmcnt(24) lgkmcnt(0)
	v_pk_fma_f32 v[30:31], v[34:35], v[58:59], v[30:31] op_sel_hi:[0,1,1] neg_lo:[1,0,0] neg_hi:[1,0,0]
	ds_read2_b32 v[58:59], v21 offset0:21 offset1:22
	s_waitcnt vmcnt(22) lgkmcnt(0)
	v_pk_fma_f32 v[24:25], v[34:35], v[58:59], v[24:25] op_sel_hi:[0,1,1] neg_lo:[1,0,0] neg_hi:[1,0,0]
	ds_read2_b32 v[58:59], v21 offset0:23 offset1:24
	;; [unrolled: 3-line block ×12, first 2 shown]
	s_waitcnt vmcnt(0) lgkmcnt(0)
	v_pk_fma_f32 v[46:47], v[34:35], v[58:59], v[46:47] op_sel_hi:[0,1,1] neg_lo:[1,0,0] neg_hi:[1,0,0]
.LBB88_301:
	s_or_b64 exec, exec, s[0:1]
	v_lshl_add_u32 v52, v55, 2, v21
	s_barrier
	s_waitcnt vmcnt(26)
	ds_write_b32 v52, v35
	s_waitcnt lgkmcnt(0)
	s_barrier
	ds_read_b32 v54, v21 offset:72
	s_cmp_lt_i32 s22, 20
	v_mov_b32_e32 v52, 18
	s_cbranch_scc1 .LBB88_304
; %bb.302:
	v_add_u32_e32 v57, 0x4c, v21
	v_mov_b32_e32 v52, 18
	s_mov_b32 s0, 19
.LBB88_303:                             ; =>This Inner Loop Header: Depth=1
	ds_read_b32 v58, v57
	v_mov_b32_e32 v59, s0
	s_add_i32 s0, s0, 1
	v_add_u32_e32 v57, 4, v57
	s_cmp_lg_u32 s22, s0
	s_waitcnt lgkmcnt(0)
	v_cmp_lt_f32_e64 vcc, |v54|, |v58|
	s_nop 1
	v_cndmask_b32_e32 v54, v54, v58, vcc
	v_cndmask_b32_e32 v52, v52, v59, vcc
	s_cbranch_scc1 .LBB88_303
.LBB88_304:
	s_waitcnt lgkmcnt(0)
	v_cmp_eq_f32_e32 vcc, 0, v54
	s_and_saveexec_b64 s[0:1], vcc
	s_xor_b64 s[0:1], exec, s[0:1]
; %bb.305:
	v_cmp_ne_u32_e32 vcc, 0, v56
	s_nop 1
	v_cndmask_b32_e32 v56, 19, v56, vcc
; %bb.306:
	s_andn2_saveexec_b64 s[0:1], s[0:1]
	s_cbranch_execz .LBB88_308
; %bb.307:
	v_div_scale_f32 v57, s[2:3], v54, v54, 1.0
	v_rcp_f32_e32 v58, v57
	v_div_scale_f32 v59, vcc, 1.0, v54, 1.0
	v_fma_f32 v60, -v57, v58, 1.0
	v_fmac_f32_e32 v58, v60, v58
	v_mul_f32_e32 v60, v59, v58
	v_fma_f32 v61, -v57, v60, v59
	v_fmac_f32_e32 v60, v61, v58
	v_fma_f32 v57, -v57, v60, v59
	v_div_fmas_f32 v57, v57, v58, v60
	v_div_fixup_f32 v54, v57, v54, 1.0
.LBB88_308:
	s_or_b64 exec, exec, s[0:1]
	v_cmp_ne_u32_e32 vcc, v55, v52
	s_and_saveexec_b64 s[0:1], vcc
	s_xor_b64 s[0:1], exec, s[0:1]
	s_cbranch_execz .LBB88_314
; %bb.309:
	v_cmp_eq_u32_e32 vcc, 18, v55
	s_and_saveexec_b64 s[2:3], vcc
	s_cbranch_execz .LBB88_313
; %bb.310:
	v_cmp_ne_u32_e32 vcc, 18, v52
	s_xor_b64 s[18:19], s[16:17], -1
	s_and_b64 s[20:21], s[18:19], vcc
	s_and_saveexec_b64 s[18:19], s[20:21]
	s_cbranch_execz .LBB88_312
; %bb.311:
	v_ashrrev_i32_e32 v53, 31, v52
	v_lshl_add_u64 v[58:59], v[52:53], 2, v[22:23]
	global_load_dword v53, v[58:59], off
	global_load_dword v55, v[22:23], off offset:72
	s_waitcnt vmcnt(1)
	global_store_dword v[22:23], v53, off offset:72
	s_waitcnt vmcnt(1)
	global_store_dword v[58:59], v55, off
.LBB88_312:
	s_or_b64 exec, exec, s[18:19]
	v_mov_b32_e32 v53, v52
	v_mov_b32_e32 v55, v52
.LBB88_313:
	s_or_b64 exec, exec, s[2:3]
.LBB88_314:
	s_andn2_saveexec_b64 s[0:1], s[0:1]
	s_cbranch_execz .LBB88_316
; %bb.315:
	v_mov_b32_e32 v55, 18
	s_waitcnt vmcnt(24)
	ds_write2_b32 v21, v30, v31 offset0:19 offset1:20
	s_waitcnt vmcnt(22)
	ds_write2_b32 v21, v24, v25 offset0:21 offset1:22
	;; [unrolled: 2-line block ×13, first 2 shown]
.LBB88_316:
	s_or_b64 exec, exec, s[0:1]
	v_cmp_lt_i32_e32 vcc, 18, v55
	s_waitcnt lgkmcnt(0)
	s_barrier
	s_and_saveexec_b64 s[0:1], vcc
	s_cbranch_execz .LBB88_318
; %bb.317:
	ds_read2_b32 v[58:59], v21 offset0:19 offset1:20
	v_mul_f32_e32 v52, v54, v35
	v_mov_b32_e32 v35, v52
	s_waitcnt vmcnt(24) lgkmcnt(0)
	v_pk_fma_f32 v[30:31], v[52:53], v[58:59], v[30:31] op_sel_hi:[0,1,1] neg_lo:[1,0,0] neg_hi:[1,0,0]
	ds_read2_b32 v[58:59], v21 offset0:21 offset1:22
	s_waitcnt vmcnt(22) lgkmcnt(0)
	v_pk_fma_f32 v[24:25], v[52:53], v[58:59], v[24:25] op_sel_hi:[0,1,1] neg_lo:[1,0,0] neg_hi:[1,0,0]
	ds_read2_b32 v[58:59], v21 offset0:23 offset1:24
	;; [unrolled: 3-line block ×12, first 2 shown]
	s_waitcnt vmcnt(0) lgkmcnt(0)
	v_pk_fma_f32 v[46:47], v[52:53], v[58:59], v[46:47] op_sel_hi:[0,1,1] neg_lo:[1,0,0] neg_hi:[1,0,0]
.LBB88_318:
	s_or_b64 exec, exec, s[0:1]
	v_lshl_add_u32 v52, v55, 2, v21
	s_barrier
	s_waitcnt vmcnt(25)
	ds_write_b32 v52, v30
	s_waitcnt lgkmcnt(0)
	s_barrier
	ds_read_b32 v54, v21 offset:76
	s_cmp_lt_i32 s22, 21
	v_mov_b32_e32 v52, 19
	s_cbranch_scc1 .LBB88_321
; %bb.319:
	v_add_u32_e32 v57, 0x50, v21
	v_mov_b32_e32 v52, 19
	s_mov_b32 s0, 20
.LBB88_320:                             ; =>This Inner Loop Header: Depth=1
	ds_read_b32 v58, v57
	v_mov_b32_e32 v59, s0
	s_add_i32 s0, s0, 1
	v_add_u32_e32 v57, 4, v57
	s_cmp_lg_u32 s22, s0
	s_waitcnt lgkmcnt(0)
	v_cmp_lt_f32_e64 vcc, |v54|, |v58|
	s_nop 1
	v_cndmask_b32_e32 v54, v54, v58, vcc
	v_cndmask_b32_e32 v52, v52, v59, vcc
	s_cbranch_scc1 .LBB88_320
.LBB88_321:
	s_waitcnt lgkmcnt(0)
	v_cmp_eq_f32_e32 vcc, 0, v54
	s_and_saveexec_b64 s[0:1], vcc
	s_xor_b64 s[0:1], exec, s[0:1]
; %bb.322:
	v_cmp_ne_u32_e32 vcc, 0, v56
	s_nop 1
	v_cndmask_b32_e32 v56, 20, v56, vcc
; %bb.323:
	s_andn2_saveexec_b64 s[0:1], s[0:1]
	s_cbranch_execz .LBB88_325
; %bb.324:
	v_div_scale_f32 v57, s[2:3], v54, v54, 1.0
	v_rcp_f32_e32 v58, v57
	v_div_scale_f32 v59, vcc, 1.0, v54, 1.0
	v_fma_f32 v60, -v57, v58, 1.0
	v_fmac_f32_e32 v58, v60, v58
	v_mul_f32_e32 v60, v59, v58
	v_fma_f32 v61, -v57, v60, v59
	v_fmac_f32_e32 v60, v61, v58
	v_fma_f32 v57, -v57, v60, v59
	v_div_fmas_f32 v57, v57, v58, v60
	v_div_fixup_f32 v54, v57, v54, 1.0
.LBB88_325:
	s_or_b64 exec, exec, s[0:1]
	v_cmp_ne_u32_e32 vcc, v55, v52
	s_and_saveexec_b64 s[0:1], vcc
	s_xor_b64 s[0:1], exec, s[0:1]
	s_cbranch_execz .LBB88_331
; %bb.326:
	v_cmp_eq_u32_e32 vcc, 19, v55
	s_and_saveexec_b64 s[2:3], vcc
	s_cbranch_execz .LBB88_330
; %bb.327:
	v_cmp_ne_u32_e32 vcc, 19, v52
	s_xor_b64 s[18:19], s[16:17], -1
	s_and_b64 s[20:21], s[18:19], vcc
	s_and_saveexec_b64 s[18:19], s[20:21]
	s_cbranch_execz .LBB88_329
; %bb.328:
	v_ashrrev_i32_e32 v53, 31, v52
	v_lshl_add_u64 v[58:59], v[52:53], 2, v[22:23]
	global_load_dword v53, v[58:59], off
	global_load_dword v55, v[22:23], off offset:76
	s_waitcnt vmcnt(1)
	global_store_dword v[22:23], v53, off offset:76
	s_waitcnt vmcnt(1)
	global_store_dword v[58:59], v55, off
.LBB88_329:
	s_or_b64 exec, exec, s[18:19]
	v_mov_b32_e32 v53, v52
	v_mov_b32_e32 v55, v52
.LBB88_330:
	s_or_b64 exec, exec, s[2:3]
.LBB88_331:
	s_andn2_saveexec_b64 s[0:1], s[0:1]
	s_cbranch_execz .LBB88_333
; %bb.332:
	s_waitcnt vmcnt(22)
	v_pk_mov_b32 v[58:59], v[30:31], v[24:25] op_sel:[1,0]
	ds_write2_b32 v21, v58, v59 offset0:20 offset1:21
	s_waitcnt vmcnt(20)
	v_pk_mov_b32 v[58:59], v[24:25], v[16:17] op_sel:[1,0]
	ds_write2_b32 v21, v58, v59 offset0:22 offset1:23
	;; [unrolled: 3-line block ×11, first 2 shown]
	s_waitcnt vmcnt(0)
	v_pk_mov_b32 v[58:59], v[48:49], v[46:47] op_sel:[1,0]
	v_mov_b32_e32 v55, 19
	ds_write2_b32 v21, v58, v59 offset0:42 offset1:43
	ds_write_b32 v21, v47 offset:176
.LBB88_333:
	s_or_b64 exec, exec, s[0:1]
	v_cmp_lt_i32_e32 vcc, 19, v55
	s_waitcnt lgkmcnt(0)
	s_barrier
	s_and_saveexec_b64 s[0:1], vcc
	s_cbranch_execz .LBB88_335
; %bb.334:
	ds_read_b32 v52, v21 offset:80
	ds_read2_b32 v[58:59], v21 offset0:21 offset1:22
	v_mul_f32_e32 v30, v54, v30
	s_waitcnt vmcnt(24) lgkmcnt(1)
	v_fma_f32 v31, -v30, v52, v31
	s_waitcnt vmcnt(22) lgkmcnt(0)
	v_pk_fma_f32 v[24:25], v[30:31], v[58:59], v[24:25] op_sel_hi:[0,1,1] neg_lo:[1,0,0] neg_hi:[1,0,0]
	ds_read2_b32 v[58:59], v21 offset0:23 offset1:24
	s_waitcnt vmcnt(20) lgkmcnt(0)
	v_pk_fma_f32 v[16:17], v[30:31], v[58:59], v[16:17] op_sel_hi:[0,1,1] neg_lo:[1,0,0] neg_hi:[1,0,0]
	ds_read2_b32 v[58:59], v21 offset0:25 offset1:26
	;; [unrolled: 3-line block ×11, first 2 shown]
	s_waitcnt vmcnt(0) lgkmcnt(0)
	v_pk_fma_f32 v[46:47], v[30:31], v[58:59], v[46:47] op_sel_hi:[0,1,1] neg_lo:[1,0,0] neg_hi:[1,0,0]
.LBB88_335:
	s_or_b64 exec, exec, s[0:1]
	v_lshl_add_u32 v52, v55, 2, v21
	s_barrier
	s_waitcnt vmcnt(24)
	ds_write_b32 v52, v31
	s_waitcnt lgkmcnt(0)
	s_barrier
	ds_read_b32 v54, v21 offset:80
	s_cmp_lt_i32 s22, 22
	v_mov_b32_e32 v52, 20
	s_cbranch_scc1 .LBB88_338
; %bb.336:
	v_add_u32_e32 v57, 0x54, v21
	v_mov_b32_e32 v52, 20
	s_mov_b32 s0, 21
.LBB88_337:                             ; =>This Inner Loop Header: Depth=1
	ds_read_b32 v58, v57
	v_mov_b32_e32 v59, s0
	s_add_i32 s0, s0, 1
	v_add_u32_e32 v57, 4, v57
	s_cmp_lg_u32 s22, s0
	s_waitcnt lgkmcnt(0)
	v_cmp_lt_f32_e64 vcc, |v54|, |v58|
	s_nop 1
	v_cndmask_b32_e32 v54, v54, v58, vcc
	v_cndmask_b32_e32 v52, v52, v59, vcc
	s_cbranch_scc1 .LBB88_337
.LBB88_338:
	s_waitcnt lgkmcnt(0)
	v_cmp_eq_f32_e32 vcc, 0, v54
	s_and_saveexec_b64 s[0:1], vcc
	s_xor_b64 s[0:1], exec, s[0:1]
; %bb.339:
	v_cmp_ne_u32_e32 vcc, 0, v56
	s_nop 1
	v_cndmask_b32_e32 v56, 21, v56, vcc
; %bb.340:
	s_andn2_saveexec_b64 s[0:1], s[0:1]
	s_cbranch_execz .LBB88_342
; %bb.341:
	v_div_scale_f32 v57, s[2:3], v54, v54, 1.0
	v_rcp_f32_e32 v58, v57
	v_div_scale_f32 v59, vcc, 1.0, v54, 1.0
	v_fma_f32 v60, -v57, v58, 1.0
	v_fmac_f32_e32 v58, v60, v58
	v_mul_f32_e32 v60, v59, v58
	v_fma_f32 v61, -v57, v60, v59
	v_fmac_f32_e32 v60, v61, v58
	v_fma_f32 v57, -v57, v60, v59
	v_div_fmas_f32 v57, v57, v58, v60
	v_div_fixup_f32 v54, v57, v54, 1.0
.LBB88_342:
	s_or_b64 exec, exec, s[0:1]
	v_cmp_ne_u32_e32 vcc, v55, v52
	s_and_saveexec_b64 s[0:1], vcc
	s_xor_b64 s[0:1], exec, s[0:1]
	s_cbranch_execz .LBB88_348
; %bb.343:
	v_cmp_eq_u32_e32 vcc, 20, v55
	s_and_saveexec_b64 s[2:3], vcc
	s_cbranch_execz .LBB88_347
; %bb.344:
	v_cmp_ne_u32_e32 vcc, 20, v52
	s_xor_b64 s[18:19], s[16:17], -1
	s_and_b64 s[20:21], s[18:19], vcc
	s_and_saveexec_b64 s[18:19], s[20:21]
	s_cbranch_execz .LBB88_346
; %bb.345:
	v_ashrrev_i32_e32 v53, 31, v52
	v_lshl_add_u64 v[58:59], v[52:53], 2, v[22:23]
	global_load_dword v53, v[58:59], off
	global_load_dword v55, v[22:23], off offset:80
	s_waitcnt vmcnt(1)
	global_store_dword v[22:23], v53, off offset:80
	s_waitcnt vmcnt(1)
	global_store_dword v[58:59], v55, off
.LBB88_346:
	s_or_b64 exec, exec, s[18:19]
	v_mov_b32_e32 v53, v52
	v_mov_b32_e32 v55, v52
.LBB88_347:
	s_or_b64 exec, exec, s[2:3]
.LBB88_348:
	s_andn2_saveexec_b64 s[0:1], s[0:1]
	s_cbranch_execz .LBB88_350
; %bb.349:
	v_mov_b32_e32 v55, 20
	s_waitcnt vmcnt(22)
	ds_write2_b32 v21, v24, v25 offset0:21 offset1:22
	s_waitcnt vmcnt(20)
	ds_write2_b32 v21, v16, v17 offset0:23 offset1:24
	;; [unrolled: 2-line block ×12, first 2 shown]
.LBB88_350:
	s_or_b64 exec, exec, s[0:1]
	v_cmp_lt_i32_e32 vcc, 20, v55
	s_waitcnt lgkmcnt(0)
	s_barrier
	s_and_saveexec_b64 s[0:1], vcc
	s_cbranch_execz .LBB88_352
; %bb.351:
	ds_read2_b32 v[58:59], v21 offset0:21 offset1:22
	v_mul_f32_e32 v52, v54, v31
	v_mov_b32_e32 v31, v52
	s_waitcnt vmcnt(22) lgkmcnt(0)
	v_pk_fma_f32 v[24:25], v[52:53], v[58:59], v[24:25] op_sel_hi:[0,1,1] neg_lo:[1,0,0] neg_hi:[1,0,0]
	ds_read2_b32 v[58:59], v21 offset0:23 offset1:24
	s_waitcnt vmcnt(20) lgkmcnt(0)
	v_pk_fma_f32 v[16:17], v[52:53], v[58:59], v[16:17] op_sel_hi:[0,1,1] neg_lo:[1,0,0] neg_hi:[1,0,0]
	ds_read2_b32 v[58:59], v21 offset0:25 offset1:26
	;; [unrolled: 3-line block ×11, first 2 shown]
	s_waitcnt vmcnt(0) lgkmcnt(0)
	v_pk_fma_f32 v[46:47], v[52:53], v[58:59], v[46:47] op_sel_hi:[0,1,1] neg_lo:[1,0,0] neg_hi:[1,0,0]
.LBB88_352:
	s_or_b64 exec, exec, s[0:1]
	v_lshl_add_u32 v52, v55, 2, v21
	s_barrier
	s_waitcnt vmcnt(23)
	ds_write_b32 v52, v24
	s_waitcnt lgkmcnt(0)
	s_barrier
	ds_read_b32 v54, v21 offset:84
	s_cmp_lt_i32 s22, 23
	v_mov_b32_e32 v52, 21
	s_cbranch_scc1 .LBB88_355
; %bb.353:
	v_add_u32_e32 v57, 0x58, v21
	v_mov_b32_e32 v52, 21
	s_mov_b32 s0, 22
.LBB88_354:                             ; =>This Inner Loop Header: Depth=1
	ds_read_b32 v58, v57
	v_mov_b32_e32 v59, s0
	s_add_i32 s0, s0, 1
	v_add_u32_e32 v57, 4, v57
	s_cmp_lg_u32 s22, s0
	s_waitcnt lgkmcnt(0)
	v_cmp_lt_f32_e64 vcc, |v54|, |v58|
	s_nop 1
	v_cndmask_b32_e32 v54, v54, v58, vcc
	v_cndmask_b32_e32 v52, v52, v59, vcc
	s_cbranch_scc1 .LBB88_354
.LBB88_355:
	s_waitcnt lgkmcnt(0)
	v_cmp_eq_f32_e32 vcc, 0, v54
	s_and_saveexec_b64 s[0:1], vcc
	s_xor_b64 s[0:1], exec, s[0:1]
; %bb.356:
	v_cmp_ne_u32_e32 vcc, 0, v56
	s_nop 1
	v_cndmask_b32_e32 v56, 22, v56, vcc
; %bb.357:
	s_andn2_saveexec_b64 s[0:1], s[0:1]
	s_cbranch_execz .LBB88_359
; %bb.358:
	v_div_scale_f32 v57, s[2:3], v54, v54, 1.0
	v_rcp_f32_e32 v58, v57
	v_div_scale_f32 v59, vcc, 1.0, v54, 1.0
	v_fma_f32 v60, -v57, v58, 1.0
	v_fmac_f32_e32 v58, v60, v58
	v_mul_f32_e32 v60, v59, v58
	v_fma_f32 v61, -v57, v60, v59
	v_fmac_f32_e32 v60, v61, v58
	v_fma_f32 v57, -v57, v60, v59
	v_div_fmas_f32 v57, v57, v58, v60
	v_div_fixup_f32 v54, v57, v54, 1.0
.LBB88_359:
	s_or_b64 exec, exec, s[0:1]
	v_cmp_ne_u32_e32 vcc, v55, v52
	s_and_saveexec_b64 s[0:1], vcc
	s_xor_b64 s[0:1], exec, s[0:1]
	s_cbranch_execz .LBB88_365
; %bb.360:
	v_cmp_eq_u32_e32 vcc, 21, v55
	s_and_saveexec_b64 s[2:3], vcc
	s_cbranch_execz .LBB88_364
; %bb.361:
	v_cmp_ne_u32_e32 vcc, 21, v52
	s_xor_b64 s[18:19], s[16:17], -1
	s_and_b64 s[20:21], s[18:19], vcc
	s_and_saveexec_b64 s[18:19], s[20:21]
	s_cbranch_execz .LBB88_363
; %bb.362:
	v_ashrrev_i32_e32 v53, 31, v52
	v_lshl_add_u64 v[58:59], v[52:53], 2, v[22:23]
	global_load_dword v53, v[58:59], off
	global_load_dword v55, v[22:23], off offset:84
	s_waitcnt vmcnt(1)
	global_store_dword v[22:23], v53, off offset:84
	s_waitcnt vmcnt(1)
	global_store_dword v[58:59], v55, off
.LBB88_363:
	s_or_b64 exec, exec, s[18:19]
	v_mov_b32_e32 v53, v52
	v_mov_b32_e32 v55, v52
.LBB88_364:
	s_or_b64 exec, exec, s[2:3]
.LBB88_365:
	s_andn2_saveexec_b64 s[0:1], s[0:1]
	s_cbranch_execz .LBB88_367
; %bb.366:
	s_waitcnt vmcnt(20)
	v_pk_mov_b32 v[58:59], v[24:25], v[16:17] op_sel:[1,0]
	ds_write2_b32 v21, v58, v59 offset0:22 offset1:23
	s_waitcnt vmcnt(18)
	v_pk_mov_b32 v[58:59], v[16:17], v[42:43] op_sel:[1,0]
	ds_write2_b32 v21, v58, v59 offset0:24 offset1:25
	;; [unrolled: 3-line block ×10, first 2 shown]
	s_waitcnt vmcnt(0)
	v_pk_mov_b32 v[58:59], v[48:49], v[46:47] op_sel:[1,0]
	v_mov_b32_e32 v55, 21
	ds_write2_b32 v21, v58, v59 offset0:42 offset1:43
	ds_write_b32 v21, v47 offset:176
.LBB88_367:
	s_or_b64 exec, exec, s[0:1]
	v_cmp_lt_i32_e32 vcc, 21, v55
	s_waitcnt lgkmcnt(0)
	s_barrier
	s_and_saveexec_b64 s[0:1], vcc
	s_cbranch_execz .LBB88_369
; %bb.368:
	ds_read_b32 v52, v21 offset:88
	ds_read2_b32 v[58:59], v21 offset0:23 offset1:24
	v_mul_f32_e32 v24, v54, v24
	s_waitcnt vmcnt(22) lgkmcnt(1)
	v_fma_f32 v25, -v24, v52, v25
	s_waitcnt vmcnt(20) lgkmcnt(0)
	v_pk_fma_f32 v[16:17], v[24:25], v[58:59], v[16:17] op_sel_hi:[0,1,1] neg_lo:[1,0,0] neg_hi:[1,0,0]
	ds_read2_b32 v[58:59], v21 offset0:25 offset1:26
	s_waitcnt vmcnt(18) lgkmcnt(0)
	v_pk_fma_f32 v[42:43], v[24:25], v[58:59], v[42:43] op_sel_hi:[0,1,1] neg_lo:[1,0,0] neg_hi:[1,0,0]
	ds_read2_b32 v[58:59], v21 offset0:27 offset1:28
	;; [unrolled: 3-line block ×10, first 2 shown]
	s_waitcnt vmcnt(0) lgkmcnt(0)
	v_pk_fma_f32 v[46:47], v[24:25], v[58:59], v[46:47] op_sel_hi:[0,1,1] neg_lo:[1,0,0] neg_hi:[1,0,0]
.LBB88_369:
	s_or_b64 exec, exec, s[0:1]
	v_lshl_add_u32 v52, v55, 2, v21
	s_barrier
	s_waitcnt vmcnt(22)
	ds_write_b32 v52, v25
	s_waitcnt lgkmcnt(0)
	s_barrier
	ds_read_b32 v54, v21 offset:88
	s_cmp_lt_i32 s22, 24
	v_mov_b32_e32 v52, 22
	s_cbranch_scc1 .LBB88_372
; %bb.370:
	v_add_u32_e32 v57, 0x5c, v21
	v_mov_b32_e32 v52, 22
	s_mov_b32 s0, 23
.LBB88_371:                             ; =>This Inner Loop Header: Depth=1
	ds_read_b32 v58, v57
	v_mov_b32_e32 v59, s0
	s_add_i32 s0, s0, 1
	v_add_u32_e32 v57, 4, v57
	s_cmp_lg_u32 s22, s0
	s_waitcnt lgkmcnt(0)
	v_cmp_lt_f32_e64 vcc, |v54|, |v58|
	s_nop 1
	v_cndmask_b32_e32 v54, v54, v58, vcc
	v_cndmask_b32_e32 v52, v52, v59, vcc
	s_cbranch_scc1 .LBB88_371
.LBB88_372:
	s_waitcnt lgkmcnt(0)
	v_cmp_eq_f32_e32 vcc, 0, v54
	s_and_saveexec_b64 s[0:1], vcc
	s_xor_b64 s[0:1], exec, s[0:1]
; %bb.373:
	v_cmp_ne_u32_e32 vcc, 0, v56
	s_nop 1
	v_cndmask_b32_e32 v56, 23, v56, vcc
; %bb.374:
	s_andn2_saveexec_b64 s[0:1], s[0:1]
	s_cbranch_execz .LBB88_376
; %bb.375:
	v_div_scale_f32 v57, s[2:3], v54, v54, 1.0
	v_rcp_f32_e32 v58, v57
	v_div_scale_f32 v59, vcc, 1.0, v54, 1.0
	v_fma_f32 v60, -v57, v58, 1.0
	v_fmac_f32_e32 v58, v60, v58
	v_mul_f32_e32 v60, v59, v58
	v_fma_f32 v61, -v57, v60, v59
	v_fmac_f32_e32 v60, v61, v58
	v_fma_f32 v57, -v57, v60, v59
	v_div_fmas_f32 v57, v57, v58, v60
	v_div_fixup_f32 v54, v57, v54, 1.0
.LBB88_376:
	s_or_b64 exec, exec, s[0:1]
	v_cmp_ne_u32_e32 vcc, v55, v52
	s_and_saveexec_b64 s[0:1], vcc
	s_xor_b64 s[0:1], exec, s[0:1]
	s_cbranch_execz .LBB88_382
; %bb.377:
	v_cmp_eq_u32_e32 vcc, 22, v55
	s_and_saveexec_b64 s[2:3], vcc
	s_cbranch_execz .LBB88_381
; %bb.378:
	v_cmp_ne_u32_e32 vcc, 22, v52
	s_xor_b64 s[18:19], s[16:17], -1
	s_and_b64 s[20:21], s[18:19], vcc
	s_and_saveexec_b64 s[18:19], s[20:21]
	s_cbranch_execz .LBB88_380
; %bb.379:
	v_ashrrev_i32_e32 v53, 31, v52
	v_lshl_add_u64 v[58:59], v[52:53], 2, v[22:23]
	global_load_dword v53, v[58:59], off
	global_load_dword v55, v[22:23], off offset:88
	s_waitcnt vmcnt(1)
	global_store_dword v[22:23], v53, off offset:88
	s_waitcnt vmcnt(1)
	global_store_dword v[58:59], v55, off
.LBB88_380:
	s_or_b64 exec, exec, s[18:19]
	v_mov_b32_e32 v53, v52
	v_mov_b32_e32 v55, v52
.LBB88_381:
	s_or_b64 exec, exec, s[2:3]
.LBB88_382:
	s_andn2_saveexec_b64 s[0:1], s[0:1]
	s_cbranch_execz .LBB88_384
; %bb.383:
	v_mov_b32_e32 v55, 22
	s_waitcnt vmcnt(20)
	ds_write2_b32 v21, v16, v17 offset0:23 offset1:24
	s_waitcnt vmcnt(18)
	ds_write2_b32 v21, v42, v43 offset0:25 offset1:26
	;; [unrolled: 2-line block ×11, first 2 shown]
.LBB88_384:
	s_or_b64 exec, exec, s[0:1]
	v_cmp_lt_i32_e32 vcc, 22, v55
	s_waitcnt lgkmcnt(0)
	s_barrier
	s_and_saveexec_b64 s[0:1], vcc
	s_cbranch_execz .LBB88_386
; %bb.385:
	ds_read2_b32 v[58:59], v21 offset0:23 offset1:24
	v_mul_f32_e32 v52, v54, v25
	v_mov_b32_e32 v25, v52
	s_waitcnt vmcnt(20) lgkmcnt(0)
	v_pk_fma_f32 v[16:17], v[52:53], v[58:59], v[16:17] op_sel_hi:[0,1,1] neg_lo:[1,0,0] neg_hi:[1,0,0]
	ds_read2_b32 v[58:59], v21 offset0:25 offset1:26
	s_waitcnt vmcnt(18) lgkmcnt(0)
	v_pk_fma_f32 v[42:43], v[52:53], v[58:59], v[42:43] op_sel_hi:[0,1,1] neg_lo:[1,0,0] neg_hi:[1,0,0]
	ds_read2_b32 v[58:59], v21 offset0:27 offset1:28
	;; [unrolled: 3-line block ×10, first 2 shown]
	s_waitcnt vmcnt(0) lgkmcnt(0)
	v_pk_fma_f32 v[46:47], v[52:53], v[58:59], v[46:47] op_sel_hi:[0,1,1] neg_lo:[1,0,0] neg_hi:[1,0,0]
.LBB88_386:
	s_or_b64 exec, exec, s[0:1]
	v_lshl_add_u32 v52, v55, 2, v21
	s_barrier
	s_waitcnt vmcnt(21)
	ds_write_b32 v52, v16
	s_waitcnt lgkmcnt(0)
	s_barrier
	ds_read_b32 v54, v21 offset:92
	s_cmp_lt_i32 s22, 25
	v_mov_b32_e32 v52, 23
	s_cbranch_scc1 .LBB88_389
; %bb.387:
	v_add_u32_e32 v57, 0x60, v21
	v_mov_b32_e32 v52, 23
	s_mov_b32 s0, 24
.LBB88_388:                             ; =>This Inner Loop Header: Depth=1
	ds_read_b32 v58, v57
	v_mov_b32_e32 v59, s0
	s_add_i32 s0, s0, 1
	v_add_u32_e32 v57, 4, v57
	s_cmp_lg_u32 s22, s0
	s_waitcnt lgkmcnt(0)
	v_cmp_lt_f32_e64 vcc, |v54|, |v58|
	s_nop 1
	v_cndmask_b32_e32 v54, v54, v58, vcc
	v_cndmask_b32_e32 v52, v52, v59, vcc
	s_cbranch_scc1 .LBB88_388
.LBB88_389:
	s_waitcnt lgkmcnt(0)
	v_cmp_eq_f32_e32 vcc, 0, v54
	s_and_saveexec_b64 s[0:1], vcc
	s_xor_b64 s[0:1], exec, s[0:1]
; %bb.390:
	v_cmp_ne_u32_e32 vcc, 0, v56
	s_nop 1
	v_cndmask_b32_e32 v56, 24, v56, vcc
; %bb.391:
	s_andn2_saveexec_b64 s[0:1], s[0:1]
	s_cbranch_execz .LBB88_393
; %bb.392:
	v_div_scale_f32 v57, s[2:3], v54, v54, 1.0
	v_rcp_f32_e32 v58, v57
	v_div_scale_f32 v59, vcc, 1.0, v54, 1.0
	v_fma_f32 v60, -v57, v58, 1.0
	v_fmac_f32_e32 v58, v60, v58
	v_mul_f32_e32 v60, v59, v58
	v_fma_f32 v61, -v57, v60, v59
	v_fmac_f32_e32 v60, v61, v58
	v_fma_f32 v57, -v57, v60, v59
	v_div_fmas_f32 v57, v57, v58, v60
	v_div_fixup_f32 v54, v57, v54, 1.0
.LBB88_393:
	s_or_b64 exec, exec, s[0:1]
	v_cmp_ne_u32_e32 vcc, v55, v52
	s_and_saveexec_b64 s[0:1], vcc
	s_xor_b64 s[0:1], exec, s[0:1]
	s_cbranch_execz .LBB88_399
; %bb.394:
	v_cmp_eq_u32_e32 vcc, 23, v55
	s_and_saveexec_b64 s[2:3], vcc
	s_cbranch_execz .LBB88_398
; %bb.395:
	v_cmp_ne_u32_e32 vcc, 23, v52
	s_xor_b64 s[18:19], s[16:17], -1
	s_and_b64 s[20:21], s[18:19], vcc
	s_and_saveexec_b64 s[18:19], s[20:21]
	s_cbranch_execz .LBB88_397
; %bb.396:
	v_ashrrev_i32_e32 v53, 31, v52
	v_lshl_add_u64 v[58:59], v[52:53], 2, v[22:23]
	global_load_dword v53, v[58:59], off
	global_load_dword v55, v[22:23], off offset:92
	s_waitcnt vmcnt(1)
	global_store_dword v[22:23], v53, off offset:92
	s_waitcnt vmcnt(1)
	global_store_dword v[58:59], v55, off
.LBB88_397:
	s_or_b64 exec, exec, s[18:19]
	v_mov_b32_e32 v53, v52
	v_mov_b32_e32 v55, v52
.LBB88_398:
	s_or_b64 exec, exec, s[2:3]
.LBB88_399:
	s_andn2_saveexec_b64 s[0:1], s[0:1]
	s_cbranch_execz .LBB88_401
; %bb.400:
	s_waitcnt vmcnt(18)
	v_pk_mov_b32 v[58:59], v[16:17], v[42:43] op_sel:[1,0]
	ds_write2_b32 v21, v58, v59 offset0:24 offset1:25
	s_waitcnt vmcnt(16)
	v_pk_mov_b32 v[58:59], v[42:43], v[36:37] op_sel:[1,0]
	ds_write2_b32 v21, v58, v59 offset0:26 offset1:27
	;; [unrolled: 3-line block ×9, first 2 shown]
	s_waitcnt vmcnt(0)
	v_pk_mov_b32 v[58:59], v[48:49], v[46:47] op_sel:[1,0]
	v_mov_b32_e32 v55, 23
	ds_write2_b32 v21, v58, v59 offset0:42 offset1:43
	ds_write_b32 v21, v47 offset:176
.LBB88_401:
	s_or_b64 exec, exec, s[0:1]
	v_cmp_lt_i32_e32 vcc, 23, v55
	s_waitcnt lgkmcnt(0)
	s_barrier
	s_and_saveexec_b64 s[0:1], vcc
	s_cbranch_execz .LBB88_403
; %bb.402:
	ds_read_b32 v52, v21 offset:96
	ds_read2_b32 v[58:59], v21 offset0:25 offset1:26
	v_mul_f32_e32 v16, v54, v16
	s_waitcnt vmcnt(20) lgkmcnt(1)
	v_fma_f32 v17, -v16, v52, v17
	s_waitcnt vmcnt(18) lgkmcnt(0)
	v_pk_fma_f32 v[42:43], v[16:17], v[58:59], v[42:43] op_sel_hi:[0,1,1] neg_lo:[1,0,0] neg_hi:[1,0,0]
	ds_read2_b32 v[58:59], v21 offset0:27 offset1:28
	s_waitcnt vmcnt(16) lgkmcnt(0)
	v_pk_fma_f32 v[36:37], v[16:17], v[58:59], v[36:37] op_sel_hi:[0,1,1] neg_lo:[1,0,0] neg_hi:[1,0,0]
	ds_read2_b32 v[58:59], v21 offset0:29 offset1:30
	;; [unrolled: 3-line block ×9, first 2 shown]
	s_waitcnt vmcnt(0) lgkmcnt(0)
	v_pk_fma_f32 v[46:47], v[16:17], v[58:59], v[46:47] op_sel_hi:[0,1,1] neg_lo:[1,0,0] neg_hi:[1,0,0]
.LBB88_403:
	s_or_b64 exec, exec, s[0:1]
	v_lshl_add_u32 v52, v55, 2, v21
	s_barrier
	s_waitcnt vmcnt(20)
	ds_write_b32 v52, v17
	s_waitcnt lgkmcnt(0)
	s_barrier
	ds_read_b32 v54, v21 offset:96
	s_cmp_lt_i32 s22, 26
	v_mov_b32_e32 v52, 24
	s_cbranch_scc1 .LBB88_406
; %bb.404:
	v_add_u32_e32 v57, 0x64, v21
	v_mov_b32_e32 v52, 24
	s_mov_b32 s0, 25
.LBB88_405:                             ; =>This Inner Loop Header: Depth=1
	ds_read_b32 v58, v57
	v_mov_b32_e32 v59, s0
	s_add_i32 s0, s0, 1
	v_add_u32_e32 v57, 4, v57
	s_cmp_lg_u32 s22, s0
	s_waitcnt lgkmcnt(0)
	v_cmp_lt_f32_e64 vcc, |v54|, |v58|
	s_nop 1
	v_cndmask_b32_e32 v54, v54, v58, vcc
	v_cndmask_b32_e32 v52, v52, v59, vcc
	s_cbranch_scc1 .LBB88_405
.LBB88_406:
	s_waitcnt lgkmcnt(0)
	v_cmp_eq_f32_e32 vcc, 0, v54
	s_and_saveexec_b64 s[0:1], vcc
	s_xor_b64 s[0:1], exec, s[0:1]
; %bb.407:
	v_cmp_ne_u32_e32 vcc, 0, v56
	s_nop 1
	v_cndmask_b32_e32 v56, 25, v56, vcc
; %bb.408:
	s_andn2_saveexec_b64 s[0:1], s[0:1]
	s_cbranch_execz .LBB88_410
; %bb.409:
	v_div_scale_f32 v57, s[2:3], v54, v54, 1.0
	v_rcp_f32_e32 v58, v57
	v_div_scale_f32 v59, vcc, 1.0, v54, 1.0
	v_fma_f32 v60, -v57, v58, 1.0
	v_fmac_f32_e32 v58, v60, v58
	v_mul_f32_e32 v60, v59, v58
	v_fma_f32 v61, -v57, v60, v59
	v_fmac_f32_e32 v60, v61, v58
	v_fma_f32 v57, -v57, v60, v59
	v_div_fmas_f32 v57, v57, v58, v60
	v_div_fixup_f32 v54, v57, v54, 1.0
.LBB88_410:
	s_or_b64 exec, exec, s[0:1]
	v_cmp_ne_u32_e32 vcc, v55, v52
	s_and_saveexec_b64 s[0:1], vcc
	s_xor_b64 s[0:1], exec, s[0:1]
	s_cbranch_execz .LBB88_416
; %bb.411:
	v_cmp_eq_u32_e32 vcc, 24, v55
	s_and_saveexec_b64 s[2:3], vcc
	s_cbranch_execz .LBB88_415
; %bb.412:
	v_cmp_ne_u32_e32 vcc, 24, v52
	s_xor_b64 s[18:19], s[16:17], -1
	s_and_b64 s[20:21], s[18:19], vcc
	s_and_saveexec_b64 s[18:19], s[20:21]
	s_cbranch_execz .LBB88_414
; %bb.413:
	v_ashrrev_i32_e32 v53, 31, v52
	v_lshl_add_u64 v[58:59], v[52:53], 2, v[22:23]
	global_load_dword v53, v[58:59], off
	global_load_dword v55, v[22:23], off offset:96
	s_waitcnt vmcnt(1)
	global_store_dword v[22:23], v53, off offset:96
	s_waitcnt vmcnt(1)
	global_store_dword v[58:59], v55, off
.LBB88_414:
	s_or_b64 exec, exec, s[18:19]
	v_mov_b32_e32 v53, v52
	v_mov_b32_e32 v55, v52
.LBB88_415:
	s_or_b64 exec, exec, s[2:3]
.LBB88_416:
	s_andn2_saveexec_b64 s[0:1], s[0:1]
	s_cbranch_execz .LBB88_418
; %bb.417:
	v_mov_b32_e32 v55, 24
	s_waitcnt vmcnt(18)
	ds_write2_b32 v21, v42, v43 offset0:25 offset1:26
	s_waitcnt vmcnt(16)
	ds_write2_b32 v21, v36, v37 offset0:27 offset1:28
	;; [unrolled: 2-line block ×10, first 2 shown]
.LBB88_418:
	s_or_b64 exec, exec, s[0:1]
	v_cmp_lt_i32_e32 vcc, 24, v55
	s_waitcnt lgkmcnt(0)
	s_barrier
	s_and_saveexec_b64 s[0:1], vcc
	s_cbranch_execz .LBB88_420
; %bb.419:
	ds_read2_b32 v[58:59], v21 offset0:25 offset1:26
	v_mul_f32_e32 v52, v54, v17
	v_mov_b32_e32 v17, v52
	s_waitcnt vmcnt(18) lgkmcnt(0)
	v_pk_fma_f32 v[42:43], v[52:53], v[58:59], v[42:43] op_sel_hi:[0,1,1] neg_lo:[1,0,0] neg_hi:[1,0,0]
	ds_read2_b32 v[58:59], v21 offset0:27 offset1:28
	s_waitcnt vmcnt(16) lgkmcnt(0)
	v_pk_fma_f32 v[36:37], v[52:53], v[58:59], v[36:37] op_sel_hi:[0,1,1] neg_lo:[1,0,0] neg_hi:[1,0,0]
	ds_read2_b32 v[58:59], v21 offset0:29 offset1:30
	;; [unrolled: 3-line block ×9, first 2 shown]
	s_waitcnt vmcnt(0) lgkmcnt(0)
	v_pk_fma_f32 v[46:47], v[52:53], v[58:59], v[46:47] op_sel_hi:[0,1,1] neg_lo:[1,0,0] neg_hi:[1,0,0]
.LBB88_420:
	s_or_b64 exec, exec, s[0:1]
	v_lshl_add_u32 v52, v55, 2, v21
	s_barrier
	s_waitcnt vmcnt(19)
	ds_write_b32 v52, v42
	s_waitcnt lgkmcnt(0)
	s_barrier
	ds_read_b32 v54, v21 offset:100
	s_cmp_lt_i32 s22, 27
	v_mov_b32_e32 v52, 25
	s_cbranch_scc1 .LBB88_423
; %bb.421:
	v_add_u32_e32 v57, 0x68, v21
	v_mov_b32_e32 v52, 25
	s_mov_b32 s0, 26
.LBB88_422:                             ; =>This Inner Loop Header: Depth=1
	ds_read_b32 v58, v57
	v_mov_b32_e32 v59, s0
	s_add_i32 s0, s0, 1
	v_add_u32_e32 v57, 4, v57
	s_cmp_lg_u32 s22, s0
	s_waitcnt lgkmcnt(0)
	v_cmp_lt_f32_e64 vcc, |v54|, |v58|
	s_nop 1
	v_cndmask_b32_e32 v54, v54, v58, vcc
	v_cndmask_b32_e32 v52, v52, v59, vcc
	s_cbranch_scc1 .LBB88_422
.LBB88_423:
	s_waitcnt lgkmcnt(0)
	v_cmp_eq_f32_e32 vcc, 0, v54
	s_and_saveexec_b64 s[0:1], vcc
	s_xor_b64 s[0:1], exec, s[0:1]
; %bb.424:
	v_cmp_ne_u32_e32 vcc, 0, v56
	s_nop 1
	v_cndmask_b32_e32 v56, 26, v56, vcc
; %bb.425:
	s_andn2_saveexec_b64 s[0:1], s[0:1]
	s_cbranch_execz .LBB88_427
; %bb.426:
	v_div_scale_f32 v57, s[2:3], v54, v54, 1.0
	v_rcp_f32_e32 v58, v57
	v_div_scale_f32 v59, vcc, 1.0, v54, 1.0
	v_fma_f32 v60, -v57, v58, 1.0
	v_fmac_f32_e32 v58, v60, v58
	v_mul_f32_e32 v60, v59, v58
	v_fma_f32 v61, -v57, v60, v59
	v_fmac_f32_e32 v60, v61, v58
	v_fma_f32 v57, -v57, v60, v59
	v_div_fmas_f32 v57, v57, v58, v60
	v_div_fixup_f32 v54, v57, v54, 1.0
.LBB88_427:
	s_or_b64 exec, exec, s[0:1]
	v_cmp_ne_u32_e32 vcc, v55, v52
	s_and_saveexec_b64 s[0:1], vcc
	s_xor_b64 s[0:1], exec, s[0:1]
	s_cbranch_execz .LBB88_433
; %bb.428:
	v_cmp_eq_u32_e32 vcc, 25, v55
	s_and_saveexec_b64 s[2:3], vcc
	s_cbranch_execz .LBB88_432
; %bb.429:
	v_cmp_ne_u32_e32 vcc, 25, v52
	s_xor_b64 s[18:19], s[16:17], -1
	s_and_b64 s[20:21], s[18:19], vcc
	s_and_saveexec_b64 s[18:19], s[20:21]
	s_cbranch_execz .LBB88_431
; %bb.430:
	v_ashrrev_i32_e32 v53, 31, v52
	v_lshl_add_u64 v[58:59], v[52:53], 2, v[22:23]
	global_load_dword v53, v[58:59], off
	global_load_dword v55, v[22:23], off offset:100
	s_waitcnt vmcnt(1)
	global_store_dword v[22:23], v53, off offset:100
	s_waitcnt vmcnt(1)
	global_store_dword v[58:59], v55, off
.LBB88_431:
	s_or_b64 exec, exec, s[18:19]
	v_mov_b32_e32 v53, v52
	v_mov_b32_e32 v55, v52
.LBB88_432:
	s_or_b64 exec, exec, s[2:3]
.LBB88_433:
	s_andn2_saveexec_b64 s[0:1], s[0:1]
	s_cbranch_execz .LBB88_435
; %bb.434:
	s_waitcnt vmcnt(16)
	v_pk_mov_b32 v[58:59], v[42:43], v[36:37] op_sel:[1,0]
	ds_write2_b32 v21, v58, v59 offset0:26 offset1:27
	s_waitcnt vmcnt(14)
	v_pk_mov_b32 v[58:59], v[36:37], v[32:33] op_sel:[1,0]
	ds_write2_b32 v21, v58, v59 offset0:28 offset1:29
	;; [unrolled: 3-line block ×8, first 2 shown]
	s_waitcnt vmcnt(0)
	v_pk_mov_b32 v[58:59], v[48:49], v[46:47] op_sel:[1,0]
	v_mov_b32_e32 v55, 25
	ds_write2_b32 v21, v58, v59 offset0:42 offset1:43
	ds_write_b32 v21, v47 offset:176
.LBB88_435:
	s_or_b64 exec, exec, s[0:1]
	v_cmp_lt_i32_e32 vcc, 25, v55
	s_waitcnt lgkmcnt(0)
	s_barrier
	s_and_saveexec_b64 s[0:1], vcc
	s_cbranch_execz .LBB88_437
; %bb.436:
	ds_read_b32 v52, v21 offset:104
	ds_read2_b32 v[58:59], v21 offset0:27 offset1:28
	v_mul_f32_e32 v42, v54, v42
	s_waitcnt vmcnt(18) lgkmcnt(1)
	v_fma_f32 v43, -v42, v52, v43
	s_waitcnt vmcnt(16) lgkmcnt(0)
	v_pk_fma_f32 v[36:37], v[42:43], v[58:59], v[36:37] op_sel_hi:[0,1,1] neg_lo:[1,0,0] neg_hi:[1,0,0]
	ds_read2_b32 v[58:59], v21 offset0:29 offset1:30
	s_waitcnt vmcnt(14) lgkmcnt(0)
	v_pk_fma_f32 v[32:33], v[42:43], v[58:59], v[32:33] op_sel_hi:[0,1,1] neg_lo:[1,0,0] neg_hi:[1,0,0]
	ds_read2_b32 v[58:59], v21 offset0:31 offset1:32
	;; [unrolled: 3-line block ×8, first 2 shown]
	s_waitcnt vmcnt(0) lgkmcnt(0)
	v_pk_fma_f32 v[46:47], v[42:43], v[58:59], v[46:47] op_sel_hi:[0,1,1] neg_lo:[1,0,0] neg_hi:[1,0,0]
.LBB88_437:
	s_or_b64 exec, exec, s[0:1]
	v_lshl_add_u32 v52, v55, 2, v21
	s_barrier
	s_waitcnt vmcnt(18)
	ds_write_b32 v52, v43
	s_waitcnt lgkmcnt(0)
	s_barrier
	ds_read_b32 v54, v21 offset:104
	s_cmp_lt_i32 s22, 28
	v_mov_b32_e32 v52, 26
	s_cbranch_scc1 .LBB88_440
; %bb.438:
	v_add_u32_e32 v57, 0x6c, v21
	v_mov_b32_e32 v52, 26
	s_mov_b32 s0, 27
.LBB88_439:                             ; =>This Inner Loop Header: Depth=1
	ds_read_b32 v58, v57
	v_mov_b32_e32 v59, s0
	s_add_i32 s0, s0, 1
	v_add_u32_e32 v57, 4, v57
	s_cmp_lg_u32 s22, s0
	s_waitcnt lgkmcnt(0)
	v_cmp_lt_f32_e64 vcc, |v54|, |v58|
	s_nop 1
	v_cndmask_b32_e32 v54, v54, v58, vcc
	v_cndmask_b32_e32 v52, v52, v59, vcc
	s_cbranch_scc1 .LBB88_439
.LBB88_440:
	s_waitcnt lgkmcnt(0)
	v_cmp_eq_f32_e32 vcc, 0, v54
	s_and_saveexec_b64 s[0:1], vcc
	s_xor_b64 s[0:1], exec, s[0:1]
; %bb.441:
	v_cmp_ne_u32_e32 vcc, 0, v56
	s_nop 1
	v_cndmask_b32_e32 v56, 27, v56, vcc
; %bb.442:
	s_andn2_saveexec_b64 s[0:1], s[0:1]
	s_cbranch_execz .LBB88_444
; %bb.443:
	v_div_scale_f32 v57, s[2:3], v54, v54, 1.0
	v_rcp_f32_e32 v58, v57
	v_div_scale_f32 v59, vcc, 1.0, v54, 1.0
	v_fma_f32 v60, -v57, v58, 1.0
	v_fmac_f32_e32 v58, v60, v58
	v_mul_f32_e32 v60, v59, v58
	v_fma_f32 v61, -v57, v60, v59
	v_fmac_f32_e32 v60, v61, v58
	v_fma_f32 v57, -v57, v60, v59
	v_div_fmas_f32 v57, v57, v58, v60
	v_div_fixup_f32 v54, v57, v54, 1.0
.LBB88_444:
	s_or_b64 exec, exec, s[0:1]
	v_cmp_ne_u32_e32 vcc, v55, v52
	s_and_saveexec_b64 s[0:1], vcc
	s_xor_b64 s[0:1], exec, s[0:1]
	s_cbranch_execz .LBB88_450
; %bb.445:
	v_cmp_eq_u32_e32 vcc, 26, v55
	s_and_saveexec_b64 s[2:3], vcc
	s_cbranch_execz .LBB88_449
; %bb.446:
	v_cmp_ne_u32_e32 vcc, 26, v52
	s_xor_b64 s[18:19], s[16:17], -1
	s_and_b64 s[20:21], s[18:19], vcc
	s_and_saveexec_b64 s[18:19], s[20:21]
	s_cbranch_execz .LBB88_448
; %bb.447:
	v_ashrrev_i32_e32 v53, 31, v52
	v_lshl_add_u64 v[58:59], v[52:53], 2, v[22:23]
	global_load_dword v53, v[58:59], off
	global_load_dword v55, v[22:23], off offset:104
	s_waitcnt vmcnt(1)
	global_store_dword v[22:23], v53, off offset:104
	s_waitcnt vmcnt(1)
	global_store_dword v[58:59], v55, off
.LBB88_448:
	s_or_b64 exec, exec, s[18:19]
	v_mov_b32_e32 v53, v52
	v_mov_b32_e32 v55, v52
.LBB88_449:
	s_or_b64 exec, exec, s[2:3]
.LBB88_450:
	s_andn2_saveexec_b64 s[0:1], s[0:1]
	s_cbranch_execz .LBB88_452
; %bb.451:
	v_mov_b32_e32 v55, 26
	s_waitcnt vmcnt(16)
	ds_write2_b32 v21, v36, v37 offset0:27 offset1:28
	s_waitcnt vmcnt(14)
	ds_write2_b32 v21, v32, v33 offset0:29 offset1:30
	;; [unrolled: 2-line block ×9, first 2 shown]
.LBB88_452:
	s_or_b64 exec, exec, s[0:1]
	v_cmp_lt_i32_e32 vcc, 26, v55
	s_waitcnt lgkmcnt(0)
	s_barrier
	s_and_saveexec_b64 s[0:1], vcc
	s_cbranch_execz .LBB88_454
; %bb.453:
	ds_read2_b32 v[58:59], v21 offset0:27 offset1:28
	v_mul_f32_e32 v52, v54, v43
	v_mov_b32_e32 v43, v52
	s_waitcnt vmcnt(16) lgkmcnt(0)
	v_pk_fma_f32 v[36:37], v[52:53], v[58:59], v[36:37] op_sel_hi:[0,1,1] neg_lo:[1,0,0] neg_hi:[1,0,0]
	ds_read2_b32 v[58:59], v21 offset0:29 offset1:30
	s_waitcnt vmcnt(14) lgkmcnt(0)
	v_pk_fma_f32 v[32:33], v[52:53], v[58:59], v[32:33] op_sel_hi:[0,1,1] neg_lo:[1,0,0] neg_hi:[1,0,0]
	ds_read2_b32 v[58:59], v21 offset0:31 offset1:32
	;; [unrolled: 3-line block ×8, first 2 shown]
	s_waitcnt vmcnt(0) lgkmcnt(0)
	v_pk_fma_f32 v[46:47], v[52:53], v[58:59], v[46:47] op_sel_hi:[0,1,1] neg_lo:[1,0,0] neg_hi:[1,0,0]
.LBB88_454:
	s_or_b64 exec, exec, s[0:1]
	v_lshl_add_u32 v52, v55, 2, v21
	s_barrier
	s_waitcnt vmcnt(17)
	ds_write_b32 v52, v36
	s_waitcnt lgkmcnt(0)
	s_barrier
	ds_read_b32 v54, v21 offset:108
	s_cmp_lt_i32 s22, 29
	v_mov_b32_e32 v52, 27
	s_cbranch_scc1 .LBB88_457
; %bb.455:
	v_add_u32_e32 v57, 0x70, v21
	v_mov_b32_e32 v52, 27
	s_mov_b32 s0, 28
.LBB88_456:                             ; =>This Inner Loop Header: Depth=1
	ds_read_b32 v58, v57
	v_mov_b32_e32 v59, s0
	s_add_i32 s0, s0, 1
	v_add_u32_e32 v57, 4, v57
	s_cmp_lg_u32 s22, s0
	s_waitcnt lgkmcnt(0)
	v_cmp_lt_f32_e64 vcc, |v54|, |v58|
	s_nop 1
	v_cndmask_b32_e32 v54, v54, v58, vcc
	v_cndmask_b32_e32 v52, v52, v59, vcc
	s_cbranch_scc1 .LBB88_456
.LBB88_457:
	s_waitcnt lgkmcnt(0)
	v_cmp_eq_f32_e32 vcc, 0, v54
	s_and_saveexec_b64 s[0:1], vcc
	s_xor_b64 s[0:1], exec, s[0:1]
; %bb.458:
	v_cmp_ne_u32_e32 vcc, 0, v56
	s_nop 1
	v_cndmask_b32_e32 v56, 28, v56, vcc
; %bb.459:
	s_andn2_saveexec_b64 s[0:1], s[0:1]
	s_cbranch_execz .LBB88_461
; %bb.460:
	v_div_scale_f32 v57, s[2:3], v54, v54, 1.0
	v_rcp_f32_e32 v58, v57
	v_div_scale_f32 v59, vcc, 1.0, v54, 1.0
	v_fma_f32 v60, -v57, v58, 1.0
	v_fmac_f32_e32 v58, v60, v58
	v_mul_f32_e32 v60, v59, v58
	v_fma_f32 v61, -v57, v60, v59
	v_fmac_f32_e32 v60, v61, v58
	v_fma_f32 v57, -v57, v60, v59
	v_div_fmas_f32 v57, v57, v58, v60
	v_div_fixup_f32 v54, v57, v54, 1.0
.LBB88_461:
	s_or_b64 exec, exec, s[0:1]
	v_cmp_ne_u32_e32 vcc, v55, v52
	s_and_saveexec_b64 s[0:1], vcc
	s_xor_b64 s[0:1], exec, s[0:1]
	s_cbranch_execz .LBB88_467
; %bb.462:
	v_cmp_eq_u32_e32 vcc, 27, v55
	s_and_saveexec_b64 s[2:3], vcc
	s_cbranch_execz .LBB88_466
; %bb.463:
	v_cmp_ne_u32_e32 vcc, 27, v52
	s_xor_b64 s[18:19], s[16:17], -1
	s_and_b64 s[20:21], s[18:19], vcc
	s_and_saveexec_b64 s[18:19], s[20:21]
	s_cbranch_execz .LBB88_465
; %bb.464:
	v_ashrrev_i32_e32 v53, 31, v52
	v_lshl_add_u64 v[58:59], v[52:53], 2, v[22:23]
	global_load_dword v53, v[58:59], off
	global_load_dword v55, v[22:23], off offset:108
	s_waitcnt vmcnt(1)
	global_store_dword v[22:23], v53, off offset:108
	s_waitcnt vmcnt(1)
	global_store_dword v[58:59], v55, off
.LBB88_465:
	s_or_b64 exec, exec, s[18:19]
	v_mov_b32_e32 v53, v52
	v_mov_b32_e32 v55, v52
.LBB88_466:
	s_or_b64 exec, exec, s[2:3]
.LBB88_467:
	s_andn2_saveexec_b64 s[0:1], s[0:1]
	s_cbranch_execz .LBB88_469
; %bb.468:
	s_waitcnt vmcnt(14)
	v_pk_mov_b32 v[58:59], v[36:37], v[32:33] op_sel:[1,0]
	ds_write2_b32 v21, v58, v59 offset0:28 offset1:29
	s_waitcnt vmcnt(12)
	v_pk_mov_b32 v[58:59], v[32:33], v[26:27] op_sel:[1,0]
	ds_write2_b32 v21, v58, v59 offset0:30 offset1:31
	;; [unrolled: 3-line block ×7, first 2 shown]
	s_waitcnt vmcnt(0)
	v_pk_mov_b32 v[58:59], v[48:49], v[46:47] op_sel:[1,0]
	v_mov_b32_e32 v55, 27
	ds_write2_b32 v21, v58, v59 offset0:42 offset1:43
	ds_write_b32 v21, v47 offset:176
.LBB88_469:
	s_or_b64 exec, exec, s[0:1]
	v_cmp_lt_i32_e32 vcc, 27, v55
	s_waitcnt lgkmcnt(0)
	s_barrier
	s_and_saveexec_b64 s[0:1], vcc
	s_cbranch_execz .LBB88_471
; %bb.470:
	ds_read_b32 v52, v21 offset:112
	ds_read2_b32 v[58:59], v21 offset0:29 offset1:30
	v_mul_f32_e32 v36, v54, v36
	s_waitcnt vmcnt(16) lgkmcnt(1)
	v_fma_f32 v37, -v36, v52, v37
	s_waitcnt vmcnt(14) lgkmcnt(0)
	v_pk_fma_f32 v[32:33], v[36:37], v[58:59], v[32:33] op_sel_hi:[0,1,1] neg_lo:[1,0,0] neg_hi:[1,0,0]
	ds_read2_b32 v[58:59], v21 offset0:31 offset1:32
	s_waitcnt vmcnt(12) lgkmcnt(0)
	v_pk_fma_f32 v[26:27], v[36:37], v[58:59], v[26:27] op_sel_hi:[0,1,1] neg_lo:[1,0,0] neg_hi:[1,0,0]
	ds_read2_b32 v[58:59], v21 offset0:33 offset1:34
	;; [unrolled: 3-line block ×7, first 2 shown]
	s_waitcnt vmcnt(0) lgkmcnt(0)
	v_pk_fma_f32 v[46:47], v[36:37], v[58:59], v[46:47] op_sel_hi:[0,1,1] neg_lo:[1,0,0] neg_hi:[1,0,0]
.LBB88_471:
	s_or_b64 exec, exec, s[0:1]
	v_lshl_add_u32 v52, v55, 2, v21
	s_barrier
	s_waitcnt vmcnt(16)
	ds_write_b32 v52, v37
	s_waitcnt lgkmcnt(0)
	s_barrier
	ds_read_b32 v54, v21 offset:112
	s_cmp_lt_i32 s22, 30
	v_mov_b32_e32 v52, 28
	s_cbranch_scc1 .LBB88_474
; %bb.472:
	v_add_u32_e32 v57, 0x74, v21
	v_mov_b32_e32 v52, 28
	s_mov_b32 s0, 29
.LBB88_473:                             ; =>This Inner Loop Header: Depth=1
	ds_read_b32 v58, v57
	v_mov_b32_e32 v59, s0
	s_add_i32 s0, s0, 1
	v_add_u32_e32 v57, 4, v57
	s_cmp_lg_u32 s22, s0
	s_waitcnt lgkmcnt(0)
	v_cmp_lt_f32_e64 vcc, |v54|, |v58|
	s_nop 1
	v_cndmask_b32_e32 v54, v54, v58, vcc
	v_cndmask_b32_e32 v52, v52, v59, vcc
	s_cbranch_scc1 .LBB88_473
.LBB88_474:
	s_waitcnt lgkmcnt(0)
	v_cmp_eq_f32_e32 vcc, 0, v54
	s_and_saveexec_b64 s[0:1], vcc
	s_xor_b64 s[0:1], exec, s[0:1]
; %bb.475:
	v_cmp_ne_u32_e32 vcc, 0, v56
	s_nop 1
	v_cndmask_b32_e32 v56, 29, v56, vcc
; %bb.476:
	s_andn2_saveexec_b64 s[0:1], s[0:1]
	s_cbranch_execz .LBB88_478
; %bb.477:
	v_div_scale_f32 v57, s[2:3], v54, v54, 1.0
	v_rcp_f32_e32 v58, v57
	v_div_scale_f32 v59, vcc, 1.0, v54, 1.0
	v_fma_f32 v60, -v57, v58, 1.0
	v_fmac_f32_e32 v58, v60, v58
	v_mul_f32_e32 v60, v59, v58
	v_fma_f32 v61, -v57, v60, v59
	v_fmac_f32_e32 v60, v61, v58
	v_fma_f32 v57, -v57, v60, v59
	v_div_fmas_f32 v57, v57, v58, v60
	v_div_fixup_f32 v54, v57, v54, 1.0
.LBB88_478:
	s_or_b64 exec, exec, s[0:1]
	v_cmp_ne_u32_e32 vcc, v55, v52
	s_and_saveexec_b64 s[0:1], vcc
	s_xor_b64 s[0:1], exec, s[0:1]
	s_cbranch_execz .LBB88_484
; %bb.479:
	v_cmp_eq_u32_e32 vcc, 28, v55
	s_and_saveexec_b64 s[2:3], vcc
	s_cbranch_execz .LBB88_483
; %bb.480:
	v_cmp_ne_u32_e32 vcc, 28, v52
	s_xor_b64 s[18:19], s[16:17], -1
	s_and_b64 s[20:21], s[18:19], vcc
	s_and_saveexec_b64 s[18:19], s[20:21]
	s_cbranch_execz .LBB88_482
; %bb.481:
	v_ashrrev_i32_e32 v53, 31, v52
	v_lshl_add_u64 v[58:59], v[52:53], 2, v[22:23]
	global_load_dword v53, v[58:59], off
	global_load_dword v55, v[22:23], off offset:112
	s_waitcnt vmcnt(1)
	global_store_dword v[22:23], v53, off offset:112
	s_waitcnt vmcnt(1)
	global_store_dword v[58:59], v55, off
.LBB88_482:
	s_or_b64 exec, exec, s[18:19]
	v_mov_b32_e32 v53, v52
	v_mov_b32_e32 v55, v52
.LBB88_483:
	s_or_b64 exec, exec, s[2:3]
.LBB88_484:
	s_andn2_saveexec_b64 s[0:1], s[0:1]
	s_cbranch_execz .LBB88_486
; %bb.485:
	v_mov_b32_e32 v55, 28
	s_waitcnt vmcnt(14)
	ds_write2_b32 v21, v32, v33 offset0:29 offset1:30
	s_waitcnt vmcnt(12)
	ds_write2_b32 v21, v26, v27 offset0:31 offset1:32
	;; [unrolled: 2-line block ×8, first 2 shown]
.LBB88_486:
	s_or_b64 exec, exec, s[0:1]
	v_cmp_lt_i32_e32 vcc, 28, v55
	s_waitcnt lgkmcnt(0)
	s_barrier
	s_and_saveexec_b64 s[0:1], vcc
	s_cbranch_execz .LBB88_488
; %bb.487:
	ds_read2_b32 v[58:59], v21 offset0:29 offset1:30
	v_mul_f32_e32 v52, v54, v37
	v_mov_b32_e32 v37, v52
	s_waitcnt vmcnt(14) lgkmcnt(0)
	v_pk_fma_f32 v[32:33], v[52:53], v[58:59], v[32:33] op_sel_hi:[0,1,1] neg_lo:[1,0,0] neg_hi:[1,0,0]
	ds_read2_b32 v[58:59], v21 offset0:31 offset1:32
	s_waitcnt vmcnt(12) lgkmcnt(0)
	v_pk_fma_f32 v[26:27], v[52:53], v[58:59], v[26:27] op_sel_hi:[0,1,1] neg_lo:[1,0,0] neg_hi:[1,0,0]
	ds_read2_b32 v[58:59], v21 offset0:33 offset1:34
	s_waitcnt vmcnt(10) lgkmcnt(0)
	v_pk_fma_f32 v[50:51], v[52:53], v[58:59], v[50:51] op_sel_hi:[0,1,1] neg_lo:[1,0,0] neg_hi:[1,0,0]
	ds_read2_b32 v[58:59], v21 offset0:35 offset1:36
	s_waitcnt vmcnt(8) lgkmcnt(0)
	v_pk_fma_f32 v[44:45], v[52:53], v[58:59], v[44:45] op_sel_hi:[0,1,1] neg_lo:[1,0,0] neg_hi:[1,0,0]
	ds_read2_b32 v[58:59], v21 offset0:37 offset1:38
	s_waitcnt vmcnt(6) lgkmcnt(0)
	v_pk_fma_f32 v[40:41], v[52:53], v[58:59], v[40:41] op_sel_hi:[0,1,1] neg_lo:[1,0,0] neg_hi:[1,0,0]
	ds_read2_b32 v[58:59], v21 offset0:39 offset1:40
	s_waitcnt vmcnt(4) lgkmcnt(0)
	v_pk_fma_f32 v[38:39], v[52:53], v[58:59], v[38:39] op_sel_hi:[0,1,1] neg_lo:[1,0,0] neg_hi:[1,0,0]
	ds_read2_b32 v[58:59], v21 offset0:41 offset1:42
	s_waitcnt vmcnt(2) lgkmcnt(0)
	v_pk_fma_f32 v[48:49], v[52:53], v[58:59], v[48:49] op_sel_hi:[0,1,1] neg_lo:[1,0,0] neg_hi:[1,0,0]
	ds_read2_b32 v[58:59], v21 offset0:43 offset1:44
	s_waitcnt vmcnt(0) lgkmcnt(0)
	v_pk_fma_f32 v[46:47], v[52:53], v[58:59], v[46:47] op_sel_hi:[0,1,1] neg_lo:[1,0,0] neg_hi:[1,0,0]
.LBB88_488:
	s_or_b64 exec, exec, s[0:1]
	v_lshl_add_u32 v52, v55, 2, v21
	s_barrier
	s_waitcnt vmcnt(15)
	ds_write_b32 v52, v32
	s_waitcnt lgkmcnt(0)
	s_barrier
	ds_read_b32 v54, v21 offset:116
	s_cmp_lt_i32 s22, 31
	v_mov_b32_e32 v52, 29
	s_cbranch_scc1 .LBB88_491
; %bb.489:
	v_add_u32_e32 v57, 0x78, v21
	v_mov_b32_e32 v52, 29
	s_mov_b32 s0, 30
.LBB88_490:                             ; =>This Inner Loop Header: Depth=1
	ds_read_b32 v58, v57
	v_mov_b32_e32 v59, s0
	s_add_i32 s0, s0, 1
	v_add_u32_e32 v57, 4, v57
	s_cmp_lg_u32 s22, s0
	s_waitcnt lgkmcnt(0)
	v_cmp_lt_f32_e64 vcc, |v54|, |v58|
	s_nop 1
	v_cndmask_b32_e32 v54, v54, v58, vcc
	v_cndmask_b32_e32 v52, v52, v59, vcc
	s_cbranch_scc1 .LBB88_490
.LBB88_491:
	s_waitcnt lgkmcnt(0)
	v_cmp_eq_f32_e32 vcc, 0, v54
	s_and_saveexec_b64 s[0:1], vcc
	s_xor_b64 s[0:1], exec, s[0:1]
; %bb.492:
	v_cmp_ne_u32_e32 vcc, 0, v56
	s_nop 1
	v_cndmask_b32_e32 v56, 30, v56, vcc
; %bb.493:
	s_andn2_saveexec_b64 s[0:1], s[0:1]
	s_cbranch_execz .LBB88_495
; %bb.494:
	v_div_scale_f32 v57, s[2:3], v54, v54, 1.0
	v_rcp_f32_e32 v58, v57
	v_div_scale_f32 v59, vcc, 1.0, v54, 1.0
	v_fma_f32 v60, -v57, v58, 1.0
	v_fmac_f32_e32 v58, v60, v58
	v_mul_f32_e32 v60, v59, v58
	v_fma_f32 v61, -v57, v60, v59
	v_fmac_f32_e32 v60, v61, v58
	v_fma_f32 v57, -v57, v60, v59
	v_div_fmas_f32 v57, v57, v58, v60
	v_div_fixup_f32 v54, v57, v54, 1.0
.LBB88_495:
	s_or_b64 exec, exec, s[0:1]
	v_cmp_ne_u32_e32 vcc, v55, v52
	s_and_saveexec_b64 s[0:1], vcc
	s_xor_b64 s[0:1], exec, s[0:1]
	s_cbranch_execz .LBB88_501
; %bb.496:
	v_cmp_eq_u32_e32 vcc, 29, v55
	s_and_saveexec_b64 s[2:3], vcc
	s_cbranch_execz .LBB88_500
; %bb.497:
	v_cmp_ne_u32_e32 vcc, 29, v52
	s_xor_b64 s[18:19], s[16:17], -1
	s_and_b64 s[20:21], s[18:19], vcc
	s_and_saveexec_b64 s[18:19], s[20:21]
	s_cbranch_execz .LBB88_499
; %bb.498:
	v_ashrrev_i32_e32 v53, 31, v52
	v_lshl_add_u64 v[58:59], v[52:53], 2, v[22:23]
	global_load_dword v53, v[58:59], off
	global_load_dword v55, v[22:23], off offset:116
	s_waitcnt vmcnt(1)
	global_store_dword v[22:23], v53, off offset:116
	s_waitcnt vmcnt(1)
	global_store_dword v[58:59], v55, off
.LBB88_499:
	s_or_b64 exec, exec, s[18:19]
	v_mov_b32_e32 v53, v52
	v_mov_b32_e32 v55, v52
.LBB88_500:
	s_or_b64 exec, exec, s[2:3]
.LBB88_501:
	s_andn2_saveexec_b64 s[0:1], s[0:1]
	s_cbranch_execz .LBB88_503
; %bb.502:
	s_waitcnt vmcnt(12)
	v_pk_mov_b32 v[58:59], v[32:33], v[26:27] op_sel:[1,0]
	ds_write2_b32 v21, v58, v59 offset0:30 offset1:31
	s_waitcnt vmcnt(10)
	v_pk_mov_b32 v[58:59], v[26:27], v[50:51] op_sel:[1,0]
	ds_write2_b32 v21, v58, v59 offset0:32 offset1:33
	;; [unrolled: 3-line block ×6, first 2 shown]
	s_waitcnt vmcnt(0)
	v_pk_mov_b32 v[58:59], v[48:49], v[46:47] op_sel:[1,0]
	v_mov_b32_e32 v55, 29
	ds_write2_b32 v21, v58, v59 offset0:42 offset1:43
	ds_write_b32 v21, v47 offset:176
.LBB88_503:
	s_or_b64 exec, exec, s[0:1]
	v_cmp_lt_i32_e32 vcc, 29, v55
	s_waitcnt lgkmcnt(0)
	s_barrier
	s_and_saveexec_b64 s[0:1], vcc
	s_cbranch_execz .LBB88_505
; %bb.504:
	ds_read_b32 v52, v21 offset:120
	ds_read2_b32 v[58:59], v21 offset0:31 offset1:32
	v_mul_f32_e32 v32, v54, v32
	s_waitcnt vmcnt(14) lgkmcnt(1)
	v_fma_f32 v33, -v32, v52, v33
	s_waitcnt vmcnt(12) lgkmcnt(0)
	v_pk_fma_f32 v[26:27], v[32:33], v[58:59], v[26:27] op_sel_hi:[0,1,1] neg_lo:[1,0,0] neg_hi:[1,0,0]
	ds_read2_b32 v[58:59], v21 offset0:33 offset1:34
	s_waitcnt vmcnt(10) lgkmcnt(0)
	v_pk_fma_f32 v[50:51], v[32:33], v[58:59], v[50:51] op_sel_hi:[0,1,1] neg_lo:[1,0,0] neg_hi:[1,0,0]
	ds_read2_b32 v[58:59], v21 offset0:35 offset1:36
	;; [unrolled: 3-line block ×6, first 2 shown]
	s_waitcnt vmcnt(0) lgkmcnt(0)
	v_pk_fma_f32 v[46:47], v[32:33], v[58:59], v[46:47] op_sel_hi:[0,1,1] neg_lo:[1,0,0] neg_hi:[1,0,0]
.LBB88_505:
	s_or_b64 exec, exec, s[0:1]
	v_lshl_add_u32 v52, v55, 2, v21
	s_barrier
	s_waitcnt vmcnt(14)
	ds_write_b32 v52, v33
	s_waitcnt lgkmcnt(0)
	s_barrier
	ds_read_b32 v54, v21 offset:120
	s_cmp_lt_i32 s22, 32
	v_mov_b32_e32 v52, 30
	s_cbranch_scc1 .LBB88_508
; %bb.506:
	v_add_u32_e32 v57, 0x7c, v21
	v_mov_b32_e32 v52, 30
	s_mov_b32 s0, 31
.LBB88_507:                             ; =>This Inner Loop Header: Depth=1
	ds_read_b32 v58, v57
	v_mov_b32_e32 v59, s0
	s_add_i32 s0, s0, 1
	v_add_u32_e32 v57, 4, v57
	s_cmp_lg_u32 s22, s0
	s_waitcnt lgkmcnt(0)
	v_cmp_lt_f32_e64 vcc, |v54|, |v58|
	s_nop 1
	v_cndmask_b32_e32 v54, v54, v58, vcc
	v_cndmask_b32_e32 v52, v52, v59, vcc
	s_cbranch_scc1 .LBB88_507
.LBB88_508:
	s_waitcnt lgkmcnt(0)
	v_cmp_eq_f32_e32 vcc, 0, v54
	s_and_saveexec_b64 s[0:1], vcc
	s_xor_b64 s[0:1], exec, s[0:1]
; %bb.509:
	v_cmp_ne_u32_e32 vcc, 0, v56
	s_nop 1
	v_cndmask_b32_e32 v56, 31, v56, vcc
; %bb.510:
	s_andn2_saveexec_b64 s[0:1], s[0:1]
	s_cbranch_execz .LBB88_512
; %bb.511:
	v_div_scale_f32 v57, s[2:3], v54, v54, 1.0
	v_rcp_f32_e32 v58, v57
	v_div_scale_f32 v59, vcc, 1.0, v54, 1.0
	v_fma_f32 v60, -v57, v58, 1.0
	v_fmac_f32_e32 v58, v60, v58
	v_mul_f32_e32 v60, v59, v58
	v_fma_f32 v61, -v57, v60, v59
	v_fmac_f32_e32 v60, v61, v58
	v_fma_f32 v57, -v57, v60, v59
	v_div_fmas_f32 v57, v57, v58, v60
	v_div_fixup_f32 v54, v57, v54, 1.0
.LBB88_512:
	s_or_b64 exec, exec, s[0:1]
	v_cmp_ne_u32_e32 vcc, v55, v52
	s_and_saveexec_b64 s[0:1], vcc
	s_xor_b64 s[0:1], exec, s[0:1]
	s_cbranch_execz .LBB88_518
; %bb.513:
	v_cmp_eq_u32_e32 vcc, 30, v55
	s_and_saveexec_b64 s[2:3], vcc
	s_cbranch_execz .LBB88_517
; %bb.514:
	v_cmp_ne_u32_e32 vcc, 30, v52
	s_xor_b64 s[18:19], s[16:17], -1
	s_and_b64 s[20:21], s[18:19], vcc
	s_and_saveexec_b64 s[18:19], s[20:21]
	s_cbranch_execz .LBB88_516
; %bb.515:
	v_ashrrev_i32_e32 v53, 31, v52
	v_lshl_add_u64 v[58:59], v[52:53], 2, v[22:23]
	global_load_dword v53, v[58:59], off
	global_load_dword v55, v[22:23], off offset:120
	s_waitcnt vmcnt(1)
	global_store_dword v[22:23], v53, off offset:120
	s_waitcnt vmcnt(1)
	global_store_dword v[58:59], v55, off
.LBB88_516:
	s_or_b64 exec, exec, s[18:19]
	v_mov_b32_e32 v53, v52
	v_mov_b32_e32 v55, v52
.LBB88_517:
	s_or_b64 exec, exec, s[2:3]
.LBB88_518:
	s_andn2_saveexec_b64 s[0:1], s[0:1]
	s_cbranch_execz .LBB88_520
; %bb.519:
	v_mov_b32_e32 v55, 30
	s_waitcnt vmcnt(12)
	ds_write2_b32 v21, v26, v27 offset0:31 offset1:32
	s_waitcnt vmcnt(10)
	ds_write2_b32 v21, v50, v51 offset0:33 offset1:34
	;; [unrolled: 2-line block ×7, first 2 shown]
.LBB88_520:
	s_or_b64 exec, exec, s[0:1]
	v_cmp_lt_i32_e32 vcc, 30, v55
	s_waitcnt lgkmcnt(0)
	s_barrier
	s_and_saveexec_b64 s[0:1], vcc
	s_cbranch_execz .LBB88_522
; %bb.521:
	ds_read2_b32 v[58:59], v21 offset0:31 offset1:32
	v_mul_f32_e32 v52, v54, v33
	v_mov_b32_e32 v33, v52
	s_waitcnt vmcnt(12) lgkmcnt(0)
	v_pk_fma_f32 v[26:27], v[52:53], v[58:59], v[26:27] op_sel_hi:[0,1,1] neg_lo:[1,0,0] neg_hi:[1,0,0]
	ds_read2_b32 v[58:59], v21 offset0:33 offset1:34
	s_waitcnt vmcnt(10) lgkmcnt(0)
	v_pk_fma_f32 v[50:51], v[52:53], v[58:59], v[50:51] op_sel_hi:[0,1,1] neg_lo:[1,0,0] neg_hi:[1,0,0]
	ds_read2_b32 v[58:59], v21 offset0:35 offset1:36
	;; [unrolled: 3-line block ×6, first 2 shown]
	s_waitcnt vmcnt(0) lgkmcnt(0)
	v_pk_fma_f32 v[46:47], v[52:53], v[58:59], v[46:47] op_sel_hi:[0,1,1] neg_lo:[1,0,0] neg_hi:[1,0,0]
.LBB88_522:
	s_or_b64 exec, exec, s[0:1]
	v_lshl_add_u32 v52, v55, 2, v21
	s_barrier
	s_waitcnt vmcnt(13)
	ds_write_b32 v52, v26
	s_waitcnt lgkmcnt(0)
	s_barrier
	ds_read_b32 v54, v21 offset:124
	s_cmp_lt_i32 s22, 33
	v_mov_b32_e32 v52, 31
	s_cbranch_scc1 .LBB88_525
; %bb.523:
	v_add_u32_e32 v57, 0x80, v21
	v_mov_b32_e32 v52, 31
	s_mov_b32 s0, 32
.LBB88_524:                             ; =>This Inner Loop Header: Depth=1
	ds_read_b32 v58, v57
	v_mov_b32_e32 v59, s0
	s_add_i32 s0, s0, 1
	v_add_u32_e32 v57, 4, v57
	s_cmp_lg_u32 s22, s0
	s_waitcnt lgkmcnt(0)
	v_cmp_lt_f32_e64 vcc, |v54|, |v58|
	s_nop 1
	v_cndmask_b32_e32 v54, v54, v58, vcc
	v_cndmask_b32_e32 v52, v52, v59, vcc
	s_cbranch_scc1 .LBB88_524
.LBB88_525:
	s_waitcnt lgkmcnt(0)
	v_cmp_eq_f32_e32 vcc, 0, v54
	s_and_saveexec_b64 s[0:1], vcc
	s_xor_b64 s[0:1], exec, s[0:1]
; %bb.526:
	v_cmp_ne_u32_e32 vcc, 0, v56
	s_nop 1
	v_cndmask_b32_e32 v56, 32, v56, vcc
; %bb.527:
	s_andn2_saveexec_b64 s[0:1], s[0:1]
	s_cbranch_execz .LBB88_529
; %bb.528:
	v_div_scale_f32 v57, s[2:3], v54, v54, 1.0
	v_rcp_f32_e32 v58, v57
	v_div_scale_f32 v59, vcc, 1.0, v54, 1.0
	v_fma_f32 v60, -v57, v58, 1.0
	v_fmac_f32_e32 v58, v60, v58
	v_mul_f32_e32 v60, v59, v58
	v_fma_f32 v61, -v57, v60, v59
	v_fmac_f32_e32 v60, v61, v58
	v_fma_f32 v57, -v57, v60, v59
	v_div_fmas_f32 v57, v57, v58, v60
	v_div_fixup_f32 v54, v57, v54, 1.0
.LBB88_529:
	s_or_b64 exec, exec, s[0:1]
	v_cmp_ne_u32_e32 vcc, v55, v52
	s_and_saveexec_b64 s[0:1], vcc
	s_xor_b64 s[0:1], exec, s[0:1]
	s_cbranch_execz .LBB88_535
; %bb.530:
	v_cmp_eq_u32_e32 vcc, 31, v55
	s_and_saveexec_b64 s[2:3], vcc
	s_cbranch_execz .LBB88_534
; %bb.531:
	v_cmp_ne_u32_e32 vcc, 31, v52
	s_xor_b64 s[18:19], s[16:17], -1
	s_and_b64 s[20:21], s[18:19], vcc
	s_and_saveexec_b64 s[18:19], s[20:21]
	s_cbranch_execz .LBB88_533
; %bb.532:
	v_ashrrev_i32_e32 v53, 31, v52
	v_lshl_add_u64 v[58:59], v[52:53], 2, v[22:23]
	global_load_dword v53, v[58:59], off
	global_load_dword v55, v[22:23], off offset:124
	s_waitcnt vmcnt(1)
	global_store_dword v[22:23], v53, off offset:124
	s_waitcnt vmcnt(1)
	global_store_dword v[58:59], v55, off
.LBB88_533:
	s_or_b64 exec, exec, s[18:19]
	v_mov_b32_e32 v53, v52
	v_mov_b32_e32 v55, v52
.LBB88_534:
	s_or_b64 exec, exec, s[2:3]
.LBB88_535:
	s_andn2_saveexec_b64 s[0:1], s[0:1]
	s_cbranch_execz .LBB88_537
; %bb.536:
	s_waitcnt vmcnt(10)
	v_pk_mov_b32 v[58:59], v[26:27], v[50:51] op_sel:[1,0]
	ds_write2_b32 v21, v58, v59 offset0:32 offset1:33
	s_waitcnt vmcnt(8)
	v_pk_mov_b32 v[58:59], v[50:51], v[44:45] op_sel:[1,0]
	ds_write2_b32 v21, v58, v59 offset0:34 offset1:35
	;; [unrolled: 3-line block ×5, first 2 shown]
	s_waitcnt vmcnt(0)
	v_pk_mov_b32 v[58:59], v[48:49], v[46:47] op_sel:[1,0]
	v_mov_b32_e32 v55, 31
	ds_write2_b32 v21, v58, v59 offset0:42 offset1:43
	ds_write_b32 v21, v47 offset:176
.LBB88_537:
	s_or_b64 exec, exec, s[0:1]
	v_cmp_lt_i32_e32 vcc, 31, v55
	s_waitcnt lgkmcnt(0)
	s_barrier
	s_and_saveexec_b64 s[0:1], vcc
	s_cbranch_execz .LBB88_539
; %bb.538:
	ds_read_b32 v52, v21 offset:128
	ds_read2_b32 v[58:59], v21 offset0:33 offset1:34
	v_mul_f32_e32 v26, v54, v26
	s_waitcnt vmcnt(12) lgkmcnt(1)
	v_fma_f32 v27, -v26, v52, v27
	s_waitcnt vmcnt(10) lgkmcnt(0)
	v_pk_fma_f32 v[50:51], v[26:27], v[58:59], v[50:51] op_sel_hi:[0,1,1] neg_lo:[1,0,0] neg_hi:[1,0,0]
	ds_read2_b32 v[58:59], v21 offset0:35 offset1:36
	s_waitcnt vmcnt(8) lgkmcnt(0)
	v_pk_fma_f32 v[44:45], v[26:27], v[58:59], v[44:45] op_sel_hi:[0,1,1] neg_lo:[1,0,0] neg_hi:[1,0,0]
	ds_read2_b32 v[58:59], v21 offset0:37 offset1:38
	s_waitcnt vmcnt(6) lgkmcnt(0)
	v_pk_fma_f32 v[40:41], v[26:27], v[58:59], v[40:41] op_sel_hi:[0,1,1] neg_lo:[1,0,0] neg_hi:[1,0,0]
	ds_read2_b32 v[58:59], v21 offset0:39 offset1:40
	s_waitcnt vmcnt(4) lgkmcnt(0)
	v_pk_fma_f32 v[38:39], v[26:27], v[58:59], v[38:39] op_sel_hi:[0,1,1] neg_lo:[1,0,0] neg_hi:[1,0,0]
	ds_read2_b32 v[58:59], v21 offset0:41 offset1:42
	s_waitcnt vmcnt(2) lgkmcnt(0)
	v_pk_fma_f32 v[48:49], v[26:27], v[58:59], v[48:49] op_sel_hi:[0,1,1] neg_lo:[1,0,0] neg_hi:[1,0,0]
	ds_read2_b32 v[58:59], v21 offset0:43 offset1:44
	s_waitcnt vmcnt(0) lgkmcnt(0)
	v_pk_fma_f32 v[46:47], v[26:27], v[58:59], v[46:47] op_sel_hi:[0,1,1] neg_lo:[1,0,0] neg_hi:[1,0,0]
.LBB88_539:
	s_or_b64 exec, exec, s[0:1]
	v_lshl_add_u32 v52, v55, 2, v21
	s_barrier
	s_waitcnt vmcnt(12)
	ds_write_b32 v52, v27
	s_waitcnt lgkmcnt(0)
	s_barrier
	ds_read_b32 v54, v21 offset:128
	s_cmp_lt_i32 s22, 34
	v_mov_b32_e32 v52, 32
	s_cbranch_scc1 .LBB88_542
; %bb.540:
	v_add_u32_e32 v57, 0x84, v21
	v_mov_b32_e32 v52, 32
	s_mov_b32 s0, 33
.LBB88_541:                             ; =>This Inner Loop Header: Depth=1
	ds_read_b32 v58, v57
	v_mov_b32_e32 v59, s0
	s_add_i32 s0, s0, 1
	v_add_u32_e32 v57, 4, v57
	s_cmp_lg_u32 s22, s0
	s_waitcnt lgkmcnt(0)
	v_cmp_lt_f32_e64 vcc, |v54|, |v58|
	s_nop 1
	v_cndmask_b32_e32 v54, v54, v58, vcc
	v_cndmask_b32_e32 v52, v52, v59, vcc
	s_cbranch_scc1 .LBB88_541
.LBB88_542:
	s_waitcnt lgkmcnt(0)
	v_cmp_eq_f32_e32 vcc, 0, v54
	s_and_saveexec_b64 s[0:1], vcc
	s_xor_b64 s[0:1], exec, s[0:1]
; %bb.543:
	v_cmp_ne_u32_e32 vcc, 0, v56
	s_nop 1
	v_cndmask_b32_e32 v56, 33, v56, vcc
; %bb.544:
	s_andn2_saveexec_b64 s[0:1], s[0:1]
	s_cbranch_execz .LBB88_546
; %bb.545:
	v_div_scale_f32 v57, s[2:3], v54, v54, 1.0
	v_rcp_f32_e32 v58, v57
	v_div_scale_f32 v59, vcc, 1.0, v54, 1.0
	v_fma_f32 v60, -v57, v58, 1.0
	v_fmac_f32_e32 v58, v60, v58
	v_mul_f32_e32 v60, v59, v58
	v_fma_f32 v61, -v57, v60, v59
	v_fmac_f32_e32 v60, v61, v58
	v_fma_f32 v57, -v57, v60, v59
	v_div_fmas_f32 v57, v57, v58, v60
	v_div_fixup_f32 v54, v57, v54, 1.0
.LBB88_546:
	s_or_b64 exec, exec, s[0:1]
	v_cmp_ne_u32_e32 vcc, v55, v52
	s_and_saveexec_b64 s[0:1], vcc
	s_xor_b64 s[0:1], exec, s[0:1]
	s_cbranch_execz .LBB88_552
; %bb.547:
	v_cmp_eq_u32_e32 vcc, 32, v55
	s_and_saveexec_b64 s[2:3], vcc
	s_cbranch_execz .LBB88_551
; %bb.548:
	v_cmp_ne_u32_e32 vcc, 32, v52
	s_xor_b64 s[18:19], s[16:17], -1
	s_and_b64 s[20:21], s[18:19], vcc
	s_and_saveexec_b64 s[18:19], s[20:21]
	s_cbranch_execz .LBB88_550
; %bb.549:
	v_ashrrev_i32_e32 v53, 31, v52
	v_lshl_add_u64 v[58:59], v[52:53], 2, v[22:23]
	global_load_dword v53, v[58:59], off
	global_load_dword v55, v[22:23], off offset:128
	s_waitcnt vmcnt(1)
	global_store_dword v[22:23], v53, off offset:128
	s_waitcnt vmcnt(1)
	global_store_dword v[58:59], v55, off
.LBB88_550:
	s_or_b64 exec, exec, s[18:19]
	v_mov_b32_e32 v53, v52
	v_mov_b32_e32 v55, v52
.LBB88_551:
	s_or_b64 exec, exec, s[2:3]
.LBB88_552:
	s_andn2_saveexec_b64 s[0:1], s[0:1]
	s_cbranch_execz .LBB88_554
; %bb.553:
	v_mov_b32_e32 v55, 32
	s_waitcnt vmcnt(10)
	ds_write2_b32 v21, v50, v51 offset0:33 offset1:34
	s_waitcnt vmcnt(8)
	ds_write2_b32 v21, v44, v45 offset0:35 offset1:36
	;; [unrolled: 2-line block ×6, first 2 shown]
.LBB88_554:
	s_or_b64 exec, exec, s[0:1]
	v_cmp_lt_i32_e32 vcc, 32, v55
	s_waitcnt lgkmcnt(0)
	s_barrier
	s_and_saveexec_b64 s[0:1], vcc
	s_cbranch_execz .LBB88_556
; %bb.555:
	ds_read2_b32 v[58:59], v21 offset0:33 offset1:34
	v_mul_f32_e32 v52, v54, v27
	v_mov_b32_e32 v27, v52
	s_waitcnt vmcnt(10) lgkmcnt(0)
	v_pk_fma_f32 v[50:51], v[52:53], v[58:59], v[50:51] op_sel_hi:[0,1,1] neg_lo:[1,0,0] neg_hi:[1,0,0]
	ds_read2_b32 v[58:59], v21 offset0:35 offset1:36
	s_waitcnt vmcnt(8) lgkmcnt(0)
	v_pk_fma_f32 v[44:45], v[52:53], v[58:59], v[44:45] op_sel_hi:[0,1,1] neg_lo:[1,0,0] neg_hi:[1,0,0]
	ds_read2_b32 v[58:59], v21 offset0:37 offset1:38
	;; [unrolled: 3-line block ×5, first 2 shown]
	s_waitcnt vmcnt(0) lgkmcnt(0)
	v_pk_fma_f32 v[46:47], v[52:53], v[58:59], v[46:47] op_sel_hi:[0,1,1] neg_lo:[1,0,0] neg_hi:[1,0,0]
.LBB88_556:
	s_or_b64 exec, exec, s[0:1]
	v_lshl_add_u32 v52, v55, 2, v21
	s_barrier
	s_waitcnt vmcnt(11)
	ds_write_b32 v52, v50
	s_waitcnt lgkmcnt(0)
	s_barrier
	ds_read_b32 v54, v21 offset:132
	s_cmp_lt_i32 s22, 35
	v_mov_b32_e32 v52, 33
	s_cbranch_scc1 .LBB88_559
; %bb.557:
	v_add_u32_e32 v57, 0x88, v21
	v_mov_b32_e32 v52, 33
	s_mov_b32 s0, 34
.LBB88_558:                             ; =>This Inner Loop Header: Depth=1
	ds_read_b32 v58, v57
	v_mov_b32_e32 v59, s0
	s_add_i32 s0, s0, 1
	v_add_u32_e32 v57, 4, v57
	s_cmp_lg_u32 s22, s0
	s_waitcnt lgkmcnt(0)
	v_cmp_lt_f32_e64 vcc, |v54|, |v58|
	s_nop 1
	v_cndmask_b32_e32 v54, v54, v58, vcc
	v_cndmask_b32_e32 v52, v52, v59, vcc
	s_cbranch_scc1 .LBB88_558
.LBB88_559:
	s_waitcnt lgkmcnt(0)
	v_cmp_eq_f32_e32 vcc, 0, v54
	s_and_saveexec_b64 s[0:1], vcc
	s_xor_b64 s[0:1], exec, s[0:1]
; %bb.560:
	v_cmp_ne_u32_e32 vcc, 0, v56
	s_nop 1
	v_cndmask_b32_e32 v56, 34, v56, vcc
; %bb.561:
	s_andn2_saveexec_b64 s[0:1], s[0:1]
	s_cbranch_execz .LBB88_563
; %bb.562:
	v_div_scale_f32 v57, s[2:3], v54, v54, 1.0
	v_rcp_f32_e32 v58, v57
	v_div_scale_f32 v59, vcc, 1.0, v54, 1.0
	v_fma_f32 v60, -v57, v58, 1.0
	v_fmac_f32_e32 v58, v60, v58
	v_mul_f32_e32 v60, v59, v58
	v_fma_f32 v61, -v57, v60, v59
	v_fmac_f32_e32 v60, v61, v58
	v_fma_f32 v57, -v57, v60, v59
	v_div_fmas_f32 v57, v57, v58, v60
	v_div_fixup_f32 v54, v57, v54, 1.0
.LBB88_563:
	s_or_b64 exec, exec, s[0:1]
	v_cmp_ne_u32_e32 vcc, v55, v52
	s_and_saveexec_b64 s[0:1], vcc
	s_xor_b64 s[0:1], exec, s[0:1]
	s_cbranch_execz .LBB88_569
; %bb.564:
	v_cmp_eq_u32_e32 vcc, 33, v55
	s_and_saveexec_b64 s[2:3], vcc
	s_cbranch_execz .LBB88_568
; %bb.565:
	v_cmp_ne_u32_e32 vcc, 33, v52
	s_xor_b64 s[18:19], s[16:17], -1
	s_and_b64 s[20:21], s[18:19], vcc
	s_and_saveexec_b64 s[18:19], s[20:21]
	s_cbranch_execz .LBB88_567
; %bb.566:
	v_ashrrev_i32_e32 v53, 31, v52
	v_lshl_add_u64 v[58:59], v[52:53], 2, v[22:23]
	global_load_dword v53, v[58:59], off
	global_load_dword v55, v[22:23], off offset:132
	s_waitcnt vmcnt(1)
	global_store_dword v[22:23], v53, off offset:132
	s_waitcnt vmcnt(1)
	global_store_dword v[58:59], v55, off
.LBB88_567:
	s_or_b64 exec, exec, s[18:19]
	v_mov_b32_e32 v53, v52
	v_mov_b32_e32 v55, v52
.LBB88_568:
	s_or_b64 exec, exec, s[2:3]
.LBB88_569:
	s_andn2_saveexec_b64 s[0:1], s[0:1]
	s_cbranch_execz .LBB88_571
; %bb.570:
	s_waitcnt vmcnt(8)
	v_pk_mov_b32 v[58:59], v[50:51], v[44:45] op_sel:[1,0]
	ds_write2_b32 v21, v58, v59 offset0:34 offset1:35
	s_waitcnt vmcnt(6)
	v_pk_mov_b32 v[58:59], v[44:45], v[40:41] op_sel:[1,0]
	ds_write2_b32 v21, v58, v59 offset0:36 offset1:37
	;; [unrolled: 3-line block ×4, first 2 shown]
	s_waitcnt vmcnt(0)
	v_pk_mov_b32 v[58:59], v[48:49], v[46:47] op_sel:[1,0]
	v_mov_b32_e32 v55, 33
	ds_write2_b32 v21, v58, v59 offset0:42 offset1:43
	ds_write_b32 v21, v47 offset:176
.LBB88_571:
	s_or_b64 exec, exec, s[0:1]
	v_cmp_lt_i32_e32 vcc, 33, v55
	s_waitcnt lgkmcnt(0)
	s_barrier
	s_and_saveexec_b64 s[0:1], vcc
	s_cbranch_execz .LBB88_573
; %bb.572:
	ds_read_b32 v52, v21 offset:136
	ds_read2_b32 v[58:59], v21 offset0:35 offset1:36
	v_mul_f32_e32 v50, v54, v50
	s_waitcnt vmcnt(10) lgkmcnt(1)
	v_fma_f32 v51, -v50, v52, v51
	s_waitcnt vmcnt(8) lgkmcnt(0)
	v_pk_fma_f32 v[44:45], v[50:51], v[58:59], v[44:45] op_sel_hi:[0,1,1] neg_lo:[1,0,0] neg_hi:[1,0,0]
	ds_read2_b32 v[58:59], v21 offset0:37 offset1:38
	s_waitcnt vmcnt(6) lgkmcnt(0)
	v_pk_fma_f32 v[40:41], v[50:51], v[58:59], v[40:41] op_sel_hi:[0,1,1] neg_lo:[1,0,0] neg_hi:[1,0,0]
	ds_read2_b32 v[58:59], v21 offset0:39 offset1:40
	;; [unrolled: 3-line block ×4, first 2 shown]
	s_waitcnt vmcnt(0) lgkmcnt(0)
	v_pk_fma_f32 v[46:47], v[50:51], v[58:59], v[46:47] op_sel_hi:[0,1,1] neg_lo:[1,0,0] neg_hi:[1,0,0]
.LBB88_573:
	s_or_b64 exec, exec, s[0:1]
	v_lshl_add_u32 v52, v55, 2, v21
	s_barrier
	s_waitcnt vmcnt(10)
	ds_write_b32 v52, v51
	s_waitcnt lgkmcnt(0)
	s_barrier
	ds_read_b32 v54, v21 offset:136
	s_cmp_lt_i32 s22, 36
	v_mov_b32_e32 v52, 34
	s_cbranch_scc1 .LBB88_576
; %bb.574:
	v_add_u32_e32 v57, 0x8c, v21
	v_mov_b32_e32 v52, 34
	s_mov_b32 s0, 35
.LBB88_575:                             ; =>This Inner Loop Header: Depth=1
	ds_read_b32 v58, v57
	v_mov_b32_e32 v59, s0
	s_add_i32 s0, s0, 1
	v_add_u32_e32 v57, 4, v57
	s_cmp_lg_u32 s22, s0
	s_waitcnt lgkmcnt(0)
	v_cmp_lt_f32_e64 vcc, |v54|, |v58|
	s_nop 1
	v_cndmask_b32_e32 v54, v54, v58, vcc
	v_cndmask_b32_e32 v52, v52, v59, vcc
	s_cbranch_scc1 .LBB88_575
.LBB88_576:
	s_waitcnt lgkmcnt(0)
	v_cmp_eq_f32_e32 vcc, 0, v54
	s_and_saveexec_b64 s[0:1], vcc
	s_xor_b64 s[0:1], exec, s[0:1]
; %bb.577:
	v_cmp_ne_u32_e32 vcc, 0, v56
	s_nop 1
	v_cndmask_b32_e32 v56, 35, v56, vcc
; %bb.578:
	s_andn2_saveexec_b64 s[0:1], s[0:1]
	s_cbranch_execz .LBB88_580
; %bb.579:
	v_div_scale_f32 v57, s[2:3], v54, v54, 1.0
	v_rcp_f32_e32 v58, v57
	v_div_scale_f32 v59, vcc, 1.0, v54, 1.0
	v_fma_f32 v60, -v57, v58, 1.0
	v_fmac_f32_e32 v58, v60, v58
	v_mul_f32_e32 v60, v59, v58
	v_fma_f32 v61, -v57, v60, v59
	v_fmac_f32_e32 v60, v61, v58
	v_fma_f32 v57, -v57, v60, v59
	v_div_fmas_f32 v57, v57, v58, v60
	v_div_fixup_f32 v54, v57, v54, 1.0
.LBB88_580:
	s_or_b64 exec, exec, s[0:1]
	v_cmp_ne_u32_e32 vcc, v55, v52
	s_and_saveexec_b64 s[0:1], vcc
	s_xor_b64 s[0:1], exec, s[0:1]
	s_cbranch_execz .LBB88_586
; %bb.581:
	v_cmp_eq_u32_e32 vcc, 34, v55
	s_and_saveexec_b64 s[2:3], vcc
	s_cbranch_execz .LBB88_585
; %bb.582:
	v_cmp_ne_u32_e32 vcc, 34, v52
	s_xor_b64 s[18:19], s[16:17], -1
	s_and_b64 s[20:21], s[18:19], vcc
	s_and_saveexec_b64 s[18:19], s[20:21]
	s_cbranch_execz .LBB88_584
; %bb.583:
	v_ashrrev_i32_e32 v53, 31, v52
	v_lshl_add_u64 v[58:59], v[52:53], 2, v[22:23]
	global_load_dword v53, v[58:59], off
	global_load_dword v55, v[22:23], off offset:136
	s_waitcnt vmcnt(1)
	global_store_dword v[22:23], v53, off offset:136
	s_waitcnt vmcnt(1)
	global_store_dword v[58:59], v55, off
.LBB88_584:
	s_or_b64 exec, exec, s[18:19]
	v_mov_b32_e32 v53, v52
	v_mov_b32_e32 v55, v52
.LBB88_585:
	s_or_b64 exec, exec, s[2:3]
.LBB88_586:
	s_andn2_saveexec_b64 s[0:1], s[0:1]
	s_cbranch_execz .LBB88_588
; %bb.587:
	v_mov_b32_e32 v55, 34
	s_waitcnt vmcnt(8)
	ds_write2_b32 v21, v44, v45 offset0:35 offset1:36
	s_waitcnt vmcnt(6)
	ds_write2_b32 v21, v40, v41 offset0:37 offset1:38
	;; [unrolled: 2-line block ×5, first 2 shown]
.LBB88_588:
	s_or_b64 exec, exec, s[0:1]
	v_cmp_lt_i32_e32 vcc, 34, v55
	s_waitcnt lgkmcnt(0)
	s_barrier
	s_and_saveexec_b64 s[0:1], vcc
	s_cbranch_execz .LBB88_590
; %bb.589:
	ds_read2_b32 v[58:59], v21 offset0:35 offset1:36
	v_mul_f32_e32 v52, v54, v51
	v_mov_b32_e32 v51, v52
	s_waitcnt vmcnt(8) lgkmcnt(0)
	v_pk_fma_f32 v[44:45], v[52:53], v[58:59], v[44:45] op_sel_hi:[0,1,1] neg_lo:[1,0,0] neg_hi:[1,0,0]
	ds_read2_b32 v[58:59], v21 offset0:37 offset1:38
	s_waitcnt vmcnt(6) lgkmcnt(0)
	v_pk_fma_f32 v[40:41], v[52:53], v[58:59], v[40:41] op_sel_hi:[0,1,1] neg_lo:[1,0,0] neg_hi:[1,0,0]
	ds_read2_b32 v[58:59], v21 offset0:39 offset1:40
	s_waitcnt vmcnt(4) lgkmcnt(0)
	v_pk_fma_f32 v[38:39], v[52:53], v[58:59], v[38:39] op_sel_hi:[0,1,1] neg_lo:[1,0,0] neg_hi:[1,0,0]
	ds_read2_b32 v[58:59], v21 offset0:41 offset1:42
	s_waitcnt vmcnt(2) lgkmcnt(0)
	v_pk_fma_f32 v[48:49], v[52:53], v[58:59], v[48:49] op_sel_hi:[0,1,1] neg_lo:[1,0,0] neg_hi:[1,0,0]
	ds_read2_b32 v[58:59], v21 offset0:43 offset1:44
	s_waitcnt vmcnt(0) lgkmcnt(0)
	v_pk_fma_f32 v[46:47], v[52:53], v[58:59], v[46:47] op_sel_hi:[0,1,1] neg_lo:[1,0,0] neg_hi:[1,0,0]
.LBB88_590:
	s_or_b64 exec, exec, s[0:1]
	v_lshl_add_u32 v52, v55, 2, v21
	s_barrier
	s_waitcnt vmcnt(9)
	ds_write_b32 v52, v44
	s_waitcnt lgkmcnt(0)
	s_barrier
	ds_read_b32 v54, v21 offset:140
	s_cmp_lt_i32 s22, 37
	v_mov_b32_e32 v52, 35
	s_cbranch_scc1 .LBB88_593
; %bb.591:
	v_add_u32_e32 v57, 0x90, v21
	v_mov_b32_e32 v52, 35
	s_mov_b32 s0, 36
.LBB88_592:                             ; =>This Inner Loop Header: Depth=1
	ds_read_b32 v58, v57
	v_mov_b32_e32 v59, s0
	s_add_i32 s0, s0, 1
	v_add_u32_e32 v57, 4, v57
	s_cmp_lg_u32 s22, s0
	s_waitcnt lgkmcnt(0)
	v_cmp_lt_f32_e64 vcc, |v54|, |v58|
	s_nop 1
	v_cndmask_b32_e32 v54, v54, v58, vcc
	v_cndmask_b32_e32 v52, v52, v59, vcc
	s_cbranch_scc1 .LBB88_592
.LBB88_593:
	s_waitcnt lgkmcnt(0)
	v_cmp_eq_f32_e32 vcc, 0, v54
	s_and_saveexec_b64 s[0:1], vcc
	s_xor_b64 s[0:1], exec, s[0:1]
; %bb.594:
	v_cmp_ne_u32_e32 vcc, 0, v56
	s_nop 1
	v_cndmask_b32_e32 v56, 36, v56, vcc
; %bb.595:
	s_andn2_saveexec_b64 s[0:1], s[0:1]
	s_cbranch_execz .LBB88_597
; %bb.596:
	v_div_scale_f32 v57, s[2:3], v54, v54, 1.0
	v_rcp_f32_e32 v58, v57
	v_div_scale_f32 v59, vcc, 1.0, v54, 1.0
	v_fma_f32 v60, -v57, v58, 1.0
	v_fmac_f32_e32 v58, v60, v58
	v_mul_f32_e32 v60, v59, v58
	v_fma_f32 v61, -v57, v60, v59
	v_fmac_f32_e32 v60, v61, v58
	v_fma_f32 v57, -v57, v60, v59
	v_div_fmas_f32 v57, v57, v58, v60
	v_div_fixup_f32 v54, v57, v54, 1.0
.LBB88_597:
	s_or_b64 exec, exec, s[0:1]
	v_cmp_ne_u32_e32 vcc, v55, v52
	s_and_saveexec_b64 s[0:1], vcc
	s_xor_b64 s[0:1], exec, s[0:1]
	s_cbranch_execz .LBB88_603
; %bb.598:
	v_cmp_eq_u32_e32 vcc, 35, v55
	s_and_saveexec_b64 s[2:3], vcc
	s_cbranch_execz .LBB88_602
; %bb.599:
	v_cmp_ne_u32_e32 vcc, 35, v52
	s_xor_b64 s[18:19], s[16:17], -1
	s_and_b64 s[20:21], s[18:19], vcc
	s_and_saveexec_b64 s[18:19], s[20:21]
	s_cbranch_execz .LBB88_601
; %bb.600:
	v_ashrrev_i32_e32 v53, 31, v52
	v_lshl_add_u64 v[58:59], v[52:53], 2, v[22:23]
	global_load_dword v53, v[58:59], off
	global_load_dword v55, v[22:23], off offset:140
	s_waitcnt vmcnt(1)
	global_store_dword v[22:23], v53, off offset:140
	s_waitcnt vmcnt(1)
	global_store_dword v[58:59], v55, off
.LBB88_601:
	s_or_b64 exec, exec, s[18:19]
	v_mov_b32_e32 v53, v52
	v_mov_b32_e32 v55, v52
.LBB88_602:
	s_or_b64 exec, exec, s[2:3]
.LBB88_603:
	s_andn2_saveexec_b64 s[0:1], s[0:1]
	s_cbranch_execz .LBB88_605
; %bb.604:
	s_waitcnt vmcnt(6)
	v_pk_mov_b32 v[58:59], v[44:45], v[40:41] op_sel:[1,0]
	ds_write2_b32 v21, v58, v59 offset0:36 offset1:37
	s_waitcnt vmcnt(4)
	v_pk_mov_b32 v[58:59], v[40:41], v[38:39] op_sel:[1,0]
	ds_write2_b32 v21, v58, v59 offset0:38 offset1:39
	;; [unrolled: 3-line block ×3, first 2 shown]
	s_waitcnt vmcnt(0)
	v_pk_mov_b32 v[58:59], v[48:49], v[46:47] op_sel:[1,0]
	v_mov_b32_e32 v55, 35
	ds_write2_b32 v21, v58, v59 offset0:42 offset1:43
	ds_write_b32 v21, v47 offset:176
.LBB88_605:
	s_or_b64 exec, exec, s[0:1]
	v_cmp_lt_i32_e32 vcc, 35, v55
	s_waitcnt lgkmcnt(0)
	s_barrier
	s_and_saveexec_b64 s[0:1], vcc
	s_cbranch_execz .LBB88_607
; %bb.606:
	ds_read_b32 v52, v21 offset:144
	ds_read2_b32 v[58:59], v21 offset0:37 offset1:38
	ds_read2_b32 v[60:61], v21 offset0:39 offset1:40
	;; [unrolled: 1-line block ×4, first 2 shown]
	v_mul_f32_e32 v44, v54, v44
	s_waitcnt vmcnt(8) lgkmcnt(4)
	v_fma_f32 v45, -v44, v52, v45
	s_waitcnt vmcnt(6) lgkmcnt(3)
	v_pk_fma_f32 v[40:41], v[44:45], v[58:59], v[40:41] op_sel_hi:[0,1,1] neg_lo:[1,0,0] neg_hi:[1,0,0]
	s_waitcnt vmcnt(4) lgkmcnt(2)
	v_pk_fma_f32 v[38:39], v[44:45], v[60:61], v[38:39] op_sel_hi:[0,1,1] neg_lo:[1,0,0] neg_hi:[1,0,0]
	;; [unrolled: 2-line block ×4, first 2 shown]
.LBB88_607:
	s_or_b64 exec, exec, s[0:1]
	v_lshl_add_u32 v52, v55, 2, v21
	s_barrier
	s_waitcnt vmcnt(8)
	ds_write_b32 v52, v45
	s_waitcnt lgkmcnt(0)
	s_barrier
	ds_read_b32 v54, v21 offset:144
	s_cmp_lt_i32 s22, 38
	v_mov_b32_e32 v52, 36
	s_cbranch_scc1 .LBB88_610
; %bb.608:
	v_add_u32_e32 v57, 0x94, v21
	v_mov_b32_e32 v52, 36
	s_mov_b32 s0, 37
.LBB88_609:                             ; =>This Inner Loop Header: Depth=1
	ds_read_b32 v58, v57
	v_mov_b32_e32 v59, s0
	s_add_i32 s0, s0, 1
	v_add_u32_e32 v57, 4, v57
	s_cmp_lg_u32 s22, s0
	s_waitcnt lgkmcnt(0)
	v_cmp_lt_f32_e64 vcc, |v54|, |v58|
	s_nop 1
	v_cndmask_b32_e32 v54, v54, v58, vcc
	v_cndmask_b32_e32 v52, v52, v59, vcc
	s_cbranch_scc1 .LBB88_609
.LBB88_610:
	s_waitcnt lgkmcnt(0)
	v_cmp_eq_f32_e32 vcc, 0, v54
	s_and_saveexec_b64 s[0:1], vcc
	s_xor_b64 s[0:1], exec, s[0:1]
; %bb.611:
	v_cmp_ne_u32_e32 vcc, 0, v56
	s_nop 1
	v_cndmask_b32_e32 v56, 37, v56, vcc
; %bb.612:
	s_andn2_saveexec_b64 s[0:1], s[0:1]
	s_cbranch_execz .LBB88_614
; %bb.613:
	v_div_scale_f32 v57, s[2:3], v54, v54, 1.0
	v_rcp_f32_e32 v58, v57
	v_div_scale_f32 v59, vcc, 1.0, v54, 1.0
	v_fma_f32 v60, -v57, v58, 1.0
	v_fmac_f32_e32 v58, v60, v58
	v_mul_f32_e32 v60, v59, v58
	v_fma_f32 v61, -v57, v60, v59
	v_fmac_f32_e32 v60, v61, v58
	v_fma_f32 v57, -v57, v60, v59
	v_div_fmas_f32 v57, v57, v58, v60
	v_div_fixup_f32 v54, v57, v54, 1.0
.LBB88_614:
	s_or_b64 exec, exec, s[0:1]
	v_cmp_ne_u32_e32 vcc, v55, v52
	s_and_saveexec_b64 s[0:1], vcc
	s_xor_b64 s[0:1], exec, s[0:1]
	s_cbranch_execz .LBB88_620
; %bb.615:
	v_cmp_eq_u32_e32 vcc, 36, v55
	s_and_saveexec_b64 s[2:3], vcc
	s_cbranch_execz .LBB88_619
; %bb.616:
	v_cmp_ne_u32_e32 vcc, 36, v52
	s_xor_b64 s[18:19], s[16:17], -1
	s_and_b64 s[20:21], s[18:19], vcc
	s_and_saveexec_b64 s[18:19], s[20:21]
	s_cbranch_execz .LBB88_618
; %bb.617:
	v_ashrrev_i32_e32 v53, 31, v52
	v_lshl_add_u64 v[58:59], v[52:53], 2, v[22:23]
	global_load_dword v53, v[58:59], off
	global_load_dword v55, v[22:23], off offset:144
	s_waitcnt vmcnt(1)
	global_store_dword v[22:23], v53, off offset:144
	s_waitcnt vmcnt(1)
	global_store_dword v[58:59], v55, off
.LBB88_618:
	s_or_b64 exec, exec, s[18:19]
	v_mov_b32_e32 v53, v52
	v_mov_b32_e32 v55, v52
.LBB88_619:
	s_or_b64 exec, exec, s[2:3]
.LBB88_620:
	s_andn2_saveexec_b64 s[0:1], s[0:1]
	s_cbranch_execz .LBB88_622
; %bb.621:
	v_mov_b32_e32 v55, 36
	s_waitcnt vmcnt(6)
	ds_write2_b32 v21, v40, v41 offset0:37 offset1:38
	s_waitcnt vmcnt(4)
	ds_write2_b32 v21, v38, v39 offset0:39 offset1:40
	;; [unrolled: 2-line block ×4, first 2 shown]
.LBB88_622:
	s_or_b64 exec, exec, s[0:1]
	v_cmp_lt_i32_e32 vcc, 36, v55
	s_waitcnt lgkmcnt(0)
	s_barrier
	s_and_saveexec_b64 s[0:1], vcc
	s_cbranch_execz .LBB88_624
; %bb.623:
	ds_read2_b32 v[58:59], v21 offset0:37 offset1:38
	v_mul_f32_e32 v52, v54, v45
	v_mov_b32_e32 v45, v52
	s_waitcnt vmcnt(6) lgkmcnt(0)
	v_pk_fma_f32 v[40:41], v[52:53], v[58:59], v[40:41] op_sel_hi:[0,1,1] neg_lo:[1,0,0] neg_hi:[1,0,0]
	ds_read2_b32 v[58:59], v21 offset0:39 offset1:40
	s_waitcnt vmcnt(4) lgkmcnt(0)
	v_pk_fma_f32 v[38:39], v[52:53], v[58:59], v[38:39] op_sel_hi:[0,1,1] neg_lo:[1,0,0] neg_hi:[1,0,0]
	ds_read2_b32 v[58:59], v21 offset0:41 offset1:42
	;; [unrolled: 3-line block ×3, first 2 shown]
	s_waitcnt vmcnt(0) lgkmcnt(0)
	v_pk_fma_f32 v[46:47], v[52:53], v[58:59], v[46:47] op_sel_hi:[0,1,1] neg_lo:[1,0,0] neg_hi:[1,0,0]
.LBB88_624:
	s_or_b64 exec, exec, s[0:1]
	v_lshl_add_u32 v52, v55, 2, v21
	s_barrier
	s_waitcnt vmcnt(7)
	ds_write_b32 v52, v40
	s_waitcnt lgkmcnt(0)
	s_barrier
	ds_read_b32 v54, v21 offset:148
	s_cmp_lt_i32 s22, 39
	v_mov_b32_e32 v52, 37
	s_cbranch_scc1 .LBB88_627
; %bb.625:
	v_add_u32_e32 v57, 0x98, v21
	v_mov_b32_e32 v52, 37
	s_mov_b32 s0, 38
.LBB88_626:                             ; =>This Inner Loop Header: Depth=1
	ds_read_b32 v58, v57
	v_mov_b32_e32 v59, s0
	s_add_i32 s0, s0, 1
	v_add_u32_e32 v57, 4, v57
	s_cmp_lg_u32 s22, s0
	s_waitcnt lgkmcnt(0)
	v_cmp_lt_f32_e64 vcc, |v54|, |v58|
	s_nop 1
	v_cndmask_b32_e32 v54, v54, v58, vcc
	v_cndmask_b32_e32 v52, v52, v59, vcc
	s_cbranch_scc1 .LBB88_626
.LBB88_627:
	s_waitcnt lgkmcnt(0)
	v_cmp_eq_f32_e32 vcc, 0, v54
	s_and_saveexec_b64 s[0:1], vcc
	s_xor_b64 s[0:1], exec, s[0:1]
; %bb.628:
	v_cmp_ne_u32_e32 vcc, 0, v56
	s_nop 1
	v_cndmask_b32_e32 v56, 38, v56, vcc
; %bb.629:
	s_andn2_saveexec_b64 s[0:1], s[0:1]
	s_cbranch_execz .LBB88_631
; %bb.630:
	v_div_scale_f32 v57, s[2:3], v54, v54, 1.0
	v_rcp_f32_e32 v58, v57
	v_div_scale_f32 v59, vcc, 1.0, v54, 1.0
	v_fma_f32 v60, -v57, v58, 1.0
	v_fmac_f32_e32 v58, v60, v58
	v_mul_f32_e32 v60, v59, v58
	v_fma_f32 v61, -v57, v60, v59
	v_fmac_f32_e32 v60, v61, v58
	v_fma_f32 v57, -v57, v60, v59
	v_div_fmas_f32 v57, v57, v58, v60
	v_div_fixup_f32 v54, v57, v54, 1.0
.LBB88_631:
	s_or_b64 exec, exec, s[0:1]
	v_cmp_ne_u32_e32 vcc, v55, v52
	s_and_saveexec_b64 s[0:1], vcc
	s_xor_b64 s[0:1], exec, s[0:1]
	s_cbranch_execz .LBB88_637
; %bb.632:
	v_cmp_eq_u32_e32 vcc, 37, v55
	s_and_saveexec_b64 s[2:3], vcc
	s_cbranch_execz .LBB88_636
; %bb.633:
	v_cmp_ne_u32_e32 vcc, 37, v52
	s_xor_b64 s[18:19], s[16:17], -1
	s_and_b64 s[20:21], s[18:19], vcc
	s_and_saveexec_b64 s[18:19], s[20:21]
	s_cbranch_execz .LBB88_635
; %bb.634:
	v_ashrrev_i32_e32 v53, 31, v52
	v_lshl_add_u64 v[58:59], v[52:53], 2, v[22:23]
	global_load_dword v53, v[58:59], off
	global_load_dword v55, v[22:23], off offset:148
	s_waitcnt vmcnt(1)
	global_store_dword v[22:23], v53, off offset:148
	s_waitcnt vmcnt(1)
	global_store_dword v[58:59], v55, off
.LBB88_635:
	s_or_b64 exec, exec, s[18:19]
	v_mov_b32_e32 v53, v52
	v_mov_b32_e32 v55, v52
.LBB88_636:
	s_or_b64 exec, exec, s[2:3]
.LBB88_637:
	s_andn2_saveexec_b64 s[0:1], s[0:1]
	s_cbranch_execz .LBB88_639
; %bb.638:
	s_waitcnt vmcnt(4)
	v_pk_mov_b32 v[58:59], v[40:41], v[38:39] op_sel:[1,0]
	ds_write2_b32 v21, v58, v59 offset0:38 offset1:39
	s_waitcnt vmcnt(2)
	v_pk_mov_b32 v[58:59], v[38:39], v[48:49] op_sel:[1,0]
	ds_write2_b32 v21, v58, v59 offset0:40 offset1:41
	s_waitcnt vmcnt(0)
	v_pk_mov_b32 v[58:59], v[48:49], v[46:47] op_sel:[1,0]
	v_mov_b32_e32 v55, 37
	ds_write2_b32 v21, v58, v59 offset0:42 offset1:43
	ds_write_b32 v21, v47 offset:176
.LBB88_639:
	s_or_b64 exec, exec, s[0:1]
	v_cmp_lt_i32_e32 vcc, 37, v55
	s_waitcnt lgkmcnt(0)
	s_barrier
	s_and_saveexec_b64 s[0:1], vcc
	s_cbranch_execz .LBB88_641
; %bb.640:
	ds_read_b32 v52, v21 offset:152
	ds_read2_b32 v[58:59], v21 offset0:39 offset1:40
	ds_read2_b32 v[60:61], v21 offset0:41 offset1:42
	;; [unrolled: 1-line block ×3, first 2 shown]
	v_mul_f32_e32 v40, v54, v40
	s_waitcnt vmcnt(6) lgkmcnt(3)
	v_fma_f32 v41, -v40, v52, v41
	s_waitcnt vmcnt(4) lgkmcnt(2)
	v_pk_fma_f32 v[38:39], v[40:41], v[58:59], v[38:39] op_sel_hi:[0,1,1] neg_lo:[1,0,0] neg_hi:[1,0,0]
	s_waitcnt vmcnt(2) lgkmcnt(1)
	v_pk_fma_f32 v[48:49], v[40:41], v[60:61], v[48:49] op_sel_hi:[0,1,1] neg_lo:[1,0,0] neg_hi:[1,0,0]
	;; [unrolled: 2-line block ×3, first 2 shown]
.LBB88_641:
	s_or_b64 exec, exec, s[0:1]
	v_lshl_add_u32 v52, v55, 2, v21
	s_barrier
	s_waitcnt vmcnt(6)
	ds_write_b32 v52, v41
	s_waitcnt lgkmcnt(0)
	s_barrier
	ds_read_b32 v54, v21 offset:152
	s_cmp_lt_i32 s22, 40
	v_mov_b32_e32 v52, 38
	s_cbranch_scc1 .LBB88_644
; %bb.642:
	v_add_u32_e32 v57, 0x9c, v21
	v_mov_b32_e32 v52, 38
	s_mov_b32 s0, 39
.LBB88_643:                             ; =>This Inner Loop Header: Depth=1
	ds_read_b32 v58, v57
	v_mov_b32_e32 v59, s0
	s_add_i32 s0, s0, 1
	v_add_u32_e32 v57, 4, v57
	s_cmp_lg_u32 s22, s0
	s_waitcnt lgkmcnt(0)
	v_cmp_lt_f32_e64 vcc, |v54|, |v58|
	s_nop 1
	v_cndmask_b32_e32 v54, v54, v58, vcc
	v_cndmask_b32_e32 v52, v52, v59, vcc
	s_cbranch_scc1 .LBB88_643
.LBB88_644:
	s_waitcnt lgkmcnt(0)
	v_cmp_eq_f32_e32 vcc, 0, v54
	s_and_saveexec_b64 s[0:1], vcc
	s_xor_b64 s[0:1], exec, s[0:1]
; %bb.645:
	v_cmp_ne_u32_e32 vcc, 0, v56
	s_nop 1
	v_cndmask_b32_e32 v56, 39, v56, vcc
; %bb.646:
	s_andn2_saveexec_b64 s[0:1], s[0:1]
	s_cbranch_execz .LBB88_648
; %bb.647:
	v_div_scale_f32 v57, s[2:3], v54, v54, 1.0
	v_rcp_f32_e32 v58, v57
	v_div_scale_f32 v59, vcc, 1.0, v54, 1.0
	v_fma_f32 v60, -v57, v58, 1.0
	v_fmac_f32_e32 v58, v60, v58
	v_mul_f32_e32 v60, v59, v58
	v_fma_f32 v61, -v57, v60, v59
	v_fmac_f32_e32 v60, v61, v58
	v_fma_f32 v57, -v57, v60, v59
	v_div_fmas_f32 v57, v57, v58, v60
	v_div_fixup_f32 v54, v57, v54, 1.0
.LBB88_648:
	s_or_b64 exec, exec, s[0:1]
	v_cmp_ne_u32_e32 vcc, v55, v52
	s_and_saveexec_b64 s[0:1], vcc
	s_xor_b64 s[0:1], exec, s[0:1]
	s_cbranch_execz .LBB88_654
; %bb.649:
	v_cmp_eq_u32_e32 vcc, 38, v55
	s_and_saveexec_b64 s[2:3], vcc
	s_cbranch_execz .LBB88_653
; %bb.650:
	v_cmp_ne_u32_e32 vcc, 38, v52
	s_xor_b64 s[18:19], s[16:17], -1
	s_and_b64 s[20:21], s[18:19], vcc
	s_and_saveexec_b64 s[18:19], s[20:21]
	s_cbranch_execz .LBB88_652
; %bb.651:
	v_ashrrev_i32_e32 v53, 31, v52
	v_lshl_add_u64 v[58:59], v[52:53], 2, v[22:23]
	global_load_dword v53, v[58:59], off
	global_load_dword v55, v[22:23], off offset:152
	s_waitcnt vmcnt(1)
	global_store_dword v[22:23], v53, off offset:152
	s_waitcnt vmcnt(1)
	global_store_dword v[58:59], v55, off
.LBB88_652:
	s_or_b64 exec, exec, s[18:19]
	v_mov_b32_e32 v53, v52
	v_mov_b32_e32 v55, v52
.LBB88_653:
	s_or_b64 exec, exec, s[2:3]
.LBB88_654:
	s_andn2_saveexec_b64 s[0:1], s[0:1]
	s_cbranch_execz .LBB88_656
; %bb.655:
	v_mov_b32_e32 v55, 38
	s_waitcnt vmcnt(4)
	ds_write2_b32 v21, v38, v39 offset0:39 offset1:40
	s_waitcnt vmcnt(2)
	ds_write2_b32 v21, v48, v49 offset0:41 offset1:42
	;; [unrolled: 2-line block ×3, first 2 shown]
.LBB88_656:
	s_or_b64 exec, exec, s[0:1]
	v_cmp_lt_i32_e32 vcc, 38, v55
	s_waitcnt lgkmcnt(0)
	s_barrier
	s_and_saveexec_b64 s[0:1], vcc
	s_cbranch_execz .LBB88_658
; %bb.657:
	ds_read2_b32 v[58:59], v21 offset0:39 offset1:40
	ds_read2_b32 v[60:61], v21 offset0:41 offset1:42
	;; [unrolled: 1-line block ×3, first 2 shown]
	v_mul_f32_e32 v52, v54, v41
	v_mov_b32_e32 v41, v52
	s_waitcnt vmcnt(4) lgkmcnt(2)
	v_pk_fma_f32 v[38:39], v[52:53], v[58:59], v[38:39] op_sel_hi:[0,1,1] neg_lo:[1,0,0] neg_hi:[1,0,0]
	s_waitcnt vmcnt(2) lgkmcnt(1)
	v_pk_fma_f32 v[48:49], v[52:53], v[60:61], v[48:49] op_sel_hi:[0,1,1] neg_lo:[1,0,0] neg_hi:[1,0,0]
	s_waitcnt vmcnt(0) lgkmcnt(0)
	v_pk_fma_f32 v[46:47], v[52:53], v[62:63], v[46:47] op_sel_hi:[0,1,1] neg_lo:[1,0,0] neg_hi:[1,0,0]
.LBB88_658:
	s_or_b64 exec, exec, s[0:1]
	v_lshl_add_u32 v52, v55, 2, v21
	s_barrier
	s_waitcnt vmcnt(5)
	ds_write_b32 v52, v38
	s_waitcnt lgkmcnt(0)
	s_barrier
	ds_read_b32 v54, v21 offset:156
	s_cmp_lt_i32 s22, 41
	v_mov_b32_e32 v52, 39
	s_cbranch_scc1 .LBB88_661
; %bb.659:
	v_add_u32_e32 v57, 0xa0, v21
	v_mov_b32_e32 v52, 39
	s_mov_b32 s0, 40
.LBB88_660:                             ; =>This Inner Loop Header: Depth=1
	ds_read_b32 v58, v57
	v_mov_b32_e32 v59, s0
	s_add_i32 s0, s0, 1
	v_add_u32_e32 v57, 4, v57
	s_cmp_lg_u32 s22, s0
	s_waitcnt lgkmcnt(0)
	v_cmp_lt_f32_e64 vcc, |v54|, |v58|
	s_nop 1
	v_cndmask_b32_e32 v54, v54, v58, vcc
	v_cndmask_b32_e32 v52, v52, v59, vcc
	s_cbranch_scc1 .LBB88_660
.LBB88_661:
	s_waitcnt lgkmcnt(0)
	v_cmp_eq_f32_e32 vcc, 0, v54
	s_and_saveexec_b64 s[0:1], vcc
	s_xor_b64 s[0:1], exec, s[0:1]
; %bb.662:
	v_cmp_ne_u32_e32 vcc, 0, v56
	s_nop 1
	v_cndmask_b32_e32 v56, 40, v56, vcc
; %bb.663:
	s_andn2_saveexec_b64 s[0:1], s[0:1]
	s_cbranch_execz .LBB88_665
; %bb.664:
	v_div_scale_f32 v57, s[2:3], v54, v54, 1.0
	v_rcp_f32_e32 v58, v57
	v_div_scale_f32 v59, vcc, 1.0, v54, 1.0
	v_fma_f32 v60, -v57, v58, 1.0
	v_fmac_f32_e32 v58, v60, v58
	v_mul_f32_e32 v60, v59, v58
	v_fma_f32 v61, -v57, v60, v59
	v_fmac_f32_e32 v60, v61, v58
	v_fma_f32 v57, -v57, v60, v59
	v_div_fmas_f32 v57, v57, v58, v60
	v_div_fixup_f32 v54, v57, v54, 1.0
.LBB88_665:
	s_or_b64 exec, exec, s[0:1]
	v_cmp_ne_u32_e32 vcc, v55, v52
	s_and_saveexec_b64 s[0:1], vcc
	s_xor_b64 s[0:1], exec, s[0:1]
	s_cbranch_execz .LBB88_671
; %bb.666:
	v_cmp_eq_u32_e32 vcc, 39, v55
	s_and_saveexec_b64 s[2:3], vcc
	s_cbranch_execz .LBB88_670
; %bb.667:
	v_cmp_ne_u32_e32 vcc, 39, v52
	s_xor_b64 s[18:19], s[16:17], -1
	s_and_b64 s[20:21], s[18:19], vcc
	s_and_saveexec_b64 s[18:19], s[20:21]
	s_cbranch_execz .LBB88_669
; %bb.668:
	v_ashrrev_i32_e32 v53, 31, v52
	v_lshl_add_u64 v[58:59], v[52:53], 2, v[22:23]
	global_load_dword v53, v[58:59], off
	global_load_dword v55, v[22:23], off offset:156
	s_waitcnt vmcnt(1)
	global_store_dword v[22:23], v53, off offset:156
	s_waitcnt vmcnt(1)
	global_store_dword v[58:59], v55, off
.LBB88_669:
	s_or_b64 exec, exec, s[18:19]
	v_mov_b32_e32 v53, v52
	v_mov_b32_e32 v55, v52
.LBB88_670:
	s_or_b64 exec, exec, s[2:3]
.LBB88_671:
	s_andn2_saveexec_b64 s[0:1], s[0:1]
	s_cbranch_execz .LBB88_673
; %bb.672:
	s_waitcnt vmcnt(2)
	v_pk_mov_b32 v[58:59], v[38:39], v[48:49] op_sel:[1,0]
	ds_write2_b32 v21, v58, v59 offset0:40 offset1:41
	s_waitcnt vmcnt(0)
	v_pk_mov_b32 v[58:59], v[48:49], v[46:47] op_sel:[1,0]
	v_mov_b32_e32 v55, 39
	ds_write2_b32 v21, v58, v59 offset0:42 offset1:43
	ds_write_b32 v21, v47 offset:176
.LBB88_673:
	s_or_b64 exec, exec, s[0:1]
	v_cmp_lt_i32_e32 vcc, 39, v55
	s_waitcnt lgkmcnt(0)
	s_barrier
	s_and_saveexec_b64 s[0:1], vcc
	s_cbranch_execz .LBB88_675
; %bb.674:
	ds_read_b32 v52, v21 offset:160
	ds_read2_b32 v[58:59], v21 offset0:41 offset1:42
	ds_read2_b32 v[60:61], v21 offset0:43 offset1:44
	v_mul_f32_e32 v38, v54, v38
	s_waitcnt vmcnt(4) lgkmcnt(2)
	v_fma_f32 v39, -v38, v52, v39
	s_waitcnt vmcnt(2) lgkmcnt(1)
	v_pk_fma_f32 v[48:49], v[38:39], v[58:59], v[48:49] op_sel_hi:[0,1,1] neg_lo:[1,0,0] neg_hi:[1,0,0]
	s_waitcnt vmcnt(0) lgkmcnt(0)
	v_pk_fma_f32 v[46:47], v[38:39], v[60:61], v[46:47] op_sel_hi:[0,1,1] neg_lo:[1,0,0] neg_hi:[1,0,0]
.LBB88_675:
	s_or_b64 exec, exec, s[0:1]
	v_lshl_add_u32 v52, v55, 2, v21
	s_barrier
	s_waitcnt vmcnt(4)
	ds_write_b32 v52, v39
	s_waitcnt lgkmcnt(0)
	s_barrier
	ds_read_b32 v54, v21 offset:160
	s_cmp_lt_i32 s22, 42
	v_mov_b32_e32 v52, 40
	s_cbranch_scc1 .LBB88_678
; %bb.676:
	v_add_u32_e32 v57, 0xa4, v21
	v_mov_b32_e32 v52, 40
	s_mov_b32 s0, 41
.LBB88_677:                             ; =>This Inner Loop Header: Depth=1
	ds_read_b32 v58, v57
	v_mov_b32_e32 v59, s0
	s_add_i32 s0, s0, 1
	v_add_u32_e32 v57, 4, v57
	s_cmp_lg_u32 s22, s0
	s_waitcnt lgkmcnt(0)
	v_cmp_lt_f32_e64 vcc, |v54|, |v58|
	s_nop 1
	v_cndmask_b32_e32 v54, v54, v58, vcc
	v_cndmask_b32_e32 v52, v52, v59, vcc
	s_cbranch_scc1 .LBB88_677
.LBB88_678:
	s_waitcnt lgkmcnt(0)
	v_cmp_eq_f32_e32 vcc, 0, v54
	s_and_saveexec_b64 s[0:1], vcc
	s_xor_b64 s[0:1], exec, s[0:1]
; %bb.679:
	v_cmp_ne_u32_e32 vcc, 0, v56
	s_nop 1
	v_cndmask_b32_e32 v56, 41, v56, vcc
; %bb.680:
	s_andn2_saveexec_b64 s[0:1], s[0:1]
	s_cbranch_execz .LBB88_682
; %bb.681:
	v_div_scale_f32 v57, s[2:3], v54, v54, 1.0
	v_rcp_f32_e32 v58, v57
	v_div_scale_f32 v59, vcc, 1.0, v54, 1.0
	v_fma_f32 v60, -v57, v58, 1.0
	v_fmac_f32_e32 v58, v60, v58
	v_mul_f32_e32 v60, v59, v58
	v_fma_f32 v61, -v57, v60, v59
	v_fmac_f32_e32 v60, v61, v58
	v_fma_f32 v57, -v57, v60, v59
	v_div_fmas_f32 v57, v57, v58, v60
	v_div_fixup_f32 v54, v57, v54, 1.0
.LBB88_682:
	s_or_b64 exec, exec, s[0:1]
	v_cmp_ne_u32_e32 vcc, v55, v52
	s_and_saveexec_b64 s[0:1], vcc
	s_xor_b64 s[0:1], exec, s[0:1]
	s_cbranch_execz .LBB88_688
; %bb.683:
	v_cmp_eq_u32_e32 vcc, 40, v55
	s_and_saveexec_b64 s[2:3], vcc
	s_cbranch_execz .LBB88_687
; %bb.684:
	v_cmp_ne_u32_e32 vcc, 40, v52
	s_xor_b64 s[18:19], s[16:17], -1
	s_and_b64 s[20:21], s[18:19], vcc
	s_and_saveexec_b64 s[18:19], s[20:21]
	s_cbranch_execz .LBB88_686
; %bb.685:
	v_ashrrev_i32_e32 v53, 31, v52
	v_lshl_add_u64 v[58:59], v[52:53], 2, v[22:23]
	global_load_dword v53, v[58:59], off
	global_load_dword v55, v[22:23], off offset:160
	s_waitcnt vmcnt(1)
	global_store_dword v[22:23], v53, off offset:160
	s_waitcnt vmcnt(1)
	global_store_dword v[58:59], v55, off
.LBB88_686:
	s_or_b64 exec, exec, s[18:19]
	v_mov_b32_e32 v53, v52
	v_mov_b32_e32 v55, v52
.LBB88_687:
	s_or_b64 exec, exec, s[2:3]
.LBB88_688:
	s_andn2_saveexec_b64 s[0:1], s[0:1]
	s_cbranch_execz .LBB88_690
; %bb.689:
	v_mov_b32_e32 v55, 40
	s_waitcnt vmcnt(2)
	ds_write2_b32 v21, v48, v49 offset0:41 offset1:42
	s_waitcnt vmcnt(0)
	ds_write2_b32 v21, v46, v47 offset0:43 offset1:44
.LBB88_690:
	s_or_b64 exec, exec, s[0:1]
	v_cmp_lt_i32_e32 vcc, 40, v55
	s_waitcnt lgkmcnt(0)
	s_barrier
	s_and_saveexec_b64 s[0:1], vcc
	s_cbranch_execz .LBB88_692
; %bb.691:
	ds_read2_b32 v[58:59], v21 offset0:41 offset1:42
	ds_read2_b32 v[60:61], v21 offset0:43 offset1:44
	v_mul_f32_e32 v52, v54, v39
	v_mov_b32_e32 v39, v52
	s_waitcnt vmcnt(2) lgkmcnt(1)
	v_pk_fma_f32 v[48:49], v[52:53], v[58:59], v[48:49] op_sel_hi:[0,1,1] neg_lo:[1,0,0] neg_hi:[1,0,0]
	s_waitcnt vmcnt(0) lgkmcnt(0)
	v_pk_fma_f32 v[46:47], v[52:53], v[60:61], v[46:47] op_sel_hi:[0,1,1] neg_lo:[1,0,0] neg_hi:[1,0,0]
.LBB88_692:
	s_or_b64 exec, exec, s[0:1]
	v_lshl_add_u32 v52, v55, 2, v21
	s_barrier
	s_waitcnt vmcnt(3)
	ds_write_b32 v52, v48
	s_waitcnt lgkmcnt(0)
	s_barrier
	ds_read_b32 v54, v21 offset:164
	s_cmp_lt_i32 s22, 43
	v_mov_b32_e32 v52, 41
	s_cbranch_scc1 .LBB88_695
; %bb.693:
	v_add_u32_e32 v57, 0xa8, v21
	v_mov_b32_e32 v52, 41
	s_mov_b32 s0, 42
.LBB88_694:                             ; =>This Inner Loop Header: Depth=1
	ds_read_b32 v58, v57
	v_mov_b32_e32 v59, s0
	s_add_i32 s0, s0, 1
	v_add_u32_e32 v57, 4, v57
	s_cmp_lg_u32 s22, s0
	s_waitcnt lgkmcnt(0)
	v_cmp_lt_f32_e64 vcc, |v54|, |v58|
	s_nop 1
	v_cndmask_b32_e32 v54, v54, v58, vcc
	v_cndmask_b32_e32 v52, v52, v59, vcc
	s_cbranch_scc1 .LBB88_694
.LBB88_695:
	s_waitcnt lgkmcnt(0)
	v_cmp_eq_f32_e32 vcc, 0, v54
	s_and_saveexec_b64 s[0:1], vcc
	s_xor_b64 s[0:1], exec, s[0:1]
; %bb.696:
	v_cmp_ne_u32_e32 vcc, 0, v56
	s_nop 1
	v_cndmask_b32_e32 v56, 42, v56, vcc
; %bb.697:
	s_andn2_saveexec_b64 s[0:1], s[0:1]
	s_cbranch_execz .LBB88_699
; %bb.698:
	v_div_scale_f32 v57, s[2:3], v54, v54, 1.0
	v_rcp_f32_e32 v58, v57
	v_div_scale_f32 v59, vcc, 1.0, v54, 1.0
	v_fma_f32 v60, -v57, v58, 1.0
	v_fmac_f32_e32 v58, v60, v58
	v_mul_f32_e32 v60, v59, v58
	v_fma_f32 v61, -v57, v60, v59
	v_fmac_f32_e32 v60, v61, v58
	v_fma_f32 v57, -v57, v60, v59
	v_div_fmas_f32 v57, v57, v58, v60
	v_div_fixup_f32 v54, v57, v54, 1.0
.LBB88_699:
	s_or_b64 exec, exec, s[0:1]
	v_cmp_ne_u32_e32 vcc, v55, v52
	s_and_saveexec_b64 s[0:1], vcc
	s_xor_b64 s[0:1], exec, s[0:1]
	s_cbranch_execz .LBB88_705
; %bb.700:
	v_cmp_eq_u32_e32 vcc, 41, v55
	s_and_saveexec_b64 s[2:3], vcc
	s_cbranch_execz .LBB88_704
; %bb.701:
	v_cmp_ne_u32_e32 vcc, 41, v52
	s_xor_b64 s[18:19], s[16:17], -1
	s_and_b64 s[20:21], s[18:19], vcc
	s_and_saveexec_b64 s[18:19], s[20:21]
	s_cbranch_execz .LBB88_703
; %bb.702:
	v_ashrrev_i32_e32 v53, 31, v52
	v_lshl_add_u64 v[58:59], v[52:53], 2, v[22:23]
	global_load_dword v53, v[58:59], off
	global_load_dword v55, v[22:23], off offset:164
	s_waitcnt vmcnt(1)
	global_store_dword v[22:23], v53, off offset:164
	s_waitcnt vmcnt(1)
	global_store_dword v[58:59], v55, off
.LBB88_703:
	s_or_b64 exec, exec, s[18:19]
	v_mov_b32_e32 v53, v52
	v_mov_b32_e32 v55, v52
.LBB88_704:
	s_or_b64 exec, exec, s[2:3]
.LBB88_705:
	s_andn2_saveexec_b64 s[0:1], s[0:1]
	s_cbranch_execz .LBB88_707
; %bb.706:
	s_waitcnt vmcnt(0)
	v_pk_mov_b32 v[58:59], v[48:49], v[46:47] op_sel:[1,0]
	v_mov_b32_e32 v55, 41
	ds_write2_b32 v21, v58, v59 offset0:42 offset1:43
	ds_write_b32 v21, v47 offset:176
.LBB88_707:
	s_or_b64 exec, exec, s[0:1]
	v_cmp_lt_i32_e32 vcc, 41, v55
	s_waitcnt lgkmcnt(0)
	s_barrier
	s_and_saveexec_b64 s[0:1], vcc
	s_cbranch_execz .LBB88_709
; %bb.708:
	ds_read_b32 v52, v21 offset:168
	ds_read2_b32 v[58:59], v21 offset0:43 offset1:44
	v_mul_f32_e32 v48, v54, v48
	s_waitcnt vmcnt(2) lgkmcnt(1)
	v_fma_f32 v49, -v48, v52, v49
	s_waitcnt vmcnt(0) lgkmcnt(0)
	v_pk_fma_f32 v[46:47], v[48:49], v[58:59], v[46:47] op_sel_hi:[0,1,1] neg_lo:[1,0,0] neg_hi:[1,0,0]
.LBB88_709:
	s_or_b64 exec, exec, s[0:1]
	v_lshl_add_u32 v52, v55, 2, v21
	s_barrier
	s_waitcnt vmcnt(2)
	ds_write_b32 v52, v49
	s_waitcnt lgkmcnt(0)
	s_barrier
	ds_read_b32 v54, v21 offset:168
	s_cmp_lt_i32 s22, 44
	v_mov_b32_e32 v52, 42
	s_cbranch_scc1 .LBB88_712
; %bb.710:
	v_add_u32_e32 v57, 0xac, v21
	v_mov_b32_e32 v52, 42
	s_mov_b32 s0, 43
.LBB88_711:                             ; =>This Inner Loop Header: Depth=1
	ds_read_b32 v58, v57
	v_mov_b32_e32 v59, s0
	s_add_i32 s0, s0, 1
	v_add_u32_e32 v57, 4, v57
	s_cmp_lg_u32 s22, s0
	s_waitcnt lgkmcnt(0)
	v_cmp_lt_f32_e64 vcc, |v54|, |v58|
	s_nop 1
	v_cndmask_b32_e32 v54, v54, v58, vcc
	v_cndmask_b32_e32 v52, v52, v59, vcc
	s_cbranch_scc1 .LBB88_711
.LBB88_712:
	s_waitcnt lgkmcnt(0)
	v_cmp_eq_f32_e32 vcc, 0, v54
	s_and_saveexec_b64 s[0:1], vcc
	s_xor_b64 s[0:1], exec, s[0:1]
; %bb.713:
	v_cmp_ne_u32_e32 vcc, 0, v56
	s_nop 1
	v_cndmask_b32_e32 v56, 43, v56, vcc
; %bb.714:
	s_andn2_saveexec_b64 s[0:1], s[0:1]
	s_cbranch_execz .LBB88_716
; %bb.715:
	v_div_scale_f32 v57, s[2:3], v54, v54, 1.0
	v_rcp_f32_e32 v58, v57
	v_div_scale_f32 v59, vcc, 1.0, v54, 1.0
	v_fma_f32 v60, -v57, v58, 1.0
	v_fmac_f32_e32 v58, v60, v58
	v_mul_f32_e32 v60, v59, v58
	v_fma_f32 v61, -v57, v60, v59
	v_fmac_f32_e32 v60, v61, v58
	v_fma_f32 v57, -v57, v60, v59
	v_div_fmas_f32 v57, v57, v58, v60
	v_div_fixup_f32 v54, v57, v54, 1.0
.LBB88_716:
	s_or_b64 exec, exec, s[0:1]
	v_cmp_ne_u32_e32 vcc, v55, v52
	s_and_saveexec_b64 s[0:1], vcc
	s_xor_b64 s[0:1], exec, s[0:1]
	s_cbranch_execz .LBB88_722
; %bb.717:
	v_cmp_eq_u32_e32 vcc, 42, v55
	s_and_saveexec_b64 s[2:3], vcc
	s_cbranch_execz .LBB88_721
; %bb.718:
	v_cmp_ne_u32_e32 vcc, 42, v52
	s_xor_b64 s[18:19], s[16:17], -1
	s_and_b64 s[20:21], s[18:19], vcc
	s_and_saveexec_b64 s[18:19], s[20:21]
	s_cbranch_execz .LBB88_720
; %bb.719:
	v_ashrrev_i32_e32 v53, 31, v52
	v_lshl_add_u64 v[58:59], v[52:53], 2, v[22:23]
	global_load_dword v53, v[58:59], off
	global_load_dword v55, v[22:23], off offset:168
	s_waitcnt vmcnt(1)
	global_store_dword v[22:23], v53, off offset:168
	s_waitcnt vmcnt(1)
	global_store_dword v[58:59], v55, off
.LBB88_720:
	s_or_b64 exec, exec, s[18:19]
	v_mov_b32_e32 v53, v52
	v_mov_b32_e32 v55, v52
.LBB88_721:
	s_or_b64 exec, exec, s[2:3]
.LBB88_722:
	s_andn2_saveexec_b64 s[0:1], s[0:1]
	s_cbranch_execz .LBB88_724
; %bb.723:
	v_mov_b32_e32 v55, 42
	s_waitcnt vmcnt(0)
	ds_write2_b32 v21, v46, v47 offset0:43 offset1:44
.LBB88_724:
	s_or_b64 exec, exec, s[0:1]
	v_cmp_lt_i32_e32 vcc, 42, v55
	s_waitcnt lgkmcnt(0)
	s_barrier
	s_and_saveexec_b64 s[0:1], vcc
	s_cbranch_execz .LBB88_726
; %bb.725:
	ds_read2_b32 v[58:59], v21 offset0:43 offset1:44
	v_mul_f32_e32 v52, v54, v49
	v_mov_b32_e32 v49, v52
	s_waitcnt vmcnt(0) lgkmcnt(0)
	v_pk_fma_f32 v[46:47], v[52:53], v[58:59], v[46:47] op_sel_hi:[0,1,1] neg_lo:[1,0,0] neg_hi:[1,0,0]
.LBB88_726:
	s_or_b64 exec, exec, s[0:1]
	v_lshl_add_u32 v52, v55, 2, v21
	s_barrier
	s_waitcnt vmcnt(1)
	ds_write_b32 v52, v46
	s_waitcnt lgkmcnt(0)
	s_barrier
	ds_read_b32 v54, v21 offset:172
	s_cmp_lt_i32 s22, 45
	v_mov_b32_e32 v52, 43
	s_cbranch_scc1 .LBB88_729
; %bb.727:
	v_add_u32_e32 v57, 0xb0, v21
	v_mov_b32_e32 v52, 43
	s_mov_b32 s0, 44
.LBB88_728:                             ; =>This Inner Loop Header: Depth=1
	ds_read_b32 v58, v57
	v_mov_b32_e32 v59, s0
	s_add_i32 s0, s0, 1
	v_add_u32_e32 v57, 4, v57
	s_cmp_lg_u32 s22, s0
	s_waitcnt lgkmcnt(0)
	v_cmp_lt_f32_e64 vcc, |v54|, |v58|
	s_nop 1
	v_cndmask_b32_e32 v54, v54, v58, vcc
	v_cndmask_b32_e32 v52, v52, v59, vcc
	s_cbranch_scc1 .LBB88_728
.LBB88_729:
	s_waitcnt lgkmcnt(0)
	v_cmp_eq_f32_e32 vcc, 0, v54
	s_and_saveexec_b64 s[0:1], vcc
	s_xor_b64 s[0:1], exec, s[0:1]
; %bb.730:
	v_cmp_ne_u32_e32 vcc, 0, v56
	s_nop 1
	v_cndmask_b32_e32 v56, 44, v56, vcc
; %bb.731:
	s_andn2_saveexec_b64 s[0:1], s[0:1]
	s_cbranch_execz .LBB88_733
; %bb.732:
	v_div_scale_f32 v57, s[2:3], v54, v54, 1.0
	v_rcp_f32_e32 v58, v57
	v_div_scale_f32 v59, vcc, 1.0, v54, 1.0
	v_fma_f32 v60, -v57, v58, 1.0
	v_fmac_f32_e32 v58, v60, v58
	v_mul_f32_e32 v60, v59, v58
	v_fma_f32 v61, -v57, v60, v59
	v_fmac_f32_e32 v60, v61, v58
	v_fma_f32 v57, -v57, v60, v59
	v_div_fmas_f32 v57, v57, v58, v60
	v_div_fixup_f32 v54, v57, v54, 1.0
.LBB88_733:
	s_or_b64 exec, exec, s[0:1]
	v_cmp_ne_u32_e32 vcc, v55, v52
	s_and_saveexec_b64 s[0:1], vcc
	s_xor_b64 s[0:1], exec, s[0:1]
	s_cbranch_execz .LBB88_739
; %bb.734:
	v_cmp_eq_u32_e32 vcc, 43, v55
	s_and_saveexec_b64 s[2:3], vcc
	s_cbranch_execz .LBB88_738
; %bb.735:
	v_cmp_ne_u32_e32 vcc, 43, v52
	s_xor_b64 s[18:19], s[16:17], -1
	s_and_b64 s[20:21], s[18:19], vcc
	s_and_saveexec_b64 s[18:19], s[20:21]
	s_cbranch_execz .LBB88_737
; %bb.736:
	v_ashrrev_i32_e32 v53, 31, v52
	v_lshl_add_u64 v[58:59], v[52:53], 2, v[22:23]
	global_load_dword v53, v[58:59], off
	global_load_dword v55, v[22:23], off offset:172
	s_waitcnt vmcnt(1)
	global_store_dword v[22:23], v53, off offset:172
	s_waitcnt vmcnt(1)
	global_store_dword v[58:59], v55, off
.LBB88_737:
	s_or_b64 exec, exec, s[18:19]
	v_mov_b32_e32 v53, v52
	v_mov_b32_e32 v55, v52
.LBB88_738:
	s_or_b64 exec, exec, s[2:3]
.LBB88_739:
	s_andn2_saveexec_b64 s[0:1], s[0:1]
	s_cbranch_execz .LBB88_741
; %bb.740:
	v_mov_b32_e32 v55, 43
	s_waitcnt vmcnt(0)
	ds_write_b32 v21, v47 offset:176
.LBB88_741:
	s_or_b64 exec, exec, s[0:1]
	v_cmp_lt_i32_e32 vcc, 43, v55
	s_waitcnt lgkmcnt(0)
	s_barrier
	s_and_saveexec_b64 s[0:1], vcc
	s_cbranch_execz .LBB88_743
; %bb.742:
	ds_read_b32 v52, v21 offset:176
	v_mul_f32_e32 v46, v54, v46
	s_waitcnt vmcnt(0) lgkmcnt(0)
	v_fma_f32 v47, -v46, v52, v47
.LBB88_743:
	s_or_b64 exec, exec, s[0:1]
	v_lshl_add_u32 v52, v55, 2, v21
	s_barrier
	s_waitcnt vmcnt(0)
	ds_write_b32 v52, v47
	s_waitcnt lgkmcnt(0)
	s_barrier
	ds_read_b32 v57, v21 offset:176
	s_cmp_lt_i32 s22, 46
	v_mov_b32_e32 v52, 44
	s_cbranch_scc1 .LBB88_746
; %bb.744:
	v_add_u32_e32 v21, 0xb4, v21
	v_mov_b32_e32 v52, 44
	s_mov_b32 s0, 45
.LBB88_745:                             ; =>This Inner Loop Header: Depth=1
	ds_read_b32 v54, v21
	v_mov_b32_e32 v58, s0
	s_add_i32 s0, s0, 1
	v_add_u32_e32 v21, 4, v21
	s_cmp_lg_u32 s22, s0
	s_waitcnt lgkmcnt(0)
	v_cmp_lt_f32_e64 vcc, |v57|, |v54|
	s_nop 1
	v_cndmask_b32_e32 v57, v57, v54, vcc
	v_cndmask_b32_e32 v52, v52, v58, vcc
	s_cbranch_scc1 .LBB88_745
.LBB88_746:
	s_waitcnt lgkmcnt(0)
	v_cmp_eq_f32_e32 vcc, 0, v57
	s_and_saveexec_b64 s[0:1], vcc
	s_xor_b64 s[0:1], exec, s[0:1]
; %bb.747:
	v_cmp_ne_u32_e32 vcc, 0, v56
	s_nop 1
	v_cndmask_b32_e32 v56, 45, v56, vcc
; %bb.748:
	s_andn2_saveexec_b64 s[0:1], s[0:1]
	s_cbranch_execz .LBB88_750
; %bb.749:
	v_div_scale_f32 v21, s[2:3], v57, v57, 1.0
	v_rcp_f32_e32 v54, v21
	v_div_scale_f32 v58, vcc, 1.0, v57, 1.0
	v_fma_f32 v59, -v21, v54, 1.0
	v_fmac_f32_e32 v54, v59, v54
	v_mul_f32_e32 v59, v58, v54
	v_fma_f32 v60, -v21, v59, v58
	v_fmac_f32_e32 v59, v60, v54
	v_fma_f32 v21, -v21, v59, v58
	v_div_fmas_f32 v21, v21, v54, v59
	v_div_fixup_f32 v57, v21, v57, 1.0
.LBB88_750:
	s_or_b64 exec, exec, s[0:1]
	v_cmp_ne_u32_e32 vcc, v55, v52
	v_mov_b32_e32 v54, 44
	s_and_saveexec_b64 s[0:1], vcc
	s_cbranch_execz .LBB88_756
; %bb.751:
	v_cmp_eq_u32_e32 vcc, 44, v55
	s_and_saveexec_b64 s[2:3], vcc
	s_cbranch_execz .LBB88_755
; %bb.752:
	v_cmp_ne_u32_e32 vcc, 44, v52
	s_xor_b64 s[16:17], s[16:17], -1
	s_and_b64 s[18:19], s[16:17], vcc
	s_and_saveexec_b64 s[16:17], s[18:19]
	s_cbranch_execz .LBB88_754
; %bb.753:
	v_ashrrev_i32_e32 v53, 31, v52
	v_lshl_add_u64 v[54:55], v[52:53], 2, v[22:23]
	global_load_dword v21, v[54:55], off
	global_load_dword v53, v[22:23], off offset:176
	s_waitcnt vmcnt(1)
	global_store_dword v[22:23], v21, off offset:176
	s_waitcnt vmcnt(1)
	global_store_dword v[54:55], v53, off
.LBB88_754:
	s_or_b64 exec, exec, s[16:17]
	v_mov_b32_e32 v53, v52
	v_mov_b32_e32 v55, v52
.LBB88_755:
	s_or_b64 exec, exec, s[2:3]
	v_mov_b32_e32 v54, v55
.LBB88_756:
	s_or_b64 exec, exec, s[0:1]
	v_cmp_gt_i32_e32 vcc, 45, v54
	v_ashrrev_i32_e32 v55, 31, v54
	s_barrier
	s_barrier
	s_and_saveexec_b64 s[0:1], vcc
	s_cbranch_execz .LBB88_758
; %bb.757:
	v_mul_lo_u32 v21, s11, v4
	v_mul_lo_u32 v52, s10, v5
	v_mad_u64_u32 v[58:59], s[2:3], s10, v4, 0
	v_mov_b32_e32 v22, s6
	v_mov_b32_e32 v23, s7
	v_add3_u32 v59, v59, v52, v21
	v_lshl_add_u64 v[22:23], v[58:59], 2, v[22:23]
	v_lshl_add_u64 v[22:23], s[8:9], 2, v[22:23]
	;; [unrolled: 1-line block ×3, first 2 shown]
	v_add3_u32 v21, v53, s15, 1
	global_store_dword v[22:23], v21, off
.LBB88_758:
	s_or_b64 exec, exec, s[0:1]
	v_cmp_eq_u32_e32 vcc, 0, v54
	s_and_saveexec_b64 s[2:3], vcc
	s_cbranch_execz .LBB88_761
; %bb.759:
	v_mov_b32_e32 v22, s4
	v_mov_b32_e32 v23, s5
	v_lshl_add_u64 v[4:5], v[4:5], 2, v[22:23]
	global_load_dword v21, v[4:5], off
	v_cmp_ne_u32_e64 s[0:1], 0, v56
	s_waitcnt vmcnt(0)
	v_cmp_eq_u32_e32 vcc, 0, v21
	s_and_b64 s[0:1], vcc, s[0:1]
	s_and_b64 exec, exec, s[0:1]
	s_cbranch_execz .LBB88_761
; %bb.760:
	v_add_u32_e32 v21, s15, v56
	global_store_dword v[4:5], v21, off
.LBB88_761:
	s_or_b64 exec, exec, s[2:3]
	v_mul_f32_e32 v4, v57, v47
	v_cmp_lt_i32_e32 vcc, 44, v54
	s_nop 1
	v_cndmask_b32_e32 v22, v47, v4, vcc
	v_lshl_add_u64 v[4:5], v[54:55], 2, v[2:3]
	global_store_dword v[4:5], v20, off
	v_lshl_add_u64 v[4:5], s[12:13], 2, v[4:5]
	global_store_dword v[4:5], v14, off
	v_add_u32_e32 v4, s14, v54
	v_ashrrev_i32_e32 v5, 31, v4
	v_lshl_add_u64 v[20:21], v[4:5], 2, v[2:3]
	v_add_u32_e32 v4, s12, v4
	v_ashrrev_i32_e32 v5, 31, v4
	global_store_dword v[20:21], v15, off
	v_lshl_add_u64 v[14:15], v[4:5], 2, v[2:3]
	v_add_u32_e32 v4, s12, v4
	v_ashrrev_i32_e32 v5, 31, v4
	global_store_dword v[14:15], v10, off
	;; [unrolled: 4-line block ×6, first 2 shown]
	v_lshl_add_u64 v[6:7], v[4:5], 2, v[2:3]
	v_add_u32_e32 v0, s12, v4
	global_store_dword v[6:7], v1, off
	v_ashrrev_i32_e32 v1, 31, v0
	v_lshl_add_u64 v[4:5], v[0:1], 2, v[2:3]
	v_add_u32_e32 v0, s12, v0
	v_ashrrev_i32_e32 v1, 31, v0
	global_store_dword v[4:5], v28, off
	v_lshl_add_u64 v[4:5], v[0:1], 2, v[2:3]
	v_add_u32_e32 v0, s12, v0
	v_ashrrev_i32_e32 v1, 31, v0
	global_store_dword v[4:5], v29, off
	;; [unrolled: 4-line block ×34, first 2 shown]
	v_lshl_add_u64 v[4:5], v[0:1], 2, v[2:3]
	v_add_u32_e32 v0, s12, v0
	v_ashrrev_i32_e32 v1, 31, v0
	v_lshl_add_u64 v[0:1], v[0:1], 2, v[2:3]
	global_store_dword v[4:5], v46, off
	global_store_dword v[0:1], v22, off
.LBB88_762:
	s_endpgm
	.section	.rodata,"a",@progbits
	.p2align	6, 0x0
	.amdhsa_kernel _ZN9rocsolver6v33100L18getf2_small_kernelILi45EfiiPfEEvT1_T3_lS3_lPS3_llPT2_S3_S3_S5_l
		.amdhsa_group_segment_fixed_size 0
		.amdhsa_private_segment_fixed_size 0
		.amdhsa_kernarg_size 352
		.amdhsa_user_sgpr_count 2
		.amdhsa_user_sgpr_dispatch_ptr 0
		.amdhsa_user_sgpr_queue_ptr 0
		.amdhsa_user_sgpr_kernarg_segment_ptr 1
		.amdhsa_user_sgpr_dispatch_id 0
		.amdhsa_user_sgpr_kernarg_preload_length 0
		.amdhsa_user_sgpr_kernarg_preload_offset 0
		.amdhsa_user_sgpr_private_segment_size 0
		.amdhsa_uses_dynamic_stack 0
		.amdhsa_enable_private_segment 0
		.amdhsa_system_sgpr_workgroup_id_x 1
		.amdhsa_system_sgpr_workgroup_id_y 1
		.amdhsa_system_sgpr_workgroup_id_z 0
		.amdhsa_system_sgpr_workgroup_info 0
		.amdhsa_system_vgpr_workitem_id 1
		.amdhsa_next_free_vgpr 68
		.amdhsa_next_free_sgpr 26
		.amdhsa_accum_offset 68
		.amdhsa_reserve_vcc 1
		.amdhsa_float_round_mode_32 0
		.amdhsa_float_round_mode_16_64 0
		.amdhsa_float_denorm_mode_32 3
		.amdhsa_float_denorm_mode_16_64 3
		.amdhsa_dx10_clamp 1
		.amdhsa_ieee_mode 1
		.amdhsa_fp16_overflow 0
		.amdhsa_tg_split 0
		.amdhsa_exception_fp_ieee_invalid_op 0
		.amdhsa_exception_fp_denorm_src 0
		.amdhsa_exception_fp_ieee_div_zero 0
		.amdhsa_exception_fp_ieee_overflow 0
		.amdhsa_exception_fp_ieee_underflow 0
		.amdhsa_exception_fp_ieee_inexact 0
		.amdhsa_exception_int_div_zero 0
	.end_amdhsa_kernel
	.section	.text._ZN9rocsolver6v33100L18getf2_small_kernelILi45EfiiPfEEvT1_T3_lS3_lPS3_llPT2_S3_S3_S5_l,"axG",@progbits,_ZN9rocsolver6v33100L18getf2_small_kernelILi45EfiiPfEEvT1_T3_lS3_lPS3_llPT2_S3_S3_S5_l,comdat
.Lfunc_end88:
	.size	_ZN9rocsolver6v33100L18getf2_small_kernelILi45EfiiPfEEvT1_T3_lS3_lPS3_llPT2_S3_S3_S5_l, .Lfunc_end88-_ZN9rocsolver6v33100L18getf2_small_kernelILi45EfiiPfEEvT1_T3_lS3_lPS3_llPT2_S3_S3_S5_l
                                        ; -- End function
	.set _ZN9rocsolver6v33100L18getf2_small_kernelILi45EfiiPfEEvT1_T3_lS3_lPS3_llPT2_S3_S3_S5_l.num_vgpr, 68
	.set _ZN9rocsolver6v33100L18getf2_small_kernelILi45EfiiPfEEvT1_T3_lS3_lPS3_llPT2_S3_S3_S5_l.num_agpr, 0
	.set _ZN9rocsolver6v33100L18getf2_small_kernelILi45EfiiPfEEvT1_T3_lS3_lPS3_llPT2_S3_S3_S5_l.numbered_sgpr, 26
	.set _ZN9rocsolver6v33100L18getf2_small_kernelILi45EfiiPfEEvT1_T3_lS3_lPS3_llPT2_S3_S3_S5_l.num_named_barrier, 0
	.set _ZN9rocsolver6v33100L18getf2_small_kernelILi45EfiiPfEEvT1_T3_lS3_lPS3_llPT2_S3_S3_S5_l.private_seg_size, 0
	.set _ZN9rocsolver6v33100L18getf2_small_kernelILi45EfiiPfEEvT1_T3_lS3_lPS3_llPT2_S3_S3_S5_l.uses_vcc, 1
	.set _ZN9rocsolver6v33100L18getf2_small_kernelILi45EfiiPfEEvT1_T3_lS3_lPS3_llPT2_S3_S3_S5_l.uses_flat_scratch, 0
	.set _ZN9rocsolver6v33100L18getf2_small_kernelILi45EfiiPfEEvT1_T3_lS3_lPS3_llPT2_S3_S3_S5_l.has_dyn_sized_stack, 0
	.set _ZN9rocsolver6v33100L18getf2_small_kernelILi45EfiiPfEEvT1_T3_lS3_lPS3_llPT2_S3_S3_S5_l.has_recursion, 0
	.set _ZN9rocsolver6v33100L18getf2_small_kernelILi45EfiiPfEEvT1_T3_lS3_lPS3_llPT2_S3_S3_S5_l.has_indirect_call, 0
	.section	.AMDGPU.csdata,"",@progbits
; Kernel info:
; codeLenInByte = 38252
; TotalNumSgprs: 32
; NumVgprs: 68
; NumAgprs: 0
; TotalNumVgprs: 68
; ScratchSize: 0
; MemoryBound: 0
; FloatMode: 240
; IeeeMode: 1
; LDSByteSize: 0 bytes/workgroup (compile time only)
; SGPRBlocks: 3
; VGPRBlocks: 8
; NumSGPRsForWavesPerEU: 32
; NumVGPRsForWavesPerEU: 68
; AccumOffset: 68
; Occupancy: 7
; WaveLimiterHint : 0
; COMPUTE_PGM_RSRC2:SCRATCH_EN: 0
; COMPUTE_PGM_RSRC2:USER_SGPR: 2
; COMPUTE_PGM_RSRC2:TRAP_HANDLER: 0
; COMPUTE_PGM_RSRC2:TGID_X_EN: 1
; COMPUTE_PGM_RSRC2:TGID_Y_EN: 1
; COMPUTE_PGM_RSRC2:TGID_Z_EN: 0
; COMPUTE_PGM_RSRC2:TIDIG_COMP_CNT: 1
; COMPUTE_PGM_RSRC3_GFX90A:ACCUM_OFFSET: 16
; COMPUTE_PGM_RSRC3_GFX90A:TG_SPLIT: 0
	.section	.text._ZN9rocsolver6v33100L23getf2_npvt_small_kernelILi45EfiiPfEEvT1_T3_lS3_lPT2_S3_S3_,"axG",@progbits,_ZN9rocsolver6v33100L23getf2_npvt_small_kernelILi45EfiiPfEEvT1_T3_lS3_lPT2_S3_S3_,comdat
	.globl	_ZN9rocsolver6v33100L23getf2_npvt_small_kernelILi45EfiiPfEEvT1_T3_lS3_lPT2_S3_S3_ ; -- Begin function _ZN9rocsolver6v33100L23getf2_npvt_small_kernelILi45EfiiPfEEvT1_T3_lS3_lPT2_S3_S3_
	.p2align	8
	.type	_ZN9rocsolver6v33100L23getf2_npvt_small_kernelILi45EfiiPfEEvT1_T3_lS3_lPT2_S3_S3_,@function
_ZN9rocsolver6v33100L23getf2_npvt_small_kernelILi45EfiiPfEEvT1_T3_lS3_lPT2_S3_S3_: ; @_ZN9rocsolver6v33100L23getf2_npvt_small_kernelILi45EfiiPfEEvT1_T3_lS3_lPT2_S3_S3_
; %bb.0:
	s_load_dword s2, s[0:1], 0x44
	s_load_dwordx2 s[8:9], s[0:1], 0x30
	v_bfe_u32 v138, v0, 10, 10
	s_waitcnt lgkmcnt(0)
	s_lshr_b32 s10, s2, 16
	s_mul_i32 s3, s3, s10
	v_add_u32_e32 v34, s3, v138
	v_cmp_gt_i32_e32 vcc, s8, v34
	s_and_saveexec_b64 s[2:3], vcc
	s_cbranch_execz .LBB89_250
; %bb.1:
	s_load_dwordx4 s[12:15], s[0:1], 0x8
	s_load_dword s2, s[0:1], 0x18
	s_load_dwordx4 s[4:7], s[0:1], 0x20
	v_and_b32_e32 v25, 0x3ff, v0
	v_ashrrev_i32_e32 v35, 31, v34
	s_waitcnt lgkmcnt(0)
	v_mov_b32_e32 v2, s12
	v_mov_b32_e32 v3, s13
	v_mad_u64_u32 v[0:1], s[0:1], s4, v34, 0
	s_add_i32 s0, s2, s2
	s_nop 0
	v_add_u32_e32 v6, s0, v25
	v_add_u32_e32 v8, s2, v6
	;; [unrolled: 1-line block ×37, first 2 shown]
	v_mul_lo_u32 v4, s5, v34
	v_mul_lo_u32 v5, s4, v35
	v_add_u32_e32 v124, s2, v114
	v_add3_u32 v1, v1, v5, v4
	v_add_u32_e32 v126, s2, v124
	v_lshl_add_u64 v[0:1], v[0:1], 2, v[2:3]
	v_add_u32_e32 v128, s2, v126
	v_lshl_add_u64 v[132:133], s[14:15], 2, v[0:1]
	v_lshlrev_b32_e32 v0, 2, v25
	v_mov_b32_e32 v1, 0
	v_ashrrev_i32_e32 v7, 31, v6
	v_ashrrev_i32_e32 v9, 31, v8
	;; [unrolled: 1-line block ×31, first 2 shown]
	v_add_u32_e32 v130, s2, v128
	s_ashr_i32 s3, s2, 31
	v_lshl_add_u64 v[0:1], v[132:133], 0, v[0:1]
	v_lshl_add_u64 v[4:5], v[6:7], 2, v[132:133]
	;; [unrolled: 1-line block ×32, first 2 shown]
	v_ashrrev_i32_e32 v105, 31, v104
	v_ashrrev_i32_e32 v107, 31, v106
	;; [unrolled: 1-line block ×7, first 2 shown]
	v_add_u32_e32 v134, s2, v130
	v_lshl_add_u64 v[2:3], s[2:3], 2, v[0:1]
	global_load_dword v24, v[0:1], off
	global_load_dword v18, v[2:3], off
	;; [unrolled: 1-line block ×32, first 2 shown]
	v_lshl_add_u64 v[102:103], v[104:105], 2, v[132:133]
	v_lshl_add_u64 v[104:105], v[106:107], 2, v[132:133]
	;; [unrolled: 1-line block ×7, first 2 shown]
	global_load_dword v93, v[100:101], off
	global_load_dword v118, v[102:103], off
	;; [unrolled: 1-line block ×8, first 2 shown]
	v_ashrrev_i32_e32 v127, 31, v126
	v_ashrrev_i32_e32 v129, 31, v128
	v_ashrrev_i32_e32 v131, 31, v130
	v_ashrrev_i32_e32 v135, 31, v134
	v_lshl_add_u64 v[124:125], v[126:127], 2, v[132:133]
	v_lshl_add_u64 v[126:127], v[128:129], 2, v[132:133]
	;; [unrolled: 1-line block ×4, first 2 shown]
	v_add_u32_e32 v134, s2, v134
	v_ashrrev_i32_e32 v135, 31, v134
	v_lshl_add_u64 v[132:133], v[134:135], 2, v[132:133]
	global_load_dword v121, v[124:125], off
	global_load_dword v134, v[126:127], off
	;; [unrolled: 1-line block ×5, first 2 shown]
	s_mulk_i32 s10, 0xb4
	v_cmp_eq_u32_e64 s[0:1], 0, v25
	v_cmp_ne_u32_e64 s[2:3], 0, v25
	s_movk_i32 s11, 0xb4
	s_add_i32 s8, s10, 0
	s_and_saveexec_b64 s[4:5], s[2:3]
	s_xor_b64 s[4:5], exec, s[4:5]
	s_or_saveexec_b64 s[4:5], s[4:5]
	v_mad_u32_u24 v139, v138, s11, 0
	v_lshl_add_u32 v138, v138, 2, s8
	s_xor_b64 exec, exec, s[4:5]
	s_cbranch_execz .LBB89_5
; %bb.2:
	s_waitcnt vmcnt(44)
	ds_write_b32 v138, v24
	s_waitcnt vmcnt(42)
	ds_write2_b32 v139, v18, v19 offset0:1 offset1:2
	s_waitcnt vmcnt(40)
	ds_write2_b32 v139, v20, v21 offset0:3 offset1:4
	;; [unrolled: 2-line block ×22, first 2 shown]
	ds_read_b32 v140, v138
	s_waitcnt lgkmcnt(0)
	v_cmp_neq_f32_e32 vcc, 0, v140
	s_and_saveexec_b64 s[10:11], vcc
	s_cbranch_execz .LBB89_4
; %bb.3:
	v_div_scale_f32 v141, s[12:13], v140, v140, 1.0
	v_rcp_f32_e32 v142, v141
	v_div_scale_f32 v143, vcc, 1.0, v140, 1.0
	v_fma_f32 v144, -v141, v142, 1.0
	v_fmac_f32_e32 v142, v144, v142
	v_mul_f32_e32 v144, v143, v142
	v_fma_f32 v145, -v141, v144, v143
	v_fmac_f32_e32 v144, v145, v142
	v_fma_f32 v141, -v141, v144, v143
	v_div_fmas_f32 v141, v141, v142, v144
	v_div_fixup_f32 v140, v141, v140, 1.0
	ds_write_b32 v138, v140
.LBB89_4:
	s_or_b64 exec, exec, s[10:11]
.LBB89_5:
	s_or_b64 exec, exec, s[4:5]
	s_waitcnt lgkmcnt(0)
	s_barrier
	ds_read_b32 v140, v138
	s_and_saveexec_b64 s[4:5], s[2:3]
	s_cbranch_execz .LBB89_7
; %bb.6:
	ds_read2_b32 v[142:143], v139 offset0:1 offset1:2
	ds_read2_b32 v[144:145], v139 offset0:3 offset1:4
	;; [unrolled: 1-line block ×4, first 2 shown]
	s_waitcnt vmcnt(44) lgkmcnt(4)
	v_mul_f32_e32 v24, v140, v24
	s_waitcnt vmcnt(42) lgkmcnt(3)
	v_pk_fma_f32 v[18:19], v[24:25], v[142:143], v[18:19] op_sel_hi:[0,1,1] neg_lo:[1,0,0] neg_hi:[1,0,0]
	s_waitcnt vmcnt(40) lgkmcnt(2)
	v_pk_fma_f32 v[20:21], v[24:25], v[144:145], v[20:21] op_sel_hi:[0,1,1] neg_lo:[1,0,0] neg_hi:[1,0,0]
	s_waitcnt vmcnt(38) lgkmcnt(1)
	v_pk_fma_f32 v[22:23], v[24:25], v[146:147], v[22:23] op_sel_hi:[0,1,1] neg_lo:[1,0,0] neg_hi:[1,0,0]
	ds_read2_b32 v[142:143], v139 offset0:9 offset1:10
	ds_read2_b32 v[144:145], v139 offset0:11 offset1:12
	ds_read2_b32 v[146:147], v139 offset0:13 offset1:14
	s_waitcnt vmcnt(36) lgkmcnt(3)
	v_pk_fma_f32 v[16:17], v[24:25], v[148:149], v[16:17] op_sel_hi:[0,1,1] neg_lo:[1,0,0] neg_hi:[1,0,0]
	ds_read2_b32 v[148:149], v139 offset0:15 offset1:16
	s_waitcnt vmcnt(34) lgkmcnt(3)
	v_pk_fma_f32 v[46:47], v[24:25], v[142:143], v[46:47] op_sel_hi:[0,1,1] neg_lo:[1,0,0] neg_hi:[1,0,0]
	s_waitcnt vmcnt(32) lgkmcnt(2)
	v_pk_fma_f32 v[50:51], v[24:25], v[144:145], v[50:51] op_sel_hi:[0,1,1] neg_lo:[1,0,0] neg_hi:[1,0,0]
	s_waitcnt vmcnt(30) lgkmcnt(1)
	v_pk_fma_f32 v[44:45], v[24:25], v[146:147], v[44:45] op_sel_hi:[0,1,1] neg_lo:[1,0,0] neg_hi:[1,0,0]
	ds_read2_b32 v[142:143], v139 offset0:17 offset1:18
	ds_read2_b32 v[144:145], v139 offset0:19 offset1:20
	ds_read2_b32 v[146:147], v139 offset0:21 offset1:22
	s_waitcnt vmcnt(28) lgkmcnt(3)
	v_pk_fma_f32 v[48:49], v[24:25], v[148:149], v[48:49] op_sel_hi:[0,1,1] neg_lo:[1,0,0] neg_hi:[1,0,0]
	ds_read2_b32 v[148:149], v139 offset0:23 offset1:24
	;; [unrolled: 12-line block ×3, first 2 shown]
	s_waitcnt vmcnt(18) lgkmcnt(3)
	v_pk_fma_f32 v[94:95], v[24:25], v[142:143], v[94:95] op_sel_hi:[0,1,1] neg_lo:[1,0,0] neg_hi:[1,0,0]
	ds_read2_b32 v[142:143], v139 offset0:33 offset1:34
	s_waitcnt vmcnt(16) lgkmcnt(3)
	v_pk_fma_f32 v[96:97], v[24:25], v[144:145], v[96:97] op_sel_hi:[0,1,1] neg_lo:[1,0,0] neg_hi:[1,0,0]
	s_waitcnt vmcnt(14) lgkmcnt(2)
	v_pk_fma_f32 v[98:99], v[24:25], v[146:147], v[98:99] op_sel_hi:[0,1,1] neg_lo:[1,0,0] neg_hi:[1,0,0]
	;; [unrolled: 2-line block ×3, first 2 shown]
	ds_read2_b32 v[144:145], v139 offset0:35 offset1:36
	ds_read2_b32 v[146:147], v139 offset0:37 offset1:38
	;; [unrolled: 1-line block ×3, first 2 shown]
	s_waitcnt vmcnt(10) lgkmcnt(3)
	v_pk_fma_f32 v[118:119], v[24:25], v[142:143], v[118:119] op_sel_hi:[0,1,1] neg_lo:[1,0,0] neg_hi:[1,0,0]
	ds_read2_b32 v[142:143], v139 offset0:41 offset1:42
	ds_read2_b32 v[150:151], v139 offset0:43 offset1:44
	s_waitcnt vmcnt(8) lgkmcnt(4)
	v_pk_fma_f32 v[122:123], v[24:25], v[144:145], v[122:123] op_sel_hi:[0,1,1] neg_lo:[1,0,0] neg_hi:[1,0,0]
	s_waitcnt vmcnt(6) lgkmcnt(3)
	v_pk_fma_f32 v[116:117], v[24:25], v[146:147], v[116:117] op_sel_hi:[0,1,1] neg_lo:[1,0,0] neg_hi:[1,0,0]
	;; [unrolled: 2-line block ×5, first 2 shown]
.LBB89_7:
	s_or_b64 exec, exec, s[4:5]
	v_cmp_eq_u32_e32 vcc, 1, v25
	s_waitcnt lgkmcnt(0)
	s_barrier
	s_and_saveexec_b64 s[2:3], vcc
	s_cbranch_execz .LBB89_10
; %bb.8:
	s_waitcnt vmcnt(40)
	v_pk_mov_b32 v[142:143], v[18:19], v[20:21] op_sel:[1,0]
	ds_write_b32 v138, v18
	ds_write2_b32 v139, v142, v143 offset0:2 offset1:3
	s_waitcnt vmcnt(38)
	v_pk_mov_b32 v[142:143], v[20:21], v[22:23] op_sel:[1,0]
	ds_write2_b32 v139, v142, v143 offset0:4 offset1:5
	s_waitcnt vmcnt(36)
	v_pk_mov_b32 v[142:143], v[22:23], v[16:17] op_sel:[1,0]
	;; [unrolled: 3-line block ×20, first 2 shown]
	ds_write2_b32 v139, v142, v143 offset0:42 offset1:43
	ds_write_b32 v139, v137 offset:176
	ds_read_b32 v141, v138
	s_waitcnt lgkmcnt(0)
	v_cmp_neq_f32_e32 vcc, 0, v141
	s_and_b64 exec, exec, vcc
	s_cbranch_execz .LBB89_10
; %bb.9:
	v_div_scale_f32 v142, s[4:5], v141, v141, 1.0
	v_rcp_f32_e32 v143, v142
	v_div_scale_f32 v144, vcc, 1.0, v141, 1.0
	v_fma_f32 v145, -v142, v143, 1.0
	v_fmac_f32_e32 v143, v145, v143
	v_mul_f32_e32 v145, v144, v143
	v_fma_f32 v146, -v142, v145, v144
	v_fmac_f32_e32 v145, v146, v143
	v_fma_f32 v142, -v142, v145, v144
	v_div_fmas_f32 v142, v142, v143, v145
	v_div_fixup_f32 v141, v142, v141, 1.0
	ds_write_b32 v138, v141
.LBB89_10:
	s_or_b64 exec, exec, s[2:3]
	s_waitcnt lgkmcnt(0)
	s_barrier
	ds_read_b32 v141, v138
	v_cmp_lt_u32_e32 vcc, 1, v25
	s_and_saveexec_b64 s[2:3], vcc
	s_cbranch_execz .LBB89_12
; %bb.11:
	ds_read_b32 v148, v139 offset:8
	ds_read2_b32 v[142:143], v139 offset0:3 offset1:4
	ds_read2_b32 v[144:145], v139 offset0:5 offset1:6
	s_waitcnt vmcnt(43) lgkmcnt(3)
	v_mul_f32_e32 v18, v141, v18
	ds_read2_b32 v[146:147], v139 offset0:7 offset1:8
	s_waitcnt vmcnt(42) lgkmcnt(3)
	v_fma_f32 v19, -v18, v148, v19
	s_waitcnt vmcnt(40) lgkmcnt(2)
	v_pk_fma_f32 v[20:21], v[18:19], v[142:143], v[20:21] op_sel_hi:[0,1,1] neg_lo:[1,0,0] neg_hi:[1,0,0]
	s_waitcnt vmcnt(38) lgkmcnt(1)
	v_pk_fma_f32 v[22:23], v[18:19], v[144:145], v[22:23] op_sel_hi:[0,1,1] neg_lo:[1,0,0] neg_hi:[1,0,0]
	ds_read2_b32 v[142:143], v139 offset0:9 offset1:10
	ds_read2_b32 v[144:145], v139 offset0:11 offset1:12
	ds_read2_b32 v[148:149], v139 offset0:13 offset1:14
	s_waitcnt vmcnt(36) lgkmcnt(3)
	v_pk_fma_f32 v[16:17], v[18:19], v[146:147], v[16:17] op_sel_hi:[0,1,1] neg_lo:[1,0,0] neg_hi:[1,0,0]
	ds_read2_b32 v[146:147], v139 offset0:15 offset1:16
	s_waitcnt vmcnt(34) lgkmcnt(3)
	v_pk_fma_f32 v[46:47], v[18:19], v[142:143], v[46:47] op_sel_hi:[0,1,1] neg_lo:[1,0,0] neg_hi:[1,0,0]
	s_waitcnt vmcnt(32) lgkmcnt(2)
	v_pk_fma_f32 v[50:51], v[18:19], v[144:145], v[50:51] op_sel_hi:[0,1,1] neg_lo:[1,0,0] neg_hi:[1,0,0]
	s_waitcnt vmcnt(30) lgkmcnt(1)
	v_pk_fma_f32 v[44:45], v[18:19], v[148:149], v[44:45] op_sel_hi:[0,1,1] neg_lo:[1,0,0] neg_hi:[1,0,0]
	ds_read2_b32 v[142:143], v139 offset0:17 offset1:18
	ds_read2_b32 v[144:145], v139 offset0:19 offset1:20
	ds_read2_b32 v[148:149], v139 offset0:21 offset1:22
	s_waitcnt vmcnt(28) lgkmcnt(3)
	v_pk_fma_f32 v[48:49], v[18:19], v[146:147], v[48:49] op_sel_hi:[0,1,1] neg_lo:[1,0,0] neg_hi:[1,0,0]
	ds_read2_b32 v[146:147], v139 offset0:23 offset1:24
	s_waitcnt vmcnt(26) lgkmcnt(3)
	v_pk_fma_f32 v[74:75], v[18:19], v[142:143], v[74:75] op_sel_hi:[0,1,1] neg_lo:[1,0,0] neg_hi:[1,0,0]
	;; [unrolled: 12-line block ×3, first 2 shown]
	ds_read2_b32 v[142:143], v139 offset0:33 offset1:34
	s_waitcnt vmcnt(16) lgkmcnt(3)
	v_pk_fma_f32 v[96:97], v[18:19], v[144:145], v[96:97] op_sel_hi:[0,1,1] neg_lo:[1,0,0] neg_hi:[1,0,0]
	s_waitcnt vmcnt(14) lgkmcnt(2)
	v_pk_fma_f32 v[98:99], v[18:19], v[148:149], v[98:99] op_sel_hi:[0,1,1] neg_lo:[1,0,0] neg_hi:[1,0,0]
	;; [unrolled: 2-line block ×3, first 2 shown]
	ds_read2_b32 v[144:145], v139 offset0:35 offset1:36
	ds_read2_b32 v[146:147], v139 offset0:37 offset1:38
	;; [unrolled: 1-line block ×3, first 2 shown]
	s_waitcnt vmcnt(10) lgkmcnt(3)
	v_pk_fma_f32 v[118:119], v[18:19], v[142:143], v[118:119] op_sel_hi:[0,1,1] neg_lo:[1,0,0] neg_hi:[1,0,0]
	ds_read2_b32 v[142:143], v139 offset0:41 offset1:42
	ds_read2_b32 v[150:151], v139 offset0:43 offset1:44
	s_waitcnt vmcnt(8) lgkmcnt(4)
	v_pk_fma_f32 v[122:123], v[18:19], v[144:145], v[122:123] op_sel_hi:[0,1,1] neg_lo:[1,0,0] neg_hi:[1,0,0]
	s_waitcnt vmcnt(6) lgkmcnt(3)
	v_pk_fma_f32 v[116:117], v[18:19], v[146:147], v[116:117] op_sel_hi:[0,1,1] neg_lo:[1,0,0] neg_hi:[1,0,0]
	;; [unrolled: 2-line block ×5, first 2 shown]
.LBB89_12:
	s_or_b64 exec, exec, s[2:3]
	v_cmp_eq_u32_e32 vcc, 2, v25
	s_waitcnt lgkmcnt(0)
	s_barrier
	s_and_saveexec_b64 s[2:3], vcc
	s_cbranch_execz .LBB89_15
; %bb.13:
	s_waitcnt vmcnt(42)
	ds_write_b32 v138, v19
	s_waitcnt vmcnt(40)
	ds_write2_b32 v139, v20, v21 offset0:3 offset1:4
	s_waitcnt vmcnt(38)
	ds_write2_b32 v139, v22, v23 offset0:5 offset1:6
	s_waitcnt vmcnt(36)
	ds_write2_b32 v139, v16, v17 offset0:7 offset1:8
	s_waitcnt vmcnt(34)
	ds_write2_b32 v139, v46, v47 offset0:9 offset1:10
	s_waitcnt vmcnt(32)
	ds_write2_b32 v139, v50, v51 offset0:11 offset1:12
	s_waitcnt vmcnt(30)
	ds_write2_b32 v139, v44, v45 offset0:13 offset1:14
	s_waitcnt vmcnt(28)
	ds_write2_b32 v139, v48, v49 offset0:15 offset1:16
	s_waitcnt vmcnt(26)
	ds_write2_b32 v139, v74, v75 offset0:17 offset1:18
	s_waitcnt vmcnt(24)
	ds_write2_b32 v139, v68, v69 offset0:19 offset1:20
	s_waitcnt vmcnt(22)
	ds_write2_b32 v139, v70, v71 offset0:21 offset1:22
	s_waitcnt vmcnt(20)
	ds_write2_b32 v139, v72, v73 offset0:23 offset1:24
	s_waitcnt vmcnt(18)
	ds_write2_b32 v139, v94, v95 offset0:25 offset1:26
	s_waitcnt vmcnt(16)
	ds_write2_b32 v139, v96, v97 offset0:27 offset1:28
	s_waitcnt vmcnt(14)
	ds_write2_b32 v139, v98, v99 offset0:29 offset1:30
	s_waitcnt vmcnt(12)
	ds_write2_b32 v139, v92, v93 offset0:31 offset1:32
	s_waitcnt vmcnt(10)
	ds_write2_b32 v139, v118, v119 offset0:33 offset1:34
	s_waitcnt vmcnt(8)
	ds_write2_b32 v139, v122, v123 offset0:35 offset1:36
	s_waitcnt vmcnt(6)
	ds_write2_b32 v139, v116, v117 offset0:37 offset1:38
	s_waitcnt vmcnt(4)
	ds_write2_b32 v139, v120, v121 offset0:39 offset1:40
	s_waitcnt vmcnt(2)
	ds_write2_b32 v139, v134, v135 offset0:41 offset1:42
	s_waitcnt vmcnt(0)
	ds_write2_b32 v139, v136, v137 offset0:43 offset1:44
	ds_read_b32 v142, v138
	s_waitcnt lgkmcnt(0)
	v_cmp_neq_f32_e32 vcc, 0, v142
	s_and_b64 exec, exec, vcc
	s_cbranch_execz .LBB89_15
; %bb.14:
	v_div_scale_f32 v143, s[4:5], v142, v142, 1.0
	v_rcp_f32_e32 v144, v143
	v_div_scale_f32 v145, vcc, 1.0, v142, 1.0
	v_fma_f32 v146, -v143, v144, 1.0
	v_fmac_f32_e32 v144, v146, v144
	v_mul_f32_e32 v146, v145, v144
	v_fma_f32 v147, -v143, v146, v145
	v_fmac_f32_e32 v146, v147, v144
	v_fma_f32 v143, -v143, v146, v145
	v_div_fmas_f32 v143, v143, v144, v146
	v_div_fixup_f32 v142, v143, v142, 1.0
	ds_write_b32 v138, v142
.LBB89_15:
	s_or_b64 exec, exec, s[2:3]
	s_waitcnt lgkmcnt(0)
	s_barrier
	ds_read_b32 v142, v138
	v_cmp_lt_u32_e32 vcc, 2, v25
	s_and_saveexec_b64 s[2:3], vcc
	s_cbranch_execz .LBB89_17
; %bb.16:
	ds_read2_b32 v[144:145], v139 offset0:3 offset1:4
	ds_read2_b32 v[146:147], v139 offset0:5 offset1:6
	;; [unrolled: 1-line block ×3, first 2 shown]
	s_waitcnt vmcnt(42) lgkmcnt(3)
	v_mul_f32_e32 v150, v142, v19
	ds_read2_b32 v[152:153], v139 offset0:9 offset1:10
	s_waitcnt vmcnt(40) lgkmcnt(3)
	v_pk_fma_f32 v[20:21], v[150:151], v[144:145], v[20:21] op_sel_hi:[0,1,1] neg_lo:[1,0,0] neg_hi:[1,0,0]
	s_waitcnt vmcnt(38) lgkmcnt(2)
	v_pk_fma_f32 v[22:23], v[150:151], v[146:147], v[22:23] op_sel_hi:[0,1,1] neg_lo:[1,0,0] neg_hi:[1,0,0]
	;; [unrolled: 2-line block ×3, first 2 shown]
	ds_read2_b32 v[144:145], v139 offset0:11 offset1:12
	ds_read2_b32 v[146:147], v139 offset0:13 offset1:14
	;; [unrolled: 1-line block ×3, first 2 shown]
	s_waitcnt vmcnt(34) lgkmcnt(3)
	v_pk_fma_f32 v[46:47], v[150:151], v[152:153], v[46:47] op_sel_hi:[0,1,1] neg_lo:[1,0,0] neg_hi:[1,0,0]
	ds_read2_b32 v[152:153], v139 offset0:17 offset1:18
	s_waitcnt vmcnt(32) lgkmcnt(3)
	v_pk_fma_f32 v[50:51], v[150:151], v[144:145], v[50:51] op_sel_hi:[0,1,1] neg_lo:[1,0,0] neg_hi:[1,0,0]
	s_waitcnt vmcnt(30) lgkmcnt(2)
	v_pk_fma_f32 v[44:45], v[150:151], v[146:147], v[44:45] op_sel_hi:[0,1,1] neg_lo:[1,0,0] neg_hi:[1,0,0]
	s_waitcnt vmcnt(28) lgkmcnt(1)
	v_pk_fma_f32 v[48:49], v[150:151], v[148:149], v[48:49] op_sel_hi:[0,1,1] neg_lo:[1,0,0] neg_hi:[1,0,0]
	ds_read2_b32 v[144:145], v139 offset0:19 offset1:20
	ds_read2_b32 v[146:147], v139 offset0:21 offset1:22
	;; [unrolled: 1-line block ×3, first 2 shown]
	s_waitcnt vmcnt(26) lgkmcnt(3)
	v_pk_fma_f32 v[74:75], v[150:151], v[152:153], v[74:75] op_sel_hi:[0,1,1] neg_lo:[1,0,0] neg_hi:[1,0,0]
	ds_read2_b32 v[152:153], v139 offset0:25 offset1:26
	s_waitcnt vmcnt(24) lgkmcnt(3)
	v_pk_fma_f32 v[68:69], v[150:151], v[144:145], v[68:69] op_sel_hi:[0,1,1] neg_lo:[1,0,0] neg_hi:[1,0,0]
	s_waitcnt vmcnt(22) lgkmcnt(2)
	v_pk_fma_f32 v[70:71], v[150:151], v[146:147], v[70:71] op_sel_hi:[0,1,1] neg_lo:[1,0,0] neg_hi:[1,0,0]
	;; [unrolled: 2-line block ×3, first 2 shown]
	ds_read2_b32 v[144:145], v139 offset0:27 offset1:28
	ds_read2_b32 v[146:147], v139 offset0:29 offset1:30
	;; [unrolled: 1-line block ×4, first 2 shown]
	s_waitcnt vmcnt(18) lgkmcnt(4)
	v_pk_fma_f32 v[94:95], v[150:151], v[152:153], v[94:95] op_sel_hi:[0,1,1] neg_lo:[1,0,0] neg_hi:[1,0,0]
	s_waitcnt vmcnt(16) lgkmcnt(3)
	v_pk_fma_f32 v[96:97], v[150:151], v[144:145], v[96:97] op_sel_hi:[0,1,1] neg_lo:[1,0,0] neg_hi:[1,0,0]
	;; [unrolled: 2-line block ×5, first 2 shown]
	ds_read2_b32 v[144:145], v139 offset0:35 offset1:36
	ds_read2_b32 v[146:147], v139 offset0:37 offset1:38
	;; [unrolled: 1-line block ×5, first 2 shown]
	s_waitcnt vmcnt(8) lgkmcnt(4)
	v_pk_fma_f32 v[122:123], v[150:151], v[144:145], v[122:123] op_sel_hi:[0,1,1] neg_lo:[1,0,0] neg_hi:[1,0,0]
	s_waitcnt vmcnt(6) lgkmcnt(3)
	v_pk_fma_f32 v[116:117], v[150:151], v[146:147], v[116:117] op_sel_hi:[0,1,1] neg_lo:[1,0,0] neg_hi:[1,0,0]
	;; [unrolled: 2-line block ×5, first 2 shown]
	v_mov_b32_e32 v19, v150
.LBB89_17:
	s_or_b64 exec, exec, s[2:3]
	v_cmp_eq_u32_e32 vcc, 3, v25
	s_waitcnt lgkmcnt(0)
	s_barrier
	s_and_saveexec_b64 s[2:3], vcc
	s_cbranch_execz .LBB89_20
; %bb.18:
	s_waitcnt vmcnt(38)
	v_pk_mov_b32 v[144:145], v[20:21], v[22:23] op_sel:[1,0]
	ds_write_b32 v138, v20
	ds_write2_b32 v139, v144, v145 offset0:4 offset1:5
	s_waitcnt vmcnt(36)
	v_pk_mov_b32 v[144:145], v[22:23], v[16:17] op_sel:[1,0]
	ds_write2_b32 v139, v144, v145 offset0:6 offset1:7
	s_waitcnt vmcnt(34)
	v_pk_mov_b32 v[144:145], v[16:17], v[46:47] op_sel:[1,0]
	;; [unrolled: 3-line block ×19, first 2 shown]
	ds_write2_b32 v139, v144, v145 offset0:42 offset1:43
	ds_write_b32 v139, v137 offset:176
	ds_read_b32 v143, v138
	s_waitcnt lgkmcnt(0)
	v_cmp_neq_f32_e32 vcc, 0, v143
	s_and_b64 exec, exec, vcc
	s_cbranch_execz .LBB89_20
; %bb.19:
	v_div_scale_f32 v144, s[4:5], v143, v143, 1.0
	v_rcp_f32_e32 v145, v144
	v_div_scale_f32 v146, vcc, 1.0, v143, 1.0
	v_fma_f32 v147, -v144, v145, 1.0
	v_fmac_f32_e32 v145, v147, v145
	v_mul_f32_e32 v147, v146, v145
	v_fma_f32 v148, -v144, v147, v146
	v_fmac_f32_e32 v147, v148, v145
	v_fma_f32 v144, -v144, v147, v146
	v_div_fmas_f32 v144, v144, v145, v147
	v_div_fixup_f32 v143, v144, v143, 1.0
	ds_write_b32 v138, v143
.LBB89_20:
	s_or_b64 exec, exec, s[2:3]
	s_waitcnt lgkmcnt(0)
	s_barrier
	ds_read_b32 v143, v138
	v_cmp_lt_u32_e32 vcc, 3, v25
	s_and_saveexec_b64 s[2:3], vcc
	s_cbranch_execz .LBB89_22
; %bb.21:
	ds_read_b32 v150, v139 offset:16
	ds_read2_b32 v[144:145], v139 offset0:5 offset1:6
	ds_read2_b32 v[146:147], v139 offset0:7 offset1:8
	s_waitcnt vmcnt(41) lgkmcnt(3)
	v_mul_f32_e32 v20, v143, v20
	ds_read2_b32 v[148:149], v139 offset0:9 offset1:10
	s_waitcnt vmcnt(40) lgkmcnt(3)
	v_fma_f32 v21, -v20, v150, v21
	s_waitcnt vmcnt(38) lgkmcnt(2)
	v_pk_fma_f32 v[22:23], v[20:21], v[144:145], v[22:23] op_sel_hi:[0,1,1] neg_lo:[1,0,0] neg_hi:[1,0,0]
	s_waitcnt vmcnt(36) lgkmcnt(1)
	v_pk_fma_f32 v[16:17], v[20:21], v[146:147], v[16:17] op_sel_hi:[0,1,1] neg_lo:[1,0,0] neg_hi:[1,0,0]
	ds_read2_b32 v[144:145], v139 offset0:11 offset1:12
	ds_read2_b32 v[146:147], v139 offset0:13 offset1:14
	;; [unrolled: 1-line block ×3, first 2 shown]
	s_waitcnt vmcnt(34) lgkmcnt(3)
	v_pk_fma_f32 v[46:47], v[20:21], v[148:149], v[46:47] op_sel_hi:[0,1,1] neg_lo:[1,0,0] neg_hi:[1,0,0]
	ds_read2_b32 v[148:149], v139 offset0:17 offset1:18
	s_waitcnt vmcnt(32) lgkmcnt(3)
	v_pk_fma_f32 v[50:51], v[20:21], v[144:145], v[50:51] op_sel_hi:[0,1,1] neg_lo:[1,0,0] neg_hi:[1,0,0]
	s_waitcnt vmcnt(30) lgkmcnt(2)
	v_pk_fma_f32 v[44:45], v[20:21], v[146:147], v[44:45] op_sel_hi:[0,1,1] neg_lo:[1,0,0] neg_hi:[1,0,0]
	;; [unrolled: 2-line block ×3, first 2 shown]
	ds_read2_b32 v[144:145], v139 offset0:19 offset1:20
	ds_read2_b32 v[146:147], v139 offset0:21 offset1:22
	;; [unrolled: 1-line block ×3, first 2 shown]
	s_waitcnt vmcnt(26) lgkmcnt(3)
	v_pk_fma_f32 v[74:75], v[20:21], v[148:149], v[74:75] op_sel_hi:[0,1,1] neg_lo:[1,0,0] neg_hi:[1,0,0]
	ds_read2_b32 v[148:149], v139 offset0:25 offset1:26
	s_waitcnt vmcnt(24) lgkmcnt(3)
	v_pk_fma_f32 v[68:69], v[20:21], v[144:145], v[68:69] op_sel_hi:[0,1,1] neg_lo:[1,0,0] neg_hi:[1,0,0]
	s_waitcnt vmcnt(22) lgkmcnt(2)
	v_pk_fma_f32 v[70:71], v[20:21], v[146:147], v[70:71] op_sel_hi:[0,1,1] neg_lo:[1,0,0] neg_hi:[1,0,0]
	;; [unrolled: 2-line block ×3, first 2 shown]
	ds_read2_b32 v[144:145], v139 offset0:27 offset1:28
	ds_read2_b32 v[146:147], v139 offset0:29 offset1:30
	;; [unrolled: 1-line block ×4, first 2 shown]
	s_waitcnt vmcnt(18) lgkmcnt(4)
	v_pk_fma_f32 v[94:95], v[20:21], v[148:149], v[94:95] op_sel_hi:[0,1,1] neg_lo:[1,0,0] neg_hi:[1,0,0]
	s_waitcnt vmcnt(16) lgkmcnt(3)
	v_pk_fma_f32 v[96:97], v[20:21], v[144:145], v[96:97] op_sel_hi:[0,1,1] neg_lo:[1,0,0] neg_hi:[1,0,0]
	;; [unrolled: 2-line block ×5, first 2 shown]
	ds_read2_b32 v[144:145], v139 offset0:35 offset1:36
	ds_read2_b32 v[146:147], v139 offset0:37 offset1:38
	;; [unrolled: 1-line block ×5, first 2 shown]
	s_waitcnt vmcnt(8) lgkmcnt(4)
	v_pk_fma_f32 v[122:123], v[20:21], v[144:145], v[122:123] op_sel_hi:[0,1,1] neg_lo:[1,0,0] neg_hi:[1,0,0]
	s_waitcnt vmcnt(6) lgkmcnt(3)
	v_pk_fma_f32 v[116:117], v[20:21], v[146:147], v[116:117] op_sel_hi:[0,1,1] neg_lo:[1,0,0] neg_hi:[1,0,0]
	;; [unrolled: 2-line block ×5, first 2 shown]
.LBB89_22:
	s_or_b64 exec, exec, s[2:3]
	v_cmp_ne_u32_e32 vcc, 4, v25
	s_waitcnt lgkmcnt(0)
	s_barrier
	s_and_saveexec_b64 s[2:3], vcc
	s_xor_b64 s[2:3], exec, s[2:3]
	s_andn2_saveexec_b64 s[2:3], s[2:3]
	s_cbranch_execz .LBB89_26
; %bb.23:
	s_waitcnt vmcnt(40)
	ds_write_b32 v138, v21
	s_waitcnt vmcnt(38)
	ds_write2_b32 v139, v22, v23 offset0:5 offset1:6
	s_waitcnt vmcnt(36)
	ds_write2_b32 v139, v16, v17 offset0:7 offset1:8
	;; [unrolled: 2-line block ×20, first 2 shown]
	ds_read_b32 v144, v138
	s_waitcnt lgkmcnt(0)
	v_cmp_neq_f32_e32 vcc, 0, v144
	s_and_saveexec_b64 s[4:5], vcc
	s_cbranch_execz .LBB89_25
; %bb.24:
	v_div_scale_f32 v145, s[10:11], v144, v144, 1.0
	v_rcp_f32_e32 v146, v145
	v_div_scale_f32 v147, vcc, 1.0, v144, 1.0
	v_fma_f32 v148, -v145, v146, 1.0
	v_fmac_f32_e32 v146, v148, v146
	v_mul_f32_e32 v148, v147, v146
	v_fma_f32 v149, -v145, v148, v147
	v_fmac_f32_e32 v148, v149, v146
	v_fma_f32 v145, -v145, v148, v147
	v_div_fmas_f32 v145, v145, v146, v148
	v_div_fixup_f32 v144, v145, v144, 1.0
	ds_write_b32 v138, v144
.LBB89_25:
	s_or_b64 exec, exec, s[4:5]
.LBB89_26:
	s_or_b64 exec, exec, s[2:3]
	s_waitcnt lgkmcnt(0)
	s_barrier
	ds_read_b32 v144, v138
	v_cmp_lt_u32_e32 vcc, 4, v25
	s_and_saveexec_b64 s[2:3], vcc
	s_cbranch_execz .LBB89_28
; %bb.27:
	ds_read2_b32 v[146:147], v139 offset0:5 offset1:6
	ds_read2_b32 v[148:149], v139 offset0:7 offset1:8
	;; [unrolled: 1-line block ×3, first 2 shown]
	s_waitcnt vmcnt(40) lgkmcnt(3)
	v_mul_f32_e32 v152, v144, v21
	ds_read2_b32 v[154:155], v139 offset0:11 offset1:12
	s_waitcnt vmcnt(38) lgkmcnt(3)
	v_pk_fma_f32 v[22:23], v[152:153], v[146:147], v[22:23] op_sel_hi:[0,1,1] neg_lo:[1,0,0] neg_hi:[1,0,0]
	s_waitcnt vmcnt(36) lgkmcnt(2)
	v_pk_fma_f32 v[16:17], v[152:153], v[148:149], v[16:17] op_sel_hi:[0,1,1] neg_lo:[1,0,0] neg_hi:[1,0,0]
	s_waitcnt vmcnt(34) lgkmcnt(1)
	v_pk_fma_f32 v[46:47], v[152:153], v[150:151], v[46:47] op_sel_hi:[0,1,1] neg_lo:[1,0,0] neg_hi:[1,0,0]
	ds_read2_b32 v[146:147], v139 offset0:13 offset1:14
	ds_read2_b32 v[148:149], v139 offset0:15 offset1:16
	ds_read2_b32 v[150:151], v139 offset0:17 offset1:18
	s_waitcnt vmcnt(32) lgkmcnt(3)
	v_pk_fma_f32 v[50:51], v[152:153], v[154:155], v[50:51] op_sel_hi:[0,1,1] neg_lo:[1,0,0] neg_hi:[1,0,0]
	ds_read2_b32 v[154:155], v139 offset0:19 offset1:20
	s_waitcnt vmcnt(30) lgkmcnt(3)
	v_pk_fma_f32 v[44:45], v[152:153], v[146:147], v[44:45] op_sel_hi:[0,1,1] neg_lo:[1,0,0] neg_hi:[1,0,0]
	s_waitcnt vmcnt(28) lgkmcnt(2)
	v_pk_fma_f32 v[48:49], v[152:153], v[148:149], v[48:49] op_sel_hi:[0,1,1] neg_lo:[1,0,0] neg_hi:[1,0,0]
	s_waitcnt vmcnt(26) lgkmcnt(1)
	v_pk_fma_f32 v[74:75], v[152:153], v[150:151], v[74:75] op_sel_hi:[0,1,1] neg_lo:[1,0,0] neg_hi:[1,0,0]
	ds_read2_b32 v[146:147], v139 offset0:21 offset1:22
	ds_read2_b32 v[148:149], v139 offset0:23 offset1:24
	ds_read2_b32 v[150:151], v139 offset0:25 offset1:26
	s_waitcnt vmcnt(24) lgkmcnt(3)
	v_pk_fma_f32 v[68:69], v[152:153], v[154:155], v[68:69] op_sel_hi:[0,1,1] neg_lo:[1,0,0] neg_hi:[1,0,0]
	;; [unrolled: 12-line block ×3, first 2 shown]
	ds_read2_b32 v[154:155], v139 offset0:35 offset1:36
	s_waitcnt vmcnt(14) lgkmcnt(3)
	v_pk_fma_f32 v[98:99], v[152:153], v[146:147], v[98:99] op_sel_hi:[0,1,1] neg_lo:[1,0,0] neg_hi:[1,0,0]
	s_waitcnt vmcnt(12) lgkmcnt(2)
	v_pk_fma_f32 v[92:93], v[152:153], v[148:149], v[92:93] op_sel_hi:[0,1,1] neg_lo:[1,0,0] neg_hi:[1,0,0]
	;; [unrolled: 2-line block ×3, first 2 shown]
	ds_read2_b32 v[146:147], v139 offset0:37 offset1:38
	ds_read2_b32 v[148:149], v139 offset0:39 offset1:40
	;; [unrolled: 1-line block ×4, first 2 shown]
	s_waitcnt vmcnt(8) lgkmcnt(4)
	v_pk_fma_f32 v[122:123], v[152:153], v[154:155], v[122:123] op_sel_hi:[0,1,1] neg_lo:[1,0,0] neg_hi:[1,0,0]
	s_waitcnt vmcnt(6) lgkmcnt(3)
	v_pk_fma_f32 v[116:117], v[152:153], v[146:147], v[116:117] op_sel_hi:[0,1,1] neg_lo:[1,0,0] neg_hi:[1,0,0]
	;; [unrolled: 2-line block ×5, first 2 shown]
	v_mov_b32_e32 v21, v152
.LBB89_28:
	s_or_b64 exec, exec, s[2:3]
	v_cmp_eq_u32_e32 vcc, 5, v25
	s_waitcnt lgkmcnt(0)
	s_barrier
	s_and_saveexec_b64 s[2:3], vcc
	s_cbranch_execz .LBB89_31
; %bb.29:
	s_waitcnt vmcnt(36)
	v_pk_mov_b32 v[146:147], v[22:23], v[16:17] op_sel:[1,0]
	ds_write_b32 v138, v22
	ds_write2_b32 v139, v146, v147 offset0:6 offset1:7
	s_waitcnt vmcnt(34)
	v_pk_mov_b32 v[146:147], v[16:17], v[46:47] op_sel:[1,0]
	ds_write2_b32 v139, v146, v147 offset0:8 offset1:9
	s_waitcnt vmcnt(32)
	v_pk_mov_b32 v[146:147], v[46:47], v[50:51] op_sel:[1,0]
	;; [unrolled: 3-line block ×18, first 2 shown]
	ds_write2_b32 v139, v146, v147 offset0:42 offset1:43
	ds_write_b32 v139, v137 offset:176
	ds_read_b32 v145, v138
	s_waitcnt lgkmcnt(0)
	v_cmp_neq_f32_e32 vcc, 0, v145
	s_and_b64 exec, exec, vcc
	s_cbranch_execz .LBB89_31
; %bb.30:
	v_div_scale_f32 v146, s[4:5], v145, v145, 1.0
	v_rcp_f32_e32 v147, v146
	v_div_scale_f32 v148, vcc, 1.0, v145, 1.0
	v_fma_f32 v149, -v146, v147, 1.0
	v_fmac_f32_e32 v147, v149, v147
	v_mul_f32_e32 v149, v148, v147
	v_fma_f32 v150, -v146, v149, v148
	v_fmac_f32_e32 v149, v150, v147
	v_fma_f32 v146, -v146, v149, v148
	v_div_fmas_f32 v146, v146, v147, v149
	v_div_fixup_f32 v145, v146, v145, 1.0
	ds_write_b32 v138, v145
.LBB89_31:
	s_or_b64 exec, exec, s[2:3]
	s_waitcnt lgkmcnt(0)
	s_barrier
	ds_read_b32 v145, v138
	v_cmp_lt_u32_e32 vcc, 5, v25
	s_and_saveexec_b64 s[2:3], vcc
	s_cbranch_execz .LBB89_33
; %bb.32:
	ds_read_b32 v152, v139 offset:24
	ds_read2_b32 v[146:147], v139 offset0:7 offset1:8
	ds_read2_b32 v[148:149], v139 offset0:9 offset1:10
	s_waitcnt vmcnt(39) lgkmcnt(3)
	v_mul_f32_e32 v22, v145, v22
	ds_read2_b32 v[150:151], v139 offset0:11 offset1:12
	s_waitcnt vmcnt(38) lgkmcnt(3)
	v_fma_f32 v23, -v22, v152, v23
	s_waitcnt vmcnt(36) lgkmcnt(2)
	v_pk_fma_f32 v[16:17], v[22:23], v[146:147], v[16:17] op_sel_hi:[0,1,1] neg_lo:[1,0,0] neg_hi:[1,0,0]
	s_waitcnt vmcnt(34) lgkmcnt(1)
	v_pk_fma_f32 v[46:47], v[22:23], v[148:149], v[46:47] op_sel_hi:[0,1,1] neg_lo:[1,0,0] neg_hi:[1,0,0]
	ds_read2_b32 v[146:147], v139 offset0:13 offset1:14
	ds_read2_b32 v[148:149], v139 offset0:15 offset1:16
	ds_read2_b32 v[152:153], v139 offset0:17 offset1:18
	s_waitcnt vmcnt(32) lgkmcnt(3)
	v_pk_fma_f32 v[50:51], v[22:23], v[150:151], v[50:51] op_sel_hi:[0,1,1] neg_lo:[1,0,0] neg_hi:[1,0,0]
	ds_read2_b32 v[150:151], v139 offset0:19 offset1:20
	s_waitcnt vmcnt(30) lgkmcnt(3)
	v_pk_fma_f32 v[44:45], v[22:23], v[146:147], v[44:45] op_sel_hi:[0,1,1] neg_lo:[1,0,0] neg_hi:[1,0,0]
	s_waitcnt vmcnt(28) lgkmcnt(2)
	v_pk_fma_f32 v[48:49], v[22:23], v[148:149], v[48:49] op_sel_hi:[0,1,1] neg_lo:[1,0,0] neg_hi:[1,0,0]
	s_waitcnt vmcnt(26) lgkmcnt(1)
	v_pk_fma_f32 v[74:75], v[22:23], v[152:153], v[74:75] op_sel_hi:[0,1,1] neg_lo:[1,0,0] neg_hi:[1,0,0]
	ds_read2_b32 v[146:147], v139 offset0:21 offset1:22
	ds_read2_b32 v[148:149], v139 offset0:23 offset1:24
	ds_read2_b32 v[152:153], v139 offset0:25 offset1:26
	s_waitcnt vmcnt(24) lgkmcnt(3)
	v_pk_fma_f32 v[68:69], v[22:23], v[150:151], v[68:69] op_sel_hi:[0,1,1] neg_lo:[1,0,0] neg_hi:[1,0,0]
	ds_read2_b32 v[150:151], v139 offset0:27 offset1:28
	s_waitcnt vmcnt(22) lgkmcnt(3)
	v_pk_fma_f32 v[70:71], v[22:23], v[146:147], v[70:71] op_sel_hi:[0,1,1] neg_lo:[1,0,0] neg_hi:[1,0,0]
	;; [unrolled: 12-line block ×3, first 2 shown]
	s_waitcnt vmcnt(12) lgkmcnt(2)
	v_pk_fma_f32 v[92:93], v[22:23], v[148:149], v[92:93] op_sel_hi:[0,1,1] neg_lo:[1,0,0] neg_hi:[1,0,0]
	s_waitcnt vmcnt(10) lgkmcnt(1)
	v_pk_fma_f32 v[118:119], v[22:23], v[152:153], v[118:119] op_sel_hi:[0,1,1] neg_lo:[1,0,0] neg_hi:[1,0,0]
	ds_read2_b32 v[146:147], v139 offset0:37 offset1:38
	ds_read2_b32 v[148:149], v139 offset0:39 offset1:40
	;; [unrolled: 1-line block ×4, first 2 shown]
	s_waitcnt vmcnt(8) lgkmcnt(4)
	v_pk_fma_f32 v[122:123], v[22:23], v[150:151], v[122:123] op_sel_hi:[0,1,1] neg_lo:[1,0,0] neg_hi:[1,0,0]
	s_waitcnt vmcnt(6) lgkmcnt(3)
	v_pk_fma_f32 v[116:117], v[22:23], v[146:147], v[116:117] op_sel_hi:[0,1,1] neg_lo:[1,0,0] neg_hi:[1,0,0]
	;; [unrolled: 2-line block ×5, first 2 shown]
.LBB89_33:
	s_or_b64 exec, exec, s[2:3]
	v_cmp_ne_u32_e32 vcc, 6, v25
	s_waitcnt lgkmcnt(0)
	s_barrier
	s_and_saveexec_b64 s[2:3], vcc
	s_xor_b64 s[2:3], exec, s[2:3]
	s_andn2_saveexec_b64 s[2:3], s[2:3]
	s_cbranch_execz .LBB89_37
; %bb.34:
	s_waitcnt vmcnt(38)
	ds_write_b32 v138, v23
	s_waitcnt vmcnt(36)
	ds_write2_b32 v139, v16, v17 offset0:7 offset1:8
	s_waitcnt vmcnt(34)
	ds_write2_b32 v139, v46, v47 offset0:9 offset1:10
	;; [unrolled: 2-line block ×19, first 2 shown]
	ds_read_b32 v146, v138
	s_waitcnt lgkmcnt(0)
	v_cmp_neq_f32_e32 vcc, 0, v146
	s_and_saveexec_b64 s[4:5], vcc
	s_cbranch_execz .LBB89_36
; %bb.35:
	v_div_scale_f32 v147, s[10:11], v146, v146, 1.0
	v_rcp_f32_e32 v148, v147
	v_div_scale_f32 v149, vcc, 1.0, v146, 1.0
	v_fma_f32 v150, -v147, v148, 1.0
	v_fmac_f32_e32 v148, v150, v148
	v_mul_f32_e32 v150, v149, v148
	v_fma_f32 v151, -v147, v150, v149
	v_fmac_f32_e32 v150, v151, v148
	v_fma_f32 v147, -v147, v150, v149
	v_div_fmas_f32 v147, v147, v148, v150
	v_div_fixup_f32 v146, v147, v146, 1.0
	ds_write_b32 v138, v146
.LBB89_36:
	s_or_b64 exec, exec, s[4:5]
.LBB89_37:
	s_or_b64 exec, exec, s[2:3]
	s_waitcnt lgkmcnt(0)
	s_barrier
	ds_read_b32 v146, v138
	v_cmp_lt_u32_e32 vcc, 6, v25
	s_and_saveexec_b64 s[2:3], vcc
	s_cbranch_execz .LBB89_39
; %bb.38:
	ds_read2_b32 v[148:149], v139 offset0:7 offset1:8
	ds_read2_b32 v[150:151], v139 offset0:9 offset1:10
	;; [unrolled: 1-line block ×3, first 2 shown]
	s_waitcnt vmcnt(38) lgkmcnt(3)
	v_mul_f32_e32 v154, v146, v23
	ds_read2_b32 v[156:157], v139 offset0:13 offset1:14
	s_waitcnt vmcnt(36) lgkmcnt(3)
	v_pk_fma_f32 v[16:17], v[154:155], v[148:149], v[16:17] op_sel_hi:[0,1,1] neg_lo:[1,0,0] neg_hi:[1,0,0]
	s_waitcnt vmcnt(34) lgkmcnt(2)
	v_pk_fma_f32 v[46:47], v[154:155], v[150:151], v[46:47] op_sel_hi:[0,1,1] neg_lo:[1,0,0] neg_hi:[1,0,0]
	;; [unrolled: 2-line block ×3, first 2 shown]
	ds_read2_b32 v[148:149], v139 offset0:15 offset1:16
	ds_read2_b32 v[150:151], v139 offset0:17 offset1:18
	;; [unrolled: 1-line block ×3, first 2 shown]
	s_waitcnt vmcnt(30) lgkmcnt(3)
	v_pk_fma_f32 v[44:45], v[154:155], v[156:157], v[44:45] op_sel_hi:[0,1,1] neg_lo:[1,0,0] neg_hi:[1,0,0]
	ds_read2_b32 v[156:157], v139 offset0:21 offset1:22
	s_waitcnt vmcnt(28) lgkmcnt(3)
	v_pk_fma_f32 v[48:49], v[154:155], v[148:149], v[48:49] op_sel_hi:[0,1,1] neg_lo:[1,0,0] neg_hi:[1,0,0]
	s_waitcnt vmcnt(26) lgkmcnt(2)
	v_pk_fma_f32 v[74:75], v[154:155], v[150:151], v[74:75] op_sel_hi:[0,1,1] neg_lo:[1,0,0] neg_hi:[1,0,0]
	;; [unrolled: 2-line block ×3, first 2 shown]
	ds_read2_b32 v[148:149], v139 offset0:23 offset1:24
	ds_read2_b32 v[150:151], v139 offset0:25 offset1:26
	ds_read2_b32 v[152:153], v139 offset0:27 offset1:28
	s_waitcnt vmcnt(22) lgkmcnt(3)
	v_pk_fma_f32 v[70:71], v[154:155], v[156:157], v[70:71] op_sel_hi:[0,1,1] neg_lo:[1,0,0] neg_hi:[1,0,0]
	ds_read2_b32 v[156:157], v139 offset0:29 offset1:30
	s_waitcnt vmcnt(20) lgkmcnt(3)
	v_pk_fma_f32 v[72:73], v[154:155], v[148:149], v[72:73] op_sel_hi:[0,1,1] neg_lo:[1,0,0] neg_hi:[1,0,0]
	s_waitcnt vmcnt(18) lgkmcnt(2)
	v_pk_fma_f32 v[94:95], v[154:155], v[150:151], v[94:95] op_sel_hi:[0,1,1] neg_lo:[1,0,0] neg_hi:[1,0,0]
	ds_read2_b32 v[148:149], v139 offset0:31 offset1:32
	ds_read2_b32 v[150:151], v139 offset0:33 offset1:34
	s_waitcnt vmcnt(16) lgkmcnt(3)
	v_pk_fma_f32 v[96:97], v[154:155], v[152:153], v[96:97] op_sel_hi:[0,1,1] neg_lo:[1,0,0] neg_hi:[1,0,0]
	s_waitcnt vmcnt(14) lgkmcnt(2)
	v_pk_fma_f32 v[98:99], v[154:155], v[156:157], v[98:99] op_sel_hi:[0,1,1] neg_lo:[1,0,0] neg_hi:[1,0,0]
	ds_read2_b32 v[152:153], v139 offset0:35 offset1:36
	ds_read2_b32 v[156:157], v139 offset0:37 offset1:38
	s_waitcnt vmcnt(12) lgkmcnt(3)
	v_pk_fma_f32 v[92:93], v[154:155], v[148:149], v[92:93] op_sel_hi:[0,1,1] neg_lo:[1,0,0] neg_hi:[1,0,0]
	s_waitcnt vmcnt(10) lgkmcnt(2)
	v_pk_fma_f32 v[118:119], v[154:155], v[150:151], v[118:119] op_sel_hi:[0,1,1] neg_lo:[1,0,0] neg_hi:[1,0,0]
	ds_read2_b32 v[148:149], v139 offset0:39 offset1:40
	ds_read2_b32 v[150:151], v139 offset0:41 offset1:42
	ds_read2_b32 v[158:159], v139 offset0:43 offset1:44
	s_waitcnt vmcnt(8) lgkmcnt(4)
	v_pk_fma_f32 v[122:123], v[154:155], v[152:153], v[122:123] op_sel_hi:[0,1,1] neg_lo:[1,0,0] neg_hi:[1,0,0]
	s_waitcnt vmcnt(6) lgkmcnt(3)
	v_pk_fma_f32 v[116:117], v[154:155], v[156:157], v[116:117] op_sel_hi:[0,1,1] neg_lo:[1,0,0] neg_hi:[1,0,0]
	;; [unrolled: 2-line block ×5, first 2 shown]
	v_mov_b32_e32 v23, v154
.LBB89_39:
	s_or_b64 exec, exec, s[2:3]
	v_cmp_eq_u32_e32 vcc, 7, v25
	s_waitcnt lgkmcnt(0)
	s_barrier
	s_and_saveexec_b64 s[2:3], vcc
	s_cbranch_execz .LBB89_42
; %bb.40:
	s_waitcnt vmcnt(34)
	v_pk_mov_b32 v[148:149], v[16:17], v[46:47] op_sel:[1,0]
	ds_write_b32 v138, v16
	ds_write2_b32 v139, v148, v149 offset0:8 offset1:9
	s_waitcnt vmcnt(32)
	v_pk_mov_b32 v[148:149], v[46:47], v[50:51] op_sel:[1,0]
	ds_write2_b32 v139, v148, v149 offset0:10 offset1:11
	s_waitcnt vmcnt(30)
	v_pk_mov_b32 v[148:149], v[50:51], v[44:45] op_sel:[1,0]
	;; [unrolled: 3-line block ×17, first 2 shown]
	ds_write2_b32 v139, v148, v149 offset0:42 offset1:43
	ds_write_b32 v139, v137 offset:176
	ds_read_b32 v147, v138
	s_waitcnt lgkmcnt(0)
	v_cmp_neq_f32_e32 vcc, 0, v147
	s_and_b64 exec, exec, vcc
	s_cbranch_execz .LBB89_42
; %bb.41:
	v_div_scale_f32 v148, s[4:5], v147, v147, 1.0
	v_rcp_f32_e32 v149, v148
	v_div_scale_f32 v150, vcc, 1.0, v147, 1.0
	v_fma_f32 v151, -v148, v149, 1.0
	v_fmac_f32_e32 v149, v151, v149
	v_mul_f32_e32 v151, v150, v149
	v_fma_f32 v152, -v148, v151, v150
	v_fmac_f32_e32 v151, v152, v149
	v_fma_f32 v148, -v148, v151, v150
	v_div_fmas_f32 v148, v148, v149, v151
	v_div_fixup_f32 v147, v148, v147, 1.0
	ds_write_b32 v138, v147
.LBB89_42:
	s_or_b64 exec, exec, s[2:3]
	s_waitcnt lgkmcnt(0)
	s_barrier
	ds_read_b32 v147, v138
	v_cmp_lt_u32_e32 vcc, 7, v25
	s_and_saveexec_b64 s[2:3], vcc
	s_cbranch_execz .LBB89_44
; %bb.43:
	ds_read_b32 v154, v139 offset:32
	ds_read2_b32 v[148:149], v139 offset0:9 offset1:10
	ds_read2_b32 v[150:151], v139 offset0:11 offset1:12
	s_waitcnt vmcnt(37) lgkmcnt(3)
	v_mul_f32_e32 v16, v147, v16
	ds_read2_b32 v[152:153], v139 offset0:13 offset1:14
	s_waitcnt vmcnt(36) lgkmcnt(3)
	v_fma_f32 v17, -v16, v154, v17
	s_waitcnt vmcnt(34) lgkmcnt(2)
	v_pk_fma_f32 v[46:47], v[16:17], v[148:149], v[46:47] op_sel_hi:[0,1,1] neg_lo:[1,0,0] neg_hi:[1,0,0]
	s_waitcnt vmcnt(32) lgkmcnt(1)
	v_pk_fma_f32 v[50:51], v[16:17], v[150:151], v[50:51] op_sel_hi:[0,1,1] neg_lo:[1,0,0] neg_hi:[1,0,0]
	ds_read2_b32 v[148:149], v139 offset0:15 offset1:16
	ds_read2_b32 v[150:151], v139 offset0:17 offset1:18
	;; [unrolled: 1-line block ×3, first 2 shown]
	s_waitcnt vmcnt(30) lgkmcnt(3)
	v_pk_fma_f32 v[44:45], v[16:17], v[152:153], v[44:45] op_sel_hi:[0,1,1] neg_lo:[1,0,0] neg_hi:[1,0,0]
	ds_read2_b32 v[152:153], v139 offset0:21 offset1:22
	s_waitcnt vmcnt(28) lgkmcnt(3)
	v_pk_fma_f32 v[48:49], v[16:17], v[148:149], v[48:49] op_sel_hi:[0,1,1] neg_lo:[1,0,0] neg_hi:[1,0,0]
	s_waitcnt vmcnt(26) lgkmcnt(2)
	v_pk_fma_f32 v[74:75], v[16:17], v[150:151], v[74:75] op_sel_hi:[0,1,1] neg_lo:[1,0,0] neg_hi:[1,0,0]
	;; [unrolled: 2-line block ×3, first 2 shown]
	ds_read2_b32 v[148:149], v139 offset0:23 offset1:24
	ds_read2_b32 v[150:151], v139 offset0:25 offset1:26
	;; [unrolled: 1-line block ×3, first 2 shown]
	s_waitcnt vmcnt(22) lgkmcnt(3)
	v_pk_fma_f32 v[70:71], v[16:17], v[152:153], v[70:71] op_sel_hi:[0,1,1] neg_lo:[1,0,0] neg_hi:[1,0,0]
	ds_read2_b32 v[152:153], v139 offset0:29 offset1:30
	s_waitcnt vmcnt(20) lgkmcnt(3)
	v_pk_fma_f32 v[72:73], v[16:17], v[148:149], v[72:73] op_sel_hi:[0,1,1] neg_lo:[1,0,0] neg_hi:[1,0,0]
	s_waitcnt vmcnt(18) lgkmcnt(2)
	v_pk_fma_f32 v[94:95], v[16:17], v[150:151], v[94:95] op_sel_hi:[0,1,1] neg_lo:[1,0,0] neg_hi:[1,0,0]
	ds_read2_b32 v[148:149], v139 offset0:31 offset1:32
	ds_read2_b32 v[150:151], v139 offset0:33 offset1:34
	s_waitcnt vmcnt(16) lgkmcnt(3)
	v_pk_fma_f32 v[96:97], v[16:17], v[154:155], v[96:97] op_sel_hi:[0,1,1] neg_lo:[1,0,0] neg_hi:[1,0,0]
	s_waitcnt vmcnt(14) lgkmcnt(2)
	v_pk_fma_f32 v[98:99], v[16:17], v[152:153], v[98:99] op_sel_hi:[0,1,1] neg_lo:[1,0,0] neg_hi:[1,0,0]
	ds_read2_b32 v[152:153], v139 offset0:35 offset1:36
	;; [unrolled: 6-line block ×3, first 2 shown]
	ds_read2_b32 v[150:151], v139 offset0:41 offset1:42
	ds_read2_b32 v[156:157], v139 offset0:43 offset1:44
	s_waitcnt vmcnt(8) lgkmcnt(4)
	v_pk_fma_f32 v[122:123], v[16:17], v[152:153], v[122:123] op_sel_hi:[0,1,1] neg_lo:[1,0,0] neg_hi:[1,0,0]
	s_waitcnt vmcnt(6) lgkmcnt(3)
	v_pk_fma_f32 v[116:117], v[16:17], v[154:155], v[116:117] op_sel_hi:[0,1,1] neg_lo:[1,0,0] neg_hi:[1,0,0]
	;; [unrolled: 2-line block ×5, first 2 shown]
.LBB89_44:
	s_or_b64 exec, exec, s[2:3]
	v_cmp_ne_u32_e32 vcc, 8, v25
	s_waitcnt lgkmcnt(0)
	s_barrier
	s_and_saveexec_b64 s[2:3], vcc
	s_xor_b64 s[2:3], exec, s[2:3]
	s_andn2_saveexec_b64 s[2:3], s[2:3]
	s_cbranch_execz .LBB89_48
; %bb.45:
	s_waitcnt vmcnt(36)
	ds_write_b32 v138, v17
	s_waitcnt vmcnt(34)
	ds_write2_b32 v139, v46, v47 offset0:9 offset1:10
	s_waitcnt vmcnt(32)
	ds_write2_b32 v139, v50, v51 offset0:11 offset1:12
	;; [unrolled: 2-line block ×18, first 2 shown]
	ds_read_b32 v148, v138
	s_waitcnt lgkmcnt(0)
	v_cmp_neq_f32_e32 vcc, 0, v148
	s_and_saveexec_b64 s[4:5], vcc
	s_cbranch_execz .LBB89_47
; %bb.46:
	v_div_scale_f32 v149, s[10:11], v148, v148, 1.0
	v_rcp_f32_e32 v150, v149
	v_div_scale_f32 v151, vcc, 1.0, v148, 1.0
	v_fma_f32 v152, -v149, v150, 1.0
	v_fmac_f32_e32 v150, v152, v150
	v_mul_f32_e32 v152, v151, v150
	v_fma_f32 v153, -v149, v152, v151
	v_fmac_f32_e32 v152, v153, v150
	v_fma_f32 v149, -v149, v152, v151
	v_div_fmas_f32 v149, v149, v150, v152
	v_div_fixup_f32 v148, v149, v148, 1.0
	ds_write_b32 v138, v148
.LBB89_47:
	s_or_b64 exec, exec, s[4:5]
.LBB89_48:
	s_or_b64 exec, exec, s[2:3]
	s_waitcnt lgkmcnt(0)
	s_barrier
	ds_read_b32 v148, v138
	v_cmp_lt_u32_e32 vcc, 8, v25
	s_and_saveexec_b64 s[2:3], vcc
	s_cbranch_execz .LBB89_50
; %bb.49:
	ds_read2_b32 v[150:151], v139 offset0:9 offset1:10
	ds_read2_b32 v[152:153], v139 offset0:11 offset1:12
	;; [unrolled: 1-line block ×4, first 2 shown]
	s_waitcnt vmcnt(36) lgkmcnt(4)
	v_mul_f32_e32 v156, v148, v17
	s_waitcnt vmcnt(34) lgkmcnt(3)
	v_pk_fma_f32 v[46:47], v[156:157], v[150:151], v[46:47] op_sel_hi:[0,1,1] neg_lo:[1,0,0] neg_hi:[1,0,0]
	s_waitcnt vmcnt(32) lgkmcnt(2)
	v_pk_fma_f32 v[50:51], v[156:157], v[152:153], v[50:51] op_sel_hi:[0,1,1] neg_lo:[1,0,0] neg_hi:[1,0,0]
	;; [unrolled: 2-line block ×3, first 2 shown]
	ds_read2_b32 v[150:151], v139 offset0:17 offset1:18
	ds_read2_b32 v[152:153], v139 offset0:19 offset1:20
	ds_read2_b32 v[154:155], v139 offset0:21 offset1:22
	s_waitcnt vmcnt(28) lgkmcnt(3)
	v_pk_fma_f32 v[48:49], v[156:157], v[158:159], v[48:49] op_sel_hi:[0,1,1] neg_lo:[1,0,0] neg_hi:[1,0,0]
	ds_read2_b32 v[158:159], v139 offset0:23 offset1:24
	s_waitcnt vmcnt(26) lgkmcnt(3)
	v_pk_fma_f32 v[74:75], v[156:157], v[150:151], v[74:75] op_sel_hi:[0,1,1] neg_lo:[1,0,0] neg_hi:[1,0,0]
	s_waitcnt vmcnt(24) lgkmcnt(2)
	v_pk_fma_f32 v[68:69], v[156:157], v[152:153], v[68:69] op_sel_hi:[0,1,1] neg_lo:[1,0,0] neg_hi:[1,0,0]
	;; [unrolled: 2-line block ×3, first 2 shown]
	ds_read2_b32 v[150:151], v139 offset0:25 offset1:26
	ds_read2_b32 v[152:153], v139 offset0:27 offset1:28
	;; [unrolled: 1-line block ×3, first 2 shown]
	s_waitcnt vmcnt(20) lgkmcnt(3)
	v_pk_fma_f32 v[72:73], v[156:157], v[158:159], v[72:73] op_sel_hi:[0,1,1] neg_lo:[1,0,0] neg_hi:[1,0,0]
	ds_read2_b32 v[158:159], v139 offset0:31 offset1:32
	s_waitcnt vmcnt(18) lgkmcnt(3)
	v_pk_fma_f32 v[94:95], v[156:157], v[150:151], v[94:95] op_sel_hi:[0,1,1] neg_lo:[1,0,0] neg_hi:[1,0,0]
	ds_read2_b32 v[150:151], v139 offset0:33 offset1:34
	s_waitcnt vmcnt(16) lgkmcnt(3)
	v_pk_fma_f32 v[96:97], v[156:157], v[152:153], v[96:97] op_sel_hi:[0,1,1] neg_lo:[1,0,0] neg_hi:[1,0,0]
	s_waitcnt vmcnt(14) lgkmcnt(2)
	v_pk_fma_f32 v[98:99], v[156:157], v[154:155], v[98:99] op_sel_hi:[0,1,1] neg_lo:[1,0,0] neg_hi:[1,0,0]
	;; [unrolled: 2-line block ×3, first 2 shown]
	ds_read2_b32 v[152:153], v139 offset0:35 offset1:36
	ds_read2_b32 v[154:155], v139 offset0:37 offset1:38
	;; [unrolled: 1-line block ×3, first 2 shown]
	s_waitcnt vmcnt(10) lgkmcnt(3)
	v_pk_fma_f32 v[118:119], v[156:157], v[150:151], v[118:119] op_sel_hi:[0,1,1] neg_lo:[1,0,0] neg_hi:[1,0,0]
	ds_read2_b32 v[150:151], v139 offset0:41 offset1:42
	ds_read2_b32 v[160:161], v139 offset0:43 offset1:44
	s_waitcnt vmcnt(8) lgkmcnt(4)
	v_pk_fma_f32 v[122:123], v[156:157], v[152:153], v[122:123] op_sel_hi:[0,1,1] neg_lo:[1,0,0] neg_hi:[1,0,0]
	s_waitcnt vmcnt(6) lgkmcnt(3)
	v_pk_fma_f32 v[116:117], v[156:157], v[154:155], v[116:117] op_sel_hi:[0,1,1] neg_lo:[1,0,0] neg_hi:[1,0,0]
	;; [unrolled: 2-line block ×5, first 2 shown]
	v_mov_b32_e32 v17, v156
.LBB89_50:
	s_or_b64 exec, exec, s[2:3]
	v_cmp_eq_u32_e32 vcc, 9, v25
	s_waitcnt lgkmcnt(0)
	s_barrier
	s_and_saveexec_b64 s[2:3], vcc
	s_cbranch_execz .LBB89_53
; %bb.51:
	s_waitcnt vmcnt(32)
	v_pk_mov_b32 v[150:151], v[46:47], v[50:51] op_sel:[1,0]
	ds_write_b32 v138, v46
	ds_write2_b32 v139, v150, v151 offset0:10 offset1:11
	s_waitcnt vmcnt(30)
	v_pk_mov_b32 v[150:151], v[50:51], v[44:45] op_sel:[1,0]
	ds_write2_b32 v139, v150, v151 offset0:12 offset1:13
	s_waitcnt vmcnt(28)
	v_pk_mov_b32 v[150:151], v[44:45], v[48:49] op_sel:[1,0]
	;; [unrolled: 3-line block ×16, first 2 shown]
	ds_write2_b32 v139, v150, v151 offset0:42 offset1:43
	ds_write_b32 v139, v137 offset:176
	ds_read_b32 v149, v138
	s_waitcnt lgkmcnt(0)
	v_cmp_neq_f32_e32 vcc, 0, v149
	s_and_b64 exec, exec, vcc
	s_cbranch_execz .LBB89_53
; %bb.52:
	v_div_scale_f32 v150, s[4:5], v149, v149, 1.0
	v_rcp_f32_e32 v151, v150
	v_div_scale_f32 v152, vcc, 1.0, v149, 1.0
	v_fma_f32 v153, -v150, v151, 1.0
	v_fmac_f32_e32 v151, v153, v151
	v_mul_f32_e32 v153, v152, v151
	v_fma_f32 v154, -v150, v153, v152
	v_fmac_f32_e32 v153, v154, v151
	v_fma_f32 v150, -v150, v153, v152
	v_div_fmas_f32 v150, v150, v151, v153
	v_div_fixup_f32 v149, v150, v149, 1.0
	ds_write_b32 v138, v149
.LBB89_53:
	s_or_b64 exec, exec, s[2:3]
	s_waitcnt lgkmcnt(0)
	s_barrier
	ds_read_b32 v149, v138
	v_cmp_lt_u32_e32 vcc, 9, v25
	s_and_saveexec_b64 s[2:3], vcc
	s_cbranch_execz .LBB89_55
; %bb.54:
	ds_read_b32 v156, v139 offset:40
	ds_read2_b32 v[150:151], v139 offset0:11 offset1:12
	ds_read2_b32 v[152:153], v139 offset0:13 offset1:14
	s_waitcnt vmcnt(35) lgkmcnt(3)
	v_mul_f32_e32 v46, v149, v46
	ds_read2_b32 v[154:155], v139 offset0:15 offset1:16
	s_waitcnt vmcnt(34) lgkmcnt(3)
	v_fma_f32 v47, -v46, v156, v47
	s_waitcnt vmcnt(32) lgkmcnt(2)
	v_pk_fma_f32 v[50:51], v[46:47], v[150:151], v[50:51] op_sel_hi:[0,1,1] neg_lo:[1,0,0] neg_hi:[1,0,0]
	s_waitcnt vmcnt(30) lgkmcnt(1)
	v_pk_fma_f32 v[44:45], v[46:47], v[152:153], v[44:45] op_sel_hi:[0,1,1] neg_lo:[1,0,0] neg_hi:[1,0,0]
	ds_read2_b32 v[150:151], v139 offset0:17 offset1:18
	ds_read2_b32 v[152:153], v139 offset0:19 offset1:20
	;; [unrolled: 1-line block ×3, first 2 shown]
	s_waitcnt vmcnt(28) lgkmcnt(3)
	v_pk_fma_f32 v[48:49], v[46:47], v[154:155], v[48:49] op_sel_hi:[0,1,1] neg_lo:[1,0,0] neg_hi:[1,0,0]
	ds_read2_b32 v[154:155], v139 offset0:23 offset1:24
	s_waitcnt vmcnt(26) lgkmcnt(3)
	v_pk_fma_f32 v[74:75], v[46:47], v[150:151], v[74:75] op_sel_hi:[0,1,1] neg_lo:[1,0,0] neg_hi:[1,0,0]
	s_waitcnt vmcnt(24) lgkmcnt(2)
	v_pk_fma_f32 v[68:69], v[46:47], v[152:153], v[68:69] op_sel_hi:[0,1,1] neg_lo:[1,0,0] neg_hi:[1,0,0]
	;; [unrolled: 2-line block ×3, first 2 shown]
	ds_read2_b32 v[150:151], v139 offset0:25 offset1:26
	ds_read2_b32 v[152:153], v139 offset0:27 offset1:28
	ds_read2_b32 v[156:157], v139 offset0:29 offset1:30
	s_waitcnt vmcnt(20) lgkmcnt(3)
	v_pk_fma_f32 v[72:73], v[46:47], v[154:155], v[72:73] op_sel_hi:[0,1,1] neg_lo:[1,0,0] neg_hi:[1,0,0]
	ds_read2_b32 v[154:155], v139 offset0:31 offset1:32
	s_waitcnt vmcnt(18) lgkmcnt(3)
	v_pk_fma_f32 v[94:95], v[46:47], v[150:151], v[94:95] op_sel_hi:[0,1,1] neg_lo:[1,0,0] neg_hi:[1,0,0]
	ds_read2_b32 v[150:151], v139 offset0:33 offset1:34
	s_waitcnt vmcnt(16) lgkmcnt(3)
	v_pk_fma_f32 v[96:97], v[46:47], v[152:153], v[96:97] op_sel_hi:[0,1,1] neg_lo:[1,0,0] neg_hi:[1,0,0]
	s_waitcnt vmcnt(14) lgkmcnt(2)
	v_pk_fma_f32 v[98:99], v[46:47], v[156:157], v[98:99] op_sel_hi:[0,1,1] neg_lo:[1,0,0] neg_hi:[1,0,0]
	;; [unrolled: 2-line block ×3, first 2 shown]
	ds_read2_b32 v[152:153], v139 offset0:35 offset1:36
	ds_read2_b32 v[154:155], v139 offset0:37 offset1:38
	;; [unrolled: 1-line block ×3, first 2 shown]
	s_waitcnt vmcnt(10) lgkmcnt(3)
	v_pk_fma_f32 v[118:119], v[46:47], v[150:151], v[118:119] op_sel_hi:[0,1,1] neg_lo:[1,0,0] neg_hi:[1,0,0]
	ds_read2_b32 v[150:151], v139 offset0:41 offset1:42
	ds_read2_b32 v[158:159], v139 offset0:43 offset1:44
	s_waitcnt vmcnt(8) lgkmcnt(4)
	v_pk_fma_f32 v[122:123], v[46:47], v[152:153], v[122:123] op_sel_hi:[0,1,1] neg_lo:[1,0,0] neg_hi:[1,0,0]
	s_waitcnt vmcnt(6) lgkmcnt(3)
	v_pk_fma_f32 v[116:117], v[46:47], v[154:155], v[116:117] op_sel_hi:[0,1,1] neg_lo:[1,0,0] neg_hi:[1,0,0]
	s_waitcnt vmcnt(4) lgkmcnt(2)
	v_pk_fma_f32 v[120:121], v[46:47], v[156:157], v[120:121] op_sel_hi:[0,1,1] neg_lo:[1,0,0] neg_hi:[1,0,0]
	s_waitcnt vmcnt(2) lgkmcnt(1)
	v_pk_fma_f32 v[134:135], v[46:47], v[150:151], v[134:135] op_sel_hi:[0,1,1] neg_lo:[1,0,0] neg_hi:[1,0,0]
	s_waitcnt vmcnt(0) lgkmcnt(0)
	v_pk_fma_f32 v[136:137], v[46:47], v[158:159], v[136:137] op_sel_hi:[0,1,1] neg_lo:[1,0,0] neg_hi:[1,0,0]
.LBB89_55:
	s_or_b64 exec, exec, s[2:3]
	v_cmp_ne_u32_e32 vcc, 10, v25
	s_waitcnt lgkmcnt(0)
	s_barrier
	s_and_saveexec_b64 s[2:3], vcc
	s_xor_b64 s[2:3], exec, s[2:3]
	s_andn2_saveexec_b64 s[2:3], s[2:3]
	s_cbranch_execz .LBB89_59
; %bb.56:
	s_waitcnt vmcnt(34)
	ds_write_b32 v138, v47
	s_waitcnt vmcnt(32)
	ds_write2_b32 v139, v50, v51 offset0:11 offset1:12
	s_waitcnt vmcnt(30)
	ds_write2_b32 v139, v44, v45 offset0:13 offset1:14
	;; [unrolled: 2-line block ×17, first 2 shown]
	ds_read_b32 v150, v138
	s_waitcnt lgkmcnt(0)
	v_cmp_neq_f32_e32 vcc, 0, v150
	s_and_saveexec_b64 s[4:5], vcc
	s_cbranch_execz .LBB89_58
; %bb.57:
	v_div_scale_f32 v151, s[10:11], v150, v150, 1.0
	v_rcp_f32_e32 v152, v151
	v_div_scale_f32 v153, vcc, 1.0, v150, 1.0
	v_fma_f32 v154, -v151, v152, 1.0
	v_fmac_f32_e32 v152, v154, v152
	v_mul_f32_e32 v154, v153, v152
	v_fma_f32 v155, -v151, v154, v153
	v_fmac_f32_e32 v154, v155, v152
	v_fma_f32 v151, -v151, v154, v153
	v_div_fmas_f32 v151, v151, v152, v154
	v_div_fixup_f32 v150, v151, v150, 1.0
	ds_write_b32 v138, v150
.LBB89_58:
	s_or_b64 exec, exec, s[4:5]
.LBB89_59:
	s_or_b64 exec, exec, s[2:3]
	s_waitcnt lgkmcnt(0)
	s_barrier
	ds_read_b32 v150, v138
	v_cmp_lt_u32_e32 vcc, 10, v25
	s_and_saveexec_b64 s[2:3], vcc
	s_cbranch_execz .LBB89_61
; %bb.60:
	ds_read2_b32 v[152:153], v139 offset0:11 offset1:12
	ds_read2_b32 v[154:155], v139 offset0:13 offset1:14
	;; [unrolled: 1-line block ×3, first 2 shown]
	s_waitcnt vmcnt(34) lgkmcnt(3)
	v_mul_f32_e32 v158, v150, v47
	ds_read2_b32 v[160:161], v139 offset0:17 offset1:18
	s_waitcnt vmcnt(32) lgkmcnt(3)
	v_pk_fma_f32 v[50:51], v[158:159], v[152:153], v[50:51] op_sel_hi:[0,1,1] neg_lo:[1,0,0] neg_hi:[1,0,0]
	s_waitcnt vmcnt(30) lgkmcnt(2)
	v_pk_fma_f32 v[44:45], v[158:159], v[154:155], v[44:45] op_sel_hi:[0,1,1] neg_lo:[1,0,0] neg_hi:[1,0,0]
	;; [unrolled: 2-line block ×3, first 2 shown]
	ds_read2_b32 v[152:153], v139 offset0:19 offset1:20
	ds_read2_b32 v[154:155], v139 offset0:21 offset1:22
	;; [unrolled: 1-line block ×3, first 2 shown]
	s_waitcnt vmcnt(26) lgkmcnt(3)
	v_pk_fma_f32 v[74:75], v[158:159], v[160:161], v[74:75] op_sel_hi:[0,1,1] neg_lo:[1,0,0] neg_hi:[1,0,0]
	ds_read2_b32 v[160:161], v139 offset0:25 offset1:26
	s_waitcnt vmcnt(24) lgkmcnt(3)
	v_pk_fma_f32 v[68:69], v[158:159], v[152:153], v[68:69] op_sel_hi:[0,1,1] neg_lo:[1,0,0] neg_hi:[1,0,0]
	s_waitcnt vmcnt(22) lgkmcnt(2)
	v_pk_fma_f32 v[70:71], v[158:159], v[154:155], v[70:71] op_sel_hi:[0,1,1] neg_lo:[1,0,0] neg_hi:[1,0,0]
	;; [unrolled: 2-line block ×3, first 2 shown]
	ds_read2_b32 v[152:153], v139 offset0:27 offset1:28
	ds_read2_b32 v[154:155], v139 offset0:29 offset1:30
	;; [unrolled: 1-line block ×4, first 2 shown]
	s_waitcnt vmcnt(18) lgkmcnt(4)
	v_pk_fma_f32 v[94:95], v[158:159], v[160:161], v[94:95] op_sel_hi:[0,1,1] neg_lo:[1,0,0] neg_hi:[1,0,0]
	s_waitcnt vmcnt(16) lgkmcnt(3)
	v_pk_fma_f32 v[96:97], v[158:159], v[152:153], v[96:97] op_sel_hi:[0,1,1] neg_lo:[1,0,0] neg_hi:[1,0,0]
	;; [unrolled: 2-line block ×5, first 2 shown]
	ds_read2_b32 v[152:153], v139 offset0:35 offset1:36
	ds_read2_b32 v[154:155], v139 offset0:37 offset1:38
	;; [unrolled: 1-line block ×5, first 2 shown]
	s_waitcnt vmcnt(8) lgkmcnt(4)
	v_pk_fma_f32 v[122:123], v[158:159], v[152:153], v[122:123] op_sel_hi:[0,1,1] neg_lo:[1,0,0] neg_hi:[1,0,0]
	s_waitcnt vmcnt(6) lgkmcnt(3)
	v_pk_fma_f32 v[116:117], v[158:159], v[154:155], v[116:117] op_sel_hi:[0,1,1] neg_lo:[1,0,0] neg_hi:[1,0,0]
	;; [unrolled: 2-line block ×5, first 2 shown]
	v_mov_b32_e32 v47, v158
.LBB89_61:
	s_or_b64 exec, exec, s[2:3]
	v_cmp_eq_u32_e32 vcc, 11, v25
	s_waitcnt lgkmcnt(0)
	s_barrier
	s_and_saveexec_b64 s[2:3], vcc
	s_cbranch_execz .LBB89_64
; %bb.62:
	s_waitcnt vmcnt(30)
	v_pk_mov_b32 v[152:153], v[50:51], v[44:45] op_sel:[1,0]
	ds_write_b32 v138, v50
	ds_write2_b32 v139, v152, v153 offset0:12 offset1:13
	s_waitcnt vmcnt(28)
	v_pk_mov_b32 v[152:153], v[44:45], v[48:49] op_sel:[1,0]
	ds_write2_b32 v139, v152, v153 offset0:14 offset1:15
	s_waitcnt vmcnt(26)
	v_pk_mov_b32 v[152:153], v[48:49], v[74:75] op_sel:[1,0]
	ds_write2_b32 v139, v152, v153 offset0:16 offset1:17
	s_waitcnt vmcnt(24)
	v_pk_mov_b32 v[152:153], v[74:75], v[68:69] op_sel:[1,0]
	ds_write2_b32 v139, v152, v153 offset0:18 offset1:19
	s_waitcnt vmcnt(22)
	v_pk_mov_b32 v[152:153], v[68:69], v[70:71] op_sel:[1,0]
	ds_write2_b32 v139, v152, v153 offset0:20 offset1:21
	s_waitcnt vmcnt(20)
	v_pk_mov_b32 v[152:153], v[70:71], v[72:73] op_sel:[1,0]
	ds_write2_b32 v139, v152, v153 offset0:22 offset1:23
	s_waitcnt vmcnt(18)
	v_pk_mov_b32 v[152:153], v[72:73], v[94:95] op_sel:[1,0]
	ds_write2_b32 v139, v152, v153 offset0:24 offset1:25
	s_waitcnt vmcnt(16)
	v_pk_mov_b32 v[152:153], v[94:95], v[96:97] op_sel:[1,0]
	ds_write2_b32 v139, v152, v153 offset0:26 offset1:27
	s_waitcnt vmcnt(14)
	v_pk_mov_b32 v[152:153], v[96:97], v[98:99] op_sel:[1,0]
	ds_write2_b32 v139, v152, v153 offset0:28 offset1:29
	s_waitcnt vmcnt(12)
	v_pk_mov_b32 v[152:153], v[98:99], v[92:93] op_sel:[1,0]
	ds_write2_b32 v139, v152, v153 offset0:30 offset1:31
	s_waitcnt vmcnt(10)
	v_pk_mov_b32 v[152:153], v[92:93], v[118:119] op_sel:[1,0]
	ds_write2_b32 v139, v152, v153 offset0:32 offset1:33
	s_waitcnt vmcnt(8)
	v_pk_mov_b32 v[152:153], v[118:119], v[122:123] op_sel:[1,0]
	ds_write2_b32 v139, v152, v153 offset0:34 offset1:35
	s_waitcnt vmcnt(6)
	v_pk_mov_b32 v[152:153], v[122:123], v[116:117] op_sel:[1,0]
	ds_write2_b32 v139, v152, v153 offset0:36 offset1:37
	s_waitcnt vmcnt(4)
	v_pk_mov_b32 v[152:153], v[116:117], v[120:121] op_sel:[1,0]
	ds_write2_b32 v139, v152, v153 offset0:38 offset1:39
	s_waitcnt vmcnt(2)
	v_pk_mov_b32 v[152:153], v[120:121], v[134:135] op_sel:[1,0]
	ds_write2_b32 v139, v152, v153 offset0:40 offset1:41
	s_waitcnt vmcnt(0)
	v_pk_mov_b32 v[152:153], v[134:135], v[136:137] op_sel:[1,0]
	ds_write2_b32 v139, v152, v153 offset0:42 offset1:43
	ds_write_b32 v139, v137 offset:176
	ds_read_b32 v151, v138
	s_waitcnt lgkmcnt(0)
	v_cmp_neq_f32_e32 vcc, 0, v151
	s_and_b64 exec, exec, vcc
	s_cbranch_execz .LBB89_64
; %bb.63:
	v_div_scale_f32 v152, s[4:5], v151, v151, 1.0
	v_rcp_f32_e32 v153, v152
	v_div_scale_f32 v154, vcc, 1.0, v151, 1.0
	v_fma_f32 v155, -v152, v153, 1.0
	v_fmac_f32_e32 v153, v155, v153
	v_mul_f32_e32 v155, v154, v153
	v_fma_f32 v156, -v152, v155, v154
	v_fmac_f32_e32 v155, v156, v153
	v_fma_f32 v152, -v152, v155, v154
	v_div_fmas_f32 v152, v152, v153, v155
	v_div_fixup_f32 v151, v152, v151, 1.0
	ds_write_b32 v138, v151
.LBB89_64:
	s_or_b64 exec, exec, s[2:3]
	s_waitcnt lgkmcnt(0)
	s_barrier
	ds_read_b32 v151, v138
	v_cmp_lt_u32_e32 vcc, 11, v25
	s_and_saveexec_b64 s[2:3], vcc
	s_cbranch_execz .LBB89_66
; %bb.65:
	ds_read_b32 v158, v139 offset:48
	ds_read2_b32 v[152:153], v139 offset0:13 offset1:14
	ds_read2_b32 v[154:155], v139 offset0:15 offset1:16
	s_waitcnt vmcnt(33) lgkmcnt(3)
	v_mul_f32_e32 v50, v151, v50
	ds_read2_b32 v[156:157], v139 offset0:17 offset1:18
	s_waitcnt vmcnt(32) lgkmcnt(3)
	v_fma_f32 v51, -v50, v158, v51
	s_waitcnt vmcnt(30) lgkmcnt(2)
	v_pk_fma_f32 v[44:45], v[50:51], v[152:153], v[44:45] op_sel_hi:[0,1,1] neg_lo:[1,0,0] neg_hi:[1,0,0]
	s_waitcnt vmcnt(28) lgkmcnt(1)
	v_pk_fma_f32 v[48:49], v[50:51], v[154:155], v[48:49] op_sel_hi:[0,1,1] neg_lo:[1,0,0] neg_hi:[1,0,0]
	ds_read2_b32 v[152:153], v139 offset0:19 offset1:20
	ds_read2_b32 v[154:155], v139 offset0:21 offset1:22
	;; [unrolled: 1-line block ×3, first 2 shown]
	s_waitcnt vmcnt(26) lgkmcnt(3)
	v_pk_fma_f32 v[74:75], v[50:51], v[156:157], v[74:75] op_sel_hi:[0,1,1] neg_lo:[1,0,0] neg_hi:[1,0,0]
	ds_read2_b32 v[156:157], v139 offset0:25 offset1:26
	s_waitcnt vmcnt(24) lgkmcnt(3)
	v_pk_fma_f32 v[68:69], v[50:51], v[152:153], v[68:69] op_sel_hi:[0,1,1] neg_lo:[1,0,0] neg_hi:[1,0,0]
	s_waitcnt vmcnt(22) lgkmcnt(2)
	v_pk_fma_f32 v[70:71], v[50:51], v[154:155], v[70:71] op_sel_hi:[0,1,1] neg_lo:[1,0,0] neg_hi:[1,0,0]
	;; [unrolled: 2-line block ×3, first 2 shown]
	ds_read2_b32 v[152:153], v139 offset0:27 offset1:28
	ds_read2_b32 v[154:155], v139 offset0:29 offset1:30
	;; [unrolled: 1-line block ×4, first 2 shown]
	s_waitcnt vmcnt(18) lgkmcnt(4)
	v_pk_fma_f32 v[94:95], v[50:51], v[156:157], v[94:95] op_sel_hi:[0,1,1] neg_lo:[1,0,0] neg_hi:[1,0,0]
	s_waitcnt vmcnt(16) lgkmcnt(3)
	v_pk_fma_f32 v[96:97], v[50:51], v[152:153], v[96:97] op_sel_hi:[0,1,1] neg_lo:[1,0,0] neg_hi:[1,0,0]
	;; [unrolled: 2-line block ×5, first 2 shown]
	ds_read2_b32 v[152:153], v139 offset0:35 offset1:36
	ds_read2_b32 v[154:155], v139 offset0:37 offset1:38
	;; [unrolled: 1-line block ×5, first 2 shown]
	s_waitcnt vmcnt(8) lgkmcnt(4)
	v_pk_fma_f32 v[122:123], v[50:51], v[152:153], v[122:123] op_sel_hi:[0,1,1] neg_lo:[1,0,0] neg_hi:[1,0,0]
	s_waitcnt vmcnt(6) lgkmcnt(3)
	v_pk_fma_f32 v[116:117], v[50:51], v[154:155], v[116:117] op_sel_hi:[0,1,1] neg_lo:[1,0,0] neg_hi:[1,0,0]
	;; [unrolled: 2-line block ×5, first 2 shown]
.LBB89_66:
	s_or_b64 exec, exec, s[2:3]
	v_cmp_ne_u32_e32 vcc, 12, v25
	s_waitcnt lgkmcnt(0)
	s_barrier
	s_and_saveexec_b64 s[2:3], vcc
	s_xor_b64 s[2:3], exec, s[2:3]
	s_andn2_saveexec_b64 s[2:3], s[2:3]
	s_cbranch_execz .LBB89_70
; %bb.67:
	s_waitcnt vmcnt(32)
	ds_write_b32 v138, v51
	s_waitcnt vmcnt(30)
	ds_write2_b32 v139, v44, v45 offset0:13 offset1:14
	s_waitcnt vmcnt(28)
	ds_write2_b32 v139, v48, v49 offset0:15 offset1:16
	;; [unrolled: 2-line block ×16, first 2 shown]
	ds_read_b32 v152, v138
	s_waitcnt lgkmcnt(0)
	v_cmp_neq_f32_e32 vcc, 0, v152
	s_and_saveexec_b64 s[4:5], vcc
	s_cbranch_execz .LBB89_69
; %bb.68:
	v_div_scale_f32 v153, s[10:11], v152, v152, 1.0
	v_rcp_f32_e32 v154, v153
	v_div_scale_f32 v155, vcc, 1.0, v152, 1.0
	v_fma_f32 v156, -v153, v154, 1.0
	v_fmac_f32_e32 v154, v156, v154
	v_mul_f32_e32 v156, v155, v154
	v_fma_f32 v157, -v153, v156, v155
	v_fmac_f32_e32 v156, v157, v154
	v_fma_f32 v153, -v153, v156, v155
	v_div_fmas_f32 v153, v153, v154, v156
	v_div_fixup_f32 v152, v153, v152, 1.0
	ds_write_b32 v138, v152
.LBB89_69:
	s_or_b64 exec, exec, s[4:5]
.LBB89_70:
	s_or_b64 exec, exec, s[2:3]
	s_waitcnt lgkmcnt(0)
	s_barrier
	ds_read_b32 v152, v138
	v_cmp_lt_u32_e32 vcc, 12, v25
	s_and_saveexec_b64 s[2:3], vcc
	s_cbranch_execz .LBB89_72
; %bb.71:
	ds_read2_b32 v[154:155], v139 offset0:13 offset1:14
	ds_read2_b32 v[156:157], v139 offset0:15 offset1:16
	ds_read2_b32 v[158:159], v139 offset0:17 offset1:18
	s_waitcnt vmcnt(32) lgkmcnt(3)
	v_mul_f32_e32 v160, v152, v51
	ds_read2_b32 v[162:163], v139 offset0:19 offset1:20
	s_waitcnt vmcnt(30) lgkmcnt(3)
	v_pk_fma_f32 v[44:45], v[160:161], v[154:155], v[44:45] op_sel_hi:[0,1,1] neg_lo:[1,0,0] neg_hi:[1,0,0]
	s_waitcnt vmcnt(28) lgkmcnt(2)
	v_pk_fma_f32 v[48:49], v[160:161], v[156:157], v[48:49] op_sel_hi:[0,1,1] neg_lo:[1,0,0] neg_hi:[1,0,0]
	;; [unrolled: 2-line block ×3, first 2 shown]
	ds_read2_b32 v[154:155], v139 offset0:21 offset1:22
	ds_read2_b32 v[156:157], v139 offset0:23 offset1:24
	;; [unrolled: 1-line block ×3, first 2 shown]
	s_waitcnt vmcnt(24) lgkmcnt(3)
	v_pk_fma_f32 v[68:69], v[160:161], v[162:163], v[68:69] op_sel_hi:[0,1,1] neg_lo:[1,0,0] neg_hi:[1,0,0]
	ds_read2_b32 v[162:163], v139 offset0:27 offset1:28
	s_waitcnt vmcnt(22) lgkmcnt(3)
	v_pk_fma_f32 v[70:71], v[160:161], v[154:155], v[70:71] op_sel_hi:[0,1,1] neg_lo:[1,0,0] neg_hi:[1,0,0]
	s_waitcnt vmcnt(20) lgkmcnt(2)
	v_pk_fma_f32 v[72:73], v[160:161], v[156:157], v[72:73] op_sel_hi:[0,1,1] neg_lo:[1,0,0] neg_hi:[1,0,0]
	;; [unrolled: 2-line block ×3, first 2 shown]
	ds_read2_b32 v[154:155], v139 offset0:29 offset1:30
	ds_read2_b32 v[156:157], v139 offset0:31 offset1:32
	;; [unrolled: 1-line block ×3, first 2 shown]
	s_waitcnt vmcnt(16) lgkmcnt(3)
	v_pk_fma_f32 v[96:97], v[160:161], v[162:163], v[96:97] op_sel_hi:[0,1,1] neg_lo:[1,0,0] neg_hi:[1,0,0]
	ds_read2_b32 v[162:163], v139 offset0:35 offset1:36
	s_waitcnt vmcnt(14) lgkmcnt(3)
	v_pk_fma_f32 v[98:99], v[160:161], v[154:155], v[98:99] op_sel_hi:[0,1,1] neg_lo:[1,0,0] neg_hi:[1,0,0]
	s_waitcnt vmcnt(12) lgkmcnt(2)
	v_pk_fma_f32 v[92:93], v[160:161], v[156:157], v[92:93] op_sel_hi:[0,1,1] neg_lo:[1,0,0] neg_hi:[1,0,0]
	;; [unrolled: 2-line block ×3, first 2 shown]
	ds_read2_b32 v[154:155], v139 offset0:37 offset1:38
	ds_read2_b32 v[156:157], v139 offset0:39 offset1:40
	;; [unrolled: 1-line block ×4, first 2 shown]
	s_waitcnt vmcnt(8) lgkmcnt(4)
	v_pk_fma_f32 v[122:123], v[160:161], v[162:163], v[122:123] op_sel_hi:[0,1,1] neg_lo:[1,0,0] neg_hi:[1,0,0]
	s_waitcnt vmcnt(6) lgkmcnt(3)
	v_pk_fma_f32 v[116:117], v[160:161], v[154:155], v[116:117] op_sel_hi:[0,1,1] neg_lo:[1,0,0] neg_hi:[1,0,0]
	;; [unrolled: 2-line block ×5, first 2 shown]
	v_mov_b32_e32 v51, v160
.LBB89_72:
	s_or_b64 exec, exec, s[2:3]
	v_cmp_eq_u32_e32 vcc, 13, v25
	s_waitcnt lgkmcnt(0)
	s_barrier
	s_and_saveexec_b64 s[2:3], vcc
	s_cbranch_execz .LBB89_75
; %bb.73:
	s_waitcnt vmcnt(28)
	v_pk_mov_b32 v[154:155], v[44:45], v[48:49] op_sel:[1,0]
	ds_write_b32 v138, v44
	ds_write2_b32 v139, v154, v155 offset0:14 offset1:15
	s_waitcnt vmcnt(26)
	v_pk_mov_b32 v[154:155], v[48:49], v[74:75] op_sel:[1,0]
	ds_write2_b32 v139, v154, v155 offset0:16 offset1:17
	s_waitcnt vmcnt(24)
	v_pk_mov_b32 v[154:155], v[74:75], v[68:69] op_sel:[1,0]
	;; [unrolled: 3-line block ×14, first 2 shown]
	ds_write2_b32 v139, v154, v155 offset0:42 offset1:43
	ds_write_b32 v139, v137 offset:176
	ds_read_b32 v153, v138
	s_waitcnt lgkmcnt(0)
	v_cmp_neq_f32_e32 vcc, 0, v153
	s_and_b64 exec, exec, vcc
	s_cbranch_execz .LBB89_75
; %bb.74:
	v_div_scale_f32 v154, s[4:5], v153, v153, 1.0
	v_rcp_f32_e32 v155, v154
	v_div_scale_f32 v156, vcc, 1.0, v153, 1.0
	v_fma_f32 v157, -v154, v155, 1.0
	v_fmac_f32_e32 v155, v157, v155
	v_mul_f32_e32 v157, v156, v155
	v_fma_f32 v158, -v154, v157, v156
	v_fmac_f32_e32 v157, v158, v155
	v_fma_f32 v154, -v154, v157, v156
	v_div_fmas_f32 v154, v154, v155, v157
	v_div_fixup_f32 v153, v154, v153, 1.0
	ds_write_b32 v138, v153
.LBB89_75:
	s_or_b64 exec, exec, s[2:3]
	s_waitcnt lgkmcnt(0)
	s_barrier
	ds_read_b32 v153, v138
	v_cmp_lt_u32_e32 vcc, 13, v25
	s_and_saveexec_b64 s[2:3], vcc
	s_cbranch_execz .LBB89_77
; %bb.76:
	ds_read_b32 v160, v139 offset:56
	ds_read2_b32 v[154:155], v139 offset0:15 offset1:16
	ds_read2_b32 v[156:157], v139 offset0:17 offset1:18
	s_waitcnt vmcnt(31) lgkmcnt(3)
	v_mul_f32_e32 v44, v153, v44
	ds_read2_b32 v[158:159], v139 offset0:19 offset1:20
	s_waitcnt vmcnt(30) lgkmcnt(3)
	v_fma_f32 v45, -v44, v160, v45
	s_waitcnt vmcnt(28) lgkmcnt(2)
	v_pk_fma_f32 v[48:49], v[44:45], v[154:155], v[48:49] op_sel_hi:[0,1,1] neg_lo:[1,0,0] neg_hi:[1,0,0]
	s_waitcnt vmcnt(26) lgkmcnt(1)
	v_pk_fma_f32 v[74:75], v[44:45], v[156:157], v[74:75] op_sel_hi:[0,1,1] neg_lo:[1,0,0] neg_hi:[1,0,0]
	ds_read2_b32 v[154:155], v139 offset0:21 offset1:22
	ds_read2_b32 v[156:157], v139 offset0:23 offset1:24
	;; [unrolled: 1-line block ×3, first 2 shown]
	s_waitcnt vmcnt(24) lgkmcnt(3)
	v_pk_fma_f32 v[68:69], v[44:45], v[158:159], v[68:69] op_sel_hi:[0,1,1] neg_lo:[1,0,0] neg_hi:[1,0,0]
	ds_read2_b32 v[158:159], v139 offset0:27 offset1:28
	s_waitcnt vmcnt(22) lgkmcnt(3)
	v_pk_fma_f32 v[70:71], v[44:45], v[154:155], v[70:71] op_sel_hi:[0,1,1] neg_lo:[1,0,0] neg_hi:[1,0,0]
	s_waitcnt vmcnt(20) lgkmcnt(2)
	v_pk_fma_f32 v[72:73], v[44:45], v[156:157], v[72:73] op_sel_hi:[0,1,1] neg_lo:[1,0,0] neg_hi:[1,0,0]
	;; [unrolled: 2-line block ×3, first 2 shown]
	ds_read2_b32 v[154:155], v139 offset0:29 offset1:30
	ds_read2_b32 v[156:157], v139 offset0:31 offset1:32
	;; [unrolled: 1-line block ×3, first 2 shown]
	s_waitcnt vmcnt(16) lgkmcnt(3)
	v_pk_fma_f32 v[96:97], v[44:45], v[158:159], v[96:97] op_sel_hi:[0,1,1] neg_lo:[1,0,0] neg_hi:[1,0,0]
	ds_read2_b32 v[158:159], v139 offset0:35 offset1:36
	s_waitcnt vmcnt(14) lgkmcnt(3)
	v_pk_fma_f32 v[98:99], v[44:45], v[154:155], v[98:99] op_sel_hi:[0,1,1] neg_lo:[1,0,0] neg_hi:[1,0,0]
	s_waitcnt vmcnt(12) lgkmcnt(2)
	v_pk_fma_f32 v[92:93], v[44:45], v[156:157], v[92:93] op_sel_hi:[0,1,1] neg_lo:[1,0,0] neg_hi:[1,0,0]
	;; [unrolled: 2-line block ×3, first 2 shown]
	ds_read2_b32 v[154:155], v139 offset0:37 offset1:38
	ds_read2_b32 v[156:157], v139 offset0:39 offset1:40
	;; [unrolled: 1-line block ×4, first 2 shown]
	s_waitcnt vmcnt(8) lgkmcnt(4)
	v_pk_fma_f32 v[122:123], v[44:45], v[158:159], v[122:123] op_sel_hi:[0,1,1] neg_lo:[1,0,0] neg_hi:[1,0,0]
	s_waitcnt vmcnt(6) lgkmcnt(3)
	v_pk_fma_f32 v[116:117], v[44:45], v[154:155], v[116:117] op_sel_hi:[0,1,1] neg_lo:[1,0,0] neg_hi:[1,0,0]
	;; [unrolled: 2-line block ×5, first 2 shown]
.LBB89_77:
	s_or_b64 exec, exec, s[2:3]
	v_cmp_ne_u32_e32 vcc, 14, v25
	s_waitcnt lgkmcnt(0)
	s_barrier
	s_and_saveexec_b64 s[2:3], vcc
	s_xor_b64 s[2:3], exec, s[2:3]
	s_andn2_saveexec_b64 s[2:3], s[2:3]
	s_cbranch_execz .LBB89_81
; %bb.78:
	s_waitcnt vmcnt(30)
	ds_write_b32 v138, v45
	s_waitcnt vmcnt(28)
	ds_write2_b32 v139, v48, v49 offset0:15 offset1:16
	s_waitcnt vmcnt(26)
	ds_write2_b32 v139, v74, v75 offset0:17 offset1:18
	;; [unrolled: 2-line block ×15, first 2 shown]
	ds_read_b32 v154, v138
	s_waitcnt lgkmcnt(0)
	v_cmp_neq_f32_e32 vcc, 0, v154
	s_and_saveexec_b64 s[4:5], vcc
	s_cbranch_execz .LBB89_80
; %bb.79:
	v_div_scale_f32 v155, s[10:11], v154, v154, 1.0
	v_rcp_f32_e32 v156, v155
	v_div_scale_f32 v157, vcc, 1.0, v154, 1.0
	v_fma_f32 v158, -v155, v156, 1.0
	v_fmac_f32_e32 v156, v158, v156
	v_mul_f32_e32 v158, v157, v156
	v_fma_f32 v159, -v155, v158, v157
	v_fmac_f32_e32 v158, v159, v156
	v_fma_f32 v155, -v155, v158, v157
	v_div_fmas_f32 v155, v155, v156, v158
	v_div_fixup_f32 v154, v155, v154, 1.0
	ds_write_b32 v138, v154
.LBB89_80:
	s_or_b64 exec, exec, s[4:5]
.LBB89_81:
	s_or_b64 exec, exec, s[2:3]
	s_waitcnt lgkmcnt(0)
	s_barrier
	ds_read_b32 v154, v138
	v_cmp_lt_u32_e32 vcc, 14, v25
	s_and_saveexec_b64 s[2:3], vcc
	s_cbranch_execz .LBB89_83
; %bb.82:
	ds_read2_b32 v[156:157], v139 offset0:15 offset1:16
	ds_read2_b32 v[158:159], v139 offset0:17 offset1:18
	;; [unrolled: 1-line block ×3, first 2 shown]
	s_waitcnt vmcnt(30) lgkmcnt(3)
	v_mul_f32_e32 v162, v154, v45
	ds_read2_b32 v[164:165], v139 offset0:21 offset1:22
	s_waitcnt vmcnt(28) lgkmcnt(3)
	v_pk_fma_f32 v[48:49], v[162:163], v[156:157], v[48:49] op_sel_hi:[0,1,1] neg_lo:[1,0,0] neg_hi:[1,0,0]
	s_waitcnt vmcnt(26) lgkmcnt(2)
	v_pk_fma_f32 v[74:75], v[162:163], v[158:159], v[74:75] op_sel_hi:[0,1,1] neg_lo:[1,0,0] neg_hi:[1,0,0]
	;; [unrolled: 2-line block ×3, first 2 shown]
	ds_read2_b32 v[156:157], v139 offset0:23 offset1:24
	ds_read2_b32 v[158:159], v139 offset0:25 offset1:26
	;; [unrolled: 1-line block ×3, first 2 shown]
	s_waitcnt vmcnt(22) lgkmcnt(3)
	v_pk_fma_f32 v[70:71], v[162:163], v[164:165], v[70:71] op_sel_hi:[0,1,1] neg_lo:[1,0,0] neg_hi:[1,0,0]
	ds_read2_b32 v[164:165], v139 offset0:29 offset1:30
	s_waitcnt vmcnt(20) lgkmcnt(3)
	v_pk_fma_f32 v[72:73], v[162:163], v[156:157], v[72:73] op_sel_hi:[0,1,1] neg_lo:[1,0,0] neg_hi:[1,0,0]
	s_waitcnt vmcnt(18) lgkmcnt(2)
	v_pk_fma_f32 v[94:95], v[162:163], v[158:159], v[94:95] op_sel_hi:[0,1,1] neg_lo:[1,0,0] neg_hi:[1,0,0]
	ds_read2_b32 v[156:157], v139 offset0:31 offset1:32
	ds_read2_b32 v[158:159], v139 offset0:33 offset1:34
	s_waitcnt vmcnt(16) lgkmcnt(3)
	v_pk_fma_f32 v[96:97], v[162:163], v[160:161], v[96:97] op_sel_hi:[0,1,1] neg_lo:[1,0,0] neg_hi:[1,0,0]
	s_waitcnt vmcnt(14) lgkmcnt(2)
	v_pk_fma_f32 v[98:99], v[162:163], v[164:165], v[98:99] op_sel_hi:[0,1,1] neg_lo:[1,0,0] neg_hi:[1,0,0]
	ds_read2_b32 v[160:161], v139 offset0:35 offset1:36
	;; [unrolled: 6-line block ×3, first 2 shown]
	ds_read2_b32 v[158:159], v139 offset0:41 offset1:42
	ds_read2_b32 v[166:167], v139 offset0:43 offset1:44
	s_waitcnt vmcnt(8) lgkmcnt(4)
	v_pk_fma_f32 v[122:123], v[162:163], v[160:161], v[122:123] op_sel_hi:[0,1,1] neg_lo:[1,0,0] neg_hi:[1,0,0]
	s_waitcnt vmcnt(6) lgkmcnt(3)
	v_pk_fma_f32 v[116:117], v[162:163], v[164:165], v[116:117] op_sel_hi:[0,1,1] neg_lo:[1,0,0] neg_hi:[1,0,0]
	;; [unrolled: 2-line block ×5, first 2 shown]
	v_mov_b32_e32 v45, v162
.LBB89_83:
	s_or_b64 exec, exec, s[2:3]
	v_cmp_eq_u32_e32 vcc, 15, v25
	s_waitcnt lgkmcnt(0)
	s_barrier
	s_and_saveexec_b64 s[2:3], vcc
	s_cbranch_execz .LBB89_86
; %bb.84:
	s_waitcnt vmcnt(26)
	v_pk_mov_b32 v[156:157], v[48:49], v[74:75] op_sel:[1,0]
	ds_write_b32 v138, v48
	ds_write2_b32 v139, v156, v157 offset0:16 offset1:17
	s_waitcnt vmcnt(24)
	v_pk_mov_b32 v[156:157], v[74:75], v[68:69] op_sel:[1,0]
	ds_write2_b32 v139, v156, v157 offset0:18 offset1:19
	s_waitcnt vmcnt(22)
	v_pk_mov_b32 v[156:157], v[68:69], v[70:71] op_sel:[1,0]
	;; [unrolled: 3-line block ×13, first 2 shown]
	ds_write2_b32 v139, v156, v157 offset0:42 offset1:43
	ds_write_b32 v139, v137 offset:176
	ds_read_b32 v155, v138
	s_waitcnt lgkmcnt(0)
	v_cmp_neq_f32_e32 vcc, 0, v155
	s_and_b64 exec, exec, vcc
	s_cbranch_execz .LBB89_86
; %bb.85:
	v_div_scale_f32 v156, s[4:5], v155, v155, 1.0
	v_rcp_f32_e32 v157, v156
	v_div_scale_f32 v158, vcc, 1.0, v155, 1.0
	v_fma_f32 v159, -v156, v157, 1.0
	v_fmac_f32_e32 v157, v159, v157
	v_mul_f32_e32 v159, v158, v157
	v_fma_f32 v160, -v156, v159, v158
	v_fmac_f32_e32 v159, v160, v157
	v_fma_f32 v156, -v156, v159, v158
	v_div_fmas_f32 v156, v156, v157, v159
	v_div_fixup_f32 v155, v156, v155, 1.0
	ds_write_b32 v138, v155
.LBB89_86:
	s_or_b64 exec, exec, s[2:3]
	s_waitcnt lgkmcnt(0)
	s_barrier
	ds_read_b32 v155, v138
	v_cmp_lt_u32_e32 vcc, 15, v25
	s_and_saveexec_b64 s[2:3], vcc
	s_cbranch_execz .LBB89_88
; %bb.87:
	ds_read_b32 v162, v139 offset:64
	ds_read2_b32 v[156:157], v139 offset0:17 offset1:18
	ds_read2_b32 v[158:159], v139 offset0:19 offset1:20
	s_waitcnt vmcnt(29) lgkmcnt(3)
	v_mul_f32_e32 v48, v155, v48
	ds_read2_b32 v[160:161], v139 offset0:21 offset1:22
	s_waitcnt vmcnt(28) lgkmcnt(3)
	v_fma_f32 v49, -v48, v162, v49
	s_waitcnt vmcnt(26) lgkmcnt(2)
	v_pk_fma_f32 v[74:75], v[48:49], v[156:157], v[74:75] op_sel_hi:[0,1,1] neg_lo:[1,0,0] neg_hi:[1,0,0]
	s_waitcnt vmcnt(24) lgkmcnt(1)
	v_pk_fma_f32 v[68:69], v[48:49], v[158:159], v[68:69] op_sel_hi:[0,1,1] neg_lo:[1,0,0] neg_hi:[1,0,0]
	ds_read2_b32 v[156:157], v139 offset0:23 offset1:24
	ds_read2_b32 v[158:159], v139 offset0:25 offset1:26
	;; [unrolled: 1-line block ×3, first 2 shown]
	s_waitcnt vmcnt(22) lgkmcnt(3)
	v_pk_fma_f32 v[70:71], v[48:49], v[160:161], v[70:71] op_sel_hi:[0,1,1] neg_lo:[1,0,0] neg_hi:[1,0,0]
	ds_read2_b32 v[160:161], v139 offset0:29 offset1:30
	s_waitcnt vmcnt(20) lgkmcnt(3)
	v_pk_fma_f32 v[72:73], v[48:49], v[156:157], v[72:73] op_sel_hi:[0,1,1] neg_lo:[1,0,0] neg_hi:[1,0,0]
	s_waitcnt vmcnt(18) lgkmcnt(2)
	v_pk_fma_f32 v[94:95], v[48:49], v[158:159], v[94:95] op_sel_hi:[0,1,1] neg_lo:[1,0,0] neg_hi:[1,0,0]
	ds_read2_b32 v[156:157], v139 offset0:31 offset1:32
	ds_read2_b32 v[158:159], v139 offset0:33 offset1:34
	s_waitcnt vmcnt(16) lgkmcnt(3)
	v_pk_fma_f32 v[96:97], v[48:49], v[162:163], v[96:97] op_sel_hi:[0,1,1] neg_lo:[1,0,0] neg_hi:[1,0,0]
	s_waitcnt vmcnt(14) lgkmcnt(2)
	v_pk_fma_f32 v[98:99], v[48:49], v[160:161], v[98:99] op_sel_hi:[0,1,1] neg_lo:[1,0,0] neg_hi:[1,0,0]
	ds_read2_b32 v[160:161], v139 offset0:35 offset1:36
	ds_read2_b32 v[162:163], v139 offset0:37 offset1:38
	s_waitcnt vmcnt(12) lgkmcnt(3)
	v_pk_fma_f32 v[92:93], v[48:49], v[156:157], v[92:93] op_sel_hi:[0,1,1] neg_lo:[1,0,0] neg_hi:[1,0,0]
	s_waitcnt vmcnt(10) lgkmcnt(2)
	v_pk_fma_f32 v[118:119], v[48:49], v[158:159], v[118:119] op_sel_hi:[0,1,1] neg_lo:[1,0,0] neg_hi:[1,0,0]
	ds_read2_b32 v[156:157], v139 offset0:39 offset1:40
	ds_read2_b32 v[158:159], v139 offset0:41 offset1:42
	ds_read2_b32 v[164:165], v139 offset0:43 offset1:44
	s_waitcnt vmcnt(8) lgkmcnt(4)
	v_pk_fma_f32 v[122:123], v[48:49], v[160:161], v[122:123] op_sel_hi:[0,1,1] neg_lo:[1,0,0] neg_hi:[1,0,0]
	s_waitcnt vmcnt(6) lgkmcnt(3)
	v_pk_fma_f32 v[116:117], v[48:49], v[162:163], v[116:117] op_sel_hi:[0,1,1] neg_lo:[1,0,0] neg_hi:[1,0,0]
	;; [unrolled: 2-line block ×5, first 2 shown]
.LBB89_88:
	s_or_b64 exec, exec, s[2:3]
	v_cmp_ne_u32_e32 vcc, 16, v25
	s_waitcnt lgkmcnt(0)
	s_barrier
	s_and_saveexec_b64 s[2:3], vcc
	s_xor_b64 s[2:3], exec, s[2:3]
	s_andn2_saveexec_b64 s[2:3], s[2:3]
	s_cbranch_execz .LBB89_92
; %bb.89:
	s_waitcnt vmcnt(28)
	ds_write_b32 v138, v49
	s_waitcnt vmcnt(26)
	ds_write2_b32 v139, v74, v75 offset0:17 offset1:18
	s_waitcnt vmcnt(24)
	ds_write2_b32 v139, v68, v69 offset0:19 offset1:20
	;; [unrolled: 2-line block ×14, first 2 shown]
	ds_read_b32 v156, v138
	s_waitcnt lgkmcnt(0)
	v_cmp_neq_f32_e32 vcc, 0, v156
	s_and_saveexec_b64 s[4:5], vcc
	s_cbranch_execz .LBB89_91
; %bb.90:
	v_div_scale_f32 v157, s[10:11], v156, v156, 1.0
	v_rcp_f32_e32 v158, v157
	v_div_scale_f32 v159, vcc, 1.0, v156, 1.0
	v_fma_f32 v160, -v157, v158, 1.0
	v_fmac_f32_e32 v158, v160, v158
	v_mul_f32_e32 v160, v159, v158
	v_fma_f32 v161, -v157, v160, v159
	v_fmac_f32_e32 v160, v161, v158
	v_fma_f32 v157, -v157, v160, v159
	v_div_fmas_f32 v157, v157, v158, v160
	v_div_fixup_f32 v156, v157, v156, 1.0
	ds_write_b32 v138, v156
.LBB89_91:
	s_or_b64 exec, exec, s[4:5]
.LBB89_92:
	s_or_b64 exec, exec, s[2:3]
	s_waitcnt lgkmcnt(0)
	s_barrier
	ds_read_b32 v156, v138
	v_cmp_lt_u32_e32 vcc, 16, v25
	s_and_saveexec_b64 s[2:3], vcc
	s_cbranch_execz .LBB89_94
; %bb.93:
	ds_read2_b32 v[158:159], v139 offset0:17 offset1:18
	ds_read2_b32 v[160:161], v139 offset0:19 offset1:20
	ds_read2_b32 v[162:163], v139 offset0:21 offset1:22
	ds_read2_b32 v[166:167], v139 offset0:23 offset1:24
	s_waitcnt vmcnt(28) lgkmcnt(4)
	v_mul_f32_e32 v164, v156, v49
	s_waitcnt vmcnt(26) lgkmcnt(3)
	v_pk_fma_f32 v[74:75], v[164:165], v[158:159], v[74:75] op_sel_hi:[0,1,1] neg_lo:[1,0,0] neg_hi:[1,0,0]
	s_waitcnt vmcnt(24) lgkmcnt(2)
	v_pk_fma_f32 v[68:69], v[164:165], v[160:161], v[68:69] op_sel_hi:[0,1,1] neg_lo:[1,0,0] neg_hi:[1,0,0]
	;; [unrolled: 2-line block ×3, first 2 shown]
	ds_read2_b32 v[158:159], v139 offset0:25 offset1:26
	ds_read2_b32 v[160:161], v139 offset0:27 offset1:28
	;; [unrolled: 1-line block ×3, first 2 shown]
	s_waitcnt vmcnt(20) lgkmcnt(3)
	v_pk_fma_f32 v[72:73], v[164:165], v[166:167], v[72:73] op_sel_hi:[0,1,1] neg_lo:[1,0,0] neg_hi:[1,0,0]
	ds_read2_b32 v[166:167], v139 offset0:31 offset1:32
	s_waitcnt vmcnt(18) lgkmcnt(3)
	v_pk_fma_f32 v[94:95], v[164:165], v[158:159], v[94:95] op_sel_hi:[0,1,1] neg_lo:[1,0,0] neg_hi:[1,0,0]
	ds_read2_b32 v[158:159], v139 offset0:33 offset1:34
	s_waitcnt vmcnt(16) lgkmcnt(3)
	v_pk_fma_f32 v[96:97], v[164:165], v[160:161], v[96:97] op_sel_hi:[0,1,1] neg_lo:[1,0,0] neg_hi:[1,0,0]
	s_waitcnt vmcnt(14) lgkmcnt(2)
	v_pk_fma_f32 v[98:99], v[164:165], v[162:163], v[98:99] op_sel_hi:[0,1,1] neg_lo:[1,0,0] neg_hi:[1,0,0]
	;; [unrolled: 2-line block ×3, first 2 shown]
	ds_read2_b32 v[160:161], v139 offset0:35 offset1:36
	ds_read2_b32 v[162:163], v139 offset0:37 offset1:38
	;; [unrolled: 1-line block ×3, first 2 shown]
	s_waitcnt vmcnt(10) lgkmcnt(3)
	v_pk_fma_f32 v[118:119], v[164:165], v[158:159], v[118:119] op_sel_hi:[0,1,1] neg_lo:[1,0,0] neg_hi:[1,0,0]
	ds_read2_b32 v[158:159], v139 offset0:41 offset1:42
	ds_read2_b32 v[168:169], v139 offset0:43 offset1:44
	s_waitcnt vmcnt(8) lgkmcnt(4)
	v_pk_fma_f32 v[122:123], v[164:165], v[160:161], v[122:123] op_sel_hi:[0,1,1] neg_lo:[1,0,0] neg_hi:[1,0,0]
	s_waitcnt vmcnt(6) lgkmcnt(3)
	v_pk_fma_f32 v[116:117], v[164:165], v[162:163], v[116:117] op_sel_hi:[0,1,1] neg_lo:[1,0,0] neg_hi:[1,0,0]
	;; [unrolled: 2-line block ×5, first 2 shown]
	v_mov_b32_e32 v49, v164
.LBB89_94:
	s_or_b64 exec, exec, s[2:3]
	v_cmp_eq_u32_e32 vcc, 17, v25
	s_waitcnt lgkmcnt(0)
	s_barrier
	s_and_saveexec_b64 s[2:3], vcc
	s_cbranch_execz .LBB89_97
; %bb.95:
	s_waitcnt vmcnt(24)
	v_pk_mov_b32 v[158:159], v[74:75], v[68:69] op_sel:[1,0]
	ds_write_b32 v138, v74
	ds_write2_b32 v139, v158, v159 offset0:18 offset1:19
	s_waitcnt vmcnt(22)
	v_pk_mov_b32 v[158:159], v[68:69], v[70:71] op_sel:[1,0]
	ds_write2_b32 v139, v158, v159 offset0:20 offset1:21
	s_waitcnt vmcnt(20)
	v_pk_mov_b32 v[158:159], v[70:71], v[72:73] op_sel:[1,0]
	;; [unrolled: 3-line block ×12, first 2 shown]
	ds_write2_b32 v139, v158, v159 offset0:42 offset1:43
	ds_write_b32 v139, v137 offset:176
	ds_read_b32 v157, v138
	s_waitcnt lgkmcnt(0)
	v_cmp_neq_f32_e32 vcc, 0, v157
	s_and_b64 exec, exec, vcc
	s_cbranch_execz .LBB89_97
; %bb.96:
	v_div_scale_f32 v158, s[4:5], v157, v157, 1.0
	v_rcp_f32_e32 v159, v158
	v_div_scale_f32 v160, vcc, 1.0, v157, 1.0
	v_fma_f32 v161, -v158, v159, 1.0
	v_fmac_f32_e32 v159, v161, v159
	v_mul_f32_e32 v161, v160, v159
	v_fma_f32 v162, -v158, v161, v160
	v_fmac_f32_e32 v161, v162, v159
	v_fma_f32 v158, -v158, v161, v160
	v_div_fmas_f32 v158, v158, v159, v161
	v_div_fixup_f32 v157, v158, v157, 1.0
	ds_write_b32 v138, v157
.LBB89_97:
	s_or_b64 exec, exec, s[2:3]
	s_waitcnt lgkmcnt(0)
	s_barrier
	ds_read_b32 v157, v138
	v_cmp_lt_u32_e32 vcc, 17, v25
	s_and_saveexec_b64 s[2:3], vcc
	s_cbranch_execz .LBB89_99
; %bb.98:
	ds_read_b32 v164, v139 offset:72
	ds_read2_b32 v[158:159], v139 offset0:19 offset1:20
	ds_read2_b32 v[160:161], v139 offset0:21 offset1:22
	s_waitcnt vmcnt(27) lgkmcnt(3)
	v_mul_f32_e32 v74, v157, v74
	ds_read2_b32 v[162:163], v139 offset0:23 offset1:24
	s_waitcnt vmcnt(26) lgkmcnt(3)
	v_fma_f32 v75, -v74, v164, v75
	s_waitcnt vmcnt(24) lgkmcnt(2)
	v_pk_fma_f32 v[68:69], v[74:75], v[158:159], v[68:69] op_sel_hi:[0,1,1] neg_lo:[1,0,0] neg_hi:[1,0,0]
	s_waitcnt vmcnt(22) lgkmcnt(1)
	v_pk_fma_f32 v[70:71], v[74:75], v[160:161], v[70:71] op_sel_hi:[0,1,1] neg_lo:[1,0,0] neg_hi:[1,0,0]
	ds_read2_b32 v[158:159], v139 offset0:25 offset1:26
	ds_read2_b32 v[160:161], v139 offset0:27 offset1:28
	;; [unrolled: 1-line block ×3, first 2 shown]
	s_waitcnt vmcnt(20) lgkmcnt(3)
	v_pk_fma_f32 v[72:73], v[74:75], v[162:163], v[72:73] op_sel_hi:[0,1,1] neg_lo:[1,0,0] neg_hi:[1,0,0]
	ds_read2_b32 v[162:163], v139 offset0:31 offset1:32
	s_waitcnt vmcnt(18) lgkmcnt(3)
	v_pk_fma_f32 v[94:95], v[74:75], v[158:159], v[94:95] op_sel_hi:[0,1,1] neg_lo:[1,0,0] neg_hi:[1,0,0]
	ds_read2_b32 v[158:159], v139 offset0:33 offset1:34
	s_waitcnt vmcnt(16) lgkmcnt(3)
	v_pk_fma_f32 v[96:97], v[74:75], v[160:161], v[96:97] op_sel_hi:[0,1,1] neg_lo:[1,0,0] neg_hi:[1,0,0]
	s_waitcnt vmcnt(14) lgkmcnt(2)
	v_pk_fma_f32 v[98:99], v[74:75], v[164:165], v[98:99] op_sel_hi:[0,1,1] neg_lo:[1,0,0] neg_hi:[1,0,0]
	;; [unrolled: 2-line block ×3, first 2 shown]
	ds_read2_b32 v[160:161], v139 offset0:35 offset1:36
	ds_read2_b32 v[162:163], v139 offset0:37 offset1:38
	;; [unrolled: 1-line block ×3, first 2 shown]
	s_waitcnt vmcnt(10) lgkmcnt(3)
	v_pk_fma_f32 v[118:119], v[74:75], v[158:159], v[118:119] op_sel_hi:[0,1,1] neg_lo:[1,0,0] neg_hi:[1,0,0]
	ds_read2_b32 v[158:159], v139 offset0:41 offset1:42
	ds_read2_b32 v[166:167], v139 offset0:43 offset1:44
	s_waitcnt vmcnt(8) lgkmcnt(4)
	v_pk_fma_f32 v[122:123], v[74:75], v[160:161], v[122:123] op_sel_hi:[0,1,1] neg_lo:[1,0,0] neg_hi:[1,0,0]
	s_waitcnt vmcnt(6) lgkmcnt(3)
	v_pk_fma_f32 v[116:117], v[74:75], v[162:163], v[116:117] op_sel_hi:[0,1,1] neg_lo:[1,0,0] neg_hi:[1,0,0]
	;; [unrolled: 2-line block ×5, first 2 shown]
.LBB89_99:
	s_or_b64 exec, exec, s[2:3]
	v_cmp_ne_u32_e32 vcc, 18, v25
	s_waitcnt lgkmcnt(0)
	s_barrier
	s_and_saveexec_b64 s[2:3], vcc
	s_xor_b64 s[2:3], exec, s[2:3]
	s_andn2_saveexec_b64 s[2:3], s[2:3]
	s_cbranch_execz .LBB89_103
; %bb.100:
	s_waitcnt vmcnt(26)
	ds_write_b32 v138, v75
	s_waitcnt vmcnt(24)
	ds_write2_b32 v139, v68, v69 offset0:19 offset1:20
	s_waitcnt vmcnt(22)
	ds_write2_b32 v139, v70, v71 offset0:21 offset1:22
	s_waitcnt vmcnt(20)
	ds_write2_b32 v139, v72, v73 offset0:23 offset1:24
	s_waitcnt vmcnt(18)
	ds_write2_b32 v139, v94, v95 offset0:25 offset1:26
	s_waitcnt vmcnt(16)
	ds_write2_b32 v139, v96, v97 offset0:27 offset1:28
	s_waitcnt vmcnt(14)
	ds_write2_b32 v139, v98, v99 offset0:29 offset1:30
	s_waitcnt vmcnt(12)
	ds_write2_b32 v139, v92, v93 offset0:31 offset1:32
	s_waitcnt vmcnt(10)
	ds_write2_b32 v139, v118, v119 offset0:33 offset1:34
	s_waitcnt vmcnt(8)
	ds_write2_b32 v139, v122, v123 offset0:35 offset1:36
	s_waitcnt vmcnt(6)
	ds_write2_b32 v139, v116, v117 offset0:37 offset1:38
	s_waitcnt vmcnt(4)
	ds_write2_b32 v139, v120, v121 offset0:39 offset1:40
	s_waitcnt vmcnt(2)
	ds_write2_b32 v139, v134, v135 offset0:41 offset1:42
	s_waitcnt vmcnt(0)
	ds_write2_b32 v139, v136, v137 offset0:43 offset1:44
	ds_read_b32 v158, v138
	s_waitcnt lgkmcnt(0)
	v_cmp_neq_f32_e32 vcc, 0, v158
	s_and_saveexec_b64 s[4:5], vcc
	s_cbranch_execz .LBB89_102
; %bb.101:
	v_div_scale_f32 v159, s[10:11], v158, v158, 1.0
	v_rcp_f32_e32 v160, v159
	v_div_scale_f32 v161, vcc, 1.0, v158, 1.0
	v_fma_f32 v162, -v159, v160, 1.0
	v_fmac_f32_e32 v160, v162, v160
	v_mul_f32_e32 v162, v161, v160
	v_fma_f32 v163, -v159, v162, v161
	v_fmac_f32_e32 v162, v163, v160
	v_fma_f32 v159, -v159, v162, v161
	v_div_fmas_f32 v159, v159, v160, v162
	v_div_fixup_f32 v158, v159, v158, 1.0
	ds_write_b32 v138, v158
.LBB89_102:
	s_or_b64 exec, exec, s[4:5]
.LBB89_103:
	s_or_b64 exec, exec, s[2:3]
	s_waitcnt lgkmcnt(0)
	s_barrier
	ds_read_b32 v158, v138
	v_cmp_lt_u32_e32 vcc, 18, v25
	s_and_saveexec_b64 s[2:3], vcc
	s_cbranch_execz .LBB89_105
; %bb.104:
	ds_read2_b32 v[162:163], v139 offset0:19 offset1:20
	s_waitcnt vmcnt(26) lgkmcnt(1)
	v_mul_f32_e32 v160, v158, v75
	v_mov_b32_e32 v75, v160
	s_waitcnt vmcnt(24) lgkmcnt(0)
	v_pk_fma_f32 v[68:69], v[160:161], v[162:163], v[68:69] op_sel_hi:[0,1,1] neg_lo:[1,0,0] neg_hi:[1,0,0]
	ds_read2_b32 v[162:163], v139 offset0:21 offset1:22
	s_waitcnt vmcnt(22) lgkmcnt(0)
	v_pk_fma_f32 v[70:71], v[160:161], v[162:163], v[70:71] op_sel_hi:[0,1,1] neg_lo:[1,0,0] neg_hi:[1,0,0]
	ds_read2_b32 v[162:163], v139 offset0:23 offset1:24
	;; [unrolled: 3-line block ×12, first 2 shown]
	s_waitcnt vmcnt(0) lgkmcnt(0)
	v_pk_fma_f32 v[136:137], v[160:161], v[162:163], v[136:137] op_sel_hi:[0,1,1] neg_lo:[1,0,0] neg_hi:[1,0,0]
.LBB89_105:
	s_or_b64 exec, exec, s[2:3]
	v_cmp_eq_u32_e32 vcc, 19, v25
	s_waitcnt lgkmcnt(0)
	s_barrier
	s_and_saveexec_b64 s[2:3], vcc
	s_cbranch_execz .LBB89_108
; %bb.106:
	s_waitcnt vmcnt(22)
	v_pk_mov_b32 v[160:161], v[68:69], v[70:71] op_sel:[1,0]
	ds_write_b32 v138, v68
	ds_write2_b32 v139, v160, v161 offset0:20 offset1:21
	s_waitcnt vmcnt(20)
	v_pk_mov_b32 v[160:161], v[70:71], v[72:73] op_sel:[1,0]
	ds_write2_b32 v139, v160, v161 offset0:22 offset1:23
	s_waitcnt vmcnt(18)
	v_pk_mov_b32 v[160:161], v[72:73], v[94:95] op_sel:[1,0]
	;; [unrolled: 3-line block ×11, first 2 shown]
	ds_write2_b32 v139, v160, v161 offset0:42 offset1:43
	ds_write_b32 v139, v137 offset:176
	ds_read_b32 v159, v138
	s_waitcnt lgkmcnt(0)
	v_cmp_neq_f32_e32 vcc, 0, v159
	s_and_b64 exec, exec, vcc
	s_cbranch_execz .LBB89_108
; %bb.107:
	v_div_scale_f32 v160, s[4:5], v159, v159, 1.0
	v_rcp_f32_e32 v161, v160
	v_div_scale_f32 v162, vcc, 1.0, v159, 1.0
	v_fma_f32 v163, -v160, v161, 1.0
	v_fmac_f32_e32 v161, v163, v161
	v_mul_f32_e32 v163, v162, v161
	v_fma_f32 v164, -v160, v163, v162
	v_fmac_f32_e32 v163, v164, v161
	v_fma_f32 v160, -v160, v163, v162
	v_div_fmas_f32 v160, v160, v161, v163
	v_div_fixup_f32 v159, v160, v159, 1.0
	ds_write_b32 v138, v159
.LBB89_108:
	s_or_b64 exec, exec, s[2:3]
	s_waitcnt lgkmcnt(0)
	s_barrier
	ds_read_b32 v159, v138
	v_cmp_lt_u32_e32 vcc, 19, v25
	s_and_saveexec_b64 s[2:3], vcc
	s_cbranch_execz .LBB89_110
; %bb.109:
	ds_read_b32 v160, v139 offset:80
	s_waitcnt vmcnt(25) lgkmcnt(1)
	v_mul_f32_e32 v68, v159, v68
	s_waitcnt vmcnt(24) lgkmcnt(0)
	v_fma_f32 v69, -v68, v160, v69
	ds_read2_b32 v[160:161], v139 offset0:21 offset1:22
	s_waitcnt vmcnt(22) lgkmcnt(0)
	v_pk_fma_f32 v[70:71], v[68:69], v[160:161], v[70:71] op_sel_hi:[0,1,1] neg_lo:[1,0,0] neg_hi:[1,0,0]
	ds_read2_b32 v[160:161], v139 offset0:23 offset1:24
	s_waitcnt vmcnt(20) lgkmcnt(0)
	v_pk_fma_f32 v[72:73], v[68:69], v[160:161], v[72:73] op_sel_hi:[0,1,1] neg_lo:[1,0,0] neg_hi:[1,0,0]
	;; [unrolled: 3-line block ×12, first 2 shown]
.LBB89_110:
	s_or_b64 exec, exec, s[2:3]
	v_cmp_ne_u32_e32 vcc, 20, v25
	s_waitcnt lgkmcnt(0)
	s_barrier
	s_and_saveexec_b64 s[2:3], vcc
	s_xor_b64 s[2:3], exec, s[2:3]
	s_andn2_saveexec_b64 s[2:3], s[2:3]
	s_cbranch_execz .LBB89_114
; %bb.111:
	s_waitcnt vmcnt(24)
	ds_write_b32 v138, v69
	s_waitcnt vmcnt(22)
	ds_write2_b32 v139, v70, v71 offset0:21 offset1:22
	s_waitcnt vmcnt(20)
	ds_write2_b32 v139, v72, v73 offset0:23 offset1:24
	;; [unrolled: 2-line block ×12, first 2 shown]
	ds_read_b32 v160, v138
	s_waitcnt lgkmcnt(0)
	v_cmp_neq_f32_e32 vcc, 0, v160
	s_and_saveexec_b64 s[4:5], vcc
	s_cbranch_execz .LBB89_113
; %bb.112:
	v_div_scale_f32 v161, s[10:11], v160, v160, 1.0
	v_rcp_f32_e32 v162, v161
	v_div_scale_f32 v163, vcc, 1.0, v160, 1.0
	v_fma_f32 v164, -v161, v162, 1.0
	v_fmac_f32_e32 v162, v164, v162
	v_mul_f32_e32 v164, v163, v162
	v_fma_f32 v165, -v161, v164, v163
	v_fmac_f32_e32 v164, v165, v162
	v_fma_f32 v161, -v161, v164, v163
	v_div_fmas_f32 v161, v161, v162, v164
	v_div_fixup_f32 v160, v161, v160, 1.0
	ds_write_b32 v138, v160
.LBB89_113:
	s_or_b64 exec, exec, s[4:5]
.LBB89_114:
	s_or_b64 exec, exec, s[2:3]
	s_waitcnt lgkmcnt(0)
	s_barrier
	ds_read_b32 v160, v138
	v_cmp_lt_u32_e32 vcc, 20, v25
	s_and_saveexec_b64 s[2:3], vcc
	s_cbranch_execz .LBB89_116
; %bb.115:
	ds_read2_b32 v[164:165], v139 offset0:21 offset1:22
	s_waitcnt vmcnt(24) lgkmcnt(1)
	v_mul_f32_e32 v162, v160, v69
	v_mov_b32_e32 v69, v162
	s_waitcnt vmcnt(22) lgkmcnt(0)
	v_pk_fma_f32 v[70:71], v[162:163], v[164:165], v[70:71] op_sel_hi:[0,1,1] neg_lo:[1,0,0] neg_hi:[1,0,0]
	ds_read2_b32 v[164:165], v139 offset0:23 offset1:24
	s_waitcnt vmcnt(20) lgkmcnt(0)
	v_pk_fma_f32 v[72:73], v[162:163], v[164:165], v[72:73] op_sel_hi:[0,1,1] neg_lo:[1,0,0] neg_hi:[1,0,0]
	ds_read2_b32 v[164:165], v139 offset0:25 offset1:26
	;; [unrolled: 3-line block ×11, first 2 shown]
	s_waitcnt vmcnt(0) lgkmcnt(0)
	v_pk_fma_f32 v[136:137], v[162:163], v[164:165], v[136:137] op_sel_hi:[0,1,1] neg_lo:[1,0,0] neg_hi:[1,0,0]
.LBB89_116:
	s_or_b64 exec, exec, s[2:3]
	v_cmp_eq_u32_e32 vcc, 21, v25
	s_waitcnt lgkmcnt(0)
	s_barrier
	s_and_saveexec_b64 s[2:3], vcc
	s_cbranch_execz .LBB89_119
; %bb.117:
	s_waitcnt vmcnt(20)
	v_pk_mov_b32 v[162:163], v[70:71], v[72:73] op_sel:[1,0]
	ds_write_b32 v138, v70
	ds_write2_b32 v139, v162, v163 offset0:22 offset1:23
	s_waitcnt vmcnt(18)
	v_pk_mov_b32 v[162:163], v[72:73], v[94:95] op_sel:[1,0]
	ds_write2_b32 v139, v162, v163 offset0:24 offset1:25
	s_waitcnt vmcnt(16)
	v_pk_mov_b32 v[162:163], v[94:95], v[96:97] op_sel:[1,0]
	;; [unrolled: 3-line block ×10, first 2 shown]
	ds_write2_b32 v139, v162, v163 offset0:42 offset1:43
	ds_write_b32 v139, v137 offset:176
	ds_read_b32 v161, v138
	s_waitcnt lgkmcnt(0)
	v_cmp_neq_f32_e32 vcc, 0, v161
	s_and_b64 exec, exec, vcc
	s_cbranch_execz .LBB89_119
; %bb.118:
	v_div_scale_f32 v162, s[4:5], v161, v161, 1.0
	v_rcp_f32_e32 v163, v162
	v_div_scale_f32 v164, vcc, 1.0, v161, 1.0
	v_fma_f32 v165, -v162, v163, 1.0
	v_fmac_f32_e32 v163, v165, v163
	v_mul_f32_e32 v165, v164, v163
	v_fma_f32 v166, -v162, v165, v164
	v_fmac_f32_e32 v165, v166, v163
	v_fma_f32 v162, -v162, v165, v164
	v_div_fmas_f32 v162, v162, v163, v165
	v_div_fixup_f32 v161, v162, v161, 1.0
	ds_write_b32 v138, v161
.LBB89_119:
	s_or_b64 exec, exec, s[2:3]
	s_waitcnt lgkmcnt(0)
	s_barrier
	ds_read_b32 v161, v138
	v_cmp_lt_u32_e32 vcc, 21, v25
	s_and_saveexec_b64 s[2:3], vcc
	s_cbranch_execz .LBB89_121
; %bb.120:
	ds_read_b32 v162, v139 offset:88
	s_waitcnt vmcnt(23) lgkmcnt(1)
	v_mul_f32_e32 v70, v161, v70
	s_waitcnt vmcnt(22) lgkmcnt(0)
	v_fma_f32 v71, -v70, v162, v71
	ds_read2_b32 v[162:163], v139 offset0:23 offset1:24
	s_waitcnt vmcnt(20) lgkmcnt(0)
	v_pk_fma_f32 v[72:73], v[70:71], v[162:163], v[72:73] op_sel_hi:[0,1,1] neg_lo:[1,0,0] neg_hi:[1,0,0]
	ds_read2_b32 v[162:163], v139 offset0:25 offset1:26
	s_waitcnt vmcnt(18) lgkmcnt(0)
	v_pk_fma_f32 v[94:95], v[70:71], v[162:163], v[94:95] op_sel_hi:[0,1,1] neg_lo:[1,0,0] neg_hi:[1,0,0]
	;; [unrolled: 3-line block ×11, first 2 shown]
.LBB89_121:
	s_or_b64 exec, exec, s[2:3]
	v_cmp_ne_u32_e32 vcc, 22, v25
	s_waitcnt lgkmcnt(0)
	s_barrier
	s_and_saveexec_b64 s[2:3], vcc
	s_xor_b64 s[2:3], exec, s[2:3]
	s_andn2_saveexec_b64 s[2:3], s[2:3]
	s_cbranch_execz .LBB89_125
; %bb.122:
	s_waitcnt vmcnt(22)
	ds_write_b32 v138, v71
	s_waitcnt vmcnt(20)
	ds_write2_b32 v139, v72, v73 offset0:23 offset1:24
	s_waitcnt vmcnt(18)
	ds_write2_b32 v139, v94, v95 offset0:25 offset1:26
	;; [unrolled: 2-line block ×11, first 2 shown]
	ds_read_b32 v162, v138
	s_waitcnt lgkmcnt(0)
	v_cmp_neq_f32_e32 vcc, 0, v162
	s_and_saveexec_b64 s[4:5], vcc
	s_cbranch_execz .LBB89_124
; %bb.123:
	v_div_scale_f32 v163, s[10:11], v162, v162, 1.0
	v_rcp_f32_e32 v164, v163
	v_div_scale_f32 v165, vcc, 1.0, v162, 1.0
	v_fma_f32 v166, -v163, v164, 1.0
	v_fmac_f32_e32 v164, v166, v164
	v_mul_f32_e32 v166, v165, v164
	v_fma_f32 v167, -v163, v166, v165
	v_fmac_f32_e32 v166, v167, v164
	v_fma_f32 v163, -v163, v166, v165
	v_div_fmas_f32 v163, v163, v164, v166
	v_div_fixup_f32 v162, v163, v162, 1.0
	ds_write_b32 v138, v162
.LBB89_124:
	s_or_b64 exec, exec, s[4:5]
.LBB89_125:
	s_or_b64 exec, exec, s[2:3]
	s_waitcnt lgkmcnt(0)
	s_barrier
	ds_read_b32 v162, v138
	v_cmp_lt_u32_e32 vcc, 22, v25
	s_and_saveexec_b64 s[2:3], vcc
	s_cbranch_execz .LBB89_127
; %bb.126:
	ds_read2_b32 v[166:167], v139 offset0:23 offset1:24
	s_waitcnt vmcnt(22) lgkmcnt(1)
	v_mul_f32_e32 v164, v162, v71
	v_mov_b32_e32 v71, v164
	s_waitcnt vmcnt(20) lgkmcnt(0)
	v_pk_fma_f32 v[72:73], v[164:165], v[166:167], v[72:73] op_sel_hi:[0,1,1] neg_lo:[1,0,0] neg_hi:[1,0,0]
	ds_read2_b32 v[166:167], v139 offset0:25 offset1:26
	s_waitcnt vmcnt(18) lgkmcnt(0)
	v_pk_fma_f32 v[94:95], v[164:165], v[166:167], v[94:95] op_sel_hi:[0,1,1] neg_lo:[1,0,0] neg_hi:[1,0,0]
	ds_read2_b32 v[166:167], v139 offset0:27 offset1:28
	s_waitcnt vmcnt(16) lgkmcnt(0)
	v_pk_fma_f32 v[96:97], v[164:165], v[166:167], v[96:97] op_sel_hi:[0,1,1] neg_lo:[1,0,0] neg_hi:[1,0,0]
	ds_read2_b32 v[166:167], v139 offset0:29 offset1:30
	s_waitcnt vmcnt(14) lgkmcnt(0)
	v_pk_fma_f32 v[98:99], v[164:165], v[166:167], v[98:99] op_sel_hi:[0,1,1] neg_lo:[1,0,0] neg_hi:[1,0,0]
	ds_read2_b32 v[166:167], v139 offset0:31 offset1:32
	s_waitcnt vmcnt(12) lgkmcnt(0)
	v_pk_fma_f32 v[92:93], v[164:165], v[166:167], v[92:93] op_sel_hi:[0,1,1] neg_lo:[1,0,0] neg_hi:[1,0,0]
	ds_read2_b32 v[166:167], v139 offset0:33 offset1:34
	s_waitcnt vmcnt(10) lgkmcnt(0)
	v_pk_fma_f32 v[118:119], v[164:165], v[166:167], v[118:119] op_sel_hi:[0,1,1] neg_lo:[1,0,0] neg_hi:[1,0,0]
	ds_read2_b32 v[166:167], v139 offset0:35 offset1:36
	s_waitcnt vmcnt(8) lgkmcnt(0)
	v_pk_fma_f32 v[122:123], v[164:165], v[166:167], v[122:123] op_sel_hi:[0,1,1] neg_lo:[1,0,0] neg_hi:[1,0,0]
	ds_read2_b32 v[166:167], v139 offset0:37 offset1:38
	s_waitcnt vmcnt(6) lgkmcnt(0)
	v_pk_fma_f32 v[116:117], v[164:165], v[166:167], v[116:117] op_sel_hi:[0,1,1] neg_lo:[1,0,0] neg_hi:[1,0,0]
	ds_read2_b32 v[166:167], v139 offset0:39 offset1:40
	s_waitcnt vmcnt(4) lgkmcnt(0)
	v_pk_fma_f32 v[120:121], v[164:165], v[166:167], v[120:121] op_sel_hi:[0,1,1] neg_lo:[1,0,0] neg_hi:[1,0,0]
	ds_read2_b32 v[166:167], v139 offset0:41 offset1:42
	s_waitcnt vmcnt(2) lgkmcnt(0)
	v_pk_fma_f32 v[134:135], v[164:165], v[166:167], v[134:135] op_sel_hi:[0,1,1] neg_lo:[1,0,0] neg_hi:[1,0,0]
	ds_read2_b32 v[166:167], v139 offset0:43 offset1:44
	s_waitcnt vmcnt(0) lgkmcnt(0)
	v_pk_fma_f32 v[136:137], v[164:165], v[166:167], v[136:137] op_sel_hi:[0,1,1] neg_lo:[1,0,0] neg_hi:[1,0,0]
.LBB89_127:
	s_or_b64 exec, exec, s[2:3]
	v_cmp_eq_u32_e32 vcc, 23, v25
	s_waitcnt lgkmcnt(0)
	s_barrier
	s_and_saveexec_b64 s[2:3], vcc
	s_cbranch_execz .LBB89_130
; %bb.128:
	s_waitcnt vmcnt(18)
	v_pk_mov_b32 v[164:165], v[72:73], v[94:95] op_sel:[1,0]
	ds_write_b32 v138, v72
	ds_write2_b32 v139, v164, v165 offset0:24 offset1:25
	s_waitcnt vmcnt(16)
	v_pk_mov_b32 v[164:165], v[94:95], v[96:97] op_sel:[1,0]
	ds_write2_b32 v139, v164, v165 offset0:26 offset1:27
	s_waitcnt vmcnt(14)
	v_pk_mov_b32 v[164:165], v[96:97], v[98:99] op_sel:[1,0]
	;; [unrolled: 3-line block ×9, first 2 shown]
	ds_write2_b32 v139, v164, v165 offset0:42 offset1:43
	ds_write_b32 v139, v137 offset:176
	ds_read_b32 v163, v138
	s_waitcnt lgkmcnt(0)
	v_cmp_neq_f32_e32 vcc, 0, v163
	s_and_b64 exec, exec, vcc
	s_cbranch_execz .LBB89_130
; %bb.129:
	v_div_scale_f32 v164, s[4:5], v163, v163, 1.0
	v_rcp_f32_e32 v165, v164
	v_div_scale_f32 v166, vcc, 1.0, v163, 1.0
	v_fma_f32 v167, -v164, v165, 1.0
	v_fmac_f32_e32 v165, v167, v165
	v_mul_f32_e32 v167, v166, v165
	v_fma_f32 v168, -v164, v167, v166
	v_fmac_f32_e32 v167, v168, v165
	v_fma_f32 v164, -v164, v167, v166
	v_div_fmas_f32 v164, v164, v165, v167
	v_div_fixup_f32 v163, v164, v163, 1.0
	ds_write_b32 v138, v163
.LBB89_130:
	s_or_b64 exec, exec, s[2:3]
	s_waitcnt lgkmcnt(0)
	s_barrier
	ds_read_b32 v163, v138
	v_cmp_lt_u32_e32 vcc, 23, v25
	s_and_saveexec_b64 s[2:3], vcc
	s_cbranch_execz .LBB89_132
; %bb.131:
	ds_read_b32 v170, v139 offset:96
	ds_read2_b32 v[164:165], v139 offset0:25 offset1:26
	ds_read2_b32 v[166:167], v139 offset0:27 offset1:28
	s_waitcnt vmcnt(21) lgkmcnt(3)
	v_mul_f32_e32 v72, v163, v72
	ds_read2_b32 v[168:169], v139 offset0:29 offset1:30
	s_waitcnt vmcnt(20) lgkmcnt(3)
	v_fma_f32 v73, -v72, v170, v73
	s_waitcnt vmcnt(18) lgkmcnt(2)
	v_pk_fma_f32 v[94:95], v[72:73], v[164:165], v[94:95] op_sel_hi:[0,1,1] neg_lo:[1,0,0] neg_hi:[1,0,0]
	s_waitcnt vmcnt(16) lgkmcnt(1)
	v_pk_fma_f32 v[96:97], v[72:73], v[166:167], v[96:97] op_sel_hi:[0,1,1] neg_lo:[1,0,0] neg_hi:[1,0,0]
	ds_read2_b32 v[164:165], v139 offset0:31 offset1:32
	ds_read2_b32 v[166:167], v139 offset0:33 offset1:34
	s_waitcnt vmcnt(14) lgkmcnt(2)
	v_pk_fma_f32 v[98:99], v[72:73], v[168:169], v[98:99] op_sel_hi:[0,1,1] neg_lo:[1,0,0] neg_hi:[1,0,0]
	ds_read2_b32 v[168:169], v139 offset0:35 offset1:36
	ds_read2_b32 v[170:171], v139 offset0:37 offset1:38
	s_waitcnt vmcnt(12) lgkmcnt(3)
	v_pk_fma_f32 v[92:93], v[72:73], v[164:165], v[92:93] op_sel_hi:[0,1,1] neg_lo:[1,0,0] neg_hi:[1,0,0]
	s_waitcnt vmcnt(10) lgkmcnt(2)
	v_pk_fma_f32 v[118:119], v[72:73], v[166:167], v[118:119] op_sel_hi:[0,1,1] neg_lo:[1,0,0] neg_hi:[1,0,0]
	ds_read2_b32 v[164:165], v139 offset0:39 offset1:40
	ds_read2_b32 v[166:167], v139 offset0:41 offset1:42
	;; [unrolled: 1-line block ×3, first 2 shown]
	s_waitcnt vmcnt(8) lgkmcnt(4)
	v_pk_fma_f32 v[122:123], v[72:73], v[168:169], v[122:123] op_sel_hi:[0,1,1] neg_lo:[1,0,0] neg_hi:[1,0,0]
	s_waitcnt vmcnt(6) lgkmcnt(3)
	v_pk_fma_f32 v[116:117], v[72:73], v[170:171], v[116:117] op_sel_hi:[0,1,1] neg_lo:[1,0,0] neg_hi:[1,0,0]
	;; [unrolled: 2-line block ×5, first 2 shown]
.LBB89_132:
	s_or_b64 exec, exec, s[2:3]
	v_cmp_ne_u32_e32 vcc, 24, v25
	s_waitcnt lgkmcnt(0)
	s_barrier
	s_and_saveexec_b64 s[2:3], vcc
	s_xor_b64 s[2:3], exec, s[2:3]
	s_andn2_saveexec_b64 s[2:3], s[2:3]
	s_cbranch_execz .LBB89_136
; %bb.133:
	s_waitcnt vmcnt(20)
	ds_write_b32 v138, v73
	s_waitcnt vmcnt(18)
	ds_write2_b32 v139, v94, v95 offset0:25 offset1:26
	s_waitcnt vmcnt(16)
	ds_write2_b32 v139, v96, v97 offset0:27 offset1:28
	;; [unrolled: 2-line block ×10, first 2 shown]
	ds_read_b32 v164, v138
	s_waitcnt lgkmcnt(0)
	v_cmp_neq_f32_e32 vcc, 0, v164
	s_and_saveexec_b64 s[4:5], vcc
	s_cbranch_execz .LBB89_135
; %bb.134:
	v_div_scale_f32 v165, s[10:11], v164, v164, 1.0
	v_rcp_f32_e32 v166, v165
	v_div_scale_f32 v167, vcc, 1.0, v164, 1.0
	v_fma_f32 v168, -v165, v166, 1.0
	v_fmac_f32_e32 v166, v168, v166
	v_mul_f32_e32 v168, v167, v166
	v_fma_f32 v169, -v165, v168, v167
	v_fmac_f32_e32 v168, v169, v166
	v_fma_f32 v165, -v165, v168, v167
	v_div_fmas_f32 v165, v165, v166, v168
	v_div_fixup_f32 v164, v165, v164, 1.0
	ds_write_b32 v138, v164
.LBB89_135:
	s_or_b64 exec, exec, s[4:5]
.LBB89_136:
	s_or_b64 exec, exec, s[2:3]
	s_waitcnt lgkmcnt(0)
	s_barrier
	ds_read_b32 v164, v138
	v_cmp_lt_u32_e32 vcc, 24, v25
	s_and_saveexec_b64 s[2:3], vcc
	s_cbranch_execz .LBB89_138
; %bb.137:
	ds_read2_b32 v[166:167], v139 offset0:25 offset1:26
	ds_read2_b32 v[168:169], v139 offset0:27 offset1:28
	;; [unrolled: 1-line block ×3, first 2 shown]
	s_waitcnt vmcnt(20) lgkmcnt(3)
	v_mul_f32_e32 v172, v164, v73
	ds_read2_b32 v[174:175], v139 offset0:31 offset1:32
	s_waitcnt vmcnt(18) lgkmcnt(3)
	v_pk_fma_f32 v[94:95], v[172:173], v[166:167], v[94:95] op_sel_hi:[0,1,1] neg_lo:[1,0,0] neg_hi:[1,0,0]
	ds_read2_b32 v[166:167], v139 offset0:33 offset1:34
	s_waitcnt vmcnt(16) lgkmcnt(3)
	v_pk_fma_f32 v[96:97], v[172:173], v[168:169], v[96:97] op_sel_hi:[0,1,1] neg_lo:[1,0,0] neg_hi:[1,0,0]
	s_waitcnt vmcnt(14) lgkmcnt(2)
	v_pk_fma_f32 v[98:99], v[172:173], v[170:171], v[98:99] op_sel_hi:[0,1,1] neg_lo:[1,0,0] neg_hi:[1,0,0]
	;; [unrolled: 2-line block ×3, first 2 shown]
	ds_read2_b32 v[168:169], v139 offset0:35 offset1:36
	ds_read2_b32 v[170:171], v139 offset0:37 offset1:38
	;; [unrolled: 1-line block ×3, first 2 shown]
	s_waitcnt vmcnt(10) lgkmcnt(3)
	v_pk_fma_f32 v[118:119], v[172:173], v[166:167], v[118:119] op_sel_hi:[0,1,1] neg_lo:[1,0,0] neg_hi:[1,0,0]
	ds_read2_b32 v[166:167], v139 offset0:41 offset1:42
	ds_read2_b32 v[176:177], v139 offset0:43 offset1:44
	s_waitcnt vmcnt(8) lgkmcnt(4)
	v_pk_fma_f32 v[122:123], v[172:173], v[168:169], v[122:123] op_sel_hi:[0,1,1] neg_lo:[1,0,0] neg_hi:[1,0,0]
	s_waitcnt vmcnt(6) lgkmcnt(3)
	v_pk_fma_f32 v[116:117], v[172:173], v[170:171], v[116:117] op_sel_hi:[0,1,1] neg_lo:[1,0,0] neg_hi:[1,0,0]
	s_waitcnt vmcnt(4) lgkmcnt(2)
	v_pk_fma_f32 v[120:121], v[172:173], v[174:175], v[120:121] op_sel_hi:[0,1,1] neg_lo:[1,0,0] neg_hi:[1,0,0]
	s_waitcnt vmcnt(2) lgkmcnt(1)
	v_pk_fma_f32 v[134:135], v[172:173], v[166:167], v[134:135] op_sel_hi:[0,1,1] neg_lo:[1,0,0] neg_hi:[1,0,0]
	s_waitcnt vmcnt(0) lgkmcnt(0)
	v_pk_fma_f32 v[136:137], v[172:173], v[176:177], v[136:137] op_sel_hi:[0,1,1] neg_lo:[1,0,0] neg_hi:[1,0,0]
	v_mov_b32_e32 v73, v172
.LBB89_138:
	s_or_b64 exec, exec, s[2:3]
	v_cmp_eq_u32_e32 vcc, 25, v25
	s_waitcnt lgkmcnt(0)
	s_barrier
	s_and_saveexec_b64 s[2:3], vcc
	s_cbranch_execz .LBB89_141
; %bb.139:
	s_waitcnt vmcnt(16)
	v_pk_mov_b32 v[166:167], v[94:95], v[96:97] op_sel:[1,0]
	ds_write_b32 v138, v94
	ds_write2_b32 v139, v166, v167 offset0:26 offset1:27
	s_waitcnt vmcnt(14)
	v_pk_mov_b32 v[166:167], v[96:97], v[98:99] op_sel:[1,0]
	ds_write2_b32 v139, v166, v167 offset0:28 offset1:29
	s_waitcnt vmcnt(12)
	v_pk_mov_b32 v[166:167], v[98:99], v[92:93] op_sel:[1,0]
	;; [unrolled: 3-line block ×8, first 2 shown]
	ds_write2_b32 v139, v166, v167 offset0:42 offset1:43
	ds_write_b32 v139, v137 offset:176
	ds_read_b32 v165, v138
	s_waitcnt lgkmcnt(0)
	v_cmp_neq_f32_e32 vcc, 0, v165
	s_and_b64 exec, exec, vcc
	s_cbranch_execz .LBB89_141
; %bb.140:
	v_div_scale_f32 v166, s[4:5], v165, v165, 1.0
	v_rcp_f32_e32 v167, v166
	v_div_scale_f32 v168, vcc, 1.0, v165, 1.0
	v_fma_f32 v169, -v166, v167, 1.0
	v_fmac_f32_e32 v167, v169, v167
	v_mul_f32_e32 v169, v168, v167
	v_fma_f32 v170, -v166, v169, v168
	v_fmac_f32_e32 v169, v170, v167
	v_fma_f32 v166, -v166, v169, v168
	v_div_fmas_f32 v166, v166, v167, v169
	v_div_fixup_f32 v165, v166, v165, 1.0
	ds_write_b32 v138, v165
.LBB89_141:
	s_or_b64 exec, exec, s[2:3]
	s_waitcnt lgkmcnt(0)
	s_barrier
	ds_read_b32 v165, v138
	v_cmp_lt_u32_e32 vcc, 25, v25
	s_and_saveexec_b64 s[2:3], vcc
	s_cbranch_execz .LBB89_143
; %bb.142:
	ds_read_b32 v172, v139 offset:104
	ds_read2_b32 v[166:167], v139 offset0:27 offset1:28
	ds_read2_b32 v[168:169], v139 offset0:29 offset1:30
	s_waitcnt vmcnt(19) lgkmcnt(3)
	v_mul_f32_e32 v94, v165, v94
	ds_read2_b32 v[170:171], v139 offset0:31 offset1:32
	s_waitcnt vmcnt(18) lgkmcnt(3)
	v_fma_f32 v95, -v94, v172, v95
	s_waitcnt vmcnt(16) lgkmcnt(2)
	v_pk_fma_f32 v[96:97], v[94:95], v[166:167], v[96:97] op_sel_hi:[0,1,1] neg_lo:[1,0,0] neg_hi:[1,0,0]
	ds_read2_b32 v[166:167], v139 offset0:33 offset1:34
	s_waitcnt vmcnt(14) lgkmcnt(2)
	v_pk_fma_f32 v[98:99], v[94:95], v[168:169], v[98:99] op_sel_hi:[0,1,1] neg_lo:[1,0,0] neg_hi:[1,0,0]
	s_waitcnt vmcnt(12) lgkmcnt(1)
	v_pk_fma_f32 v[92:93], v[94:95], v[170:171], v[92:93] op_sel_hi:[0,1,1] neg_lo:[1,0,0] neg_hi:[1,0,0]
	ds_read2_b32 v[168:169], v139 offset0:35 offset1:36
	ds_read2_b32 v[170:171], v139 offset0:37 offset1:38
	;; [unrolled: 1-line block ×3, first 2 shown]
	s_waitcnt vmcnt(10) lgkmcnt(3)
	v_pk_fma_f32 v[118:119], v[94:95], v[166:167], v[118:119] op_sel_hi:[0,1,1] neg_lo:[1,0,0] neg_hi:[1,0,0]
	ds_read2_b32 v[166:167], v139 offset0:41 offset1:42
	ds_read2_b32 v[174:175], v139 offset0:43 offset1:44
	s_waitcnt vmcnt(8) lgkmcnt(4)
	v_pk_fma_f32 v[122:123], v[94:95], v[168:169], v[122:123] op_sel_hi:[0,1,1] neg_lo:[1,0,0] neg_hi:[1,0,0]
	s_waitcnt vmcnt(6) lgkmcnt(3)
	v_pk_fma_f32 v[116:117], v[94:95], v[170:171], v[116:117] op_sel_hi:[0,1,1] neg_lo:[1,0,0] neg_hi:[1,0,0]
	;; [unrolled: 2-line block ×5, first 2 shown]
.LBB89_143:
	s_or_b64 exec, exec, s[2:3]
	v_cmp_ne_u32_e32 vcc, 26, v25
	s_waitcnt lgkmcnt(0)
	s_barrier
	s_and_saveexec_b64 s[2:3], vcc
	s_xor_b64 s[2:3], exec, s[2:3]
	s_andn2_saveexec_b64 s[2:3], s[2:3]
	s_cbranch_execz .LBB89_147
; %bb.144:
	s_waitcnt vmcnt(18)
	ds_write_b32 v138, v95
	s_waitcnt vmcnt(16)
	ds_write2_b32 v139, v96, v97 offset0:27 offset1:28
	s_waitcnt vmcnt(14)
	ds_write2_b32 v139, v98, v99 offset0:29 offset1:30
	;; [unrolled: 2-line block ×9, first 2 shown]
	ds_read_b32 v166, v138
	s_waitcnt lgkmcnt(0)
	v_cmp_neq_f32_e32 vcc, 0, v166
	s_and_saveexec_b64 s[4:5], vcc
	s_cbranch_execz .LBB89_146
; %bb.145:
	v_div_scale_f32 v167, s[10:11], v166, v166, 1.0
	v_rcp_f32_e32 v168, v167
	v_div_scale_f32 v169, vcc, 1.0, v166, 1.0
	v_fma_f32 v170, -v167, v168, 1.0
	v_fmac_f32_e32 v168, v170, v168
	v_mul_f32_e32 v170, v169, v168
	v_fma_f32 v171, -v167, v170, v169
	v_fmac_f32_e32 v170, v171, v168
	v_fma_f32 v167, -v167, v170, v169
	v_div_fmas_f32 v167, v167, v168, v170
	v_div_fixup_f32 v166, v167, v166, 1.0
	ds_write_b32 v138, v166
.LBB89_146:
	s_or_b64 exec, exec, s[4:5]
.LBB89_147:
	s_or_b64 exec, exec, s[2:3]
	s_waitcnt lgkmcnt(0)
	s_barrier
	ds_read_b32 v166, v138
	v_cmp_lt_u32_e32 vcc, 26, v25
	s_and_saveexec_b64 s[2:3], vcc
	s_cbranch_execz .LBB89_149
; %bb.148:
	ds_read2_b32 v[168:169], v139 offset0:27 offset1:28
	ds_read2_b32 v[170:171], v139 offset0:29 offset1:30
	ds_read2_b32 v[172:173], v139 offset0:31 offset1:32
	ds_read2_b32 v[174:175], v139 offset0:33 offset1:34
	s_waitcnt vmcnt(18) lgkmcnt(4)
	v_mul_f32_e32 v176, v166, v95
	s_waitcnt vmcnt(16) lgkmcnt(3)
	v_pk_fma_f32 v[96:97], v[176:177], v[168:169], v[96:97] op_sel_hi:[0,1,1] neg_lo:[1,0,0] neg_hi:[1,0,0]
	s_waitcnt vmcnt(14) lgkmcnt(2)
	v_pk_fma_f32 v[98:99], v[176:177], v[170:171], v[98:99] op_sel_hi:[0,1,1] neg_lo:[1,0,0] neg_hi:[1,0,0]
	;; [unrolled: 2-line block ×4, first 2 shown]
	ds_read2_b32 v[168:169], v139 offset0:35 offset1:36
	ds_read2_b32 v[170:171], v139 offset0:37 offset1:38
	;; [unrolled: 1-line block ×5, first 2 shown]
	s_waitcnt vmcnt(8) lgkmcnt(4)
	v_pk_fma_f32 v[122:123], v[176:177], v[168:169], v[122:123] op_sel_hi:[0,1,1] neg_lo:[1,0,0] neg_hi:[1,0,0]
	s_waitcnt vmcnt(6) lgkmcnt(3)
	v_pk_fma_f32 v[116:117], v[176:177], v[170:171], v[116:117] op_sel_hi:[0,1,1] neg_lo:[1,0,0] neg_hi:[1,0,0]
	;; [unrolled: 2-line block ×5, first 2 shown]
	v_mov_b32_e32 v95, v176
.LBB89_149:
	s_or_b64 exec, exec, s[2:3]
	v_cmp_eq_u32_e32 vcc, 27, v25
	s_waitcnt lgkmcnt(0)
	s_barrier
	s_and_saveexec_b64 s[2:3], vcc
	s_cbranch_execz .LBB89_152
; %bb.150:
	s_waitcnt vmcnt(14)
	v_pk_mov_b32 v[168:169], v[96:97], v[98:99] op_sel:[1,0]
	ds_write_b32 v138, v96
	ds_write2_b32 v139, v168, v169 offset0:28 offset1:29
	s_waitcnt vmcnt(12)
	v_pk_mov_b32 v[168:169], v[98:99], v[92:93] op_sel:[1,0]
	ds_write2_b32 v139, v168, v169 offset0:30 offset1:31
	s_waitcnt vmcnt(10)
	v_pk_mov_b32 v[168:169], v[92:93], v[118:119] op_sel:[1,0]
	ds_write2_b32 v139, v168, v169 offset0:32 offset1:33
	s_waitcnt vmcnt(8)
	v_pk_mov_b32 v[168:169], v[118:119], v[122:123] op_sel:[1,0]
	ds_write2_b32 v139, v168, v169 offset0:34 offset1:35
	s_waitcnt vmcnt(6)
	v_pk_mov_b32 v[168:169], v[122:123], v[116:117] op_sel:[1,0]
	ds_write2_b32 v139, v168, v169 offset0:36 offset1:37
	s_waitcnt vmcnt(4)
	v_pk_mov_b32 v[168:169], v[116:117], v[120:121] op_sel:[1,0]
	ds_write2_b32 v139, v168, v169 offset0:38 offset1:39
	s_waitcnt vmcnt(2)
	v_pk_mov_b32 v[168:169], v[120:121], v[134:135] op_sel:[1,0]
	ds_write2_b32 v139, v168, v169 offset0:40 offset1:41
	s_waitcnt vmcnt(0)
	v_pk_mov_b32 v[168:169], v[134:135], v[136:137] op_sel:[1,0]
	ds_write2_b32 v139, v168, v169 offset0:42 offset1:43
	ds_write_b32 v139, v137 offset:176
	ds_read_b32 v167, v138
	s_waitcnt lgkmcnt(0)
	v_cmp_neq_f32_e32 vcc, 0, v167
	s_and_b64 exec, exec, vcc
	s_cbranch_execz .LBB89_152
; %bb.151:
	v_div_scale_f32 v168, s[4:5], v167, v167, 1.0
	v_rcp_f32_e32 v169, v168
	v_div_scale_f32 v170, vcc, 1.0, v167, 1.0
	v_fma_f32 v171, -v168, v169, 1.0
	v_fmac_f32_e32 v169, v171, v169
	v_mul_f32_e32 v171, v170, v169
	v_fma_f32 v172, -v168, v171, v170
	v_fmac_f32_e32 v171, v172, v169
	v_fma_f32 v168, -v168, v171, v170
	v_div_fmas_f32 v168, v168, v169, v171
	v_div_fixup_f32 v167, v168, v167, 1.0
	ds_write_b32 v138, v167
.LBB89_152:
	s_or_b64 exec, exec, s[2:3]
	s_waitcnt lgkmcnt(0)
	s_barrier
	ds_read_b32 v167, v138
	v_cmp_lt_u32_e32 vcc, 27, v25
	s_and_saveexec_b64 s[2:3], vcc
	s_cbranch_execz .LBB89_154
; %bb.153:
	ds_read_b32 v174, v139 offset:112
	ds_read2_b32 v[168:169], v139 offset0:29 offset1:30
	ds_read2_b32 v[170:171], v139 offset0:31 offset1:32
	;; [unrolled: 1-line block ×3, first 2 shown]
	s_waitcnt vmcnt(17) lgkmcnt(4)
	v_mul_f32_e32 v96, v167, v96
	s_waitcnt vmcnt(16) lgkmcnt(3)
	v_fma_f32 v97, -v96, v174, v97
	s_waitcnt vmcnt(14) lgkmcnt(2)
	v_pk_fma_f32 v[98:99], v[96:97], v[168:169], v[98:99] op_sel_hi:[0,1,1] neg_lo:[1,0,0] neg_hi:[1,0,0]
	s_waitcnt vmcnt(12) lgkmcnt(1)
	v_pk_fma_f32 v[92:93], v[96:97], v[170:171], v[92:93] op_sel_hi:[0,1,1] neg_lo:[1,0,0] neg_hi:[1,0,0]
	;; [unrolled: 2-line block ×3, first 2 shown]
	ds_read2_b32 v[168:169], v139 offset0:35 offset1:36
	ds_read2_b32 v[170:171], v139 offset0:37 offset1:38
	ds_read2_b32 v[172:173], v139 offset0:39 offset1:40
	ds_read2_b32 v[174:175], v139 offset0:41 offset1:42
	ds_read2_b32 v[176:177], v139 offset0:43 offset1:44
	s_waitcnt vmcnt(8) lgkmcnt(4)
	v_pk_fma_f32 v[122:123], v[96:97], v[168:169], v[122:123] op_sel_hi:[0,1,1] neg_lo:[1,0,0] neg_hi:[1,0,0]
	s_waitcnt vmcnt(6) lgkmcnt(3)
	v_pk_fma_f32 v[116:117], v[96:97], v[170:171], v[116:117] op_sel_hi:[0,1,1] neg_lo:[1,0,0] neg_hi:[1,0,0]
	;; [unrolled: 2-line block ×5, first 2 shown]
.LBB89_154:
	s_or_b64 exec, exec, s[2:3]
	v_cmp_ne_u32_e32 vcc, 28, v25
	s_waitcnt lgkmcnt(0)
	s_barrier
	s_and_saveexec_b64 s[2:3], vcc
	s_xor_b64 s[2:3], exec, s[2:3]
	s_andn2_saveexec_b64 s[2:3], s[2:3]
	s_cbranch_execz .LBB89_158
; %bb.155:
	s_waitcnt vmcnt(16)
	ds_write_b32 v138, v97
	s_waitcnt vmcnt(14)
	ds_write2_b32 v139, v98, v99 offset0:29 offset1:30
	s_waitcnt vmcnt(12)
	ds_write2_b32 v139, v92, v93 offset0:31 offset1:32
	;; [unrolled: 2-line block ×8, first 2 shown]
	ds_read_b32 v168, v138
	s_waitcnt lgkmcnt(0)
	v_cmp_neq_f32_e32 vcc, 0, v168
	s_and_saveexec_b64 s[4:5], vcc
	s_cbranch_execz .LBB89_157
; %bb.156:
	v_div_scale_f32 v169, s[10:11], v168, v168, 1.0
	v_rcp_f32_e32 v170, v169
	v_div_scale_f32 v171, vcc, 1.0, v168, 1.0
	v_fma_f32 v172, -v169, v170, 1.0
	v_fmac_f32_e32 v170, v172, v170
	v_mul_f32_e32 v172, v171, v170
	v_fma_f32 v173, -v169, v172, v171
	v_fmac_f32_e32 v172, v173, v170
	v_fma_f32 v169, -v169, v172, v171
	v_div_fmas_f32 v169, v169, v170, v172
	v_div_fixup_f32 v168, v169, v168, 1.0
	ds_write_b32 v138, v168
.LBB89_157:
	s_or_b64 exec, exec, s[4:5]
.LBB89_158:
	s_or_b64 exec, exec, s[2:3]
	s_waitcnt lgkmcnt(0)
	s_barrier
	ds_read_b32 v168, v138
	v_cmp_lt_u32_e32 vcc, 28, v25
	s_and_saveexec_b64 s[2:3], vcc
	s_cbranch_execz .LBB89_160
; %bb.159:
	ds_read2_b32 v[170:171], v139 offset0:29 offset1:30
	ds_read2_b32 v[172:173], v139 offset0:31 offset1:32
	;; [unrolled: 1-line block ×3, first 2 shown]
	s_waitcnt vmcnt(16) lgkmcnt(3)
	v_mul_f32_e32 v176, v168, v97
	ds_read2_b32 v[178:179], v139 offset0:35 offset1:36
	s_waitcnt vmcnt(14) lgkmcnt(3)
	v_pk_fma_f32 v[98:99], v[176:177], v[170:171], v[98:99] op_sel_hi:[0,1,1] neg_lo:[1,0,0] neg_hi:[1,0,0]
	s_waitcnt vmcnt(12) lgkmcnt(2)
	v_pk_fma_f32 v[92:93], v[176:177], v[172:173], v[92:93] op_sel_hi:[0,1,1] neg_lo:[1,0,0] neg_hi:[1,0,0]
	;; [unrolled: 2-line block ×3, first 2 shown]
	ds_read2_b32 v[170:171], v139 offset0:37 offset1:38
	ds_read2_b32 v[172:173], v139 offset0:39 offset1:40
	ds_read2_b32 v[174:175], v139 offset0:41 offset1:42
	ds_read2_b32 v[180:181], v139 offset0:43 offset1:44
	s_waitcnt vmcnt(8) lgkmcnt(4)
	v_pk_fma_f32 v[122:123], v[176:177], v[178:179], v[122:123] op_sel_hi:[0,1,1] neg_lo:[1,0,0] neg_hi:[1,0,0]
	s_waitcnt vmcnt(6) lgkmcnt(3)
	v_pk_fma_f32 v[116:117], v[176:177], v[170:171], v[116:117] op_sel_hi:[0,1,1] neg_lo:[1,0,0] neg_hi:[1,0,0]
	;; [unrolled: 2-line block ×5, first 2 shown]
	v_mov_b32_e32 v97, v176
.LBB89_160:
	s_or_b64 exec, exec, s[2:3]
	v_cmp_eq_u32_e32 vcc, 29, v25
	s_waitcnt lgkmcnt(0)
	s_barrier
	s_and_saveexec_b64 s[2:3], vcc
	s_cbranch_execz .LBB89_163
; %bb.161:
	s_waitcnt vmcnt(12)
	v_pk_mov_b32 v[170:171], v[98:99], v[92:93] op_sel:[1,0]
	ds_write_b32 v138, v98
	ds_write2_b32 v139, v170, v171 offset0:30 offset1:31
	s_waitcnt vmcnt(10)
	v_pk_mov_b32 v[170:171], v[92:93], v[118:119] op_sel:[1,0]
	ds_write2_b32 v139, v170, v171 offset0:32 offset1:33
	s_waitcnt vmcnt(8)
	v_pk_mov_b32 v[170:171], v[118:119], v[122:123] op_sel:[1,0]
	;; [unrolled: 3-line block ×6, first 2 shown]
	ds_write2_b32 v139, v170, v171 offset0:42 offset1:43
	ds_write_b32 v139, v137 offset:176
	ds_read_b32 v169, v138
	s_waitcnt lgkmcnt(0)
	v_cmp_neq_f32_e32 vcc, 0, v169
	s_and_b64 exec, exec, vcc
	s_cbranch_execz .LBB89_163
; %bb.162:
	v_div_scale_f32 v170, s[4:5], v169, v169, 1.0
	v_rcp_f32_e32 v171, v170
	v_div_scale_f32 v172, vcc, 1.0, v169, 1.0
	v_fma_f32 v173, -v170, v171, 1.0
	v_fmac_f32_e32 v171, v173, v171
	v_mul_f32_e32 v173, v172, v171
	v_fma_f32 v174, -v170, v173, v172
	v_fmac_f32_e32 v173, v174, v171
	v_fma_f32 v170, -v170, v173, v172
	v_div_fmas_f32 v170, v170, v171, v173
	v_div_fixup_f32 v169, v170, v169, 1.0
	ds_write_b32 v138, v169
.LBB89_163:
	s_or_b64 exec, exec, s[2:3]
	s_waitcnt lgkmcnt(0)
	s_barrier
	ds_read_b32 v169, v138
	v_cmp_lt_u32_e32 vcc, 29, v25
	s_and_saveexec_b64 s[2:3], vcc
	s_cbranch_execz .LBB89_165
; %bb.164:
	ds_read_b32 v176, v139 offset:120
	ds_read2_b32 v[170:171], v139 offset0:31 offset1:32
	ds_read2_b32 v[172:173], v139 offset0:33 offset1:34
	s_waitcnt vmcnt(15) lgkmcnt(3)
	v_mul_f32_e32 v98, v169, v98
	ds_read2_b32 v[174:175], v139 offset0:35 offset1:36
	s_waitcnt vmcnt(14) lgkmcnt(3)
	v_fma_f32 v99, -v98, v176, v99
	s_waitcnt vmcnt(12) lgkmcnt(2)
	v_pk_fma_f32 v[92:93], v[98:99], v[170:171], v[92:93] op_sel_hi:[0,1,1] neg_lo:[1,0,0] neg_hi:[1,0,0]
	s_waitcnt vmcnt(10) lgkmcnt(1)
	v_pk_fma_f32 v[118:119], v[98:99], v[172:173], v[118:119] op_sel_hi:[0,1,1] neg_lo:[1,0,0] neg_hi:[1,0,0]
	ds_read2_b32 v[170:171], v139 offset0:37 offset1:38
	ds_read2_b32 v[172:173], v139 offset0:39 offset1:40
	;; [unrolled: 1-line block ×4, first 2 shown]
	s_waitcnt vmcnt(8) lgkmcnt(4)
	v_pk_fma_f32 v[122:123], v[98:99], v[174:175], v[122:123] op_sel_hi:[0,1,1] neg_lo:[1,0,0] neg_hi:[1,0,0]
	s_waitcnt vmcnt(6) lgkmcnt(3)
	v_pk_fma_f32 v[116:117], v[98:99], v[170:171], v[116:117] op_sel_hi:[0,1,1] neg_lo:[1,0,0] neg_hi:[1,0,0]
	s_waitcnt vmcnt(4) lgkmcnt(2)
	v_pk_fma_f32 v[120:121], v[98:99], v[172:173], v[120:121] op_sel_hi:[0,1,1] neg_lo:[1,0,0] neg_hi:[1,0,0]
	s_waitcnt vmcnt(2) lgkmcnt(1)
	v_pk_fma_f32 v[134:135], v[98:99], v[176:177], v[134:135] op_sel_hi:[0,1,1] neg_lo:[1,0,0] neg_hi:[1,0,0]
	s_waitcnt vmcnt(0) lgkmcnt(0)
	v_pk_fma_f32 v[136:137], v[98:99], v[178:179], v[136:137] op_sel_hi:[0,1,1] neg_lo:[1,0,0] neg_hi:[1,0,0]
.LBB89_165:
	s_or_b64 exec, exec, s[2:3]
	v_cmp_ne_u32_e32 vcc, 30, v25
	s_waitcnt lgkmcnt(0)
	s_barrier
	s_and_saveexec_b64 s[2:3], vcc
	s_xor_b64 s[2:3], exec, s[2:3]
	s_andn2_saveexec_b64 s[2:3], s[2:3]
	s_cbranch_execz .LBB89_169
; %bb.166:
	s_waitcnt vmcnt(14)
	ds_write_b32 v138, v99
	s_waitcnt vmcnt(12)
	ds_write2_b32 v139, v92, v93 offset0:31 offset1:32
	s_waitcnt vmcnt(10)
	ds_write2_b32 v139, v118, v119 offset0:33 offset1:34
	;; [unrolled: 2-line block ×7, first 2 shown]
	ds_read_b32 v170, v138
	s_waitcnt lgkmcnt(0)
	v_cmp_neq_f32_e32 vcc, 0, v170
	s_and_saveexec_b64 s[4:5], vcc
	s_cbranch_execz .LBB89_168
; %bb.167:
	v_div_scale_f32 v171, s[10:11], v170, v170, 1.0
	v_rcp_f32_e32 v172, v171
	v_div_scale_f32 v173, vcc, 1.0, v170, 1.0
	v_fma_f32 v174, -v171, v172, 1.0
	v_fmac_f32_e32 v172, v174, v172
	v_mul_f32_e32 v174, v173, v172
	v_fma_f32 v175, -v171, v174, v173
	v_fmac_f32_e32 v174, v175, v172
	v_fma_f32 v171, -v171, v174, v173
	v_div_fmas_f32 v171, v171, v172, v174
	v_div_fixup_f32 v170, v171, v170, 1.0
	ds_write_b32 v138, v170
.LBB89_168:
	s_or_b64 exec, exec, s[4:5]
.LBB89_169:
	s_or_b64 exec, exec, s[2:3]
	s_waitcnt lgkmcnt(0)
	s_barrier
	ds_read_b32 v170, v138
	v_cmp_lt_u32_e32 vcc, 30, v25
	s_and_saveexec_b64 s[2:3], vcc
	s_cbranch_execz .LBB89_171
; %bb.170:
	ds_read2_b32 v[172:173], v139 offset0:31 offset1:32
	ds_read2_b32 v[174:175], v139 offset0:33 offset1:34
	s_waitcnt vmcnt(14) lgkmcnt(2)
	v_mul_f32_e32 v176, v170, v99
	ds_read2_b32 v[178:179], v139 offset0:35 offset1:36
	ds_read2_b32 v[180:181], v139 offset0:37 offset1:38
	v_mov_b32_e32 v99, v176
	s_waitcnt vmcnt(12) lgkmcnt(3)
	v_pk_fma_f32 v[92:93], v[176:177], v[172:173], v[92:93] op_sel_hi:[0,1,1] neg_lo:[1,0,0] neg_hi:[1,0,0]
	s_waitcnt vmcnt(10) lgkmcnt(2)
	v_pk_fma_f32 v[118:119], v[176:177], v[174:175], v[118:119] op_sel_hi:[0,1,1] neg_lo:[1,0,0] neg_hi:[1,0,0]
	ds_read2_b32 v[172:173], v139 offset0:39 offset1:40
	ds_read2_b32 v[174:175], v139 offset0:41 offset1:42
	;; [unrolled: 1-line block ×3, first 2 shown]
	s_waitcnt vmcnt(8) lgkmcnt(4)
	v_pk_fma_f32 v[122:123], v[176:177], v[178:179], v[122:123] op_sel_hi:[0,1,1] neg_lo:[1,0,0] neg_hi:[1,0,0]
	s_waitcnt vmcnt(6) lgkmcnt(3)
	v_pk_fma_f32 v[116:117], v[176:177], v[180:181], v[116:117] op_sel_hi:[0,1,1] neg_lo:[1,0,0] neg_hi:[1,0,0]
	s_waitcnt vmcnt(4) lgkmcnt(2)
	v_pk_fma_f32 v[120:121], v[176:177], v[172:173], v[120:121] op_sel_hi:[0,1,1] neg_lo:[1,0,0] neg_hi:[1,0,0]
	s_waitcnt vmcnt(2) lgkmcnt(1)
	v_pk_fma_f32 v[134:135], v[176:177], v[174:175], v[134:135] op_sel_hi:[0,1,1] neg_lo:[1,0,0] neg_hi:[1,0,0]
	s_waitcnt vmcnt(0) lgkmcnt(0)
	v_pk_fma_f32 v[136:137], v[176:177], v[182:183], v[136:137] op_sel_hi:[0,1,1] neg_lo:[1,0,0] neg_hi:[1,0,0]
.LBB89_171:
	s_or_b64 exec, exec, s[2:3]
	v_cmp_eq_u32_e32 vcc, 31, v25
	s_waitcnt lgkmcnt(0)
	s_barrier
	s_and_saveexec_b64 s[2:3], vcc
	s_cbranch_execz .LBB89_174
; %bb.172:
	s_waitcnt vmcnt(10)
	v_pk_mov_b32 v[172:173], v[92:93], v[118:119] op_sel:[1,0]
	ds_write_b32 v138, v92
	ds_write2_b32 v139, v172, v173 offset0:32 offset1:33
	s_waitcnt vmcnt(8)
	v_pk_mov_b32 v[172:173], v[118:119], v[122:123] op_sel:[1,0]
	ds_write2_b32 v139, v172, v173 offset0:34 offset1:35
	s_waitcnt vmcnt(6)
	v_pk_mov_b32 v[172:173], v[122:123], v[116:117] op_sel:[1,0]
	ds_write2_b32 v139, v172, v173 offset0:36 offset1:37
	s_waitcnt vmcnt(4)
	v_pk_mov_b32 v[172:173], v[116:117], v[120:121] op_sel:[1,0]
	ds_write2_b32 v139, v172, v173 offset0:38 offset1:39
	s_waitcnt vmcnt(2)
	v_pk_mov_b32 v[172:173], v[120:121], v[134:135] op_sel:[1,0]
	ds_write2_b32 v139, v172, v173 offset0:40 offset1:41
	s_waitcnt vmcnt(0)
	v_pk_mov_b32 v[172:173], v[134:135], v[136:137] op_sel:[1,0]
	ds_write2_b32 v139, v172, v173 offset0:42 offset1:43
	ds_write_b32 v139, v137 offset:176
	ds_read_b32 v171, v138
	s_waitcnt lgkmcnt(0)
	v_cmp_neq_f32_e32 vcc, 0, v171
	s_and_b64 exec, exec, vcc
	s_cbranch_execz .LBB89_174
; %bb.173:
	v_div_scale_f32 v172, s[4:5], v171, v171, 1.0
	v_rcp_f32_e32 v173, v172
	v_div_scale_f32 v174, vcc, 1.0, v171, 1.0
	v_fma_f32 v175, -v172, v173, 1.0
	v_fmac_f32_e32 v173, v175, v173
	v_mul_f32_e32 v175, v174, v173
	v_fma_f32 v176, -v172, v175, v174
	v_fmac_f32_e32 v175, v176, v173
	v_fma_f32 v172, -v172, v175, v174
	v_div_fmas_f32 v172, v172, v173, v175
	v_div_fixup_f32 v171, v172, v171, 1.0
	ds_write_b32 v138, v171
.LBB89_174:
	s_or_b64 exec, exec, s[2:3]
	s_waitcnt lgkmcnt(0)
	s_barrier
	ds_read_b32 v171, v138
	v_cmp_lt_u32_e32 vcc, 31, v25
	s_and_saveexec_b64 s[2:3], vcc
	s_cbranch_execz .LBB89_176
; %bb.175:
	ds_read_b32 v178, v139 offset:128
	ds_read2_b32 v[172:173], v139 offset0:33 offset1:34
	s_waitcnt vmcnt(13) lgkmcnt(2)
	v_mul_f32_e32 v92, v171, v92
	ds_read2_b32 v[174:175], v139 offset0:35 offset1:36
	ds_read2_b32 v[176:177], v139 offset0:37 offset1:38
	s_waitcnt vmcnt(12) lgkmcnt(3)
	v_fma_f32 v93, -v92, v178, v93
	s_waitcnt vmcnt(10) lgkmcnt(2)
	v_pk_fma_f32 v[118:119], v[92:93], v[172:173], v[118:119] op_sel_hi:[0,1,1] neg_lo:[1,0,0] neg_hi:[1,0,0]
	ds_read2_b32 v[172:173], v139 offset0:39 offset1:40
	ds_read2_b32 v[178:179], v139 offset0:41 offset1:42
	ds_read2_b32 v[180:181], v139 offset0:43 offset1:44
	s_waitcnt vmcnt(8) lgkmcnt(4)
	v_pk_fma_f32 v[122:123], v[92:93], v[174:175], v[122:123] op_sel_hi:[0,1,1] neg_lo:[1,0,0] neg_hi:[1,0,0]
	s_waitcnt vmcnt(6) lgkmcnt(3)
	v_pk_fma_f32 v[116:117], v[92:93], v[176:177], v[116:117] op_sel_hi:[0,1,1] neg_lo:[1,0,0] neg_hi:[1,0,0]
	;; [unrolled: 2-line block ×5, first 2 shown]
.LBB89_176:
	s_or_b64 exec, exec, s[2:3]
	v_cmp_ne_u32_e32 vcc, 32, v25
	s_waitcnt lgkmcnt(0)
	s_barrier
	s_and_saveexec_b64 s[2:3], vcc
	s_xor_b64 s[2:3], exec, s[2:3]
	s_andn2_saveexec_b64 s[2:3], s[2:3]
	s_cbranch_execz .LBB89_180
; %bb.177:
	s_waitcnt vmcnt(12)
	ds_write_b32 v138, v93
	s_waitcnt vmcnt(10)
	ds_write2_b32 v139, v118, v119 offset0:33 offset1:34
	s_waitcnt vmcnt(8)
	ds_write2_b32 v139, v122, v123 offset0:35 offset1:36
	;; [unrolled: 2-line block ×6, first 2 shown]
	ds_read_b32 v172, v138
	s_waitcnt lgkmcnt(0)
	v_cmp_neq_f32_e32 vcc, 0, v172
	s_and_saveexec_b64 s[4:5], vcc
	s_cbranch_execz .LBB89_179
; %bb.178:
	v_div_scale_f32 v173, s[10:11], v172, v172, 1.0
	v_rcp_f32_e32 v174, v173
	v_div_scale_f32 v175, vcc, 1.0, v172, 1.0
	v_fma_f32 v176, -v173, v174, 1.0
	v_fmac_f32_e32 v174, v176, v174
	v_mul_f32_e32 v176, v175, v174
	v_fma_f32 v177, -v173, v176, v175
	v_fmac_f32_e32 v176, v177, v174
	v_fma_f32 v173, -v173, v176, v175
	v_div_fmas_f32 v173, v173, v174, v176
	v_div_fixup_f32 v172, v173, v172, 1.0
	ds_write_b32 v138, v172
.LBB89_179:
	s_or_b64 exec, exec, s[4:5]
.LBB89_180:
	s_or_b64 exec, exec, s[2:3]
	s_waitcnt lgkmcnt(0)
	s_barrier
	ds_read_b32 v172, v138
	v_cmp_lt_u32_e32 vcc, 32, v25
	s_and_saveexec_b64 s[2:3], vcc
	s_cbranch_execz .LBB89_182
; %bb.181:
	ds_read2_b32 v[174:175], v139 offset0:33 offset1:34
	s_waitcnt vmcnt(12) lgkmcnt(1)
	v_mul_f32_e32 v176, v172, v93
	ds_read2_b32 v[178:179], v139 offset0:35 offset1:36
	ds_read2_b32 v[180:181], v139 offset0:37 offset1:38
	;; [unrolled: 1-line block ×3, first 2 shown]
	v_mov_b32_e32 v93, v176
	s_waitcnt vmcnt(8) lgkmcnt(2)
	v_pk_fma_f32 v[122:123], v[176:177], v[178:179], v[122:123] op_sel_hi:[0,1,1] neg_lo:[1,0,0] neg_hi:[1,0,0]
	v_pk_fma_f32 v[118:119], v[176:177], v[174:175], v[118:119] op_sel_hi:[0,1,1] neg_lo:[1,0,0] neg_hi:[1,0,0]
	ds_read2_b32 v[174:175], v139 offset0:41 offset1:42
	ds_read2_b32 v[184:185], v139 offset0:43 offset1:44
	s_waitcnt vmcnt(6) lgkmcnt(3)
	v_pk_fma_f32 v[116:117], v[176:177], v[180:181], v[116:117] op_sel_hi:[0,1,1] neg_lo:[1,0,0] neg_hi:[1,0,0]
	s_waitcnt vmcnt(4) lgkmcnt(2)
	v_pk_fma_f32 v[120:121], v[176:177], v[182:183], v[120:121] op_sel_hi:[0,1,1] neg_lo:[1,0,0] neg_hi:[1,0,0]
	;; [unrolled: 2-line block ×4, first 2 shown]
.LBB89_182:
	s_or_b64 exec, exec, s[2:3]
	v_cmp_eq_u32_e32 vcc, 33, v25
	s_waitcnt lgkmcnt(0)
	s_barrier
	s_and_saveexec_b64 s[2:3], vcc
	s_cbranch_execz .LBB89_185
; %bb.183:
	s_waitcnt vmcnt(8)
	v_pk_mov_b32 v[174:175], v[118:119], v[122:123] op_sel:[1,0]
	ds_write_b32 v138, v118
	ds_write2_b32 v139, v174, v175 offset0:34 offset1:35
	s_waitcnt vmcnt(6)
	v_pk_mov_b32 v[174:175], v[122:123], v[116:117] op_sel:[1,0]
	ds_write2_b32 v139, v174, v175 offset0:36 offset1:37
	s_waitcnt vmcnt(4)
	v_pk_mov_b32 v[174:175], v[116:117], v[120:121] op_sel:[1,0]
	;; [unrolled: 3-line block ×4, first 2 shown]
	ds_write2_b32 v139, v174, v175 offset0:42 offset1:43
	ds_write_b32 v139, v137 offset:176
	ds_read_b32 v173, v138
	s_waitcnt lgkmcnt(0)
	v_cmp_neq_f32_e32 vcc, 0, v173
	s_and_b64 exec, exec, vcc
	s_cbranch_execz .LBB89_185
; %bb.184:
	v_div_scale_f32 v174, s[4:5], v173, v173, 1.0
	v_rcp_f32_e32 v175, v174
	v_div_scale_f32 v176, vcc, 1.0, v173, 1.0
	v_fma_f32 v177, -v174, v175, 1.0
	v_fmac_f32_e32 v175, v177, v175
	v_mul_f32_e32 v177, v176, v175
	v_fma_f32 v178, -v174, v177, v176
	v_fmac_f32_e32 v177, v178, v175
	v_fma_f32 v174, -v174, v177, v176
	v_div_fmas_f32 v174, v174, v175, v177
	v_div_fixup_f32 v173, v174, v173, 1.0
	ds_write_b32 v138, v173
.LBB89_185:
	s_or_b64 exec, exec, s[2:3]
	s_waitcnt lgkmcnt(0)
	s_barrier
	ds_read_b32 v173, v138
	v_cmp_lt_u32_e32 vcc, 33, v25
	s_and_saveexec_b64 s[2:3], vcc
	s_cbranch_execz .LBB89_187
; %bb.186:
	ds_read_b32 v180, v139 offset:136
	s_waitcnt vmcnt(11) lgkmcnt(1)
	v_mul_f32_e32 v118, v173, v118
	ds_read2_b32 v[174:175], v139 offset0:35 offset1:36
	ds_read2_b32 v[176:177], v139 offset0:37 offset1:38
	;; [unrolled: 1-line block ×3, first 2 shown]
	s_waitcnt vmcnt(10) lgkmcnt(3)
	v_fma_f32 v119, -v118, v180, v119
	ds_read2_b32 v[180:181], v139 offset0:41 offset1:42
	ds_read2_b32 v[182:183], v139 offset0:43 offset1:44
	s_waitcnt vmcnt(8) lgkmcnt(4)
	v_pk_fma_f32 v[122:123], v[118:119], v[174:175], v[122:123] op_sel_hi:[0,1,1] neg_lo:[1,0,0] neg_hi:[1,0,0]
	s_waitcnt vmcnt(6) lgkmcnt(3)
	v_pk_fma_f32 v[116:117], v[118:119], v[176:177], v[116:117] op_sel_hi:[0,1,1] neg_lo:[1,0,0] neg_hi:[1,0,0]
	;; [unrolled: 2-line block ×5, first 2 shown]
.LBB89_187:
	s_or_b64 exec, exec, s[2:3]
	v_cmp_ne_u32_e32 vcc, 34, v25
	s_waitcnt lgkmcnt(0)
	s_barrier
	s_and_saveexec_b64 s[2:3], vcc
	s_xor_b64 s[2:3], exec, s[2:3]
	s_andn2_saveexec_b64 s[2:3], s[2:3]
	s_cbranch_execz .LBB89_191
; %bb.188:
	s_waitcnt vmcnt(10)
	ds_write_b32 v138, v119
	s_waitcnt vmcnt(8)
	ds_write2_b32 v139, v122, v123 offset0:35 offset1:36
	s_waitcnt vmcnt(6)
	ds_write2_b32 v139, v116, v117 offset0:37 offset1:38
	;; [unrolled: 2-line block ×5, first 2 shown]
	ds_read_b32 v174, v138
	s_waitcnt lgkmcnt(0)
	v_cmp_neq_f32_e32 vcc, 0, v174
	s_and_saveexec_b64 s[4:5], vcc
	s_cbranch_execz .LBB89_190
; %bb.189:
	v_div_scale_f32 v175, s[10:11], v174, v174, 1.0
	v_rcp_f32_e32 v176, v175
	v_div_scale_f32 v177, vcc, 1.0, v174, 1.0
	v_fma_f32 v178, -v175, v176, 1.0
	v_fmac_f32_e32 v176, v178, v176
	v_mul_f32_e32 v178, v177, v176
	v_fma_f32 v179, -v175, v178, v177
	v_fmac_f32_e32 v178, v179, v176
	v_fma_f32 v175, -v175, v178, v177
	v_div_fmas_f32 v175, v175, v176, v178
	v_div_fixup_f32 v174, v175, v174, 1.0
	ds_write_b32 v138, v174
.LBB89_190:
	s_or_b64 exec, exec, s[4:5]
.LBB89_191:
	s_or_b64 exec, exec, s[2:3]
	s_waitcnt lgkmcnt(0)
	s_barrier
	ds_read_b32 v174, v138
	v_cmp_lt_u32_e32 vcc, 34, v25
	s_and_saveexec_b64 s[2:3], vcc
	s_cbranch_execz .LBB89_193
; %bb.192:
	ds_read2_b32 v[178:179], v139 offset0:35 offset1:36
	ds_read2_b32 v[180:181], v139 offset0:37 offset1:38
	;; [unrolled: 1-line block ×5, first 2 shown]
	s_waitcnt vmcnt(10) lgkmcnt(5)
	v_mul_f32_e32 v176, v174, v119
	s_waitcnt vmcnt(8) lgkmcnt(4)
	v_pk_fma_f32 v[122:123], v[176:177], v[178:179], v[122:123] op_sel_hi:[0,1,1] neg_lo:[1,0,0] neg_hi:[1,0,0]
	s_waitcnt vmcnt(6) lgkmcnt(3)
	v_pk_fma_f32 v[116:117], v[176:177], v[180:181], v[116:117] op_sel_hi:[0,1,1] neg_lo:[1,0,0] neg_hi:[1,0,0]
	;; [unrolled: 2-line block ×5, first 2 shown]
	v_mov_b32_e32 v119, v176
.LBB89_193:
	s_or_b64 exec, exec, s[2:3]
	v_cmp_eq_u32_e32 vcc, 35, v25
	s_waitcnt lgkmcnt(0)
	s_barrier
	s_and_saveexec_b64 s[2:3], vcc
	s_cbranch_execz .LBB89_196
; %bb.194:
	s_waitcnt vmcnt(6)
	v_pk_mov_b32 v[176:177], v[122:123], v[116:117] op_sel:[1,0]
	ds_write_b32 v138, v122
	ds_write2_b32 v139, v176, v177 offset0:36 offset1:37
	s_waitcnt vmcnt(4)
	v_pk_mov_b32 v[176:177], v[116:117], v[120:121] op_sel:[1,0]
	ds_write2_b32 v139, v176, v177 offset0:38 offset1:39
	s_waitcnt vmcnt(2)
	v_pk_mov_b32 v[176:177], v[120:121], v[134:135] op_sel:[1,0]
	;; [unrolled: 3-line block ×3, first 2 shown]
	ds_write2_b32 v139, v176, v177 offset0:42 offset1:43
	ds_write_b32 v139, v137 offset:176
	ds_read_b32 v175, v138
	s_waitcnt lgkmcnt(0)
	v_cmp_neq_f32_e32 vcc, 0, v175
	s_and_b64 exec, exec, vcc
	s_cbranch_execz .LBB89_196
; %bb.195:
	v_div_scale_f32 v176, s[4:5], v175, v175, 1.0
	v_rcp_f32_e32 v177, v176
	v_div_scale_f32 v178, vcc, 1.0, v175, 1.0
	v_fma_f32 v179, -v176, v177, 1.0
	v_fmac_f32_e32 v177, v179, v177
	v_mul_f32_e32 v179, v178, v177
	v_fma_f32 v180, -v176, v179, v178
	v_fmac_f32_e32 v179, v180, v177
	v_fma_f32 v176, -v176, v179, v178
	v_div_fmas_f32 v176, v176, v177, v179
	v_div_fixup_f32 v175, v176, v175, 1.0
	ds_write_b32 v138, v175
.LBB89_196:
	s_or_b64 exec, exec, s[2:3]
	s_waitcnt lgkmcnt(0)
	s_barrier
	ds_read_b32 v175, v138
	v_cmp_lt_u32_e32 vcc, 35, v25
	s_and_saveexec_b64 s[2:3], vcc
	s_cbranch_execz .LBB89_198
; %bb.197:
	ds_read_b32 v184, v139 offset:144
	ds_read2_b32 v[176:177], v139 offset0:37 offset1:38
	ds_read2_b32 v[178:179], v139 offset0:39 offset1:40
	;; [unrolled: 1-line block ×4, first 2 shown]
	s_waitcnt vmcnt(9) lgkmcnt(5)
	v_mul_f32_e32 v122, v175, v122
	s_waitcnt vmcnt(8) lgkmcnt(4)
	v_fma_f32 v123, -v122, v184, v123
	s_waitcnt vmcnt(6) lgkmcnt(3)
	v_pk_fma_f32 v[116:117], v[122:123], v[176:177], v[116:117] op_sel_hi:[0,1,1] neg_lo:[1,0,0] neg_hi:[1,0,0]
	s_waitcnt vmcnt(4) lgkmcnt(2)
	v_pk_fma_f32 v[120:121], v[122:123], v[178:179], v[120:121] op_sel_hi:[0,1,1] neg_lo:[1,0,0] neg_hi:[1,0,0]
	;; [unrolled: 2-line block ×4, first 2 shown]
.LBB89_198:
	s_or_b64 exec, exec, s[2:3]
	v_cmp_ne_u32_e32 vcc, 36, v25
	s_waitcnt lgkmcnt(0)
	s_barrier
	s_and_saveexec_b64 s[2:3], vcc
	s_xor_b64 s[2:3], exec, s[2:3]
	s_andn2_saveexec_b64 s[2:3], s[2:3]
	s_cbranch_execz .LBB89_202
; %bb.199:
	s_waitcnt vmcnt(8)
	ds_write_b32 v138, v123
	s_waitcnt vmcnt(6)
	ds_write2_b32 v139, v116, v117 offset0:37 offset1:38
	s_waitcnt vmcnt(4)
	ds_write2_b32 v139, v120, v121 offset0:39 offset1:40
	;; [unrolled: 2-line block ×4, first 2 shown]
	ds_read_b32 v176, v138
	s_waitcnt lgkmcnt(0)
	v_cmp_neq_f32_e32 vcc, 0, v176
	s_and_saveexec_b64 s[4:5], vcc
	s_cbranch_execz .LBB89_201
; %bb.200:
	v_div_scale_f32 v177, s[10:11], v176, v176, 1.0
	v_rcp_f32_e32 v178, v177
	v_div_scale_f32 v179, vcc, 1.0, v176, 1.0
	v_fma_f32 v180, -v177, v178, 1.0
	v_fmac_f32_e32 v178, v180, v178
	v_mul_f32_e32 v180, v179, v178
	v_fma_f32 v181, -v177, v180, v179
	v_fmac_f32_e32 v180, v181, v178
	v_fma_f32 v177, -v177, v180, v179
	v_div_fmas_f32 v177, v177, v178, v180
	v_div_fixup_f32 v176, v177, v176, 1.0
	ds_write_b32 v138, v176
.LBB89_201:
	s_or_b64 exec, exec, s[4:5]
.LBB89_202:
	s_or_b64 exec, exec, s[2:3]
	s_waitcnt lgkmcnt(0)
	s_barrier
	ds_read_b32 v176, v138
	v_cmp_lt_u32_e32 vcc, 36, v25
	s_and_saveexec_b64 s[2:3], vcc
	s_cbranch_execz .LBB89_204
; %bb.203:
	ds_read2_b32 v[178:179], v139 offset0:37 offset1:38
	ds_read2_b32 v[180:181], v139 offset0:39 offset1:40
	ds_read2_b32 v[182:183], v139 offset0:41 offset1:42
	ds_read2_b32 v[184:185], v139 offset0:43 offset1:44
	s_waitcnt vmcnt(8) lgkmcnt(4)
	v_mul_f32_e32 v186, v176, v123
	s_waitcnt vmcnt(6) lgkmcnt(3)
	v_pk_fma_f32 v[116:117], v[186:187], v[178:179], v[116:117] op_sel_hi:[0,1,1] neg_lo:[1,0,0] neg_hi:[1,0,0]
	s_waitcnt vmcnt(4) lgkmcnt(2)
	v_pk_fma_f32 v[120:121], v[186:187], v[180:181], v[120:121] op_sel_hi:[0,1,1] neg_lo:[1,0,0] neg_hi:[1,0,0]
	s_waitcnt vmcnt(2) lgkmcnt(1)
	v_pk_fma_f32 v[134:135], v[186:187], v[182:183], v[134:135] op_sel_hi:[0,1,1] neg_lo:[1,0,0] neg_hi:[1,0,0]
	s_waitcnt vmcnt(0) lgkmcnt(0)
	v_pk_fma_f32 v[136:137], v[186:187], v[184:185], v[136:137] op_sel_hi:[0,1,1] neg_lo:[1,0,0] neg_hi:[1,0,0]
	v_mov_b32_e32 v123, v186
.LBB89_204:
	s_or_b64 exec, exec, s[2:3]
	v_cmp_eq_u32_e32 vcc, 37, v25
	s_waitcnt lgkmcnt(0)
	s_barrier
	s_and_saveexec_b64 s[2:3], vcc
	s_cbranch_execz .LBB89_207
; %bb.205:
	s_waitcnt vmcnt(4)
	v_pk_mov_b32 v[178:179], v[116:117], v[120:121] op_sel:[1,0]
	ds_write_b32 v138, v116
	ds_write2_b32 v139, v178, v179 offset0:38 offset1:39
	s_waitcnt vmcnt(2)
	v_pk_mov_b32 v[178:179], v[120:121], v[134:135] op_sel:[1,0]
	ds_write2_b32 v139, v178, v179 offset0:40 offset1:41
	s_waitcnt vmcnt(0)
	v_pk_mov_b32 v[178:179], v[134:135], v[136:137] op_sel:[1,0]
	ds_write2_b32 v139, v178, v179 offset0:42 offset1:43
	ds_write_b32 v139, v137 offset:176
	ds_read_b32 v177, v138
	s_waitcnt lgkmcnt(0)
	v_cmp_neq_f32_e32 vcc, 0, v177
	s_and_b64 exec, exec, vcc
	s_cbranch_execz .LBB89_207
; %bb.206:
	v_div_scale_f32 v178, s[4:5], v177, v177, 1.0
	v_rcp_f32_e32 v179, v178
	v_div_scale_f32 v180, vcc, 1.0, v177, 1.0
	v_fma_f32 v181, -v178, v179, 1.0
	v_fmac_f32_e32 v179, v181, v179
	v_mul_f32_e32 v181, v180, v179
	v_fma_f32 v182, -v178, v181, v180
	v_fmac_f32_e32 v181, v182, v179
	v_fma_f32 v178, -v178, v181, v180
	v_div_fmas_f32 v178, v178, v179, v181
	v_div_fixup_f32 v177, v178, v177, 1.0
	ds_write_b32 v138, v177
.LBB89_207:
	s_or_b64 exec, exec, s[2:3]
	s_waitcnt lgkmcnt(0)
	s_barrier
	ds_read_b32 v177, v138
	v_cmp_lt_u32_e32 vcc, 37, v25
	s_and_saveexec_b64 s[2:3], vcc
	s_cbranch_execz .LBB89_209
; %bb.208:
	ds_read_b32 v184, v139 offset:152
	ds_read2_b32 v[178:179], v139 offset0:39 offset1:40
	ds_read2_b32 v[180:181], v139 offset0:41 offset1:42
	;; [unrolled: 1-line block ×3, first 2 shown]
	s_waitcnt vmcnt(7) lgkmcnt(4)
	v_mul_f32_e32 v116, v177, v116
	s_waitcnt vmcnt(6) lgkmcnt(3)
	v_fma_f32 v117, -v116, v184, v117
	s_waitcnt vmcnt(4) lgkmcnt(2)
	v_pk_fma_f32 v[120:121], v[116:117], v[178:179], v[120:121] op_sel_hi:[0,1,1] neg_lo:[1,0,0] neg_hi:[1,0,0]
	s_waitcnt vmcnt(2) lgkmcnt(1)
	v_pk_fma_f32 v[134:135], v[116:117], v[180:181], v[134:135] op_sel_hi:[0,1,1] neg_lo:[1,0,0] neg_hi:[1,0,0]
	;; [unrolled: 2-line block ×3, first 2 shown]
.LBB89_209:
	s_or_b64 exec, exec, s[2:3]
	v_cmp_ne_u32_e32 vcc, 38, v25
	s_waitcnt lgkmcnt(0)
	s_barrier
	s_and_saveexec_b64 s[2:3], vcc
	s_xor_b64 s[2:3], exec, s[2:3]
	s_andn2_saveexec_b64 s[2:3], s[2:3]
	s_cbranch_execz .LBB89_213
; %bb.210:
	s_waitcnt vmcnt(6)
	ds_write_b32 v138, v117
	s_waitcnt vmcnt(4)
	ds_write2_b32 v139, v120, v121 offset0:39 offset1:40
	s_waitcnt vmcnt(2)
	ds_write2_b32 v139, v134, v135 offset0:41 offset1:42
	;; [unrolled: 2-line block ×3, first 2 shown]
	ds_read_b32 v178, v138
	s_waitcnt lgkmcnt(0)
	v_cmp_neq_f32_e32 vcc, 0, v178
	s_and_saveexec_b64 s[4:5], vcc
	s_cbranch_execz .LBB89_212
; %bb.211:
	v_div_scale_f32 v179, s[10:11], v178, v178, 1.0
	v_rcp_f32_e32 v180, v179
	v_div_scale_f32 v181, vcc, 1.0, v178, 1.0
	v_fma_f32 v182, -v179, v180, 1.0
	v_fmac_f32_e32 v180, v182, v180
	v_mul_f32_e32 v182, v181, v180
	v_fma_f32 v183, -v179, v182, v181
	v_fmac_f32_e32 v182, v183, v180
	v_fma_f32 v179, -v179, v182, v181
	v_div_fmas_f32 v179, v179, v180, v182
	v_div_fixup_f32 v178, v179, v178, 1.0
	ds_write_b32 v138, v178
.LBB89_212:
	s_or_b64 exec, exec, s[4:5]
.LBB89_213:
	s_or_b64 exec, exec, s[2:3]
	s_waitcnt lgkmcnt(0)
	s_barrier
	ds_read_b32 v178, v138
	v_cmp_lt_u32_e32 vcc, 38, v25
	s_and_saveexec_b64 s[2:3], vcc
	s_cbranch_execz .LBB89_215
; %bb.214:
	ds_read2_b32 v[180:181], v139 offset0:39 offset1:40
	ds_read2_b32 v[182:183], v139 offset0:41 offset1:42
	;; [unrolled: 1-line block ×3, first 2 shown]
	s_waitcnt vmcnt(6) lgkmcnt(3)
	v_mul_f32_e32 v186, v178, v117
	v_mov_b32_e32 v117, v186
	s_waitcnt vmcnt(4) lgkmcnt(2)
	v_pk_fma_f32 v[120:121], v[186:187], v[180:181], v[120:121] op_sel_hi:[0,1,1] neg_lo:[1,0,0] neg_hi:[1,0,0]
	s_waitcnt vmcnt(2) lgkmcnt(1)
	v_pk_fma_f32 v[134:135], v[186:187], v[182:183], v[134:135] op_sel_hi:[0,1,1] neg_lo:[1,0,0] neg_hi:[1,0,0]
	;; [unrolled: 2-line block ×3, first 2 shown]
.LBB89_215:
	s_or_b64 exec, exec, s[2:3]
	v_cmp_eq_u32_e32 vcc, 39, v25
	s_waitcnt lgkmcnt(0)
	s_barrier
	s_and_saveexec_b64 s[2:3], vcc
	s_cbranch_execz .LBB89_218
; %bb.216:
	s_waitcnt vmcnt(2)
	v_pk_mov_b32 v[180:181], v[120:121], v[134:135] op_sel:[1,0]
	ds_write_b32 v138, v120
	ds_write2_b32 v139, v180, v181 offset0:40 offset1:41
	s_waitcnt vmcnt(0)
	v_pk_mov_b32 v[180:181], v[134:135], v[136:137] op_sel:[1,0]
	ds_write2_b32 v139, v180, v181 offset0:42 offset1:43
	ds_write_b32 v139, v137 offset:176
	ds_read_b32 v179, v138
	s_waitcnt lgkmcnt(0)
	v_cmp_neq_f32_e32 vcc, 0, v179
	s_and_b64 exec, exec, vcc
	s_cbranch_execz .LBB89_218
; %bb.217:
	v_div_scale_f32 v180, s[4:5], v179, v179, 1.0
	v_rcp_f32_e32 v181, v180
	v_div_scale_f32 v182, vcc, 1.0, v179, 1.0
	v_fma_f32 v183, -v180, v181, 1.0
	v_fmac_f32_e32 v181, v183, v181
	v_mul_f32_e32 v183, v182, v181
	v_fma_f32 v184, -v180, v183, v182
	v_fmac_f32_e32 v183, v184, v181
	v_fma_f32 v180, -v180, v183, v182
	v_div_fmas_f32 v180, v180, v181, v183
	v_div_fixup_f32 v179, v180, v179, 1.0
	ds_write_b32 v138, v179
.LBB89_218:
	s_or_b64 exec, exec, s[2:3]
	s_waitcnt lgkmcnt(0)
	s_barrier
	ds_read_b32 v179, v138
	v_cmp_lt_u32_e32 vcc, 39, v25
	s_and_saveexec_b64 s[2:3], vcc
	s_cbranch_execz .LBB89_220
; %bb.219:
	ds_read_b32 v184, v139 offset:160
	ds_read2_b32 v[180:181], v139 offset0:41 offset1:42
	ds_read2_b32 v[182:183], v139 offset0:43 offset1:44
	s_waitcnt vmcnt(5) lgkmcnt(3)
	v_mul_f32_e32 v120, v179, v120
	s_waitcnt vmcnt(4) lgkmcnt(2)
	v_fma_f32 v121, -v120, v184, v121
	s_waitcnt vmcnt(2) lgkmcnt(1)
	v_pk_fma_f32 v[134:135], v[120:121], v[180:181], v[134:135] op_sel_hi:[0,1,1] neg_lo:[1,0,0] neg_hi:[1,0,0]
	s_waitcnt vmcnt(0) lgkmcnt(0)
	v_pk_fma_f32 v[136:137], v[120:121], v[182:183], v[136:137] op_sel_hi:[0,1,1] neg_lo:[1,0,0] neg_hi:[1,0,0]
.LBB89_220:
	s_or_b64 exec, exec, s[2:3]
	v_cmp_ne_u32_e32 vcc, 40, v25
	s_waitcnt lgkmcnt(0)
	s_barrier
	s_and_saveexec_b64 s[2:3], vcc
	s_xor_b64 s[2:3], exec, s[2:3]
	s_andn2_saveexec_b64 s[2:3], s[2:3]
	s_cbranch_execz .LBB89_224
; %bb.221:
	s_waitcnt vmcnt(4)
	ds_write_b32 v138, v121
	s_waitcnt vmcnt(2)
	ds_write2_b32 v139, v134, v135 offset0:41 offset1:42
	s_waitcnt vmcnt(0)
	ds_write2_b32 v139, v136, v137 offset0:43 offset1:44
	ds_read_b32 v180, v138
	s_waitcnt lgkmcnt(0)
	v_cmp_neq_f32_e32 vcc, 0, v180
	s_and_saveexec_b64 s[4:5], vcc
	s_cbranch_execz .LBB89_223
; %bb.222:
	v_div_scale_f32 v181, s[10:11], v180, v180, 1.0
	v_rcp_f32_e32 v182, v181
	v_div_scale_f32 v183, vcc, 1.0, v180, 1.0
	v_fma_f32 v184, -v181, v182, 1.0
	v_fmac_f32_e32 v182, v184, v182
	v_mul_f32_e32 v184, v183, v182
	v_fma_f32 v185, -v181, v184, v183
	v_fmac_f32_e32 v184, v185, v182
	v_fma_f32 v181, -v181, v184, v183
	v_div_fmas_f32 v181, v181, v182, v184
	v_div_fixup_f32 v180, v181, v180, 1.0
	ds_write_b32 v138, v180
.LBB89_223:
	s_or_b64 exec, exec, s[4:5]
.LBB89_224:
	s_or_b64 exec, exec, s[2:3]
	s_waitcnt lgkmcnt(0)
	s_barrier
	ds_read_b32 v180, v138
	v_cmp_lt_u32_e32 vcc, 40, v25
	s_and_saveexec_b64 s[2:3], vcc
	s_cbranch_execz .LBB89_226
; %bb.225:
	ds_read2_b32 v[182:183], v139 offset0:41 offset1:42
	ds_read2_b32 v[184:185], v139 offset0:43 offset1:44
	s_waitcnt vmcnt(4) lgkmcnt(2)
	v_mul_f32_e32 v186, v180, v121
	v_mov_b32_e32 v121, v186
	s_waitcnt vmcnt(2) lgkmcnt(1)
	v_pk_fma_f32 v[134:135], v[186:187], v[182:183], v[134:135] op_sel_hi:[0,1,1] neg_lo:[1,0,0] neg_hi:[1,0,0]
	s_waitcnt vmcnt(0) lgkmcnt(0)
	v_pk_fma_f32 v[136:137], v[186:187], v[184:185], v[136:137] op_sel_hi:[0,1,1] neg_lo:[1,0,0] neg_hi:[1,0,0]
.LBB89_226:
	s_or_b64 exec, exec, s[2:3]
	v_cmp_eq_u32_e32 vcc, 41, v25
	s_waitcnt lgkmcnt(0)
	s_barrier
	s_and_saveexec_b64 s[2:3], vcc
	s_cbranch_execz .LBB89_229
; %bb.227:
	s_waitcnt vmcnt(0)
	v_pk_mov_b32 v[182:183], v[134:135], v[136:137] op_sel:[1,0]
	ds_write_b32 v138, v134
	ds_write2_b32 v139, v182, v183 offset0:42 offset1:43
	ds_write_b32 v139, v137 offset:176
	ds_read_b32 v181, v138
	s_waitcnt lgkmcnt(0)
	v_cmp_neq_f32_e32 vcc, 0, v181
	s_and_b64 exec, exec, vcc
	s_cbranch_execz .LBB89_229
; %bb.228:
	v_div_scale_f32 v182, s[4:5], v181, v181, 1.0
	v_rcp_f32_e32 v183, v182
	v_div_scale_f32 v184, vcc, 1.0, v181, 1.0
	v_fma_f32 v185, -v182, v183, 1.0
	v_fmac_f32_e32 v183, v185, v183
	v_mul_f32_e32 v185, v184, v183
	v_fma_f32 v186, -v182, v185, v184
	v_fmac_f32_e32 v185, v186, v183
	v_fma_f32 v182, -v182, v185, v184
	v_div_fmas_f32 v182, v182, v183, v185
	v_div_fixup_f32 v181, v182, v181, 1.0
	ds_write_b32 v138, v181
.LBB89_229:
	s_or_b64 exec, exec, s[2:3]
	s_waitcnt lgkmcnt(0)
	s_barrier
	ds_read_b32 v181, v138
	v_cmp_lt_u32_e32 vcc, 41, v25
	s_and_saveexec_b64 s[2:3], vcc
	s_cbranch_execz .LBB89_231
; %bb.230:
	ds_read_b32 v184, v139 offset:168
	ds_read2_b32 v[182:183], v139 offset0:43 offset1:44
	s_waitcnt vmcnt(3) lgkmcnt(2)
	v_mul_f32_e32 v134, v181, v134
	s_waitcnt vmcnt(2) lgkmcnt(1)
	v_fma_f32 v135, -v134, v184, v135
	s_waitcnt vmcnt(0) lgkmcnt(0)
	v_pk_fma_f32 v[136:137], v[134:135], v[182:183], v[136:137] op_sel_hi:[0,1,1] neg_lo:[1,0,0] neg_hi:[1,0,0]
.LBB89_231:
	s_or_b64 exec, exec, s[2:3]
	v_cmp_ne_u32_e32 vcc, 42, v25
	s_waitcnt lgkmcnt(0)
	s_barrier
	s_and_saveexec_b64 s[2:3], vcc
	s_xor_b64 s[2:3], exec, s[2:3]
	s_andn2_saveexec_b64 s[2:3], s[2:3]
	s_cbranch_execz .LBB89_235
; %bb.232:
	s_waitcnt vmcnt(2)
	ds_write_b32 v138, v135
	s_waitcnt vmcnt(0)
	ds_write2_b32 v139, v136, v137 offset0:43 offset1:44
	ds_read_b32 v182, v138
	s_waitcnt lgkmcnt(0)
	v_cmp_neq_f32_e32 vcc, 0, v182
	s_and_saveexec_b64 s[4:5], vcc
	s_cbranch_execz .LBB89_234
; %bb.233:
	v_div_scale_f32 v183, s[10:11], v182, v182, 1.0
	v_rcp_f32_e32 v184, v183
	v_div_scale_f32 v185, vcc, 1.0, v182, 1.0
	v_fma_f32 v186, -v183, v184, 1.0
	v_fmac_f32_e32 v184, v186, v184
	v_mul_f32_e32 v186, v185, v184
	v_fma_f32 v187, -v183, v186, v185
	v_fmac_f32_e32 v186, v187, v184
	v_fma_f32 v183, -v183, v186, v185
	v_div_fmas_f32 v183, v183, v184, v186
	v_div_fixup_f32 v182, v183, v182, 1.0
	ds_write_b32 v138, v182
.LBB89_234:
	s_or_b64 exec, exec, s[4:5]
.LBB89_235:
	s_or_b64 exec, exec, s[2:3]
	s_waitcnt lgkmcnt(0)
	s_barrier
	ds_read_b32 v182, v138
	v_cmp_lt_u32_e32 vcc, 42, v25
	s_and_saveexec_b64 s[2:3], vcc
	s_cbranch_execz .LBB89_237
; %bb.236:
	ds_read2_b32 v[184:185], v139 offset0:43 offset1:44
	s_waitcnt vmcnt(2) lgkmcnt(1)
	v_mul_f32_e32 v186, v182, v135
	v_mov_b32_e32 v135, v186
	s_waitcnt vmcnt(0) lgkmcnt(0)
	v_pk_fma_f32 v[136:137], v[186:187], v[184:185], v[136:137] op_sel_hi:[0,1,1] neg_lo:[1,0,0] neg_hi:[1,0,0]
.LBB89_237:
	s_or_b64 exec, exec, s[2:3]
	v_cmp_eq_u32_e32 vcc, 43, v25
	s_waitcnt lgkmcnt(0)
	s_barrier
	s_and_saveexec_b64 s[2:3], vcc
	s_cbranch_execz .LBB89_240
; %bb.238:
	s_waitcnt vmcnt(1)
	ds_write_b32 v138, v136
	s_waitcnt vmcnt(0)
	ds_write_b32 v139, v137 offset:176
	ds_read_b32 v183, v138
	s_waitcnt lgkmcnt(0)
	v_cmp_neq_f32_e32 vcc, 0, v183
	s_and_b64 exec, exec, vcc
	s_cbranch_execz .LBB89_240
; %bb.239:
	v_div_scale_f32 v184, s[4:5], v183, v183, 1.0
	v_rcp_f32_e32 v185, v184
	v_div_scale_f32 v186, vcc, 1.0, v183, 1.0
	v_fma_f32 v187, -v184, v185, 1.0
	v_fmac_f32_e32 v185, v187, v185
	v_mul_f32_e32 v187, v186, v185
	v_fma_f32 v188, -v184, v187, v186
	v_fmac_f32_e32 v187, v188, v185
	v_fma_f32 v184, -v184, v187, v186
	v_div_fmas_f32 v184, v184, v185, v187
	v_div_fixup_f32 v183, v184, v183, 1.0
	ds_write_b32 v138, v183
.LBB89_240:
	s_or_b64 exec, exec, s[2:3]
	s_waitcnt lgkmcnt(0)
	s_barrier
	ds_read_b32 v183, v138
	v_cmp_lt_u32_e32 vcc, 43, v25
	s_and_saveexec_b64 s[2:3], vcc
	s_cbranch_execz .LBB89_242
; %bb.241:
	ds_read_b32 v139, v139 offset:176
	s_waitcnt vmcnt(1) lgkmcnt(1)
	v_mul_f32_e32 v136, v183, v136
	s_waitcnt vmcnt(0) lgkmcnt(0)
	v_fma_f32 v137, -v136, v139, v137
.LBB89_242:
	s_or_b64 exec, exec, s[2:3]
	v_cmp_ne_u32_e32 vcc, 44, v25
	s_waitcnt lgkmcnt(0)
	s_barrier
	s_and_saveexec_b64 s[2:3], vcc
	s_xor_b64 s[2:3], exec, s[2:3]
	s_andn2_saveexec_b64 s[2:3], s[2:3]
	s_cbranch_execz .LBB89_246
; %bb.243:
	s_waitcnt vmcnt(0)
	v_cmp_neq_f32_e32 vcc, 0, v137
	ds_write_b32 v138, v137
	s_and_saveexec_b64 s[4:5], vcc
	s_cbranch_execz .LBB89_245
; %bb.244:
	v_div_scale_f32 v139, s[10:11], v137, v137, 1.0
	v_rcp_f32_e32 v184, v139
	v_div_scale_f32 v185, vcc, 1.0, v137, 1.0
	v_fma_f32 v186, -v139, v184, 1.0
	v_fmac_f32_e32 v184, v186, v184
	v_mul_f32_e32 v186, v185, v184
	v_fma_f32 v187, -v139, v186, v185
	v_fmac_f32_e32 v186, v187, v184
	v_fma_f32 v139, -v139, v186, v185
	v_div_fmas_f32 v139, v139, v184, v186
	v_div_fixup_f32 v139, v139, v137, 1.0
	ds_write_b32 v138, v139
.LBB89_245:
	s_or_b64 exec, exec, s[4:5]
.LBB89_246:
	s_or_b64 exec, exec, s[2:3]
	s_waitcnt lgkmcnt(0)
	s_barrier
	ds_read_b32 v138, v138
	s_waitcnt lgkmcnt(0)
	s_barrier
	s_and_saveexec_b64 s[2:3], s[0:1]
	s_cbranch_execz .LBB89_249
; %bb.247:
	v_cmp_eq_f32_e32 vcc, 0, v140
	v_cmp_neq_f32_e64 s[0:1], 0, v141
	v_mov_b32_e32 v140, s6
	v_cndmask_b32_e64 v139, 0, 1, vcc
	s_or_b64 vcc, s[0:1], vcc
	v_cndmask_b32_e32 v139, 2, v139, vcc
	v_cmp_eq_f32_e32 vcc, 0, v142
	v_cmp_eq_u32_e64 s[0:1], 0, v139
	s_and_b64 s[0:1], vcc, s[0:1]
	v_cmp_eq_f32_e32 vcc, 0, v143
	v_cndmask_b32_e64 v139, v139, 3, s[0:1]
	v_cmp_eq_u32_e64 s[0:1], 0, v139
	s_and_b64 s[0:1], vcc, s[0:1]
	v_cmp_eq_f32_e32 vcc, 0, v144
	v_cndmask_b32_e64 v139, v139, 4, s[0:1]
	;; [unrolled: 4-line block ×15, first 2 shown]
	v_cmp_eq_u32_e64 s[0:1], 0, v139
	s_and_b64 s[0:1], vcc, s[0:1]
	v_mov_b32_e32 v141, s7
	v_cndmask_b32_e64 v139, v139, 18, s[0:1]
	v_cmp_eq_f32_e32 vcc, 0, v158
	v_cmp_eq_u32_e64 s[0:1], 0, v139
	v_lshl_add_u64 v[34:35], v[34:35], 2, v[140:141]
	s_and_b64 s[0:1], vcc, s[0:1]
	global_load_dword v140, v[34:35], off
	v_cndmask_b32_e64 v139, v139, 19, s[0:1]
	v_cmp_eq_f32_e32 vcc, 0, v159
	v_cmp_eq_u32_e64 s[0:1], 0, v139
	s_and_b64 s[0:1], vcc, s[0:1]
	v_cmp_eq_f32_e32 vcc, 0, v160
	v_cndmask_b32_e64 v139, v139, 20, s[0:1]
	v_cmp_eq_u32_e64 s[0:1], 0, v139
	s_and_b64 s[0:1], vcc, s[0:1]
	v_cmp_eq_f32_e32 vcc, 0, v161
	v_cndmask_b32_e64 v139, v139, 21, s[0:1]
	;; [unrolled: 4-line block ×25, first 2 shown]
	v_cmp_eq_u32_e64 s[0:1], 0, v139
	s_and_b64 s[0:1], vcc, s[0:1]
	s_waitcnt vmcnt(0)
	v_cmp_eq_u32_e32 vcc, 0, v140
	v_cndmask_b32_e64 v139, v139, 45, s[0:1]
	v_cmp_ne_u32_e64 s[0:1], 0, v139
	s_and_b64 s[0:1], vcc, s[0:1]
	s_and_b64 exec, exec, s[0:1]
	s_cbranch_execz .LBB89_249
; %bb.248:
	v_add_u32_e32 v139, s9, v139
	global_store_dword v[34:35], v139, off
.LBB89_249:
	s_or_b64 exec, exec, s[2:3]
	s_waitcnt vmcnt(0)
	v_mul_f32_e32 v34, v138, v137
	v_cmp_lt_u32_e32 vcc, 44, v25
	s_nop 1
	v_cndmask_b32_e32 v25, v137, v34, vcc
	global_store_dword v[0:1], v24, off
	global_store_dword v[2:3], v18, off
	;; [unrolled: 1-line block ×45, first 2 shown]
.LBB89_250:
	s_endpgm
	.section	.rodata,"a",@progbits
	.p2align	6, 0x0
	.amdhsa_kernel _ZN9rocsolver6v33100L23getf2_npvt_small_kernelILi45EfiiPfEEvT1_T3_lS3_lPT2_S3_S3_
		.amdhsa_group_segment_fixed_size 0
		.amdhsa_private_segment_fixed_size 0
		.amdhsa_kernarg_size 312
		.amdhsa_user_sgpr_count 2
		.amdhsa_user_sgpr_dispatch_ptr 0
		.amdhsa_user_sgpr_queue_ptr 0
		.amdhsa_user_sgpr_kernarg_segment_ptr 1
		.amdhsa_user_sgpr_dispatch_id 0
		.amdhsa_user_sgpr_kernarg_preload_length 0
		.amdhsa_user_sgpr_kernarg_preload_offset 0
		.amdhsa_user_sgpr_private_segment_size 0
		.amdhsa_uses_dynamic_stack 0
		.amdhsa_enable_private_segment 0
		.amdhsa_system_sgpr_workgroup_id_x 1
		.amdhsa_system_sgpr_workgroup_id_y 1
		.amdhsa_system_sgpr_workgroup_id_z 0
		.amdhsa_system_sgpr_workgroup_info 0
		.amdhsa_system_vgpr_workitem_id 1
		.amdhsa_next_free_vgpr 189
		.amdhsa_next_free_sgpr 16
		.amdhsa_accum_offset 192
		.amdhsa_reserve_vcc 1
		.amdhsa_float_round_mode_32 0
		.amdhsa_float_round_mode_16_64 0
		.amdhsa_float_denorm_mode_32 3
		.amdhsa_float_denorm_mode_16_64 3
		.amdhsa_dx10_clamp 1
		.amdhsa_ieee_mode 1
		.amdhsa_fp16_overflow 0
		.amdhsa_tg_split 0
		.amdhsa_exception_fp_ieee_invalid_op 0
		.amdhsa_exception_fp_denorm_src 0
		.amdhsa_exception_fp_ieee_div_zero 0
		.amdhsa_exception_fp_ieee_overflow 0
		.amdhsa_exception_fp_ieee_underflow 0
		.amdhsa_exception_fp_ieee_inexact 0
		.amdhsa_exception_int_div_zero 0
	.end_amdhsa_kernel
	.section	.text._ZN9rocsolver6v33100L23getf2_npvt_small_kernelILi45EfiiPfEEvT1_T3_lS3_lPT2_S3_S3_,"axG",@progbits,_ZN9rocsolver6v33100L23getf2_npvt_small_kernelILi45EfiiPfEEvT1_T3_lS3_lPT2_S3_S3_,comdat
.Lfunc_end89:
	.size	_ZN9rocsolver6v33100L23getf2_npvt_small_kernelILi45EfiiPfEEvT1_T3_lS3_lPT2_S3_S3_, .Lfunc_end89-_ZN9rocsolver6v33100L23getf2_npvt_small_kernelILi45EfiiPfEEvT1_T3_lS3_lPT2_S3_S3_
                                        ; -- End function
	.set _ZN9rocsolver6v33100L23getf2_npvt_small_kernelILi45EfiiPfEEvT1_T3_lS3_lPT2_S3_S3_.num_vgpr, 189
	.set _ZN9rocsolver6v33100L23getf2_npvt_small_kernelILi45EfiiPfEEvT1_T3_lS3_lPT2_S3_S3_.num_agpr, 0
	.set _ZN9rocsolver6v33100L23getf2_npvt_small_kernelILi45EfiiPfEEvT1_T3_lS3_lPT2_S3_S3_.numbered_sgpr, 16
	.set _ZN9rocsolver6v33100L23getf2_npvt_small_kernelILi45EfiiPfEEvT1_T3_lS3_lPT2_S3_S3_.num_named_barrier, 0
	.set _ZN9rocsolver6v33100L23getf2_npvt_small_kernelILi45EfiiPfEEvT1_T3_lS3_lPT2_S3_S3_.private_seg_size, 0
	.set _ZN9rocsolver6v33100L23getf2_npvt_small_kernelILi45EfiiPfEEvT1_T3_lS3_lPT2_S3_S3_.uses_vcc, 1
	.set _ZN9rocsolver6v33100L23getf2_npvt_small_kernelILi45EfiiPfEEvT1_T3_lS3_lPT2_S3_S3_.uses_flat_scratch, 0
	.set _ZN9rocsolver6v33100L23getf2_npvt_small_kernelILi45EfiiPfEEvT1_T3_lS3_lPT2_S3_S3_.has_dyn_sized_stack, 0
	.set _ZN9rocsolver6v33100L23getf2_npvt_small_kernelILi45EfiiPfEEvT1_T3_lS3_lPT2_S3_S3_.has_recursion, 0
	.set _ZN9rocsolver6v33100L23getf2_npvt_small_kernelILi45EfiiPfEEvT1_T3_lS3_lPT2_S3_S3_.has_indirect_call, 0
	.section	.AMDGPU.csdata,"",@progbits
; Kernel info:
; codeLenInByte = 29072
; TotalNumSgprs: 22
; NumVgprs: 189
; NumAgprs: 0
; TotalNumVgprs: 189
; ScratchSize: 0
; MemoryBound: 0
; FloatMode: 240
; IeeeMode: 1
; LDSByteSize: 0 bytes/workgroup (compile time only)
; SGPRBlocks: 2
; VGPRBlocks: 23
; NumSGPRsForWavesPerEU: 22
; NumVGPRsForWavesPerEU: 189
; AccumOffset: 192
; Occupancy: 2
; WaveLimiterHint : 0
; COMPUTE_PGM_RSRC2:SCRATCH_EN: 0
; COMPUTE_PGM_RSRC2:USER_SGPR: 2
; COMPUTE_PGM_RSRC2:TRAP_HANDLER: 0
; COMPUTE_PGM_RSRC2:TGID_X_EN: 1
; COMPUTE_PGM_RSRC2:TGID_Y_EN: 1
; COMPUTE_PGM_RSRC2:TGID_Z_EN: 0
; COMPUTE_PGM_RSRC2:TIDIG_COMP_CNT: 1
; COMPUTE_PGM_RSRC3_GFX90A:ACCUM_OFFSET: 47
; COMPUTE_PGM_RSRC3_GFX90A:TG_SPLIT: 0
	.section	.text._ZN9rocsolver6v33100L18getf2_small_kernelILi46EfiiPfEEvT1_T3_lS3_lPS3_llPT2_S3_S3_S5_l,"axG",@progbits,_ZN9rocsolver6v33100L18getf2_small_kernelILi46EfiiPfEEvT1_T3_lS3_lPS3_llPT2_S3_S3_S5_l,comdat
	.globl	_ZN9rocsolver6v33100L18getf2_small_kernelILi46EfiiPfEEvT1_T3_lS3_lPS3_llPT2_S3_S3_S5_l ; -- Begin function _ZN9rocsolver6v33100L18getf2_small_kernelILi46EfiiPfEEvT1_T3_lS3_lPS3_llPT2_S3_S3_S5_l
	.p2align	8
	.type	_ZN9rocsolver6v33100L18getf2_small_kernelILi46EfiiPfEEvT1_T3_lS3_lPS3_llPT2_S3_S3_S5_l,@function
_ZN9rocsolver6v33100L18getf2_small_kernelILi46EfiiPfEEvT1_T3_lS3_lPS3_llPT2_S3_S3_S5_l: ; @_ZN9rocsolver6v33100L18getf2_small_kernelILi46EfiiPfEEvT1_T3_lS3_lPS3_llPT2_S3_S3_S5_l
; %bb.0:
	s_load_dword s2, s[0:1], 0x6c
	s_load_dwordx2 s[14:15], s[0:1], 0x48
	v_bfe_u32 v17, v0, 10, 10
	s_waitcnt lgkmcnt(0)
	s_lshr_b32 s2, s2, 16
	s_mul_i32 s3, s3, s2
	v_add_u32_e32 v4, s3, v17
	v_cmp_gt_i32_e32 vcc, s14, v4
	s_and_saveexec_b64 s[2:3], vcc
	s_cbranch_execz .LBB90_779
; %bb.1:
	s_load_dwordx4 s[4:7], s[0:1], 0x50
	v_ashrrev_i32_e32 v5, 31, v4
	v_mov_b64_e32 v[20:21], 0
	s_waitcnt lgkmcnt(0)
	s_cmp_eq_u64 s[4:5], 0
	s_cselect_b64 s[16:17], -1, 0
	s_and_b64 vcc, exec, s[16:17]
	s_cbranch_vccnz .LBB90_3
; %bb.2:
	v_mul_lo_u32 v1, s7, v4
	v_mul_lo_u32 v6, s6, v5
	v_mad_u64_u32 v[2:3], s[2:3], s6, v4, 0
	v_add3_u32 v3, v3, v6, v1
	v_lshl_add_u64 v[20:21], v[2:3], 2, s[4:5]
.LBB90_3:
	s_load_dwordx4 s[20:23], s[0:1], 0x8
	s_load_dwordx8 s[4:11], s[0:1], 0x20
	s_load_dword s12, s[0:1], 0x18
	v_and_b32_e32 v19, 0x3ff, v0
	v_lshlrev_b32_e32 v54, 2, v19
	s_waitcnt lgkmcnt(0)
	v_mov_b32_e32 v2, s20
	v_mul_lo_u32 v1, s5, v4
	v_mul_lo_u32 v8, s4, v5
	v_mad_u64_u32 v[6:7], s[2:3], s4, v4, 0
	v_mov_b32_e32 v3, s21
	v_add3_u32 v7, v7, v8, v1
	s_add_i32 s14, s12, s12
	v_lshl_add_u64 v[2:3], v[6:7], 2, v[2:3]
	v_add_u32_e32 v0, s14, v19
	v_lshl_add_u64 v[2:3], s[22:23], 2, v[2:3]
	v_ashrrev_i32_e32 v1, 31, v0
	v_lshl_add_u64 v[14:15], v[0:1], 2, v[2:3]
	v_add_u32_e32 v0, s12, v0
	v_ashrrev_i32_e32 v1, 31, v0
	v_lshl_add_u64 v[22:23], v[0:1], 2, v[2:3]
	v_add_u32_e32 v0, s12, v0
	v_ashrrev_i32_e32 v1, 31, v0
	v_lshl_add_u64 v[24:25], v[0:1], 2, v[2:3]
	v_add_u32_e32 v0, s12, v0
	v_ashrrev_i32_e32 v1, 31, v0
	v_lshl_add_u64 v[26:27], v[0:1], 2, v[2:3]
	v_add_u32_e32 v0, s12, v0
	v_mov_b32_e32 v55, 0
	v_add_u32_e32 v30, s12, v0
	v_lshl_add_u64 v[8:9], v[2:3], 0, v[54:55]
	s_ashr_i32 s13, s12, 31
	v_ashrrev_i32_e32 v1, 31, v0
	v_ashrrev_i32_e32 v31, 31, v30
	v_lshl_add_u64 v[12:13], s[12:13], 2, v[8:9]
	v_lshl_add_u64 v[28:29], v[0:1], 2, v[2:3]
	v_lshl_add_u64 v[32:33], v[30:31], 2, v[2:3]
	global_load_dword v18, v[8:9], off
	global_load_dword v16, v[12:13], off
	global_load_dword v10, v[14:15], off
	global_load_dword v11, v[22:23], off
	global_load_dword v6, v[24:25], off
	global_load_dword v7, v[26:27], off
	global_load_dword v0, v[28:29], off
	global_load_dword v1, v[32:33], off
	v_add_u32_e32 v8, s12, v30
	v_ashrrev_i32_e32 v9, 31, v8
	v_lshl_add_u64 v[14:15], v[8:9], 2, v[2:3]
	v_add_u32_e32 v8, s12, v8
	v_ashrrev_i32_e32 v9, 31, v8
	v_lshl_add_u64 v[24:25], v[8:9], 2, v[2:3]
	v_add_u32_e32 v8, s12, v8
	v_ashrrev_i32_e32 v9, 31, v8
	v_lshl_add_u64 v[26:27], v[8:9], 2, v[2:3]
	v_add_u32_e32 v8, s12, v8
	v_ashrrev_i32_e32 v9, 31, v8
	v_lshl_add_u64 v[30:31], v[8:9], 2, v[2:3]
	v_add_u32_e32 v8, s12, v8
	v_ashrrev_i32_e32 v9, 31, v8
	v_lshl_add_u64 v[32:33], v[8:9], 2, v[2:3]
	v_add_u32_e32 v8, s12, v8
	v_ashrrev_i32_e32 v9, 31, v8
	v_lshl_add_u64 v[34:35], v[8:9], 2, v[2:3]
	v_add_u32_e32 v8, s12, v8
	v_add_u32_e32 v38, s12, v8
	v_ashrrev_i32_e32 v9, 31, v8
	v_ashrrev_i32_e32 v39, 31, v38
	v_lshl_add_u64 v[36:37], v[8:9], 2, v[2:3]
	v_lshl_add_u64 v[40:41], v[38:39], 2, v[2:3]
	global_load_dword v28, v[14:15], off
	global_load_dword v29, v[24:25], off
	global_load_dword v22, v[26:27], off
	global_load_dword v23, v[30:31], off
	global_load_dword v12, v[32:33], off
	global_load_dword v13, v[34:35], off
	global_load_dword v8, v[36:37], off
	global_load_dword v9, v[40:41], off
	v_add_u32_e32 v14, s12, v38
	v_ashrrev_i32_e32 v15, 31, v14
	v_lshl_add_u64 v[26:27], v[14:15], 2, v[2:3]
	v_add_u32_e32 v14, s12, v14
	v_ashrrev_i32_e32 v15, 31, v14
	v_lshl_add_u64 v[32:33], v[14:15], 2, v[2:3]
	v_add_u32_e32 v14, s12, v14
	v_ashrrev_i32_e32 v15, 31, v14
	v_lshl_add_u64 v[36:37], v[14:15], 2, v[2:3]
	v_add_u32_e32 v14, s12, v14
	v_ashrrev_i32_e32 v15, 31, v14
	v_lshl_add_u64 v[38:39], v[14:15], 2, v[2:3]
	v_add_u32_e32 v14, s12, v14
	v_ashrrev_i32_e32 v15, 31, v14
	v_lshl_add_u64 v[40:41], v[14:15], 2, v[2:3]
	v_add_u32_e32 v14, s12, v14
	v_ashrrev_i32_e32 v15, 31, v14
	v_lshl_add_u64 v[42:43], v[14:15], 2, v[2:3]
	v_add_u32_e32 v14, s12, v14
	v_add_u32_e32 v46, s12, v14
	v_ashrrev_i32_e32 v15, 31, v14
	v_ashrrev_i32_e32 v47, 31, v46
	v_lshl_add_u64 v[44:45], v[14:15], 2, v[2:3]
	v_lshl_add_u64 v[48:49], v[46:47], 2, v[2:3]
	;; [unrolled: 32-line block ×4, first 2 shown]
	global_load_dword v52, v[40:41], off
	global_load_dword v53, v[48:49], off
	;; [unrolled: 1-line block ×5, first 2 shown]
                                        ; kill: killed $vgpr48_vgpr49
                                        ; kill: killed $vgpr50_vgpr51
                                        ; kill: killed $vgpr56_vgpr57
                                        ; kill: killed $vgpr58_vgpr59
                                        ; kill: killed $vgpr40_vgpr41
	global_load_dword v43, v[60:61], off
	global_load_dword v38, v[62:63], off
	;; [unrolled: 1-line block ×3, first 2 shown]
	v_add_u32_e32 v40, s12, v64
	v_ashrrev_i32_e32 v41, 31, v40
	v_add_u32_e32 v50, s12, v40
	v_lshl_add_u64 v[48:49], v[40:41], 2, v[2:3]
	v_ashrrev_i32_e32 v51, 31, v50
	v_lshl_add_u64 v[56:57], v[50:51], 2, v[2:3]
	global_load_dword v40, v[48:49], off
	global_load_dword v41, v[56:57], off
	v_add_u32_e32 v48, s12, v50
	v_ashrrev_i32_e32 v49, 31, v48
	v_lshl_add_u64 v[56:57], v[48:49], 2, v[2:3]
	v_add_u32_e32 v48, s12, v48
	v_ashrrev_i32_e32 v49, 31, v48
	v_lshl_add_u64 v[58:59], v[48:49], 2, v[2:3]
	;; [unrolled: 3-line block ×4, first 2 shown]
	global_load_dword v50, v[56:57], off
	global_load_dword v51, v[58:59], off
	;; [unrolled: 1-line block ×4, first 2 shown]
	s_load_dword s22, s[0:1], 0x0
	s_load_dwordx2 s[4:5], s[0:1], 0x40
	s_waitcnt lgkmcnt(0)
	s_max_i32 s0, s22, 46
	v_mul_lo_u32 v56, s0, v17
	v_lshl_add_u32 v17, v56, 2, 0
	v_add_u32_e32 v54, v17, v54
	s_waitcnt vmcnt(45)
	ds_write_b32 v54, v18
	s_waitcnt lgkmcnt(0)
	s_barrier
	ds_read_b32 v54, v17
	s_cmp_lt_i32 s22, 2
	v_lshlrev_b32_e32 v56, 2, v56
	s_cbranch_scc1 .LBB90_6
; %bb.4:
	v_add3_u32 v57, v56, 0, 4
	v_mov_b32_e32 v55, 0
	s_mov_b32 s0, 1
.LBB90_5:                               ; =>This Inner Loop Header: Depth=1
	ds_read_b32 v58, v57
	v_mov_b32_e32 v59, s0
	s_add_i32 s0, s0, 1
	v_add_u32_e32 v57, 4, v57
	s_cmp_eq_u32 s22, s0
	s_waitcnt lgkmcnt(0)
	v_cmp_lt_f32_e64 vcc, |v54|, |v58|
	s_nop 1
	v_cndmask_b32_e32 v54, v54, v58, vcc
	v_cndmask_b32_e32 v55, v55, v59, vcc
	s_cbranch_scc0 .LBB90_5
.LBB90_6:
	v_cmp_ne_u32_e32 vcc, v19, v55
                                        ; implicit-def: $vgpr57
	s_and_saveexec_b64 s[0:1], vcc
	s_xor_b64 s[0:1], exec, s[0:1]
	s_cbranch_execz .LBB90_12
; %bb.7:
	v_cmp_eq_u32_e32 vcc, 0, v19
	s_and_saveexec_b64 s[2:3], vcc
	s_cbranch_execz .LBB90_11
; %bb.8:
	v_cmp_ne_u32_e32 vcc, 0, v55
	s_xor_b64 s[18:19], s[16:17], -1
	s_and_b64 s[20:21], s[18:19], vcc
	s_and_saveexec_b64 s[18:19], s[20:21]
	s_cbranch_execz .LBB90_10
; %bb.9:
	v_ashrrev_i32_e32 v59, 31, v55
	v_mov_b32_e32 v58, v55
	v_lshl_add_u64 v[58:59], v[58:59], 2, v[20:21]
	global_load_dword v19, v[58:59], off
	global_load_dword v57, v[20:21], off
	s_waitcnt vmcnt(1)
	global_store_dword v[20:21], v19, off
	s_waitcnt vmcnt(1)
	global_store_dword v[58:59], v57, off
.LBB90_10:
	s_or_b64 exec, exec, s[18:19]
	v_mov_b32_e32 v19, v55
.LBB90_11:
	s_or_b64 exec, exec, s[2:3]
	v_mov_b32_e32 v57, v19
                                        ; implicit-def: $vgpr19
.LBB90_12:
	s_or_saveexec_b64 s[0:1], s[0:1]
	v_mov_b32_e32 v55, v57
	s_xor_b64 exec, exec, s[0:1]
	s_cbranch_execz .LBB90_14
; %bb.13:
	v_mov_b32_e32 v57, 0
	v_mov_b32_e32 v55, v19
	s_waitcnt vmcnt(43)
	ds_write2_b32 v17, v16, v10 offset0:1 offset1:2
	s_waitcnt vmcnt(41)
	ds_write2_b32 v17, v11, v6 offset0:3 offset1:4
	;; [unrolled: 2-line block ×22, first 2 shown]
	s_waitcnt vmcnt(0)
	ds_write_b32 v17, v49 offset:180
.LBB90_14:
	s_or_b64 exec, exec, s[0:1]
	s_waitcnt lgkmcnt(0)
	v_cmp_eq_f32_e64 s[0:1], 0, v54
	v_cmp_lt_i32_e32 vcc, 0, v57
	s_barrier
	s_and_saveexec_b64 s[2:3], vcc
	s_cbranch_execz .LBB90_16
; %bb.15:
	v_div_scale_f32 v19, s[18:19], v54, v54, 1.0
	v_rcp_f32_e32 v58, v19
	s_nop 0
	v_fma_f32 v59, -v19, v58, 1.0
	v_fmac_f32_e32 v58, v59, v58
	v_div_scale_f32 v59, vcc, 1.0, v54, 1.0
	v_mul_f32_e32 v60, v59, v58
	v_fma_f32 v61, -v19, v60, v59
	v_fmac_f32_e32 v60, v61, v58
	v_fma_f32 v19, -v19, v60, v59
	v_div_fmas_f32 v19, v19, v58, v60
	v_div_fixup_f32 v19, v19, v54, 1.0
	v_cndmask_b32_e64 v19, v19, v54, s[0:1]
	v_mul_f32_e32 v18, v19, v18
	ds_read_b32 v19, v17 offset:4
	ds_read2_b32 v[58:59], v17 offset0:2 offset1:3
	s_waitcnt vmcnt(44) lgkmcnt(1)
	v_fma_f32 v16, -v18, v19, v16
	s_waitcnt vmcnt(42) lgkmcnt(0)
	v_pk_fma_f32 v[10:11], v[18:19], v[58:59], v[10:11] op_sel_hi:[0,1,1] neg_lo:[1,0,0] neg_hi:[1,0,0]
	ds_read2_b32 v[58:59], v17 offset0:4 offset1:5
	s_waitcnt vmcnt(40) lgkmcnt(0)
	v_pk_fma_f32 v[6:7], v[18:19], v[58:59], v[6:7] op_sel_hi:[0,1,1] neg_lo:[1,0,0] neg_hi:[1,0,0]
	ds_read2_b32 v[58:59], v17 offset0:6 offset1:7
	;; [unrolled: 3-line block ×21, first 2 shown]
	s_waitcnt vmcnt(0) lgkmcnt(0)
	v_pk_fma_f32 v[48:49], v[18:19], v[58:59], v[48:49] op_sel_hi:[0,1,1] neg_lo:[1,0,0] neg_hi:[1,0,0]
.LBB90_16:
	s_or_b64 exec, exec, s[2:3]
	v_lshl_add_u32 v19, v57, 2, v17
	s_barrier
	s_waitcnt vmcnt(44)
	ds_write_b32 v19, v16
	s_waitcnt lgkmcnt(0)
	s_barrier
	ds_read_b32 v19, v17 offset:4
	s_mov_b32 s2, 2
	s_cmp_lt_i32 s22, 3
	v_mov_b32_e32 v54, 1
	s_cbranch_scc1 .LBB90_19
; %bb.17:
	v_add3_u32 v58, v56, 0, 8
	v_mov_b32_e32 v54, 1
.LBB90_18:                              ; =>This Inner Loop Header: Depth=1
	ds_read_b32 v59, v58
	v_mov_b32_e32 v60, s2
	s_add_i32 s2, s2, 1
	v_add_u32_e32 v58, 4, v58
	s_cmp_lg_u32 s22, s2
	s_waitcnt lgkmcnt(0)
	v_cmp_lt_f32_e64 vcc, |v19|, |v59|
	s_nop 1
	v_cndmask_b32_e32 v19, v19, v59, vcc
	v_cndmask_b32_e32 v54, v54, v60, vcc
	s_cbranch_scc1 .LBB90_18
.LBB90_19:
	v_cmp_ne_u32_e32 vcc, v57, v54
	s_and_saveexec_b64 s[2:3], vcc
	s_xor_b64 s[2:3], exec, s[2:3]
	s_cbranch_execz .LBB90_25
; %bb.20:
	v_cmp_eq_u32_e32 vcc, 1, v57
	s_and_saveexec_b64 s[18:19], vcc
	s_cbranch_execz .LBB90_24
; %bb.21:
	v_cmp_ne_u32_e32 vcc, 1, v54
	s_xor_b64 s[20:21], s[16:17], -1
	s_and_b64 s[24:25], s[20:21], vcc
	s_and_saveexec_b64 s[20:21], s[24:25]
	s_cbranch_execz .LBB90_23
; %bb.22:
	v_ashrrev_i32_e32 v55, 31, v54
	v_lshl_add_u64 v[58:59], v[54:55], 2, v[20:21]
	global_load_dword v55, v[58:59], off
	global_load_dword v57, v[20:21], off offset:4
	s_waitcnt vmcnt(1)
	global_store_dword v[20:21], v55, off offset:4
	s_waitcnt vmcnt(1)
	global_store_dword v[58:59], v57, off
.LBB90_23:
	s_or_b64 exec, exec, s[20:21]
	v_mov_b32_e32 v55, v54
	v_mov_b32_e32 v57, v54
.LBB90_24:
	s_or_b64 exec, exec, s[18:19]
.LBB90_25:
	s_andn2_saveexec_b64 s[2:3], s[2:3]
	s_cbranch_execz .LBB90_27
; %bb.26:
	v_mov_b32_e32 v57, 1
	s_waitcnt vmcnt(42)
	ds_write2_b32 v17, v10, v11 offset0:2 offset1:3
	s_waitcnt vmcnt(40)
	ds_write2_b32 v17, v6, v7 offset0:4 offset1:5
	s_waitcnt vmcnt(38)
	ds_write2_b32 v17, v0, v1 offset0:6 offset1:7
	s_waitcnt vmcnt(36)
	ds_write2_b32 v17, v28, v29 offset0:8 offset1:9
	s_waitcnt vmcnt(34)
	ds_write2_b32 v17, v22, v23 offset0:10 offset1:11
	s_waitcnt vmcnt(32)
	ds_write2_b32 v17, v12, v13 offset0:12 offset1:13
	s_waitcnt vmcnt(30)
	ds_write2_b32 v17, v8, v9 offset0:14 offset1:15
	s_waitcnt vmcnt(28)
	ds_write2_b32 v17, v34, v35 offset0:16 offset1:17
	s_waitcnt vmcnt(26)
	ds_write2_b32 v17, v30, v31 offset0:18 offset1:19
	s_waitcnt vmcnt(24)
	ds_write2_b32 v17, v24, v25 offset0:20 offset1:21
	s_waitcnt vmcnt(22)
	ds_write2_b32 v17, v14, v15 offset0:22 offset1:23
	s_waitcnt vmcnt(20)
	ds_write2_b32 v17, v44, v45 offset0:24 offset1:25
	s_waitcnt vmcnt(18)
	ds_write2_b32 v17, v36, v37 offset0:26 offset1:27
	s_waitcnt vmcnt(16)
	ds_write2_b32 v17, v32, v33 offset0:28 offset1:29
	s_waitcnt vmcnt(14)
	ds_write2_b32 v17, v26, v27 offset0:30 offset1:31
	s_waitcnt vmcnt(12)
	ds_write2_b32 v17, v52, v53 offset0:32 offset1:33
	s_waitcnt vmcnt(10)
	ds_write2_b32 v17, v46, v47 offset0:34 offset1:35
	s_waitcnt vmcnt(8)
	ds_write2_b32 v17, v42, v43 offset0:36 offset1:37
	s_waitcnt vmcnt(6)
	ds_write2_b32 v17, v38, v39 offset0:38 offset1:39
	s_waitcnt vmcnt(4)
	ds_write2_b32 v17, v40, v41 offset0:40 offset1:41
	s_waitcnt vmcnt(2)
	ds_write2_b32 v17, v50, v51 offset0:42 offset1:43
	s_waitcnt vmcnt(0)
	ds_write2_b32 v17, v48, v49 offset0:44 offset1:45
.LBB90_27:
	s_or_b64 exec, exec, s[2:3]
	s_waitcnt lgkmcnt(0)
	v_cmp_neq_f32_e64 s[2:3], 0, v19
	v_cmp_lt_i32_e32 vcc, 1, v57
	s_barrier
	s_and_saveexec_b64 s[18:19], vcc
	s_cbranch_execz .LBB90_29
; %bb.28:
	v_div_scale_f32 v54, s[20:21], v19, v19, 1.0
	v_rcp_f32_e32 v58, v54
	s_nop 0
	v_fma_f32 v59, -v54, v58, 1.0
	v_fmac_f32_e32 v58, v59, v58
	v_div_scale_f32 v59, vcc, 1.0, v19, 1.0
	v_mul_f32_e32 v60, v59, v58
	v_fma_f32 v61, -v54, v60, v59
	v_fmac_f32_e32 v60, v61, v58
	v_fma_f32 v54, -v54, v60, v59
	v_div_fmas_f32 v54, v54, v58, v60
	ds_read2_b32 v[58:59], v17 offset0:2 offset1:3
	v_div_fixup_f32 v54, v54, v19, 1.0
	v_cndmask_b32_e64 v19, v19, v54, s[2:3]
	v_mul_f32_e32 v16, v19, v16
	s_waitcnt vmcnt(42) lgkmcnt(0)
	v_pk_fma_f32 v[10:11], v[16:17], v[58:59], v[10:11] op_sel_hi:[0,1,1] neg_lo:[1,0,0] neg_hi:[1,0,0]
	ds_read2_b32 v[58:59], v17 offset0:4 offset1:5
	s_waitcnt vmcnt(40) lgkmcnt(0)
	v_pk_fma_f32 v[6:7], v[16:17], v[58:59], v[6:7] op_sel_hi:[0,1,1] neg_lo:[1,0,0] neg_hi:[1,0,0]
	ds_read2_b32 v[58:59], v17 offset0:6 offset1:7
	;; [unrolled: 3-line block ×21, first 2 shown]
	s_waitcnt vmcnt(0) lgkmcnt(0)
	v_pk_fma_f32 v[48:49], v[16:17], v[58:59], v[48:49] op_sel_hi:[0,1,1] neg_lo:[1,0,0] neg_hi:[1,0,0]
.LBB90_29:
	s_or_b64 exec, exec, s[18:19]
	v_lshl_add_u32 v19, v57, 2, v17
	s_barrier
	s_waitcnt vmcnt(43)
	ds_write_b32 v19, v10
	s_waitcnt lgkmcnt(0)
	s_barrier
	ds_read_b32 v58, v17 offset:8
	s_cmp_lt_i32 s22, 4
	v_mov_b32_e32 v54, 2
	s_cbranch_scc1 .LBB90_32
; %bb.30:
	v_mov_b32_e32 v54, 2
	v_add3_u32 v19, v56, 0, 12
	s_mov_b32 s18, 3
.LBB90_31:                              ; =>This Inner Loop Header: Depth=1
	ds_read_b32 v59, v19
	v_mov_b32_e32 v60, s18
	s_add_i32 s18, s18, 1
	v_add_u32_e32 v19, 4, v19
	s_cmp_lg_u32 s22, s18
	s_waitcnt lgkmcnt(0)
	v_cmp_lt_f32_e64 vcc, |v58|, |v59|
	s_nop 1
	v_cndmask_b32_e32 v58, v58, v59, vcc
	v_cndmask_b32_e32 v54, v54, v60, vcc
	s_cbranch_scc1 .LBB90_31
.LBB90_32:
	v_cndmask_b32_e64 v19, 2, 1, s[0:1]
	v_cndmask_b32_e64 v59, 0, 1, s[0:1]
	;; [unrolled: 1-line block ×3, first 2 shown]
	s_waitcnt lgkmcnt(0)
	v_cmp_eq_f32_e32 vcc, 0, v58
	s_and_saveexec_b64 s[0:1], vcc
	s_xor_b64 s[0:1], exec, s[0:1]
; %bb.33:
	v_cmp_ne_u32_e32 vcc, 0, v19
	s_nop 1
	v_cndmask_b32_e32 v19, 3, v19, vcc
; %bb.34:
	s_andn2_saveexec_b64 s[0:1], s[0:1]
	s_cbranch_execz .LBB90_36
; %bb.35:
	v_div_scale_f32 v59, s[2:3], v58, v58, 1.0
	v_rcp_f32_e32 v60, v59
	v_div_scale_f32 v61, vcc, 1.0, v58, 1.0
	v_fma_f32 v62, -v59, v60, 1.0
	v_fmac_f32_e32 v60, v62, v60
	v_mul_f32_e32 v62, v61, v60
	v_fma_f32 v63, -v59, v62, v61
	v_fmac_f32_e32 v62, v63, v60
	v_fma_f32 v59, -v59, v62, v61
	v_div_fmas_f32 v59, v59, v60, v62
	v_div_fixup_f32 v58, v59, v58, 1.0
.LBB90_36:
	s_or_b64 exec, exec, s[0:1]
	v_cmp_ne_u32_e32 vcc, v57, v54
	s_and_saveexec_b64 s[0:1], vcc
	s_xor_b64 s[0:1], exec, s[0:1]
	s_cbranch_execz .LBB90_42
; %bb.37:
	v_cmp_eq_u32_e32 vcc, 2, v57
	s_and_saveexec_b64 s[2:3], vcc
	s_cbranch_execz .LBB90_41
; %bb.38:
	v_cmp_ne_u32_e32 vcc, 2, v54
	s_xor_b64 s[18:19], s[16:17], -1
	s_and_b64 s[20:21], s[18:19], vcc
	s_and_saveexec_b64 s[18:19], s[20:21]
	s_cbranch_execz .LBB90_40
; %bb.39:
	v_ashrrev_i32_e32 v55, 31, v54
	v_lshl_add_u64 v[60:61], v[54:55], 2, v[20:21]
	global_load_dword v55, v[60:61], off
	global_load_dword v57, v[20:21], off offset:8
	s_waitcnt vmcnt(1)
	global_store_dword v[20:21], v55, off offset:8
	s_waitcnt vmcnt(1)
	global_store_dword v[60:61], v57, off
.LBB90_40:
	s_or_b64 exec, exec, s[18:19]
	v_mov_b32_e32 v55, v54
	v_mov_b32_e32 v57, v54
.LBB90_41:
	s_or_b64 exec, exec, s[2:3]
.LBB90_42:
	s_andn2_saveexec_b64 s[0:1], s[0:1]
	s_cbranch_execz .LBB90_44
; %bb.43:
	s_waitcnt vmcnt(40)
	v_pk_mov_b32 v[60:61], v[10:11], v[6:7] op_sel:[1,0]
	ds_write2_b32 v17, v60, v61 offset0:3 offset1:4
	s_waitcnt vmcnt(38)
	v_pk_mov_b32 v[60:61], v[6:7], v[0:1] op_sel:[1,0]
	ds_write2_b32 v17, v60, v61 offset0:5 offset1:6
	;; [unrolled: 3-line block ×20, first 2 shown]
	s_waitcnt vmcnt(0)
	v_pk_mov_b32 v[60:61], v[50:51], v[48:49] op_sel:[1,0]
	v_mov_b32_e32 v57, 2
	ds_write2_b32 v17, v60, v61 offset0:43 offset1:44
	ds_write_b32 v17, v49 offset:180
.LBB90_44:
	s_or_b64 exec, exec, s[0:1]
	v_cmp_lt_i32_e32 vcc, 2, v57
	s_waitcnt lgkmcnt(0)
	s_barrier
	s_and_saveexec_b64 s[0:1], vcc
	s_cbranch_execz .LBB90_46
; %bb.45:
	ds_read_b32 v54, v17 offset:12
	v_mul_f32_e32 v10, v58, v10
	ds_read2_b32 v[58:59], v17 offset0:4 offset1:5
	s_waitcnt vmcnt(42) lgkmcnt(1)
	v_fma_f32 v11, -v10, v54, v11
	s_waitcnt vmcnt(40) lgkmcnt(0)
	v_pk_fma_f32 v[6:7], v[10:11], v[58:59], v[6:7] op_sel_hi:[0,1,1] neg_lo:[1,0,0] neg_hi:[1,0,0]
	ds_read2_b32 v[58:59], v17 offset0:6 offset1:7
	s_waitcnt vmcnt(38) lgkmcnt(0)
	v_pk_fma_f32 v[0:1], v[10:11], v[58:59], v[0:1] op_sel_hi:[0,1,1] neg_lo:[1,0,0] neg_hi:[1,0,0]
	ds_read2_b32 v[58:59], v17 offset0:8 offset1:9
	;; [unrolled: 3-line block ×20, first 2 shown]
	s_waitcnt vmcnt(0) lgkmcnt(0)
	v_pk_fma_f32 v[48:49], v[10:11], v[58:59], v[48:49] op_sel_hi:[0,1,1] neg_lo:[1,0,0] neg_hi:[1,0,0]
.LBB90_46:
	s_or_b64 exec, exec, s[0:1]
	v_lshl_add_u32 v54, v57, 2, v17
	s_barrier
	s_waitcnt vmcnt(42)
	ds_write_b32 v54, v11
	s_waitcnt lgkmcnt(0)
	s_barrier
	ds_read_b32 v58, v17 offset:12
	s_cmp_lt_i32 s22, 5
	v_mov_b32_e32 v54, 3
	s_cbranch_scc1 .LBB90_49
; %bb.47:
	v_add3_u32 v59, v56, 0, 16
	v_mov_b32_e32 v54, 3
	s_mov_b32 s0, 4
.LBB90_48:                              ; =>This Inner Loop Header: Depth=1
	ds_read_b32 v60, v59
	v_mov_b32_e32 v61, s0
	s_add_i32 s0, s0, 1
	v_add_u32_e32 v59, 4, v59
	s_cmp_lg_u32 s22, s0
	s_waitcnt lgkmcnt(0)
	v_cmp_lt_f32_e64 vcc, |v58|, |v60|
	s_nop 1
	v_cndmask_b32_e32 v58, v58, v60, vcc
	v_cndmask_b32_e32 v54, v54, v61, vcc
	s_cbranch_scc1 .LBB90_48
.LBB90_49:
	s_waitcnt lgkmcnt(0)
	v_cmp_eq_f32_e32 vcc, 0, v58
	s_and_saveexec_b64 s[0:1], vcc
	s_xor_b64 s[0:1], exec, s[0:1]
; %bb.50:
	v_cmp_ne_u32_e32 vcc, 0, v19
	s_nop 1
	v_cndmask_b32_e32 v19, 4, v19, vcc
; %bb.51:
	s_andn2_saveexec_b64 s[0:1], s[0:1]
	s_cbranch_execz .LBB90_53
; %bb.52:
	v_div_scale_f32 v59, s[2:3], v58, v58, 1.0
	v_rcp_f32_e32 v60, v59
	v_div_scale_f32 v61, vcc, 1.0, v58, 1.0
	v_fma_f32 v62, -v59, v60, 1.0
	v_fmac_f32_e32 v60, v62, v60
	v_mul_f32_e32 v62, v61, v60
	v_fma_f32 v63, -v59, v62, v61
	v_fmac_f32_e32 v62, v63, v60
	v_fma_f32 v59, -v59, v62, v61
	v_div_fmas_f32 v59, v59, v60, v62
	v_div_fixup_f32 v58, v59, v58, 1.0
.LBB90_53:
	s_or_b64 exec, exec, s[0:1]
	v_cmp_ne_u32_e32 vcc, v57, v54
	s_and_saveexec_b64 s[0:1], vcc
	s_xor_b64 s[0:1], exec, s[0:1]
	s_cbranch_execz .LBB90_59
; %bb.54:
	v_cmp_eq_u32_e32 vcc, 3, v57
	s_and_saveexec_b64 s[2:3], vcc
	s_cbranch_execz .LBB90_58
; %bb.55:
	v_cmp_ne_u32_e32 vcc, 3, v54
	s_xor_b64 s[18:19], s[16:17], -1
	s_and_b64 s[20:21], s[18:19], vcc
	s_and_saveexec_b64 s[18:19], s[20:21]
	s_cbranch_execz .LBB90_57
; %bb.56:
	v_ashrrev_i32_e32 v55, 31, v54
	v_lshl_add_u64 v[60:61], v[54:55], 2, v[20:21]
	global_load_dword v55, v[60:61], off
	global_load_dword v57, v[20:21], off offset:12
	s_waitcnt vmcnt(1)
	global_store_dword v[20:21], v55, off offset:12
	s_waitcnt vmcnt(1)
	global_store_dword v[60:61], v57, off
.LBB90_57:
	s_or_b64 exec, exec, s[18:19]
	v_mov_b32_e32 v55, v54
	v_mov_b32_e32 v57, v54
.LBB90_58:
	s_or_b64 exec, exec, s[2:3]
.LBB90_59:
	s_andn2_saveexec_b64 s[0:1], s[0:1]
	s_cbranch_execz .LBB90_61
; %bb.60:
	v_mov_b32_e32 v57, 3
	s_waitcnt vmcnt(40)
	ds_write2_b32 v17, v6, v7 offset0:4 offset1:5
	s_waitcnt vmcnt(38)
	ds_write2_b32 v17, v0, v1 offset0:6 offset1:7
	s_waitcnt vmcnt(36)
	ds_write2_b32 v17, v28, v29 offset0:8 offset1:9
	s_waitcnt vmcnt(34)
	ds_write2_b32 v17, v22, v23 offset0:10 offset1:11
	s_waitcnt vmcnt(32)
	ds_write2_b32 v17, v12, v13 offset0:12 offset1:13
	s_waitcnt vmcnt(30)
	ds_write2_b32 v17, v8, v9 offset0:14 offset1:15
	s_waitcnt vmcnt(28)
	ds_write2_b32 v17, v34, v35 offset0:16 offset1:17
	s_waitcnt vmcnt(26)
	ds_write2_b32 v17, v30, v31 offset0:18 offset1:19
	s_waitcnt vmcnt(24)
	ds_write2_b32 v17, v24, v25 offset0:20 offset1:21
	s_waitcnt vmcnt(22)
	ds_write2_b32 v17, v14, v15 offset0:22 offset1:23
	s_waitcnt vmcnt(20)
	ds_write2_b32 v17, v44, v45 offset0:24 offset1:25
	s_waitcnt vmcnt(18)
	ds_write2_b32 v17, v36, v37 offset0:26 offset1:27
	s_waitcnt vmcnt(16)
	ds_write2_b32 v17, v32, v33 offset0:28 offset1:29
	s_waitcnt vmcnt(14)
	ds_write2_b32 v17, v26, v27 offset0:30 offset1:31
	s_waitcnt vmcnt(12)
	ds_write2_b32 v17, v52, v53 offset0:32 offset1:33
	s_waitcnt vmcnt(10)
	ds_write2_b32 v17, v46, v47 offset0:34 offset1:35
	s_waitcnt vmcnt(8)
	ds_write2_b32 v17, v42, v43 offset0:36 offset1:37
	s_waitcnt vmcnt(6)
	ds_write2_b32 v17, v38, v39 offset0:38 offset1:39
	s_waitcnt vmcnt(4)
	ds_write2_b32 v17, v40, v41 offset0:40 offset1:41
	s_waitcnt vmcnt(2)
	ds_write2_b32 v17, v50, v51 offset0:42 offset1:43
	s_waitcnt vmcnt(0)
	ds_write2_b32 v17, v48, v49 offset0:44 offset1:45
.LBB90_61:
	s_or_b64 exec, exec, s[0:1]
	v_cmp_lt_i32_e32 vcc, 3, v57
	s_waitcnt lgkmcnt(0)
	s_barrier
	s_and_saveexec_b64 s[0:1], vcc
	s_cbranch_execz .LBB90_63
; %bb.62:
	v_mul_f32_e32 v54, v58, v11
	ds_read2_b32 v[58:59], v17 offset0:4 offset1:5
	v_mov_b32_e32 v11, v54
	s_waitcnt vmcnt(40) lgkmcnt(0)
	v_pk_fma_f32 v[6:7], v[54:55], v[58:59], v[6:7] op_sel_hi:[0,1,1] neg_lo:[1,0,0] neg_hi:[1,0,0]
	ds_read2_b32 v[58:59], v17 offset0:6 offset1:7
	s_waitcnt vmcnt(38) lgkmcnt(0)
	v_pk_fma_f32 v[0:1], v[54:55], v[58:59], v[0:1] op_sel_hi:[0,1,1] neg_lo:[1,0,0] neg_hi:[1,0,0]
	ds_read2_b32 v[58:59], v17 offset0:8 offset1:9
	;; [unrolled: 3-line block ×20, first 2 shown]
	s_waitcnt vmcnt(0) lgkmcnt(0)
	v_pk_fma_f32 v[48:49], v[54:55], v[58:59], v[48:49] op_sel_hi:[0,1,1] neg_lo:[1,0,0] neg_hi:[1,0,0]
.LBB90_63:
	s_or_b64 exec, exec, s[0:1]
	v_lshl_add_u32 v54, v57, 2, v17
	s_barrier
	s_waitcnt vmcnt(41)
	ds_write_b32 v54, v6
	s_waitcnt lgkmcnt(0)
	s_barrier
	ds_read_b32 v58, v17 offset:16
	s_cmp_lt_i32 s22, 6
	v_mov_b32_e32 v54, 4
	s_cbranch_scc1 .LBB90_66
; %bb.64:
	v_add3_u32 v59, v56, 0, 20
	v_mov_b32_e32 v54, 4
	s_mov_b32 s0, 5
.LBB90_65:                              ; =>This Inner Loop Header: Depth=1
	ds_read_b32 v60, v59
	v_mov_b32_e32 v61, s0
	s_add_i32 s0, s0, 1
	v_add_u32_e32 v59, 4, v59
	s_cmp_lg_u32 s22, s0
	s_waitcnt lgkmcnt(0)
	v_cmp_lt_f32_e64 vcc, |v58|, |v60|
	s_nop 1
	v_cndmask_b32_e32 v58, v58, v60, vcc
	v_cndmask_b32_e32 v54, v54, v61, vcc
	s_cbranch_scc1 .LBB90_65
.LBB90_66:
	s_waitcnt lgkmcnt(0)
	v_cmp_eq_f32_e32 vcc, 0, v58
	s_and_saveexec_b64 s[0:1], vcc
	s_xor_b64 s[0:1], exec, s[0:1]
; %bb.67:
	v_cmp_ne_u32_e32 vcc, 0, v19
	s_nop 1
	v_cndmask_b32_e32 v19, 5, v19, vcc
; %bb.68:
	s_andn2_saveexec_b64 s[0:1], s[0:1]
	s_cbranch_execz .LBB90_70
; %bb.69:
	v_div_scale_f32 v59, s[2:3], v58, v58, 1.0
	v_rcp_f32_e32 v60, v59
	v_div_scale_f32 v61, vcc, 1.0, v58, 1.0
	v_fma_f32 v62, -v59, v60, 1.0
	v_fmac_f32_e32 v60, v62, v60
	v_mul_f32_e32 v62, v61, v60
	v_fma_f32 v63, -v59, v62, v61
	v_fmac_f32_e32 v62, v63, v60
	v_fma_f32 v59, -v59, v62, v61
	v_div_fmas_f32 v59, v59, v60, v62
	v_div_fixup_f32 v58, v59, v58, 1.0
.LBB90_70:
	s_or_b64 exec, exec, s[0:1]
	v_cmp_ne_u32_e32 vcc, v57, v54
	s_and_saveexec_b64 s[0:1], vcc
	s_xor_b64 s[0:1], exec, s[0:1]
	s_cbranch_execz .LBB90_76
; %bb.71:
	v_cmp_eq_u32_e32 vcc, 4, v57
	s_and_saveexec_b64 s[2:3], vcc
	s_cbranch_execz .LBB90_75
; %bb.72:
	v_cmp_ne_u32_e32 vcc, 4, v54
	s_xor_b64 s[18:19], s[16:17], -1
	s_and_b64 s[20:21], s[18:19], vcc
	s_and_saveexec_b64 s[18:19], s[20:21]
	s_cbranch_execz .LBB90_74
; %bb.73:
	v_ashrrev_i32_e32 v55, 31, v54
	v_lshl_add_u64 v[60:61], v[54:55], 2, v[20:21]
	global_load_dword v55, v[60:61], off
	global_load_dword v57, v[20:21], off offset:16
	s_waitcnt vmcnt(1)
	global_store_dword v[20:21], v55, off offset:16
	s_waitcnt vmcnt(1)
	global_store_dword v[60:61], v57, off
.LBB90_74:
	s_or_b64 exec, exec, s[18:19]
	v_mov_b32_e32 v55, v54
	v_mov_b32_e32 v57, v54
.LBB90_75:
	s_or_b64 exec, exec, s[2:3]
.LBB90_76:
	s_andn2_saveexec_b64 s[0:1], s[0:1]
	s_cbranch_execz .LBB90_78
; %bb.77:
	s_waitcnt vmcnt(38)
	v_pk_mov_b32 v[60:61], v[6:7], v[0:1] op_sel:[1,0]
	ds_write2_b32 v17, v60, v61 offset0:5 offset1:6
	s_waitcnt vmcnt(36)
	v_pk_mov_b32 v[60:61], v[0:1], v[28:29] op_sel:[1,0]
	ds_write2_b32 v17, v60, v61 offset0:7 offset1:8
	;; [unrolled: 3-line block ×19, first 2 shown]
	s_waitcnt vmcnt(0)
	v_pk_mov_b32 v[60:61], v[50:51], v[48:49] op_sel:[1,0]
	v_mov_b32_e32 v57, 4
	ds_write2_b32 v17, v60, v61 offset0:43 offset1:44
	ds_write_b32 v17, v49 offset:180
.LBB90_78:
	s_or_b64 exec, exec, s[0:1]
	v_cmp_lt_i32_e32 vcc, 4, v57
	s_waitcnt lgkmcnt(0)
	s_barrier
	s_and_saveexec_b64 s[0:1], vcc
	s_cbranch_execz .LBB90_80
; %bb.79:
	ds_read_b32 v54, v17 offset:20
	v_mul_f32_e32 v6, v58, v6
	ds_read2_b32 v[58:59], v17 offset0:6 offset1:7
	s_waitcnt vmcnt(40) lgkmcnt(1)
	v_fma_f32 v7, -v6, v54, v7
	s_waitcnt vmcnt(38) lgkmcnt(0)
	v_pk_fma_f32 v[0:1], v[6:7], v[58:59], v[0:1] op_sel_hi:[0,1,1] neg_lo:[1,0,0] neg_hi:[1,0,0]
	ds_read2_b32 v[58:59], v17 offset0:8 offset1:9
	s_waitcnt vmcnt(36) lgkmcnt(0)
	v_pk_fma_f32 v[28:29], v[6:7], v[58:59], v[28:29] op_sel_hi:[0,1,1] neg_lo:[1,0,0] neg_hi:[1,0,0]
	ds_read2_b32 v[58:59], v17 offset0:10 offset1:11
	;; [unrolled: 3-line block ×19, first 2 shown]
	s_waitcnt vmcnt(0) lgkmcnt(0)
	v_pk_fma_f32 v[48:49], v[6:7], v[58:59], v[48:49] op_sel_hi:[0,1,1] neg_lo:[1,0,0] neg_hi:[1,0,0]
.LBB90_80:
	s_or_b64 exec, exec, s[0:1]
	v_lshl_add_u32 v54, v57, 2, v17
	s_barrier
	s_waitcnt vmcnt(40)
	ds_write_b32 v54, v7
	s_waitcnt lgkmcnt(0)
	s_barrier
	ds_read_b32 v58, v17 offset:20
	s_cmp_lt_i32 s22, 7
	v_mov_b32_e32 v54, 5
	s_cbranch_scc1 .LBB90_83
; %bb.81:
	v_add3_u32 v59, v56, 0, 24
	v_mov_b32_e32 v54, 5
	s_mov_b32 s0, 6
.LBB90_82:                              ; =>This Inner Loop Header: Depth=1
	ds_read_b32 v60, v59
	v_mov_b32_e32 v61, s0
	s_add_i32 s0, s0, 1
	v_add_u32_e32 v59, 4, v59
	s_cmp_lg_u32 s22, s0
	s_waitcnt lgkmcnt(0)
	v_cmp_lt_f32_e64 vcc, |v58|, |v60|
	s_nop 1
	v_cndmask_b32_e32 v58, v58, v60, vcc
	v_cndmask_b32_e32 v54, v54, v61, vcc
	s_cbranch_scc1 .LBB90_82
.LBB90_83:
	s_waitcnt lgkmcnt(0)
	v_cmp_eq_f32_e32 vcc, 0, v58
	s_and_saveexec_b64 s[0:1], vcc
	s_xor_b64 s[0:1], exec, s[0:1]
; %bb.84:
	v_cmp_ne_u32_e32 vcc, 0, v19
	s_nop 1
	v_cndmask_b32_e32 v19, 6, v19, vcc
; %bb.85:
	s_andn2_saveexec_b64 s[0:1], s[0:1]
	s_cbranch_execz .LBB90_87
; %bb.86:
	v_div_scale_f32 v59, s[2:3], v58, v58, 1.0
	v_rcp_f32_e32 v60, v59
	v_div_scale_f32 v61, vcc, 1.0, v58, 1.0
	v_fma_f32 v62, -v59, v60, 1.0
	v_fmac_f32_e32 v60, v62, v60
	v_mul_f32_e32 v62, v61, v60
	v_fma_f32 v63, -v59, v62, v61
	v_fmac_f32_e32 v62, v63, v60
	v_fma_f32 v59, -v59, v62, v61
	v_div_fmas_f32 v59, v59, v60, v62
	v_div_fixup_f32 v58, v59, v58, 1.0
.LBB90_87:
	s_or_b64 exec, exec, s[0:1]
	v_cmp_ne_u32_e32 vcc, v57, v54
	s_and_saveexec_b64 s[0:1], vcc
	s_xor_b64 s[0:1], exec, s[0:1]
	s_cbranch_execz .LBB90_93
; %bb.88:
	v_cmp_eq_u32_e32 vcc, 5, v57
	s_and_saveexec_b64 s[2:3], vcc
	s_cbranch_execz .LBB90_92
; %bb.89:
	v_cmp_ne_u32_e32 vcc, 5, v54
	s_xor_b64 s[18:19], s[16:17], -1
	s_and_b64 s[20:21], s[18:19], vcc
	s_and_saveexec_b64 s[18:19], s[20:21]
	s_cbranch_execz .LBB90_91
; %bb.90:
	v_ashrrev_i32_e32 v55, 31, v54
	v_lshl_add_u64 v[60:61], v[54:55], 2, v[20:21]
	global_load_dword v55, v[60:61], off
	global_load_dword v57, v[20:21], off offset:20
	s_waitcnt vmcnt(1)
	global_store_dword v[20:21], v55, off offset:20
	s_waitcnt vmcnt(1)
	global_store_dword v[60:61], v57, off
.LBB90_91:
	s_or_b64 exec, exec, s[18:19]
	v_mov_b32_e32 v55, v54
	v_mov_b32_e32 v57, v54
.LBB90_92:
	s_or_b64 exec, exec, s[2:3]
.LBB90_93:
	s_andn2_saveexec_b64 s[0:1], s[0:1]
	s_cbranch_execz .LBB90_95
; %bb.94:
	v_mov_b32_e32 v57, 5
	s_waitcnt vmcnt(38)
	ds_write2_b32 v17, v0, v1 offset0:6 offset1:7
	s_waitcnt vmcnt(36)
	ds_write2_b32 v17, v28, v29 offset0:8 offset1:9
	;; [unrolled: 2-line block ×20, first 2 shown]
.LBB90_95:
	s_or_b64 exec, exec, s[0:1]
	v_cmp_lt_i32_e32 vcc, 5, v57
	s_waitcnt lgkmcnt(0)
	s_barrier
	s_and_saveexec_b64 s[0:1], vcc
	s_cbranch_execz .LBB90_97
; %bb.96:
	v_mul_f32_e32 v54, v58, v7
	ds_read2_b32 v[58:59], v17 offset0:6 offset1:7
	v_mov_b32_e32 v7, v54
	s_waitcnt vmcnt(38) lgkmcnt(0)
	v_pk_fma_f32 v[0:1], v[54:55], v[58:59], v[0:1] op_sel_hi:[0,1,1] neg_lo:[1,0,0] neg_hi:[1,0,0]
	ds_read2_b32 v[58:59], v17 offset0:8 offset1:9
	s_waitcnt vmcnt(36) lgkmcnt(0)
	v_pk_fma_f32 v[28:29], v[54:55], v[58:59], v[28:29] op_sel_hi:[0,1,1] neg_lo:[1,0,0] neg_hi:[1,0,0]
	ds_read2_b32 v[58:59], v17 offset0:10 offset1:11
	;; [unrolled: 3-line block ×19, first 2 shown]
	s_waitcnt vmcnt(0) lgkmcnt(0)
	v_pk_fma_f32 v[48:49], v[54:55], v[58:59], v[48:49] op_sel_hi:[0,1,1] neg_lo:[1,0,0] neg_hi:[1,0,0]
.LBB90_97:
	s_or_b64 exec, exec, s[0:1]
	v_lshl_add_u32 v54, v57, 2, v17
	s_barrier
	s_waitcnt vmcnt(39)
	ds_write_b32 v54, v0
	s_waitcnt lgkmcnt(0)
	s_barrier
	ds_read_b32 v58, v17 offset:24
	s_cmp_lt_i32 s22, 8
	v_mov_b32_e32 v54, 6
	s_cbranch_scc1 .LBB90_100
; %bb.98:
	v_add3_u32 v59, v56, 0, 28
	v_mov_b32_e32 v54, 6
	s_mov_b32 s0, 7
.LBB90_99:                              ; =>This Inner Loop Header: Depth=1
	ds_read_b32 v60, v59
	v_mov_b32_e32 v61, s0
	s_add_i32 s0, s0, 1
	v_add_u32_e32 v59, 4, v59
	s_cmp_lg_u32 s22, s0
	s_waitcnt lgkmcnt(0)
	v_cmp_lt_f32_e64 vcc, |v58|, |v60|
	s_nop 1
	v_cndmask_b32_e32 v58, v58, v60, vcc
	v_cndmask_b32_e32 v54, v54, v61, vcc
	s_cbranch_scc1 .LBB90_99
.LBB90_100:
	s_waitcnt lgkmcnt(0)
	v_cmp_eq_f32_e32 vcc, 0, v58
	s_and_saveexec_b64 s[0:1], vcc
	s_xor_b64 s[0:1], exec, s[0:1]
; %bb.101:
	v_cmp_ne_u32_e32 vcc, 0, v19
	s_nop 1
	v_cndmask_b32_e32 v19, 7, v19, vcc
; %bb.102:
	s_andn2_saveexec_b64 s[0:1], s[0:1]
	s_cbranch_execz .LBB90_104
; %bb.103:
	v_div_scale_f32 v59, s[2:3], v58, v58, 1.0
	v_rcp_f32_e32 v60, v59
	v_div_scale_f32 v61, vcc, 1.0, v58, 1.0
	v_fma_f32 v62, -v59, v60, 1.0
	v_fmac_f32_e32 v60, v62, v60
	v_mul_f32_e32 v62, v61, v60
	v_fma_f32 v63, -v59, v62, v61
	v_fmac_f32_e32 v62, v63, v60
	v_fma_f32 v59, -v59, v62, v61
	v_div_fmas_f32 v59, v59, v60, v62
	v_div_fixup_f32 v58, v59, v58, 1.0
.LBB90_104:
	s_or_b64 exec, exec, s[0:1]
	v_cmp_ne_u32_e32 vcc, v57, v54
	s_and_saveexec_b64 s[0:1], vcc
	s_xor_b64 s[0:1], exec, s[0:1]
	s_cbranch_execz .LBB90_110
; %bb.105:
	v_cmp_eq_u32_e32 vcc, 6, v57
	s_and_saveexec_b64 s[2:3], vcc
	s_cbranch_execz .LBB90_109
; %bb.106:
	v_cmp_ne_u32_e32 vcc, 6, v54
	s_xor_b64 s[18:19], s[16:17], -1
	s_and_b64 s[20:21], s[18:19], vcc
	s_and_saveexec_b64 s[18:19], s[20:21]
	s_cbranch_execz .LBB90_108
; %bb.107:
	v_ashrrev_i32_e32 v55, 31, v54
	v_lshl_add_u64 v[60:61], v[54:55], 2, v[20:21]
	global_load_dword v55, v[60:61], off
	global_load_dword v57, v[20:21], off offset:24
	s_waitcnt vmcnt(1)
	global_store_dword v[20:21], v55, off offset:24
	s_waitcnt vmcnt(1)
	global_store_dword v[60:61], v57, off
.LBB90_108:
	s_or_b64 exec, exec, s[18:19]
	v_mov_b32_e32 v55, v54
	v_mov_b32_e32 v57, v54
.LBB90_109:
	s_or_b64 exec, exec, s[2:3]
.LBB90_110:
	s_andn2_saveexec_b64 s[0:1], s[0:1]
	s_cbranch_execz .LBB90_112
; %bb.111:
	s_waitcnt vmcnt(36)
	v_pk_mov_b32 v[60:61], v[0:1], v[28:29] op_sel:[1,0]
	ds_write2_b32 v17, v60, v61 offset0:7 offset1:8
	s_waitcnt vmcnt(34)
	v_pk_mov_b32 v[60:61], v[28:29], v[22:23] op_sel:[1,0]
	ds_write2_b32 v17, v60, v61 offset0:9 offset1:10
	;; [unrolled: 3-line block ×18, first 2 shown]
	s_waitcnt vmcnt(0)
	v_pk_mov_b32 v[60:61], v[50:51], v[48:49] op_sel:[1,0]
	v_mov_b32_e32 v57, 6
	ds_write2_b32 v17, v60, v61 offset0:43 offset1:44
	ds_write_b32 v17, v49 offset:180
.LBB90_112:
	s_or_b64 exec, exec, s[0:1]
	v_cmp_lt_i32_e32 vcc, 6, v57
	s_waitcnt lgkmcnt(0)
	s_barrier
	s_and_saveexec_b64 s[0:1], vcc
	s_cbranch_execz .LBB90_114
; %bb.113:
	ds_read_b32 v54, v17 offset:28
	v_mul_f32_e32 v0, v58, v0
	ds_read2_b32 v[58:59], v17 offset0:8 offset1:9
	s_waitcnt vmcnt(38) lgkmcnt(1)
	v_fma_f32 v1, -v0, v54, v1
	s_waitcnt vmcnt(36) lgkmcnt(0)
	v_pk_fma_f32 v[28:29], v[0:1], v[58:59], v[28:29] op_sel_hi:[0,1,1] neg_lo:[1,0,0] neg_hi:[1,0,0]
	ds_read2_b32 v[58:59], v17 offset0:10 offset1:11
	s_waitcnt vmcnt(34) lgkmcnt(0)
	v_pk_fma_f32 v[22:23], v[0:1], v[58:59], v[22:23] op_sel_hi:[0,1,1] neg_lo:[1,0,0] neg_hi:[1,0,0]
	ds_read2_b32 v[58:59], v17 offset0:12 offset1:13
	;; [unrolled: 3-line block ×18, first 2 shown]
	s_waitcnt vmcnt(0) lgkmcnt(0)
	v_pk_fma_f32 v[48:49], v[0:1], v[58:59], v[48:49] op_sel_hi:[0,1,1] neg_lo:[1,0,0] neg_hi:[1,0,0]
.LBB90_114:
	s_or_b64 exec, exec, s[0:1]
	v_lshl_add_u32 v54, v57, 2, v17
	s_barrier
	s_waitcnt vmcnt(38)
	ds_write_b32 v54, v1
	s_waitcnt lgkmcnt(0)
	s_barrier
	ds_read_b32 v58, v17 offset:28
	s_cmp_lt_i32 s22, 9
	v_mov_b32_e32 v54, 7
	s_cbranch_scc1 .LBB90_117
; %bb.115:
	v_add3_u32 v59, v56, 0, 32
	v_mov_b32_e32 v54, 7
	s_mov_b32 s0, 8
.LBB90_116:                             ; =>This Inner Loop Header: Depth=1
	ds_read_b32 v60, v59
	v_mov_b32_e32 v61, s0
	s_add_i32 s0, s0, 1
	v_add_u32_e32 v59, 4, v59
	s_cmp_lg_u32 s22, s0
	s_waitcnt lgkmcnt(0)
	v_cmp_lt_f32_e64 vcc, |v58|, |v60|
	s_nop 1
	v_cndmask_b32_e32 v58, v58, v60, vcc
	v_cndmask_b32_e32 v54, v54, v61, vcc
	s_cbranch_scc1 .LBB90_116
.LBB90_117:
	s_waitcnt lgkmcnt(0)
	v_cmp_eq_f32_e32 vcc, 0, v58
	s_and_saveexec_b64 s[0:1], vcc
	s_xor_b64 s[0:1], exec, s[0:1]
; %bb.118:
	v_cmp_ne_u32_e32 vcc, 0, v19
	s_nop 1
	v_cndmask_b32_e32 v19, 8, v19, vcc
; %bb.119:
	s_andn2_saveexec_b64 s[0:1], s[0:1]
	s_cbranch_execz .LBB90_121
; %bb.120:
	v_div_scale_f32 v59, s[2:3], v58, v58, 1.0
	v_rcp_f32_e32 v60, v59
	v_div_scale_f32 v61, vcc, 1.0, v58, 1.0
	v_fma_f32 v62, -v59, v60, 1.0
	v_fmac_f32_e32 v60, v62, v60
	v_mul_f32_e32 v62, v61, v60
	v_fma_f32 v63, -v59, v62, v61
	v_fmac_f32_e32 v62, v63, v60
	v_fma_f32 v59, -v59, v62, v61
	v_div_fmas_f32 v59, v59, v60, v62
	v_div_fixup_f32 v58, v59, v58, 1.0
.LBB90_121:
	s_or_b64 exec, exec, s[0:1]
	v_cmp_ne_u32_e32 vcc, v57, v54
	s_and_saveexec_b64 s[0:1], vcc
	s_xor_b64 s[0:1], exec, s[0:1]
	s_cbranch_execz .LBB90_127
; %bb.122:
	v_cmp_eq_u32_e32 vcc, 7, v57
	s_and_saveexec_b64 s[2:3], vcc
	s_cbranch_execz .LBB90_126
; %bb.123:
	v_cmp_ne_u32_e32 vcc, 7, v54
	s_xor_b64 s[18:19], s[16:17], -1
	s_and_b64 s[20:21], s[18:19], vcc
	s_and_saveexec_b64 s[18:19], s[20:21]
	s_cbranch_execz .LBB90_125
; %bb.124:
	v_ashrrev_i32_e32 v55, 31, v54
	v_lshl_add_u64 v[60:61], v[54:55], 2, v[20:21]
	global_load_dword v55, v[60:61], off
	global_load_dword v57, v[20:21], off offset:28
	s_waitcnt vmcnt(1)
	global_store_dword v[20:21], v55, off offset:28
	s_waitcnt vmcnt(1)
	global_store_dword v[60:61], v57, off
.LBB90_125:
	s_or_b64 exec, exec, s[18:19]
	v_mov_b32_e32 v55, v54
	v_mov_b32_e32 v57, v54
.LBB90_126:
	s_or_b64 exec, exec, s[2:3]
.LBB90_127:
	s_andn2_saveexec_b64 s[0:1], s[0:1]
	s_cbranch_execz .LBB90_129
; %bb.128:
	v_mov_b32_e32 v57, 7
	s_waitcnt vmcnt(36)
	ds_write2_b32 v17, v28, v29 offset0:8 offset1:9
	s_waitcnt vmcnt(34)
	ds_write2_b32 v17, v22, v23 offset0:10 offset1:11
	;; [unrolled: 2-line block ×19, first 2 shown]
.LBB90_129:
	s_or_b64 exec, exec, s[0:1]
	v_cmp_lt_i32_e32 vcc, 7, v57
	s_waitcnt lgkmcnt(0)
	s_barrier
	s_and_saveexec_b64 s[0:1], vcc
	s_cbranch_execz .LBB90_131
; %bb.130:
	v_mul_f32_e32 v54, v58, v1
	ds_read2_b32 v[58:59], v17 offset0:8 offset1:9
	v_mov_b32_e32 v1, v54
	s_waitcnt vmcnt(36) lgkmcnt(0)
	v_pk_fma_f32 v[28:29], v[54:55], v[58:59], v[28:29] op_sel_hi:[0,1,1] neg_lo:[1,0,0] neg_hi:[1,0,0]
	ds_read2_b32 v[58:59], v17 offset0:10 offset1:11
	s_waitcnt vmcnt(34) lgkmcnt(0)
	v_pk_fma_f32 v[22:23], v[54:55], v[58:59], v[22:23] op_sel_hi:[0,1,1] neg_lo:[1,0,0] neg_hi:[1,0,0]
	ds_read2_b32 v[58:59], v17 offset0:12 offset1:13
	;; [unrolled: 3-line block ×18, first 2 shown]
	s_waitcnt vmcnt(0) lgkmcnt(0)
	v_pk_fma_f32 v[48:49], v[54:55], v[58:59], v[48:49] op_sel_hi:[0,1,1] neg_lo:[1,0,0] neg_hi:[1,0,0]
.LBB90_131:
	s_or_b64 exec, exec, s[0:1]
	v_lshl_add_u32 v54, v57, 2, v17
	s_barrier
	s_waitcnt vmcnt(37)
	ds_write_b32 v54, v28
	s_waitcnt lgkmcnt(0)
	s_barrier
	ds_read_b32 v58, v17 offset:32
	s_cmp_lt_i32 s22, 10
	v_mov_b32_e32 v54, 8
	s_cbranch_scc1 .LBB90_134
; %bb.132:
	v_add3_u32 v59, v56, 0, 36
	v_mov_b32_e32 v54, 8
	s_mov_b32 s0, 9
.LBB90_133:                             ; =>This Inner Loop Header: Depth=1
	ds_read_b32 v60, v59
	v_mov_b32_e32 v61, s0
	s_add_i32 s0, s0, 1
	v_add_u32_e32 v59, 4, v59
	s_cmp_lg_u32 s22, s0
	s_waitcnt lgkmcnt(0)
	v_cmp_lt_f32_e64 vcc, |v58|, |v60|
	s_nop 1
	v_cndmask_b32_e32 v58, v58, v60, vcc
	v_cndmask_b32_e32 v54, v54, v61, vcc
	s_cbranch_scc1 .LBB90_133
.LBB90_134:
	s_waitcnt lgkmcnt(0)
	v_cmp_eq_f32_e32 vcc, 0, v58
	s_and_saveexec_b64 s[0:1], vcc
	s_xor_b64 s[0:1], exec, s[0:1]
; %bb.135:
	v_cmp_ne_u32_e32 vcc, 0, v19
	s_nop 1
	v_cndmask_b32_e32 v19, 9, v19, vcc
; %bb.136:
	s_andn2_saveexec_b64 s[0:1], s[0:1]
	s_cbranch_execz .LBB90_138
; %bb.137:
	v_div_scale_f32 v59, s[2:3], v58, v58, 1.0
	v_rcp_f32_e32 v60, v59
	v_div_scale_f32 v61, vcc, 1.0, v58, 1.0
	v_fma_f32 v62, -v59, v60, 1.0
	v_fmac_f32_e32 v60, v62, v60
	v_mul_f32_e32 v62, v61, v60
	v_fma_f32 v63, -v59, v62, v61
	v_fmac_f32_e32 v62, v63, v60
	v_fma_f32 v59, -v59, v62, v61
	v_div_fmas_f32 v59, v59, v60, v62
	v_div_fixup_f32 v58, v59, v58, 1.0
.LBB90_138:
	s_or_b64 exec, exec, s[0:1]
	v_cmp_ne_u32_e32 vcc, v57, v54
	s_and_saveexec_b64 s[0:1], vcc
	s_xor_b64 s[0:1], exec, s[0:1]
	s_cbranch_execz .LBB90_144
; %bb.139:
	v_cmp_eq_u32_e32 vcc, 8, v57
	s_and_saveexec_b64 s[2:3], vcc
	s_cbranch_execz .LBB90_143
; %bb.140:
	v_cmp_ne_u32_e32 vcc, 8, v54
	s_xor_b64 s[18:19], s[16:17], -1
	s_and_b64 s[20:21], s[18:19], vcc
	s_and_saveexec_b64 s[18:19], s[20:21]
	s_cbranch_execz .LBB90_142
; %bb.141:
	v_ashrrev_i32_e32 v55, 31, v54
	v_lshl_add_u64 v[60:61], v[54:55], 2, v[20:21]
	global_load_dword v55, v[60:61], off
	global_load_dword v57, v[20:21], off offset:32
	s_waitcnt vmcnt(1)
	global_store_dword v[20:21], v55, off offset:32
	s_waitcnt vmcnt(1)
	global_store_dword v[60:61], v57, off
.LBB90_142:
	s_or_b64 exec, exec, s[18:19]
	v_mov_b32_e32 v55, v54
	v_mov_b32_e32 v57, v54
.LBB90_143:
	s_or_b64 exec, exec, s[2:3]
.LBB90_144:
	s_andn2_saveexec_b64 s[0:1], s[0:1]
	s_cbranch_execz .LBB90_146
; %bb.145:
	s_waitcnt vmcnt(34)
	v_pk_mov_b32 v[60:61], v[28:29], v[22:23] op_sel:[1,0]
	ds_write2_b32 v17, v60, v61 offset0:9 offset1:10
	s_waitcnt vmcnt(32)
	v_pk_mov_b32 v[60:61], v[22:23], v[12:13] op_sel:[1,0]
	ds_write2_b32 v17, v60, v61 offset0:11 offset1:12
	;; [unrolled: 3-line block ×17, first 2 shown]
	s_waitcnt vmcnt(0)
	v_pk_mov_b32 v[60:61], v[50:51], v[48:49] op_sel:[1,0]
	v_mov_b32_e32 v57, 8
	ds_write2_b32 v17, v60, v61 offset0:43 offset1:44
	ds_write_b32 v17, v49 offset:180
.LBB90_146:
	s_or_b64 exec, exec, s[0:1]
	v_cmp_lt_i32_e32 vcc, 8, v57
	s_waitcnt lgkmcnt(0)
	s_barrier
	s_and_saveexec_b64 s[0:1], vcc
	s_cbranch_execz .LBB90_148
; %bb.147:
	ds_read_b32 v54, v17 offset:36
	v_mul_f32_e32 v28, v58, v28
	ds_read2_b32 v[58:59], v17 offset0:10 offset1:11
	s_waitcnt vmcnt(36) lgkmcnt(1)
	v_fma_f32 v29, -v28, v54, v29
	s_waitcnt vmcnt(34) lgkmcnt(0)
	v_pk_fma_f32 v[22:23], v[28:29], v[58:59], v[22:23] op_sel_hi:[0,1,1] neg_lo:[1,0,0] neg_hi:[1,0,0]
	ds_read2_b32 v[58:59], v17 offset0:12 offset1:13
	s_waitcnt vmcnt(32) lgkmcnt(0)
	v_pk_fma_f32 v[12:13], v[28:29], v[58:59], v[12:13] op_sel_hi:[0,1,1] neg_lo:[1,0,0] neg_hi:[1,0,0]
	ds_read2_b32 v[58:59], v17 offset0:14 offset1:15
	;; [unrolled: 3-line block ×17, first 2 shown]
	s_waitcnt vmcnt(0) lgkmcnt(0)
	v_pk_fma_f32 v[48:49], v[28:29], v[58:59], v[48:49] op_sel_hi:[0,1,1] neg_lo:[1,0,0] neg_hi:[1,0,0]
.LBB90_148:
	s_or_b64 exec, exec, s[0:1]
	v_lshl_add_u32 v54, v57, 2, v17
	s_barrier
	s_waitcnt vmcnt(36)
	ds_write_b32 v54, v29
	s_waitcnt lgkmcnt(0)
	s_barrier
	ds_read_b32 v58, v17 offset:36
	s_cmp_lt_i32 s22, 11
	v_mov_b32_e32 v54, 9
	s_cbranch_scc1 .LBB90_151
; %bb.149:
	v_add3_u32 v59, v56, 0, 40
	v_mov_b32_e32 v54, 9
	s_mov_b32 s0, 10
.LBB90_150:                             ; =>This Inner Loop Header: Depth=1
	ds_read_b32 v60, v59
	v_mov_b32_e32 v61, s0
	s_add_i32 s0, s0, 1
	v_add_u32_e32 v59, 4, v59
	s_cmp_lg_u32 s22, s0
	s_waitcnt lgkmcnt(0)
	v_cmp_lt_f32_e64 vcc, |v58|, |v60|
	s_nop 1
	v_cndmask_b32_e32 v58, v58, v60, vcc
	v_cndmask_b32_e32 v54, v54, v61, vcc
	s_cbranch_scc1 .LBB90_150
.LBB90_151:
	s_waitcnt lgkmcnt(0)
	v_cmp_eq_f32_e32 vcc, 0, v58
	s_and_saveexec_b64 s[0:1], vcc
	s_xor_b64 s[0:1], exec, s[0:1]
; %bb.152:
	v_cmp_ne_u32_e32 vcc, 0, v19
	s_nop 1
	v_cndmask_b32_e32 v19, 10, v19, vcc
; %bb.153:
	s_andn2_saveexec_b64 s[0:1], s[0:1]
	s_cbranch_execz .LBB90_155
; %bb.154:
	v_div_scale_f32 v59, s[2:3], v58, v58, 1.0
	v_rcp_f32_e32 v60, v59
	v_div_scale_f32 v61, vcc, 1.0, v58, 1.0
	v_fma_f32 v62, -v59, v60, 1.0
	v_fmac_f32_e32 v60, v62, v60
	v_mul_f32_e32 v62, v61, v60
	v_fma_f32 v63, -v59, v62, v61
	v_fmac_f32_e32 v62, v63, v60
	v_fma_f32 v59, -v59, v62, v61
	v_div_fmas_f32 v59, v59, v60, v62
	v_div_fixup_f32 v58, v59, v58, 1.0
.LBB90_155:
	s_or_b64 exec, exec, s[0:1]
	v_cmp_ne_u32_e32 vcc, v57, v54
	s_and_saveexec_b64 s[0:1], vcc
	s_xor_b64 s[0:1], exec, s[0:1]
	s_cbranch_execz .LBB90_161
; %bb.156:
	v_cmp_eq_u32_e32 vcc, 9, v57
	s_and_saveexec_b64 s[2:3], vcc
	s_cbranch_execz .LBB90_160
; %bb.157:
	v_cmp_ne_u32_e32 vcc, 9, v54
	s_xor_b64 s[18:19], s[16:17], -1
	s_and_b64 s[20:21], s[18:19], vcc
	s_and_saveexec_b64 s[18:19], s[20:21]
	s_cbranch_execz .LBB90_159
; %bb.158:
	v_ashrrev_i32_e32 v55, 31, v54
	v_lshl_add_u64 v[60:61], v[54:55], 2, v[20:21]
	global_load_dword v55, v[60:61], off
	global_load_dword v57, v[20:21], off offset:36
	s_waitcnt vmcnt(1)
	global_store_dword v[20:21], v55, off offset:36
	s_waitcnt vmcnt(1)
	global_store_dword v[60:61], v57, off
.LBB90_159:
	s_or_b64 exec, exec, s[18:19]
	v_mov_b32_e32 v55, v54
	v_mov_b32_e32 v57, v54
.LBB90_160:
	s_or_b64 exec, exec, s[2:3]
.LBB90_161:
	s_andn2_saveexec_b64 s[0:1], s[0:1]
	s_cbranch_execz .LBB90_163
; %bb.162:
	v_mov_b32_e32 v57, 9
	s_waitcnt vmcnt(34)
	ds_write2_b32 v17, v22, v23 offset0:10 offset1:11
	s_waitcnt vmcnt(32)
	ds_write2_b32 v17, v12, v13 offset0:12 offset1:13
	;; [unrolled: 2-line block ×18, first 2 shown]
.LBB90_163:
	s_or_b64 exec, exec, s[0:1]
	v_cmp_lt_i32_e32 vcc, 9, v57
	s_waitcnt lgkmcnt(0)
	s_barrier
	s_and_saveexec_b64 s[0:1], vcc
	s_cbranch_execz .LBB90_165
; %bb.164:
	v_mul_f32_e32 v54, v58, v29
	ds_read2_b32 v[58:59], v17 offset0:10 offset1:11
	v_mov_b32_e32 v29, v54
	s_waitcnt vmcnt(34) lgkmcnt(0)
	v_pk_fma_f32 v[22:23], v[54:55], v[58:59], v[22:23] op_sel_hi:[0,1,1] neg_lo:[1,0,0] neg_hi:[1,0,0]
	ds_read2_b32 v[58:59], v17 offset0:12 offset1:13
	s_waitcnt vmcnt(32) lgkmcnt(0)
	v_pk_fma_f32 v[12:13], v[54:55], v[58:59], v[12:13] op_sel_hi:[0,1,1] neg_lo:[1,0,0] neg_hi:[1,0,0]
	ds_read2_b32 v[58:59], v17 offset0:14 offset1:15
	;; [unrolled: 3-line block ×17, first 2 shown]
	s_waitcnt vmcnt(0) lgkmcnt(0)
	v_pk_fma_f32 v[48:49], v[54:55], v[58:59], v[48:49] op_sel_hi:[0,1,1] neg_lo:[1,0,0] neg_hi:[1,0,0]
.LBB90_165:
	s_or_b64 exec, exec, s[0:1]
	v_lshl_add_u32 v54, v57, 2, v17
	s_barrier
	s_waitcnt vmcnt(35)
	ds_write_b32 v54, v22
	s_waitcnt lgkmcnt(0)
	s_barrier
	ds_read_b32 v58, v17 offset:40
	s_cmp_lt_i32 s22, 12
	v_mov_b32_e32 v54, 10
	s_cbranch_scc1 .LBB90_168
; %bb.166:
	v_add3_u32 v59, v56, 0, 44
	v_mov_b32_e32 v54, 10
	s_mov_b32 s0, 11
.LBB90_167:                             ; =>This Inner Loop Header: Depth=1
	ds_read_b32 v60, v59
	v_mov_b32_e32 v61, s0
	s_add_i32 s0, s0, 1
	v_add_u32_e32 v59, 4, v59
	s_cmp_lg_u32 s22, s0
	s_waitcnt lgkmcnt(0)
	v_cmp_lt_f32_e64 vcc, |v58|, |v60|
	s_nop 1
	v_cndmask_b32_e32 v58, v58, v60, vcc
	v_cndmask_b32_e32 v54, v54, v61, vcc
	s_cbranch_scc1 .LBB90_167
.LBB90_168:
	s_waitcnt lgkmcnt(0)
	v_cmp_eq_f32_e32 vcc, 0, v58
	s_and_saveexec_b64 s[0:1], vcc
	s_xor_b64 s[0:1], exec, s[0:1]
; %bb.169:
	v_cmp_ne_u32_e32 vcc, 0, v19
	s_nop 1
	v_cndmask_b32_e32 v19, 11, v19, vcc
; %bb.170:
	s_andn2_saveexec_b64 s[0:1], s[0:1]
	s_cbranch_execz .LBB90_172
; %bb.171:
	v_div_scale_f32 v59, s[2:3], v58, v58, 1.0
	v_rcp_f32_e32 v60, v59
	v_div_scale_f32 v61, vcc, 1.0, v58, 1.0
	v_fma_f32 v62, -v59, v60, 1.0
	v_fmac_f32_e32 v60, v62, v60
	v_mul_f32_e32 v62, v61, v60
	v_fma_f32 v63, -v59, v62, v61
	v_fmac_f32_e32 v62, v63, v60
	v_fma_f32 v59, -v59, v62, v61
	v_div_fmas_f32 v59, v59, v60, v62
	v_div_fixup_f32 v58, v59, v58, 1.0
.LBB90_172:
	s_or_b64 exec, exec, s[0:1]
	v_cmp_ne_u32_e32 vcc, v57, v54
	s_and_saveexec_b64 s[0:1], vcc
	s_xor_b64 s[0:1], exec, s[0:1]
	s_cbranch_execz .LBB90_178
; %bb.173:
	v_cmp_eq_u32_e32 vcc, 10, v57
	s_and_saveexec_b64 s[2:3], vcc
	s_cbranch_execz .LBB90_177
; %bb.174:
	v_cmp_ne_u32_e32 vcc, 10, v54
	s_xor_b64 s[18:19], s[16:17], -1
	s_and_b64 s[20:21], s[18:19], vcc
	s_and_saveexec_b64 s[18:19], s[20:21]
	s_cbranch_execz .LBB90_176
; %bb.175:
	v_ashrrev_i32_e32 v55, 31, v54
	v_lshl_add_u64 v[60:61], v[54:55], 2, v[20:21]
	global_load_dword v55, v[60:61], off
	global_load_dword v57, v[20:21], off offset:40
	s_waitcnt vmcnt(1)
	global_store_dword v[20:21], v55, off offset:40
	s_waitcnt vmcnt(1)
	global_store_dword v[60:61], v57, off
.LBB90_176:
	s_or_b64 exec, exec, s[18:19]
	v_mov_b32_e32 v55, v54
	v_mov_b32_e32 v57, v54
.LBB90_177:
	s_or_b64 exec, exec, s[2:3]
.LBB90_178:
	s_andn2_saveexec_b64 s[0:1], s[0:1]
	s_cbranch_execz .LBB90_180
; %bb.179:
	s_waitcnt vmcnt(32)
	v_pk_mov_b32 v[60:61], v[22:23], v[12:13] op_sel:[1,0]
	ds_write2_b32 v17, v60, v61 offset0:11 offset1:12
	s_waitcnt vmcnt(30)
	v_pk_mov_b32 v[60:61], v[12:13], v[8:9] op_sel:[1,0]
	ds_write2_b32 v17, v60, v61 offset0:13 offset1:14
	;; [unrolled: 3-line block ×16, first 2 shown]
	s_waitcnt vmcnt(0)
	v_pk_mov_b32 v[60:61], v[50:51], v[48:49] op_sel:[1,0]
	v_mov_b32_e32 v57, 10
	ds_write2_b32 v17, v60, v61 offset0:43 offset1:44
	ds_write_b32 v17, v49 offset:180
.LBB90_180:
	s_or_b64 exec, exec, s[0:1]
	v_cmp_lt_i32_e32 vcc, 10, v57
	s_waitcnt lgkmcnt(0)
	s_barrier
	s_and_saveexec_b64 s[0:1], vcc
	s_cbranch_execz .LBB90_182
; %bb.181:
	ds_read_b32 v54, v17 offset:44
	v_mul_f32_e32 v22, v58, v22
	ds_read2_b32 v[58:59], v17 offset0:12 offset1:13
	s_waitcnt vmcnt(34) lgkmcnt(1)
	v_fma_f32 v23, -v22, v54, v23
	s_waitcnt vmcnt(32) lgkmcnt(0)
	v_pk_fma_f32 v[12:13], v[22:23], v[58:59], v[12:13] op_sel_hi:[0,1,1] neg_lo:[1,0,0] neg_hi:[1,0,0]
	ds_read2_b32 v[58:59], v17 offset0:14 offset1:15
	s_waitcnt vmcnt(30) lgkmcnt(0)
	v_pk_fma_f32 v[8:9], v[22:23], v[58:59], v[8:9] op_sel_hi:[0,1,1] neg_lo:[1,0,0] neg_hi:[1,0,0]
	ds_read2_b32 v[58:59], v17 offset0:16 offset1:17
	;; [unrolled: 3-line block ×16, first 2 shown]
	s_waitcnt vmcnt(0) lgkmcnt(0)
	v_pk_fma_f32 v[48:49], v[22:23], v[58:59], v[48:49] op_sel_hi:[0,1,1] neg_lo:[1,0,0] neg_hi:[1,0,0]
.LBB90_182:
	s_or_b64 exec, exec, s[0:1]
	v_lshl_add_u32 v54, v57, 2, v17
	s_barrier
	s_waitcnt vmcnt(34)
	ds_write_b32 v54, v23
	s_waitcnt lgkmcnt(0)
	s_barrier
	ds_read_b32 v58, v17 offset:44
	s_cmp_lt_i32 s22, 13
	v_mov_b32_e32 v54, 11
	s_cbranch_scc1 .LBB90_185
; %bb.183:
	v_add3_u32 v59, v56, 0, 48
	v_mov_b32_e32 v54, 11
	s_mov_b32 s0, 12
.LBB90_184:                             ; =>This Inner Loop Header: Depth=1
	ds_read_b32 v60, v59
	v_mov_b32_e32 v61, s0
	s_add_i32 s0, s0, 1
	v_add_u32_e32 v59, 4, v59
	s_cmp_lg_u32 s22, s0
	s_waitcnt lgkmcnt(0)
	v_cmp_lt_f32_e64 vcc, |v58|, |v60|
	s_nop 1
	v_cndmask_b32_e32 v58, v58, v60, vcc
	v_cndmask_b32_e32 v54, v54, v61, vcc
	s_cbranch_scc1 .LBB90_184
.LBB90_185:
	s_waitcnt lgkmcnt(0)
	v_cmp_eq_f32_e32 vcc, 0, v58
	s_and_saveexec_b64 s[0:1], vcc
	s_xor_b64 s[0:1], exec, s[0:1]
; %bb.186:
	v_cmp_ne_u32_e32 vcc, 0, v19
	s_nop 1
	v_cndmask_b32_e32 v19, 12, v19, vcc
; %bb.187:
	s_andn2_saveexec_b64 s[0:1], s[0:1]
	s_cbranch_execz .LBB90_189
; %bb.188:
	v_div_scale_f32 v59, s[2:3], v58, v58, 1.0
	v_rcp_f32_e32 v60, v59
	v_div_scale_f32 v61, vcc, 1.0, v58, 1.0
	v_fma_f32 v62, -v59, v60, 1.0
	v_fmac_f32_e32 v60, v62, v60
	v_mul_f32_e32 v62, v61, v60
	v_fma_f32 v63, -v59, v62, v61
	v_fmac_f32_e32 v62, v63, v60
	v_fma_f32 v59, -v59, v62, v61
	v_div_fmas_f32 v59, v59, v60, v62
	v_div_fixup_f32 v58, v59, v58, 1.0
.LBB90_189:
	s_or_b64 exec, exec, s[0:1]
	v_cmp_ne_u32_e32 vcc, v57, v54
	s_and_saveexec_b64 s[0:1], vcc
	s_xor_b64 s[0:1], exec, s[0:1]
	s_cbranch_execz .LBB90_195
; %bb.190:
	v_cmp_eq_u32_e32 vcc, 11, v57
	s_and_saveexec_b64 s[2:3], vcc
	s_cbranch_execz .LBB90_194
; %bb.191:
	v_cmp_ne_u32_e32 vcc, 11, v54
	s_xor_b64 s[18:19], s[16:17], -1
	s_and_b64 s[20:21], s[18:19], vcc
	s_and_saveexec_b64 s[18:19], s[20:21]
	s_cbranch_execz .LBB90_193
; %bb.192:
	v_ashrrev_i32_e32 v55, 31, v54
	v_lshl_add_u64 v[60:61], v[54:55], 2, v[20:21]
	global_load_dword v55, v[60:61], off
	global_load_dword v57, v[20:21], off offset:44
	s_waitcnt vmcnt(1)
	global_store_dword v[20:21], v55, off offset:44
	s_waitcnt vmcnt(1)
	global_store_dword v[60:61], v57, off
.LBB90_193:
	s_or_b64 exec, exec, s[18:19]
	v_mov_b32_e32 v55, v54
	v_mov_b32_e32 v57, v54
.LBB90_194:
	s_or_b64 exec, exec, s[2:3]
.LBB90_195:
	s_andn2_saveexec_b64 s[0:1], s[0:1]
	s_cbranch_execz .LBB90_197
; %bb.196:
	v_mov_b32_e32 v57, 11
	s_waitcnt vmcnt(32)
	ds_write2_b32 v17, v12, v13 offset0:12 offset1:13
	s_waitcnt vmcnt(30)
	ds_write2_b32 v17, v8, v9 offset0:14 offset1:15
	;; [unrolled: 2-line block ×17, first 2 shown]
.LBB90_197:
	s_or_b64 exec, exec, s[0:1]
	v_cmp_lt_i32_e32 vcc, 11, v57
	s_waitcnt lgkmcnt(0)
	s_barrier
	s_and_saveexec_b64 s[0:1], vcc
	s_cbranch_execz .LBB90_199
; %bb.198:
	v_mul_f32_e32 v54, v58, v23
	ds_read2_b32 v[58:59], v17 offset0:12 offset1:13
	v_mov_b32_e32 v23, v54
	s_waitcnt vmcnt(32) lgkmcnt(0)
	v_pk_fma_f32 v[12:13], v[54:55], v[58:59], v[12:13] op_sel_hi:[0,1,1] neg_lo:[1,0,0] neg_hi:[1,0,0]
	ds_read2_b32 v[58:59], v17 offset0:14 offset1:15
	s_waitcnt vmcnt(30) lgkmcnt(0)
	v_pk_fma_f32 v[8:9], v[54:55], v[58:59], v[8:9] op_sel_hi:[0,1,1] neg_lo:[1,0,0] neg_hi:[1,0,0]
	ds_read2_b32 v[58:59], v17 offset0:16 offset1:17
	;; [unrolled: 3-line block ×16, first 2 shown]
	s_waitcnt vmcnt(0) lgkmcnt(0)
	v_pk_fma_f32 v[48:49], v[54:55], v[58:59], v[48:49] op_sel_hi:[0,1,1] neg_lo:[1,0,0] neg_hi:[1,0,0]
.LBB90_199:
	s_or_b64 exec, exec, s[0:1]
	v_lshl_add_u32 v54, v57, 2, v17
	s_barrier
	s_waitcnt vmcnt(33)
	ds_write_b32 v54, v12
	s_waitcnt lgkmcnt(0)
	s_barrier
	ds_read_b32 v58, v17 offset:48
	s_cmp_lt_i32 s22, 14
	v_mov_b32_e32 v54, 12
	s_cbranch_scc1 .LBB90_202
; %bb.200:
	v_add3_u32 v59, v56, 0, 52
	v_mov_b32_e32 v54, 12
	s_mov_b32 s0, 13
.LBB90_201:                             ; =>This Inner Loop Header: Depth=1
	ds_read_b32 v60, v59
	v_mov_b32_e32 v61, s0
	s_add_i32 s0, s0, 1
	v_add_u32_e32 v59, 4, v59
	s_cmp_lg_u32 s22, s0
	s_waitcnt lgkmcnt(0)
	v_cmp_lt_f32_e64 vcc, |v58|, |v60|
	s_nop 1
	v_cndmask_b32_e32 v58, v58, v60, vcc
	v_cndmask_b32_e32 v54, v54, v61, vcc
	s_cbranch_scc1 .LBB90_201
.LBB90_202:
	s_waitcnt lgkmcnt(0)
	v_cmp_eq_f32_e32 vcc, 0, v58
	s_and_saveexec_b64 s[0:1], vcc
	s_xor_b64 s[0:1], exec, s[0:1]
; %bb.203:
	v_cmp_ne_u32_e32 vcc, 0, v19
	s_nop 1
	v_cndmask_b32_e32 v19, 13, v19, vcc
; %bb.204:
	s_andn2_saveexec_b64 s[0:1], s[0:1]
	s_cbranch_execz .LBB90_206
; %bb.205:
	v_div_scale_f32 v59, s[2:3], v58, v58, 1.0
	v_rcp_f32_e32 v60, v59
	v_div_scale_f32 v61, vcc, 1.0, v58, 1.0
	v_fma_f32 v62, -v59, v60, 1.0
	v_fmac_f32_e32 v60, v62, v60
	v_mul_f32_e32 v62, v61, v60
	v_fma_f32 v63, -v59, v62, v61
	v_fmac_f32_e32 v62, v63, v60
	v_fma_f32 v59, -v59, v62, v61
	v_div_fmas_f32 v59, v59, v60, v62
	v_div_fixup_f32 v58, v59, v58, 1.0
.LBB90_206:
	s_or_b64 exec, exec, s[0:1]
	v_cmp_ne_u32_e32 vcc, v57, v54
	s_and_saveexec_b64 s[0:1], vcc
	s_xor_b64 s[0:1], exec, s[0:1]
	s_cbranch_execz .LBB90_212
; %bb.207:
	v_cmp_eq_u32_e32 vcc, 12, v57
	s_and_saveexec_b64 s[2:3], vcc
	s_cbranch_execz .LBB90_211
; %bb.208:
	v_cmp_ne_u32_e32 vcc, 12, v54
	s_xor_b64 s[18:19], s[16:17], -1
	s_and_b64 s[20:21], s[18:19], vcc
	s_and_saveexec_b64 s[18:19], s[20:21]
	s_cbranch_execz .LBB90_210
; %bb.209:
	v_ashrrev_i32_e32 v55, 31, v54
	v_lshl_add_u64 v[60:61], v[54:55], 2, v[20:21]
	global_load_dword v55, v[60:61], off
	global_load_dword v57, v[20:21], off offset:48
	s_waitcnt vmcnt(1)
	global_store_dword v[20:21], v55, off offset:48
	s_waitcnt vmcnt(1)
	global_store_dword v[60:61], v57, off
.LBB90_210:
	s_or_b64 exec, exec, s[18:19]
	v_mov_b32_e32 v55, v54
	v_mov_b32_e32 v57, v54
.LBB90_211:
	s_or_b64 exec, exec, s[2:3]
.LBB90_212:
	s_andn2_saveexec_b64 s[0:1], s[0:1]
	s_cbranch_execz .LBB90_214
; %bb.213:
	s_waitcnt vmcnt(30)
	v_pk_mov_b32 v[60:61], v[12:13], v[8:9] op_sel:[1,0]
	ds_write2_b32 v17, v60, v61 offset0:13 offset1:14
	s_waitcnt vmcnt(28)
	v_pk_mov_b32 v[60:61], v[8:9], v[34:35] op_sel:[1,0]
	ds_write2_b32 v17, v60, v61 offset0:15 offset1:16
	;; [unrolled: 3-line block ×15, first 2 shown]
	s_waitcnt vmcnt(0)
	v_pk_mov_b32 v[60:61], v[50:51], v[48:49] op_sel:[1,0]
	v_mov_b32_e32 v57, 12
	ds_write2_b32 v17, v60, v61 offset0:43 offset1:44
	ds_write_b32 v17, v49 offset:180
.LBB90_214:
	s_or_b64 exec, exec, s[0:1]
	v_cmp_lt_i32_e32 vcc, 12, v57
	s_waitcnt lgkmcnt(0)
	s_barrier
	s_and_saveexec_b64 s[0:1], vcc
	s_cbranch_execz .LBB90_216
; %bb.215:
	ds_read_b32 v54, v17 offset:52
	v_mul_f32_e32 v12, v58, v12
	ds_read2_b32 v[58:59], v17 offset0:14 offset1:15
	s_waitcnt vmcnt(32) lgkmcnt(1)
	v_fma_f32 v13, -v12, v54, v13
	s_waitcnt vmcnt(30) lgkmcnt(0)
	v_pk_fma_f32 v[8:9], v[12:13], v[58:59], v[8:9] op_sel_hi:[0,1,1] neg_lo:[1,0,0] neg_hi:[1,0,0]
	ds_read2_b32 v[58:59], v17 offset0:16 offset1:17
	s_waitcnt vmcnt(28) lgkmcnt(0)
	v_pk_fma_f32 v[34:35], v[12:13], v[58:59], v[34:35] op_sel_hi:[0,1,1] neg_lo:[1,0,0] neg_hi:[1,0,0]
	ds_read2_b32 v[58:59], v17 offset0:18 offset1:19
	;; [unrolled: 3-line block ×15, first 2 shown]
	s_waitcnt vmcnt(0) lgkmcnt(0)
	v_pk_fma_f32 v[48:49], v[12:13], v[58:59], v[48:49] op_sel_hi:[0,1,1] neg_lo:[1,0,0] neg_hi:[1,0,0]
.LBB90_216:
	s_or_b64 exec, exec, s[0:1]
	v_lshl_add_u32 v54, v57, 2, v17
	s_barrier
	s_waitcnt vmcnt(32)
	ds_write_b32 v54, v13
	s_waitcnt lgkmcnt(0)
	s_barrier
	ds_read_b32 v58, v17 offset:52
	s_cmp_lt_i32 s22, 15
	v_mov_b32_e32 v54, 13
	s_cbranch_scc1 .LBB90_219
; %bb.217:
	v_add3_u32 v59, v56, 0, 56
	v_mov_b32_e32 v54, 13
	s_mov_b32 s0, 14
.LBB90_218:                             ; =>This Inner Loop Header: Depth=1
	ds_read_b32 v60, v59
	v_mov_b32_e32 v61, s0
	s_add_i32 s0, s0, 1
	v_add_u32_e32 v59, 4, v59
	s_cmp_lg_u32 s22, s0
	s_waitcnt lgkmcnt(0)
	v_cmp_lt_f32_e64 vcc, |v58|, |v60|
	s_nop 1
	v_cndmask_b32_e32 v58, v58, v60, vcc
	v_cndmask_b32_e32 v54, v54, v61, vcc
	s_cbranch_scc1 .LBB90_218
.LBB90_219:
	s_waitcnt lgkmcnt(0)
	v_cmp_eq_f32_e32 vcc, 0, v58
	s_and_saveexec_b64 s[0:1], vcc
	s_xor_b64 s[0:1], exec, s[0:1]
; %bb.220:
	v_cmp_ne_u32_e32 vcc, 0, v19
	s_nop 1
	v_cndmask_b32_e32 v19, 14, v19, vcc
; %bb.221:
	s_andn2_saveexec_b64 s[0:1], s[0:1]
	s_cbranch_execz .LBB90_223
; %bb.222:
	v_div_scale_f32 v59, s[2:3], v58, v58, 1.0
	v_rcp_f32_e32 v60, v59
	v_div_scale_f32 v61, vcc, 1.0, v58, 1.0
	v_fma_f32 v62, -v59, v60, 1.0
	v_fmac_f32_e32 v60, v62, v60
	v_mul_f32_e32 v62, v61, v60
	v_fma_f32 v63, -v59, v62, v61
	v_fmac_f32_e32 v62, v63, v60
	v_fma_f32 v59, -v59, v62, v61
	v_div_fmas_f32 v59, v59, v60, v62
	v_div_fixup_f32 v58, v59, v58, 1.0
.LBB90_223:
	s_or_b64 exec, exec, s[0:1]
	v_cmp_ne_u32_e32 vcc, v57, v54
	s_and_saveexec_b64 s[0:1], vcc
	s_xor_b64 s[0:1], exec, s[0:1]
	s_cbranch_execz .LBB90_229
; %bb.224:
	v_cmp_eq_u32_e32 vcc, 13, v57
	s_and_saveexec_b64 s[2:3], vcc
	s_cbranch_execz .LBB90_228
; %bb.225:
	v_cmp_ne_u32_e32 vcc, 13, v54
	s_xor_b64 s[18:19], s[16:17], -1
	s_and_b64 s[20:21], s[18:19], vcc
	s_and_saveexec_b64 s[18:19], s[20:21]
	s_cbranch_execz .LBB90_227
; %bb.226:
	v_ashrrev_i32_e32 v55, 31, v54
	v_lshl_add_u64 v[60:61], v[54:55], 2, v[20:21]
	global_load_dword v55, v[60:61], off
	global_load_dword v57, v[20:21], off offset:52
	s_waitcnt vmcnt(1)
	global_store_dword v[20:21], v55, off offset:52
	s_waitcnt vmcnt(1)
	global_store_dword v[60:61], v57, off
.LBB90_227:
	s_or_b64 exec, exec, s[18:19]
	v_mov_b32_e32 v55, v54
	v_mov_b32_e32 v57, v54
.LBB90_228:
	s_or_b64 exec, exec, s[2:3]
.LBB90_229:
	s_andn2_saveexec_b64 s[0:1], s[0:1]
	s_cbranch_execz .LBB90_231
; %bb.230:
	v_mov_b32_e32 v57, 13
	s_waitcnt vmcnt(30)
	ds_write2_b32 v17, v8, v9 offset0:14 offset1:15
	s_waitcnt vmcnt(28)
	ds_write2_b32 v17, v34, v35 offset0:16 offset1:17
	;; [unrolled: 2-line block ×16, first 2 shown]
.LBB90_231:
	s_or_b64 exec, exec, s[0:1]
	v_cmp_lt_i32_e32 vcc, 13, v57
	s_waitcnt lgkmcnt(0)
	s_barrier
	s_and_saveexec_b64 s[0:1], vcc
	s_cbranch_execz .LBB90_233
; %bb.232:
	v_mul_f32_e32 v54, v58, v13
	ds_read2_b32 v[58:59], v17 offset0:14 offset1:15
	v_mov_b32_e32 v13, v54
	s_waitcnt vmcnt(30) lgkmcnt(0)
	v_pk_fma_f32 v[8:9], v[54:55], v[58:59], v[8:9] op_sel_hi:[0,1,1] neg_lo:[1,0,0] neg_hi:[1,0,0]
	ds_read2_b32 v[58:59], v17 offset0:16 offset1:17
	s_waitcnt vmcnt(28) lgkmcnt(0)
	v_pk_fma_f32 v[34:35], v[54:55], v[58:59], v[34:35] op_sel_hi:[0,1,1] neg_lo:[1,0,0] neg_hi:[1,0,0]
	ds_read2_b32 v[58:59], v17 offset0:18 offset1:19
	s_waitcnt vmcnt(26) lgkmcnt(0)
	v_pk_fma_f32 v[30:31], v[54:55], v[58:59], v[30:31] op_sel_hi:[0,1,1] neg_lo:[1,0,0] neg_hi:[1,0,0]
	ds_read2_b32 v[58:59], v17 offset0:20 offset1:21
	s_waitcnt vmcnt(24) lgkmcnt(0)
	v_pk_fma_f32 v[24:25], v[54:55], v[58:59], v[24:25] op_sel_hi:[0,1,1] neg_lo:[1,0,0] neg_hi:[1,0,0]
	ds_read2_b32 v[58:59], v17 offset0:22 offset1:23
	s_waitcnt vmcnt(22) lgkmcnt(0)
	v_pk_fma_f32 v[14:15], v[54:55], v[58:59], v[14:15] op_sel_hi:[0,1,1] neg_lo:[1,0,0] neg_hi:[1,0,0]
	ds_read2_b32 v[58:59], v17 offset0:24 offset1:25
	s_waitcnt vmcnt(20) lgkmcnt(0)
	v_pk_fma_f32 v[44:45], v[54:55], v[58:59], v[44:45] op_sel_hi:[0,1,1] neg_lo:[1,0,0] neg_hi:[1,0,0]
	ds_read2_b32 v[58:59], v17 offset0:26 offset1:27
	s_waitcnt vmcnt(18) lgkmcnt(0)
	v_pk_fma_f32 v[36:37], v[54:55], v[58:59], v[36:37] op_sel_hi:[0,1,1] neg_lo:[1,0,0] neg_hi:[1,0,0]
	ds_read2_b32 v[58:59], v17 offset0:28 offset1:29
	s_waitcnt vmcnt(16) lgkmcnt(0)
	v_pk_fma_f32 v[32:33], v[54:55], v[58:59], v[32:33] op_sel_hi:[0,1,1] neg_lo:[1,0,0] neg_hi:[1,0,0]
	ds_read2_b32 v[58:59], v17 offset0:30 offset1:31
	s_waitcnt vmcnt(14) lgkmcnt(0)
	v_pk_fma_f32 v[26:27], v[54:55], v[58:59], v[26:27] op_sel_hi:[0,1,1] neg_lo:[1,0,0] neg_hi:[1,0,0]
	ds_read2_b32 v[58:59], v17 offset0:32 offset1:33
	s_waitcnt vmcnt(12) lgkmcnt(0)
	v_pk_fma_f32 v[52:53], v[54:55], v[58:59], v[52:53] op_sel_hi:[0,1,1] neg_lo:[1,0,0] neg_hi:[1,0,0]
	ds_read2_b32 v[58:59], v17 offset0:34 offset1:35
	s_waitcnt vmcnt(10) lgkmcnt(0)
	v_pk_fma_f32 v[46:47], v[54:55], v[58:59], v[46:47] op_sel_hi:[0,1,1] neg_lo:[1,0,0] neg_hi:[1,0,0]
	ds_read2_b32 v[58:59], v17 offset0:36 offset1:37
	s_waitcnt vmcnt(8) lgkmcnt(0)
	v_pk_fma_f32 v[42:43], v[54:55], v[58:59], v[42:43] op_sel_hi:[0,1,1] neg_lo:[1,0,0] neg_hi:[1,0,0]
	ds_read2_b32 v[58:59], v17 offset0:38 offset1:39
	s_waitcnt vmcnt(6) lgkmcnt(0)
	v_pk_fma_f32 v[38:39], v[54:55], v[58:59], v[38:39] op_sel_hi:[0,1,1] neg_lo:[1,0,0] neg_hi:[1,0,0]
	ds_read2_b32 v[58:59], v17 offset0:40 offset1:41
	s_waitcnt vmcnt(4) lgkmcnt(0)
	v_pk_fma_f32 v[40:41], v[54:55], v[58:59], v[40:41] op_sel_hi:[0,1,1] neg_lo:[1,0,0] neg_hi:[1,0,0]
	ds_read2_b32 v[58:59], v17 offset0:42 offset1:43
	s_waitcnt vmcnt(2) lgkmcnt(0)
	v_pk_fma_f32 v[50:51], v[54:55], v[58:59], v[50:51] op_sel_hi:[0,1,1] neg_lo:[1,0,0] neg_hi:[1,0,0]
	ds_read2_b32 v[58:59], v17 offset0:44 offset1:45
	s_waitcnt vmcnt(0) lgkmcnt(0)
	v_pk_fma_f32 v[48:49], v[54:55], v[58:59], v[48:49] op_sel_hi:[0,1,1] neg_lo:[1,0,0] neg_hi:[1,0,0]
.LBB90_233:
	s_or_b64 exec, exec, s[0:1]
	v_lshl_add_u32 v54, v57, 2, v17
	s_barrier
	s_waitcnt vmcnt(31)
	ds_write_b32 v54, v8
	s_waitcnt lgkmcnt(0)
	s_barrier
	ds_read_b32 v58, v17 offset:56
	s_cmp_lt_i32 s22, 16
	v_mov_b32_e32 v54, 14
	s_cbranch_scc1 .LBB90_236
; %bb.234:
	v_add3_u32 v59, v56, 0, 60
	v_mov_b32_e32 v54, 14
	s_mov_b32 s0, 15
.LBB90_235:                             ; =>This Inner Loop Header: Depth=1
	ds_read_b32 v60, v59
	v_mov_b32_e32 v61, s0
	s_add_i32 s0, s0, 1
	v_add_u32_e32 v59, 4, v59
	s_cmp_lg_u32 s22, s0
	s_waitcnt lgkmcnt(0)
	v_cmp_lt_f32_e64 vcc, |v58|, |v60|
	s_nop 1
	v_cndmask_b32_e32 v58, v58, v60, vcc
	v_cndmask_b32_e32 v54, v54, v61, vcc
	s_cbranch_scc1 .LBB90_235
.LBB90_236:
	s_waitcnt lgkmcnt(0)
	v_cmp_eq_f32_e32 vcc, 0, v58
	s_and_saveexec_b64 s[0:1], vcc
	s_xor_b64 s[0:1], exec, s[0:1]
; %bb.237:
	v_cmp_ne_u32_e32 vcc, 0, v19
	s_nop 1
	v_cndmask_b32_e32 v19, 15, v19, vcc
; %bb.238:
	s_andn2_saveexec_b64 s[0:1], s[0:1]
	s_cbranch_execz .LBB90_240
; %bb.239:
	v_div_scale_f32 v59, s[2:3], v58, v58, 1.0
	v_rcp_f32_e32 v60, v59
	v_div_scale_f32 v61, vcc, 1.0, v58, 1.0
	v_fma_f32 v62, -v59, v60, 1.0
	v_fmac_f32_e32 v60, v62, v60
	v_mul_f32_e32 v62, v61, v60
	v_fma_f32 v63, -v59, v62, v61
	v_fmac_f32_e32 v62, v63, v60
	v_fma_f32 v59, -v59, v62, v61
	v_div_fmas_f32 v59, v59, v60, v62
	v_div_fixup_f32 v58, v59, v58, 1.0
.LBB90_240:
	s_or_b64 exec, exec, s[0:1]
	v_cmp_ne_u32_e32 vcc, v57, v54
	s_and_saveexec_b64 s[0:1], vcc
	s_xor_b64 s[0:1], exec, s[0:1]
	s_cbranch_execz .LBB90_246
; %bb.241:
	v_cmp_eq_u32_e32 vcc, 14, v57
	s_and_saveexec_b64 s[2:3], vcc
	s_cbranch_execz .LBB90_245
; %bb.242:
	v_cmp_ne_u32_e32 vcc, 14, v54
	s_xor_b64 s[18:19], s[16:17], -1
	s_and_b64 s[20:21], s[18:19], vcc
	s_and_saveexec_b64 s[18:19], s[20:21]
	s_cbranch_execz .LBB90_244
; %bb.243:
	v_ashrrev_i32_e32 v55, 31, v54
	v_lshl_add_u64 v[60:61], v[54:55], 2, v[20:21]
	global_load_dword v55, v[60:61], off
	global_load_dword v57, v[20:21], off offset:56
	s_waitcnt vmcnt(1)
	global_store_dword v[20:21], v55, off offset:56
	s_waitcnt vmcnt(1)
	global_store_dword v[60:61], v57, off
.LBB90_244:
	s_or_b64 exec, exec, s[18:19]
	v_mov_b32_e32 v55, v54
	v_mov_b32_e32 v57, v54
.LBB90_245:
	s_or_b64 exec, exec, s[2:3]
.LBB90_246:
	s_andn2_saveexec_b64 s[0:1], s[0:1]
	s_cbranch_execz .LBB90_248
; %bb.247:
	s_waitcnt vmcnt(28)
	v_pk_mov_b32 v[60:61], v[8:9], v[34:35] op_sel:[1,0]
	ds_write2_b32 v17, v60, v61 offset0:15 offset1:16
	s_waitcnt vmcnt(26)
	v_pk_mov_b32 v[60:61], v[34:35], v[30:31] op_sel:[1,0]
	ds_write2_b32 v17, v60, v61 offset0:17 offset1:18
	;; [unrolled: 3-line block ×14, first 2 shown]
	s_waitcnt vmcnt(0)
	v_pk_mov_b32 v[60:61], v[50:51], v[48:49] op_sel:[1,0]
	v_mov_b32_e32 v57, 14
	ds_write2_b32 v17, v60, v61 offset0:43 offset1:44
	ds_write_b32 v17, v49 offset:180
.LBB90_248:
	s_or_b64 exec, exec, s[0:1]
	v_cmp_lt_i32_e32 vcc, 14, v57
	s_waitcnt lgkmcnt(0)
	s_barrier
	s_and_saveexec_b64 s[0:1], vcc
	s_cbranch_execz .LBB90_250
; %bb.249:
	ds_read_b32 v54, v17 offset:60
	v_mul_f32_e32 v8, v58, v8
	ds_read2_b32 v[58:59], v17 offset0:16 offset1:17
	s_waitcnt vmcnt(30) lgkmcnt(1)
	v_fma_f32 v9, -v8, v54, v9
	s_waitcnt vmcnt(28) lgkmcnt(0)
	v_pk_fma_f32 v[34:35], v[8:9], v[58:59], v[34:35] op_sel_hi:[0,1,1] neg_lo:[1,0,0] neg_hi:[1,0,0]
	ds_read2_b32 v[58:59], v17 offset0:18 offset1:19
	s_waitcnt vmcnt(26) lgkmcnt(0)
	v_pk_fma_f32 v[30:31], v[8:9], v[58:59], v[30:31] op_sel_hi:[0,1,1] neg_lo:[1,0,0] neg_hi:[1,0,0]
	ds_read2_b32 v[58:59], v17 offset0:20 offset1:21
	;; [unrolled: 3-line block ×14, first 2 shown]
	s_waitcnt vmcnt(0) lgkmcnt(0)
	v_pk_fma_f32 v[48:49], v[8:9], v[58:59], v[48:49] op_sel_hi:[0,1,1] neg_lo:[1,0,0] neg_hi:[1,0,0]
.LBB90_250:
	s_or_b64 exec, exec, s[0:1]
	v_lshl_add_u32 v54, v57, 2, v17
	s_barrier
	s_waitcnt vmcnt(30)
	ds_write_b32 v54, v9
	s_waitcnt lgkmcnt(0)
	s_barrier
	ds_read_b32 v58, v17 offset:60
	s_cmp_lt_i32 s22, 17
	v_mov_b32_e32 v54, 15
	s_cbranch_scc1 .LBB90_253
; %bb.251:
	v_add3_u32 v56, v56, 0, 64
	v_mov_b32_e32 v54, 15
	s_mov_b32 s0, 16
.LBB90_252:                             ; =>This Inner Loop Header: Depth=1
	ds_read_b32 v59, v56
	v_mov_b32_e32 v60, s0
	s_add_i32 s0, s0, 1
	v_add_u32_e32 v56, 4, v56
	s_cmp_lg_u32 s22, s0
	s_waitcnt lgkmcnt(0)
	v_cmp_lt_f32_e64 vcc, |v58|, |v59|
	s_nop 1
	v_cndmask_b32_e32 v58, v58, v59, vcc
	v_cndmask_b32_e32 v54, v54, v60, vcc
	s_cbranch_scc1 .LBB90_252
.LBB90_253:
	s_waitcnt lgkmcnt(0)
	v_cmp_eq_f32_e32 vcc, 0, v58
	s_and_saveexec_b64 s[0:1], vcc
	s_xor_b64 s[0:1], exec, s[0:1]
; %bb.254:
	v_cmp_ne_u32_e32 vcc, 0, v19
	s_nop 1
	v_cndmask_b32_e32 v19, 16, v19, vcc
; %bb.255:
	s_andn2_saveexec_b64 s[0:1], s[0:1]
	s_cbranch_execz .LBB90_257
; %bb.256:
	v_div_scale_f32 v56, s[2:3], v58, v58, 1.0
	v_rcp_f32_e32 v59, v56
	v_div_scale_f32 v60, vcc, 1.0, v58, 1.0
	v_fma_f32 v61, -v56, v59, 1.0
	v_fmac_f32_e32 v59, v61, v59
	v_mul_f32_e32 v61, v60, v59
	v_fma_f32 v62, -v56, v61, v60
	v_fmac_f32_e32 v61, v62, v59
	v_fma_f32 v56, -v56, v61, v60
	v_div_fmas_f32 v56, v56, v59, v61
	v_div_fixup_f32 v58, v56, v58, 1.0
.LBB90_257:
	s_or_b64 exec, exec, s[0:1]
	v_cmp_ne_u32_e32 vcc, v57, v54
	s_and_saveexec_b64 s[0:1], vcc
	s_xor_b64 s[0:1], exec, s[0:1]
	s_cbranch_execz .LBB90_263
; %bb.258:
	v_cmp_eq_u32_e32 vcc, 15, v57
	s_and_saveexec_b64 s[2:3], vcc
	s_cbranch_execz .LBB90_262
; %bb.259:
	v_cmp_ne_u32_e32 vcc, 15, v54
	s_xor_b64 s[18:19], s[16:17], -1
	s_and_b64 s[20:21], s[18:19], vcc
	s_and_saveexec_b64 s[18:19], s[20:21]
	s_cbranch_execz .LBB90_261
; %bb.260:
	v_ashrrev_i32_e32 v55, 31, v54
	v_lshl_add_u64 v[56:57], v[54:55], 2, v[20:21]
	global_load_dword v55, v[56:57], off
	global_load_dword v59, v[20:21], off offset:60
	s_waitcnt vmcnt(1)
	global_store_dword v[20:21], v55, off offset:60
	s_waitcnt vmcnt(1)
	global_store_dword v[56:57], v59, off
.LBB90_261:
	s_or_b64 exec, exec, s[18:19]
	v_mov_b32_e32 v55, v54
	v_mov_b32_e32 v57, v54
.LBB90_262:
	s_or_b64 exec, exec, s[2:3]
.LBB90_263:
	s_andn2_saveexec_b64 s[0:1], s[0:1]
	s_cbranch_execz .LBB90_265
; %bb.264:
	v_mov_b32_e32 v57, 15
	s_waitcnt vmcnt(28)
	ds_write2_b32 v17, v34, v35 offset0:16 offset1:17
	s_waitcnt vmcnt(26)
	ds_write2_b32 v17, v30, v31 offset0:18 offset1:19
	;; [unrolled: 2-line block ×15, first 2 shown]
.LBB90_265:
	s_or_b64 exec, exec, s[0:1]
	v_cmp_lt_i32_e32 vcc, 15, v57
	s_waitcnt lgkmcnt(0)
	s_barrier
	s_and_saveexec_b64 s[0:1], vcc
	s_cbranch_execz .LBB90_267
; %bb.266:
	v_mul_f32_e32 v54, v58, v9
	ds_read2_b32 v[58:59], v17 offset0:16 offset1:17
	v_mov_b32_e32 v9, v54
	s_waitcnt vmcnt(28) lgkmcnt(0)
	v_pk_fma_f32 v[34:35], v[54:55], v[58:59], v[34:35] op_sel_hi:[0,1,1] neg_lo:[1,0,0] neg_hi:[1,0,0]
	ds_read2_b32 v[58:59], v17 offset0:18 offset1:19
	s_waitcnt vmcnt(26) lgkmcnt(0)
	v_pk_fma_f32 v[30:31], v[54:55], v[58:59], v[30:31] op_sel_hi:[0,1,1] neg_lo:[1,0,0] neg_hi:[1,0,0]
	ds_read2_b32 v[58:59], v17 offset0:20 offset1:21
	;; [unrolled: 3-line block ×14, first 2 shown]
	s_waitcnt vmcnt(0) lgkmcnt(0)
	v_pk_fma_f32 v[48:49], v[54:55], v[58:59], v[48:49] op_sel_hi:[0,1,1] neg_lo:[1,0,0] neg_hi:[1,0,0]
.LBB90_267:
	s_or_b64 exec, exec, s[0:1]
	v_lshl_add_u32 v54, v57, 2, v17
	s_barrier
	s_waitcnt vmcnt(29)
	ds_write_b32 v54, v34
	s_waitcnt lgkmcnt(0)
	s_barrier
	ds_read_b32 v56, v17 offset:64
	s_cmp_lt_i32 s22, 18
	v_mov_b32_e32 v54, 16
	s_cbranch_scc1 .LBB90_270
; %bb.268:
	v_add_u32_e32 v58, 0x44, v17
	v_mov_b32_e32 v54, 16
	s_mov_b32 s0, 17
.LBB90_269:                             ; =>This Inner Loop Header: Depth=1
	ds_read_b32 v59, v58
	v_mov_b32_e32 v60, s0
	s_add_i32 s0, s0, 1
	v_add_u32_e32 v58, 4, v58
	s_cmp_lg_u32 s22, s0
	s_waitcnt lgkmcnt(0)
	v_cmp_lt_f32_e64 vcc, |v56|, |v59|
	s_nop 1
	v_cndmask_b32_e32 v56, v56, v59, vcc
	v_cndmask_b32_e32 v54, v54, v60, vcc
	s_cbranch_scc1 .LBB90_269
.LBB90_270:
	s_waitcnt lgkmcnt(0)
	v_cmp_eq_f32_e32 vcc, 0, v56
	s_and_saveexec_b64 s[0:1], vcc
	s_xor_b64 s[0:1], exec, s[0:1]
; %bb.271:
	v_cmp_ne_u32_e32 vcc, 0, v19
	s_nop 1
	v_cndmask_b32_e32 v19, 17, v19, vcc
; %bb.272:
	s_andn2_saveexec_b64 s[0:1], s[0:1]
	s_cbranch_execz .LBB90_274
; %bb.273:
	v_div_scale_f32 v58, s[2:3], v56, v56, 1.0
	v_rcp_f32_e32 v59, v58
	v_div_scale_f32 v60, vcc, 1.0, v56, 1.0
	v_fma_f32 v61, -v58, v59, 1.0
	v_fmac_f32_e32 v59, v61, v59
	v_mul_f32_e32 v61, v60, v59
	v_fma_f32 v62, -v58, v61, v60
	v_fmac_f32_e32 v61, v62, v59
	v_fma_f32 v58, -v58, v61, v60
	v_div_fmas_f32 v58, v58, v59, v61
	v_div_fixup_f32 v56, v58, v56, 1.0
.LBB90_274:
	s_or_b64 exec, exec, s[0:1]
	v_cmp_ne_u32_e32 vcc, v57, v54
	s_and_saveexec_b64 s[0:1], vcc
	s_xor_b64 s[0:1], exec, s[0:1]
	s_cbranch_execz .LBB90_280
; %bb.275:
	v_cmp_eq_u32_e32 vcc, 16, v57
	s_and_saveexec_b64 s[2:3], vcc
	s_cbranch_execz .LBB90_279
; %bb.276:
	v_cmp_ne_u32_e32 vcc, 16, v54
	s_xor_b64 s[18:19], s[16:17], -1
	s_and_b64 s[20:21], s[18:19], vcc
	s_and_saveexec_b64 s[18:19], s[20:21]
	s_cbranch_execz .LBB90_278
; %bb.277:
	v_ashrrev_i32_e32 v55, 31, v54
	v_lshl_add_u64 v[58:59], v[54:55], 2, v[20:21]
	global_load_dword v55, v[58:59], off
	global_load_dword v57, v[20:21], off offset:64
	s_waitcnt vmcnt(1)
	global_store_dword v[20:21], v55, off offset:64
	s_waitcnt vmcnt(1)
	global_store_dword v[58:59], v57, off
.LBB90_278:
	s_or_b64 exec, exec, s[18:19]
	v_mov_b32_e32 v55, v54
	v_mov_b32_e32 v57, v54
.LBB90_279:
	s_or_b64 exec, exec, s[2:3]
.LBB90_280:
	s_andn2_saveexec_b64 s[0:1], s[0:1]
	s_cbranch_execz .LBB90_282
; %bb.281:
	s_waitcnt vmcnt(26)
	v_pk_mov_b32 v[58:59], v[34:35], v[30:31] op_sel:[1,0]
	ds_write2_b32 v17, v58, v59 offset0:17 offset1:18
	s_waitcnt vmcnt(24)
	v_pk_mov_b32 v[58:59], v[30:31], v[24:25] op_sel:[1,0]
	ds_write2_b32 v17, v58, v59 offset0:19 offset1:20
	;; [unrolled: 3-line block ×13, first 2 shown]
	s_waitcnt vmcnt(0)
	v_pk_mov_b32 v[58:59], v[50:51], v[48:49] op_sel:[1,0]
	v_mov_b32_e32 v57, 16
	ds_write2_b32 v17, v58, v59 offset0:43 offset1:44
	ds_write_b32 v17, v49 offset:180
.LBB90_282:
	s_or_b64 exec, exec, s[0:1]
	v_cmp_lt_i32_e32 vcc, 16, v57
	s_waitcnt lgkmcnt(0)
	s_barrier
	s_and_saveexec_b64 s[0:1], vcc
	s_cbranch_execz .LBB90_284
; %bb.283:
	ds_read_b32 v54, v17 offset:68
	ds_read2_b32 v[58:59], v17 offset0:18 offset1:19
	v_mul_f32_e32 v34, v56, v34
	s_waitcnt vmcnt(28) lgkmcnt(1)
	v_fma_f32 v35, -v34, v54, v35
	s_waitcnt vmcnt(26) lgkmcnt(0)
	v_pk_fma_f32 v[30:31], v[34:35], v[58:59], v[30:31] op_sel_hi:[0,1,1] neg_lo:[1,0,0] neg_hi:[1,0,0]
	ds_read2_b32 v[58:59], v17 offset0:20 offset1:21
	s_waitcnt vmcnt(24) lgkmcnt(0)
	v_pk_fma_f32 v[24:25], v[34:35], v[58:59], v[24:25] op_sel_hi:[0,1,1] neg_lo:[1,0,0] neg_hi:[1,0,0]
	ds_read2_b32 v[58:59], v17 offset0:22 offset1:23
	;; [unrolled: 3-line block ×13, first 2 shown]
	s_waitcnt vmcnt(0) lgkmcnt(0)
	v_pk_fma_f32 v[48:49], v[34:35], v[58:59], v[48:49] op_sel_hi:[0,1,1] neg_lo:[1,0,0] neg_hi:[1,0,0]
.LBB90_284:
	s_or_b64 exec, exec, s[0:1]
	v_lshl_add_u32 v54, v57, 2, v17
	s_barrier
	s_waitcnt vmcnt(28)
	ds_write_b32 v54, v35
	s_waitcnt lgkmcnt(0)
	s_barrier
	ds_read_b32 v56, v17 offset:68
	s_cmp_lt_i32 s22, 19
	v_mov_b32_e32 v54, 17
	s_cbranch_scc1 .LBB90_287
; %bb.285:
	v_add_u32_e32 v58, 0x48, v17
	v_mov_b32_e32 v54, 17
	s_mov_b32 s0, 18
.LBB90_286:                             ; =>This Inner Loop Header: Depth=1
	ds_read_b32 v59, v58
	v_mov_b32_e32 v60, s0
	s_add_i32 s0, s0, 1
	v_add_u32_e32 v58, 4, v58
	s_cmp_lg_u32 s22, s0
	s_waitcnt lgkmcnt(0)
	v_cmp_lt_f32_e64 vcc, |v56|, |v59|
	s_nop 1
	v_cndmask_b32_e32 v56, v56, v59, vcc
	v_cndmask_b32_e32 v54, v54, v60, vcc
	s_cbranch_scc1 .LBB90_286
.LBB90_287:
	s_waitcnt lgkmcnt(0)
	v_cmp_eq_f32_e32 vcc, 0, v56
	s_and_saveexec_b64 s[0:1], vcc
	s_xor_b64 s[0:1], exec, s[0:1]
; %bb.288:
	v_cmp_ne_u32_e32 vcc, 0, v19
	s_nop 1
	v_cndmask_b32_e32 v19, 18, v19, vcc
; %bb.289:
	s_andn2_saveexec_b64 s[0:1], s[0:1]
	s_cbranch_execz .LBB90_291
; %bb.290:
	v_div_scale_f32 v58, s[2:3], v56, v56, 1.0
	v_rcp_f32_e32 v59, v58
	v_div_scale_f32 v60, vcc, 1.0, v56, 1.0
	v_fma_f32 v61, -v58, v59, 1.0
	v_fmac_f32_e32 v59, v61, v59
	v_mul_f32_e32 v61, v60, v59
	v_fma_f32 v62, -v58, v61, v60
	v_fmac_f32_e32 v61, v62, v59
	v_fma_f32 v58, -v58, v61, v60
	v_div_fmas_f32 v58, v58, v59, v61
	v_div_fixup_f32 v56, v58, v56, 1.0
.LBB90_291:
	s_or_b64 exec, exec, s[0:1]
	v_cmp_ne_u32_e32 vcc, v57, v54
	s_and_saveexec_b64 s[0:1], vcc
	s_xor_b64 s[0:1], exec, s[0:1]
	s_cbranch_execz .LBB90_297
; %bb.292:
	v_cmp_eq_u32_e32 vcc, 17, v57
	s_and_saveexec_b64 s[2:3], vcc
	s_cbranch_execz .LBB90_296
; %bb.293:
	v_cmp_ne_u32_e32 vcc, 17, v54
	s_xor_b64 s[18:19], s[16:17], -1
	s_and_b64 s[20:21], s[18:19], vcc
	s_and_saveexec_b64 s[18:19], s[20:21]
	s_cbranch_execz .LBB90_295
; %bb.294:
	v_ashrrev_i32_e32 v55, 31, v54
	v_lshl_add_u64 v[58:59], v[54:55], 2, v[20:21]
	global_load_dword v55, v[58:59], off
	global_load_dword v57, v[20:21], off offset:68
	s_waitcnt vmcnt(1)
	global_store_dword v[20:21], v55, off offset:68
	s_waitcnt vmcnt(1)
	global_store_dword v[58:59], v57, off
.LBB90_295:
	s_or_b64 exec, exec, s[18:19]
	v_mov_b32_e32 v55, v54
	v_mov_b32_e32 v57, v54
.LBB90_296:
	s_or_b64 exec, exec, s[2:3]
.LBB90_297:
	s_andn2_saveexec_b64 s[0:1], s[0:1]
	s_cbranch_execz .LBB90_299
; %bb.298:
	v_mov_b32_e32 v57, 17
	s_waitcnt vmcnt(26)
	ds_write2_b32 v17, v30, v31 offset0:18 offset1:19
	s_waitcnt vmcnt(24)
	ds_write2_b32 v17, v24, v25 offset0:20 offset1:21
	;; [unrolled: 2-line block ×14, first 2 shown]
.LBB90_299:
	s_or_b64 exec, exec, s[0:1]
	v_cmp_lt_i32_e32 vcc, 17, v57
	s_waitcnt lgkmcnt(0)
	s_barrier
	s_and_saveexec_b64 s[0:1], vcc
	s_cbranch_execz .LBB90_301
; %bb.300:
	ds_read2_b32 v[58:59], v17 offset0:18 offset1:19
	v_mul_f32_e32 v54, v56, v35
	v_mov_b32_e32 v35, v54
	s_waitcnt vmcnt(26) lgkmcnt(0)
	v_pk_fma_f32 v[30:31], v[54:55], v[58:59], v[30:31] op_sel_hi:[0,1,1] neg_lo:[1,0,0] neg_hi:[1,0,0]
	ds_read2_b32 v[58:59], v17 offset0:20 offset1:21
	s_waitcnt vmcnt(24) lgkmcnt(0)
	v_pk_fma_f32 v[24:25], v[54:55], v[58:59], v[24:25] op_sel_hi:[0,1,1] neg_lo:[1,0,0] neg_hi:[1,0,0]
	ds_read2_b32 v[58:59], v17 offset0:22 offset1:23
	;; [unrolled: 3-line block ×13, first 2 shown]
	s_waitcnt vmcnt(0) lgkmcnt(0)
	v_pk_fma_f32 v[48:49], v[54:55], v[58:59], v[48:49] op_sel_hi:[0,1,1] neg_lo:[1,0,0] neg_hi:[1,0,0]
.LBB90_301:
	s_or_b64 exec, exec, s[0:1]
	v_lshl_add_u32 v54, v57, 2, v17
	s_barrier
	s_waitcnt vmcnt(27)
	ds_write_b32 v54, v30
	s_waitcnt lgkmcnt(0)
	s_barrier
	ds_read_b32 v56, v17 offset:72
	s_cmp_lt_i32 s22, 20
	v_mov_b32_e32 v54, 18
	s_cbranch_scc1 .LBB90_304
; %bb.302:
	v_add_u32_e32 v58, 0x4c, v17
	v_mov_b32_e32 v54, 18
	s_mov_b32 s0, 19
.LBB90_303:                             ; =>This Inner Loop Header: Depth=1
	ds_read_b32 v59, v58
	v_mov_b32_e32 v60, s0
	s_add_i32 s0, s0, 1
	v_add_u32_e32 v58, 4, v58
	s_cmp_lg_u32 s22, s0
	s_waitcnt lgkmcnt(0)
	v_cmp_lt_f32_e64 vcc, |v56|, |v59|
	s_nop 1
	v_cndmask_b32_e32 v56, v56, v59, vcc
	v_cndmask_b32_e32 v54, v54, v60, vcc
	s_cbranch_scc1 .LBB90_303
.LBB90_304:
	s_waitcnt lgkmcnt(0)
	v_cmp_eq_f32_e32 vcc, 0, v56
	s_and_saveexec_b64 s[0:1], vcc
	s_xor_b64 s[0:1], exec, s[0:1]
; %bb.305:
	v_cmp_ne_u32_e32 vcc, 0, v19
	s_nop 1
	v_cndmask_b32_e32 v19, 19, v19, vcc
; %bb.306:
	s_andn2_saveexec_b64 s[0:1], s[0:1]
	s_cbranch_execz .LBB90_308
; %bb.307:
	v_div_scale_f32 v58, s[2:3], v56, v56, 1.0
	v_rcp_f32_e32 v59, v58
	v_div_scale_f32 v60, vcc, 1.0, v56, 1.0
	v_fma_f32 v61, -v58, v59, 1.0
	v_fmac_f32_e32 v59, v61, v59
	v_mul_f32_e32 v61, v60, v59
	v_fma_f32 v62, -v58, v61, v60
	v_fmac_f32_e32 v61, v62, v59
	v_fma_f32 v58, -v58, v61, v60
	v_div_fmas_f32 v58, v58, v59, v61
	v_div_fixup_f32 v56, v58, v56, 1.0
.LBB90_308:
	s_or_b64 exec, exec, s[0:1]
	v_cmp_ne_u32_e32 vcc, v57, v54
	s_and_saveexec_b64 s[0:1], vcc
	s_xor_b64 s[0:1], exec, s[0:1]
	s_cbranch_execz .LBB90_314
; %bb.309:
	v_cmp_eq_u32_e32 vcc, 18, v57
	s_and_saveexec_b64 s[2:3], vcc
	s_cbranch_execz .LBB90_313
; %bb.310:
	v_cmp_ne_u32_e32 vcc, 18, v54
	s_xor_b64 s[18:19], s[16:17], -1
	s_and_b64 s[20:21], s[18:19], vcc
	s_and_saveexec_b64 s[18:19], s[20:21]
	s_cbranch_execz .LBB90_312
; %bb.311:
	v_ashrrev_i32_e32 v55, 31, v54
	v_lshl_add_u64 v[58:59], v[54:55], 2, v[20:21]
	global_load_dword v55, v[58:59], off
	global_load_dword v57, v[20:21], off offset:72
	s_waitcnt vmcnt(1)
	global_store_dword v[20:21], v55, off offset:72
	s_waitcnt vmcnt(1)
	global_store_dword v[58:59], v57, off
.LBB90_312:
	s_or_b64 exec, exec, s[18:19]
	v_mov_b32_e32 v55, v54
	v_mov_b32_e32 v57, v54
.LBB90_313:
	s_or_b64 exec, exec, s[2:3]
.LBB90_314:
	s_andn2_saveexec_b64 s[0:1], s[0:1]
	s_cbranch_execz .LBB90_316
; %bb.315:
	s_waitcnt vmcnt(24)
	v_pk_mov_b32 v[58:59], v[30:31], v[24:25] op_sel:[1,0]
	ds_write2_b32 v17, v58, v59 offset0:19 offset1:20
	s_waitcnt vmcnt(22)
	v_pk_mov_b32 v[58:59], v[24:25], v[14:15] op_sel:[1,0]
	ds_write2_b32 v17, v58, v59 offset0:21 offset1:22
	;; [unrolled: 3-line block ×12, first 2 shown]
	s_waitcnt vmcnt(0)
	v_pk_mov_b32 v[58:59], v[50:51], v[48:49] op_sel:[1,0]
	v_mov_b32_e32 v57, 18
	ds_write2_b32 v17, v58, v59 offset0:43 offset1:44
	ds_write_b32 v17, v49 offset:180
.LBB90_316:
	s_or_b64 exec, exec, s[0:1]
	v_cmp_lt_i32_e32 vcc, 18, v57
	s_waitcnt lgkmcnt(0)
	s_barrier
	s_and_saveexec_b64 s[0:1], vcc
	s_cbranch_execz .LBB90_318
; %bb.317:
	ds_read_b32 v54, v17 offset:76
	ds_read2_b32 v[58:59], v17 offset0:20 offset1:21
	v_mul_f32_e32 v30, v56, v30
	s_waitcnt vmcnt(26) lgkmcnt(1)
	v_fma_f32 v31, -v30, v54, v31
	s_waitcnt vmcnt(24) lgkmcnt(0)
	v_pk_fma_f32 v[24:25], v[30:31], v[58:59], v[24:25] op_sel_hi:[0,1,1] neg_lo:[1,0,0] neg_hi:[1,0,0]
	ds_read2_b32 v[58:59], v17 offset0:22 offset1:23
	s_waitcnt vmcnt(22) lgkmcnt(0)
	v_pk_fma_f32 v[14:15], v[30:31], v[58:59], v[14:15] op_sel_hi:[0,1,1] neg_lo:[1,0,0] neg_hi:[1,0,0]
	ds_read2_b32 v[58:59], v17 offset0:24 offset1:25
	;; [unrolled: 3-line block ×12, first 2 shown]
	s_waitcnt vmcnt(0) lgkmcnt(0)
	v_pk_fma_f32 v[48:49], v[30:31], v[58:59], v[48:49] op_sel_hi:[0,1,1] neg_lo:[1,0,0] neg_hi:[1,0,0]
.LBB90_318:
	s_or_b64 exec, exec, s[0:1]
	v_lshl_add_u32 v54, v57, 2, v17
	s_barrier
	s_waitcnt vmcnt(26)
	ds_write_b32 v54, v31
	s_waitcnt lgkmcnt(0)
	s_barrier
	ds_read_b32 v56, v17 offset:76
	s_cmp_lt_i32 s22, 21
	v_mov_b32_e32 v54, 19
	s_cbranch_scc1 .LBB90_321
; %bb.319:
	v_add_u32_e32 v58, 0x50, v17
	v_mov_b32_e32 v54, 19
	s_mov_b32 s0, 20
.LBB90_320:                             ; =>This Inner Loop Header: Depth=1
	ds_read_b32 v59, v58
	v_mov_b32_e32 v60, s0
	s_add_i32 s0, s0, 1
	v_add_u32_e32 v58, 4, v58
	s_cmp_lg_u32 s22, s0
	s_waitcnt lgkmcnt(0)
	v_cmp_lt_f32_e64 vcc, |v56|, |v59|
	s_nop 1
	v_cndmask_b32_e32 v56, v56, v59, vcc
	v_cndmask_b32_e32 v54, v54, v60, vcc
	s_cbranch_scc1 .LBB90_320
.LBB90_321:
	s_waitcnt lgkmcnt(0)
	v_cmp_eq_f32_e32 vcc, 0, v56
	s_and_saveexec_b64 s[0:1], vcc
	s_xor_b64 s[0:1], exec, s[0:1]
; %bb.322:
	v_cmp_ne_u32_e32 vcc, 0, v19
	s_nop 1
	v_cndmask_b32_e32 v19, 20, v19, vcc
; %bb.323:
	s_andn2_saveexec_b64 s[0:1], s[0:1]
	s_cbranch_execz .LBB90_325
; %bb.324:
	v_div_scale_f32 v58, s[2:3], v56, v56, 1.0
	v_rcp_f32_e32 v59, v58
	v_div_scale_f32 v60, vcc, 1.0, v56, 1.0
	v_fma_f32 v61, -v58, v59, 1.0
	v_fmac_f32_e32 v59, v61, v59
	v_mul_f32_e32 v61, v60, v59
	v_fma_f32 v62, -v58, v61, v60
	v_fmac_f32_e32 v61, v62, v59
	v_fma_f32 v58, -v58, v61, v60
	v_div_fmas_f32 v58, v58, v59, v61
	v_div_fixup_f32 v56, v58, v56, 1.0
.LBB90_325:
	s_or_b64 exec, exec, s[0:1]
	v_cmp_ne_u32_e32 vcc, v57, v54
	s_and_saveexec_b64 s[0:1], vcc
	s_xor_b64 s[0:1], exec, s[0:1]
	s_cbranch_execz .LBB90_331
; %bb.326:
	v_cmp_eq_u32_e32 vcc, 19, v57
	s_and_saveexec_b64 s[2:3], vcc
	s_cbranch_execz .LBB90_330
; %bb.327:
	v_cmp_ne_u32_e32 vcc, 19, v54
	s_xor_b64 s[18:19], s[16:17], -1
	s_and_b64 s[20:21], s[18:19], vcc
	s_and_saveexec_b64 s[18:19], s[20:21]
	s_cbranch_execz .LBB90_329
; %bb.328:
	v_ashrrev_i32_e32 v55, 31, v54
	v_lshl_add_u64 v[58:59], v[54:55], 2, v[20:21]
	global_load_dword v55, v[58:59], off
	global_load_dword v57, v[20:21], off offset:76
	s_waitcnt vmcnt(1)
	global_store_dword v[20:21], v55, off offset:76
	s_waitcnt vmcnt(1)
	global_store_dword v[58:59], v57, off
.LBB90_329:
	s_or_b64 exec, exec, s[18:19]
	v_mov_b32_e32 v55, v54
	v_mov_b32_e32 v57, v54
.LBB90_330:
	s_or_b64 exec, exec, s[2:3]
.LBB90_331:
	s_andn2_saveexec_b64 s[0:1], s[0:1]
	s_cbranch_execz .LBB90_333
; %bb.332:
	v_mov_b32_e32 v57, 19
	s_waitcnt vmcnt(24)
	ds_write2_b32 v17, v24, v25 offset0:20 offset1:21
	s_waitcnt vmcnt(22)
	ds_write2_b32 v17, v14, v15 offset0:22 offset1:23
	s_waitcnt vmcnt(20)
	ds_write2_b32 v17, v44, v45 offset0:24 offset1:25
	s_waitcnt vmcnt(18)
	ds_write2_b32 v17, v36, v37 offset0:26 offset1:27
	s_waitcnt vmcnt(16)
	ds_write2_b32 v17, v32, v33 offset0:28 offset1:29
	s_waitcnt vmcnt(14)
	ds_write2_b32 v17, v26, v27 offset0:30 offset1:31
	s_waitcnt vmcnt(12)
	ds_write2_b32 v17, v52, v53 offset0:32 offset1:33
	s_waitcnt vmcnt(10)
	ds_write2_b32 v17, v46, v47 offset0:34 offset1:35
	s_waitcnt vmcnt(8)
	ds_write2_b32 v17, v42, v43 offset0:36 offset1:37
	s_waitcnt vmcnt(6)
	ds_write2_b32 v17, v38, v39 offset0:38 offset1:39
	s_waitcnt vmcnt(4)
	ds_write2_b32 v17, v40, v41 offset0:40 offset1:41
	s_waitcnt vmcnt(2)
	ds_write2_b32 v17, v50, v51 offset0:42 offset1:43
	s_waitcnt vmcnt(0)
	ds_write2_b32 v17, v48, v49 offset0:44 offset1:45
.LBB90_333:
	s_or_b64 exec, exec, s[0:1]
	v_cmp_lt_i32_e32 vcc, 19, v57
	s_waitcnt lgkmcnt(0)
	s_barrier
	s_and_saveexec_b64 s[0:1], vcc
	s_cbranch_execz .LBB90_335
; %bb.334:
	ds_read2_b32 v[58:59], v17 offset0:20 offset1:21
	v_mul_f32_e32 v54, v56, v31
	v_mov_b32_e32 v31, v54
	s_waitcnt vmcnt(24) lgkmcnt(0)
	v_pk_fma_f32 v[24:25], v[54:55], v[58:59], v[24:25] op_sel_hi:[0,1,1] neg_lo:[1,0,0] neg_hi:[1,0,0]
	ds_read2_b32 v[58:59], v17 offset0:22 offset1:23
	s_waitcnt vmcnt(22) lgkmcnt(0)
	v_pk_fma_f32 v[14:15], v[54:55], v[58:59], v[14:15] op_sel_hi:[0,1,1] neg_lo:[1,0,0] neg_hi:[1,0,0]
	ds_read2_b32 v[58:59], v17 offset0:24 offset1:25
	s_waitcnt vmcnt(20) lgkmcnt(0)
	v_pk_fma_f32 v[44:45], v[54:55], v[58:59], v[44:45] op_sel_hi:[0,1,1] neg_lo:[1,0,0] neg_hi:[1,0,0]
	ds_read2_b32 v[58:59], v17 offset0:26 offset1:27
	s_waitcnt vmcnt(18) lgkmcnt(0)
	v_pk_fma_f32 v[36:37], v[54:55], v[58:59], v[36:37] op_sel_hi:[0,1,1] neg_lo:[1,0,0] neg_hi:[1,0,0]
	ds_read2_b32 v[58:59], v17 offset0:28 offset1:29
	s_waitcnt vmcnt(16) lgkmcnt(0)
	v_pk_fma_f32 v[32:33], v[54:55], v[58:59], v[32:33] op_sel_hi:[0,1,1] neg_lo:[1,0,0] neg_hi:[1,0,0]
	ds_read2_b32 v[58:59], v17 offset0:30 offset1:31
	s_waitcnt vmcnt(14) lgkmcnt(0)
	v_pk_fma_f32 v[26:27], v[54:55], v[58:59], v[26:27] op_sel_hi:[0,1,1] neg_lo:[1,0,0] neg_hi:[1,0,0]
	ds_read2_b32 v[58:59], v17 offset0:32 offset1:33
	s_waitcnt vmcnt(12) lgkmcnt(0)
	v_pk_fma_f32 v[52:53], v[54:55], v[58:59], v[52:53] op_sel_hi:[0,1,1] neg_lo:[1,0,0] neg_hi:[1,0,0]
	ds_read2_b32 v[58:59], v17 offset0:34 offset1:35
	s_waitcnt vmcnt(10) lgkmcnt(0)
	v_pk_fma_f32 v[46:47], v[54:55], v[58:59], v[46:47] op_sel_hi:[0,1,1] neg_lo:[1,0,0] neg_hi:[1,0,0]
	ds_read2_b32 v[58:59], v17 offset0:36 offset1:37
	s_waitcnt vmcnt(8) lgkmcnt(0)
	v_pk_fma_f32 v[42:43], v[54:55], v[58:59], v[42:43] op_sel_hi:[0,1,1] neg_lo:[1,0,0] neg_hi:[1,0,0]
	ds_read2_b32 v[58:59], v17 offset0:38 offset1:39
	s_waitcnt vmcnt(6) lgkmcnt(0)
	v_pk_fma_f32 v[38:39], v[54:55], v[58:59], v[38:39] op_sel_hi:[0,1,1] neg_lo:[1,0,0] neg_hi:[1,0,0]
	ds_read2_b32 v[58:59], v17 offset0:40 offset1:41
	s_waitcnt vmcnt(4) lgkmcnt(0)
	v_pk_fma_f32 v[40:41], v[54:55], v[58:59], v[40:41] op_sel_hi:[0,1,1] neg_lo:[1,0,0] neg_hi:[1,0,0]
	ds_read2_b32 v[58:59], v17 offset0:42 offset1:43
	s_waitcnt vmcnt(2) lgkmcnt(0)
	v_pk_fma_f32 v[50:51], v[54:55], v[58:59], v[50:51] op_sel_hi:[0,1,1] neg_lo:[1,0,0] neg_hi:[1,0,0]
	ds_read2_b32 v[58:59], v17 offset0:44 offset1:45
	s_waitcnt vmcnt(0) lgkmcnt(0)
	v_pk_fma_f32 v[48:49], v[54:55], v[58:59], v[48:49] op_sel_hi:[0,1,1] neg_lo:[1,0,0] neg_hi:[1,0,0]
.LBB90_335:
	s_or_b64 exec, exec, s[0:1]
	v_lshl_add_u32 v54, v57, 2, v17
	s_barrier
	s_waitcnt vmcnt(25)
	ds_write_b32 v54, v24
	s_waitcnt lgkmcnt(0)
	s_barrier
	ds_read_b32 v56, v17 offset:80
	s_cmp_lt_i32 s22, 22
	v_mov_b32_e32 v54, 20
	s_cbranch_scc1 .LBB90_338
; %bb.336:
	v_add_u32_e32 v58, 0x54, v17
	v_mov_b32_e32 v54, 20
	s_mov_b32 s0, 21
.LBB90_337:                             ; =>This Inner Loop Header: Depth=1
	ds_read_b32 v59, v58
	v_mov_b32_e32 v60, s0
	s_add_i32 s0, s0, 1
	v_add_u32_e32 v58, 4, v58
	s_cmp_lg_u32 s22, s0
	s_waitcnt lgkmcnt(0)
	v_cmp_lt_f32_e64 vcc, |v56|, |v59|
	s_nop 1
	v_cndmask_b32_e32 v56, v56, v59, vcc
	v_cndmask_b32_e32 v54, v54, v60, vcc
	s_cbranch_scc1 .LBB90_337
.LBB90_338:
	s_waitcnt lgkmcnt(0)
	v_cmp_eq_f32_e32 vcc, 0, v56
	s_and_saveexec_b64 s[0:1], vcc
	s_xor_b64 s[0:1], exec, s[0:1]
; %bb.339:
	v_cmp_ne_u32_e32 vcc, 0, v19
	s_nop 1
	v_cndmask_b32_e32 v19, 21, v19, vcc
; %bb.340:
	s_andn2_saveexec_b64 s[0:1], s[0:1]
	s_cbranch_execz .LBB90_342
; %bb.341:
	v_div_scale_f32 v58, s[2:3], v56, v56, 1.0
	v_rcp_f32_e32 v59, v58
	v_div_scale_f32 v60, vcc, 1.0, v56, 1.0
	v_fma_f32 v61, -v58, v59, 1.0
	v_fmac_f32_e32 v59, v61, v59
	v_mul_f32_e32 v61, v60, v59
	v_fma_f32 v62, -v58, v61, v60
	v_fmac_f32_e32 v61, v62, v59
	v_fma_f32 v58, -v58, v61, v60
	v_div_fmas_f32 v58, v58, v59, v61
	v_div_fixup_f32 v56, v58, v56, 1.0
.LBB90_342:
	s_or_b64 exec, exec, s[0:1]
	v_cmp_ne_u32_e32 vcc, v57, v54
	s_and_saveexec_b64 s[0:1], vcc
	s_xor_b64 s[0:1], exec, s[0:1]
	s_cbranch_execz .LBB90_348
; %bb.343:
	v_cmp_eq_u32_e32 vcc, 20, v57
	s_and_saveexec_b64 s[2:3], vcc
	s_cbranch_execz .LBB90_347
; %bb.344:
	v_cmp_ne_u32_e32 vcc, 20, v54
	s_xor_b64 s[18:19], s[16:17], -1
	s_and_b64 s[20:21], s[18:19], vcc
	s_and_saveexec_b64 s[18:19], s[20:21]
	s_cbranch_execz .LBB90_346
; %bb.345:
	v_ashrrev_i32_e32 v55, 31, v54
	v_lshl_add_u64 v[58:59], v[54:55], 2, v[20:21]
	global_load_dword v55, v[58:59], off
	global_load_dword v57, v[20:21], off offset:80
	s_waitcnt vmcnt(1)
	global_store_dword v[20:21], v55, off offset:80
	s_waitcnt vmcnt(1)
	global_store_dword v[58:59], v57, off
.LBB90_346:
	s_or_b64 exec, exec, s[18:19]
	v_mov_b32_e32 v55, v54
	v_mov_b32_e32 v57, v54
.LBB90_347:
	s_or_b64 exec, exec, s[2:3]
.LBB90_348:
	s_andn2_saveexec_b64 s[0:1], s[0:1]
	s_cbranch_execz .LBB90_350
; %bb.349:
	s_waitcnt vmcnt(22)
	v_pk_mov_b32 v[58:59], v[24:25], v[14:15] op_sel:[1,0]
	ds_write2_b32 v17, v58, v59 offset0:21 offset1:22
	s_waitcnt vmcnt(20)
	v_pk_mov_b32 v[58:59], v[14:15], v[44:45] op_sel:[1,0]
	ds_write2_b32 v17, v58, v59 offset0:23 offset1:24
	;; [unrolled: 3-line block ×11, first 2 shown]
	s_waitcnt vmcnt(0)
	v_pk_mov_b32 v[58:59], v[50:51], v[48:49] op_sel:[1,0]
	v_mov_b32_e32 v57, 20
	ds_write2_b32 v17, v58, v59 offset0:43 offset1:44
	ds_write_b32 v17, v49 offset:180
.LBB90_350:
	s_or_b64 exec, exec, s[0:1]
	v_cmp_lt_i32_e32 vcc, 20, v57
	s_waitcnt lgkmcnt(0)
	s_barrier
	s_and_saveexec_b64 s[0:1], vcc
	s_cbranch_execz .LBB90_352
; %bb.351:
	ds_read_b32 v54, v17 offset:84
	ds_read2_b32 v[58:59], v17 offset0:22 offset1:23
	v_mul_f32_e32 v24, v56, v24
	s_waitcnt vmcnt(24) lgkmcnt(1)
	v_fma_f32 v25, -v24, v54, v25
	s_waitcnt vmcnt(22) lgkmcnt(0)
	v_pk_fma_f32 v[14:15], v[24:25], v[58:59], v[14:15] op_sel_hi:[0,1,1] neg_lo:[1,0,0] neg_hi:[1,0,0]
	ds_read2_b32 v[58:59], v17 offset0:24 offset1:25
	s_waitcnt vmcnt(20) lgkmcnt(0)
	v_pk_fma_f32 v[44:45], v[24:25], v[58:59], v[44:45] op_sel_hi:[0,1,1] neg_lo:[1,0,0] neg_hi:[1,0,0]
	ds_read2_b32 v[58:59], v17 offset0:26 offset1:27
	;; [unrolled: 3-line block ×11, first 2 shown]
	s_waitcnt vmcnt(0) lgkmcnt(0)
	v_pk_fma_f32 v[48:49], v[24:25], v[58:59], v[48:49] op_sel_hi:[0,1,1] neg_lo:[1,0,0] neg_hi:[1,0,0]
.LBB90_352:
	s_or_b64 exec, exec, s[0:1]
	v_lshl_add_u32 v54, v57, 2, v17
	s_barrier
	s_waitcnt vmcnt(24)
	ds_write_b32 v54, v25
	s_waitcnt lgkmcnt(0)
	s_barrier
	ds_read_b32 v56, v17 offset:84
	s_cmp_lt_i32 s22, 23
	v_mov_b32_e32 v54, 21
	s_cbranch_scc1 .LBB90_355
; %bb.353:
	v_add_u32_e32 v58, 0x58, v17
	v_mov_b32_e32 v54, 21
	s_mov_b32 s0, 22
.LBB90_354:                             ; =>This Inner Loop Header: Depth=1
	ds_read_b32 v59, v58
	v_mov_b32_e32 v60, s0
	s_add_i32 s0, s0, 1
	v_add_u32_e32 v58, 4, v58
	s_cmp_lg_u32 s22, s0
	s_waitcnt lgkmcnt(0)
	v_cmp_lt_f32_e64 vcc, |v56|, |v59|
	s_nop 1
	v_cndmask_b32_e32 v56, v56, v59, vcc
	v_cndmask_b32_e32 v54, v54, v60, vcc
	s_cbranch_scc1 .LBB90_354
.LBB90_355:
	s_waitcnt lgkmcnt(0)
	v_cmp_eq_f32_e32 vcc, 0, v56
	s_and_saveexec_b64 s[0:1], vcc
	s_xor_b64 s[0:1], exec, s[0:1]
; %bb.356:
	v_cmp_ne_u32_e32 vcc, 0, v19
	s_nop 1
	v_cndmask_b32_e32 v19, 22, v19, vcc
; %bb.357:
	s_andn2_saveexec_b64 s[0:1], s[0:1]
	s_cbranch_execz .LBB90_359
; %bb.358:
	v_div_scale_f32 v58, s[2:3], v56, v56, 1.0
	v_rcp_f32_e32 v59, v58
	v_div_scale_f32 v60, vcc, 1.0, v56, 1.0
	v_fma_f32 v61, -v58, v59, 1.0
	v_fmac_f32_e32 v59, v61, v59
	v_mul_f32_e32 v61, v60, v59
	v_fma_f32 v62, -v58, v61, v60
	v_fmac_f32_e32 v61, v62, v59
	v_fma_f32 v58, -v58, v61, v60
	v_div_fmas_f32 v58, v58, v59, v61
	v_div_fixup_f32 v56, v58, v56, 1.0
.LBB90_359:
	s_or_b64 exec, exec, s[0:1]
	v_cmp_ne_u32_e32 vcc, v57, v54
	s_and_saveexec_b64 s[0:1], vcc
	s_xor_b64 s[0:1], exec, s[0:1]
	s_cbranch_execz .LBB90_365
; %bb.360:
	v_cmp_eq_u32_e32 vcc, 21, v57
	s_and_saveexec_b64 s[2:3], vcc
	s_cbranch_execz .LBB90_364
; %bb.361:
	v_cmp_ne_u32_e32 vcc, 21, v54
	s_xor_b64 s[18:19], s[16:17], -1
	s_and_b64 s[20:21], s[18:19], vcc
	s_and_saveexec_b64 s[18:19], s[20:21]
	s_cbranch_execz .LBB90_363
; %bb.362:
	v_ashrrev_i32_e32 v55, 31, v54
	v_lshl_add_u64 v[58:59], v[54:55], 2, v[20:21]
	global_load_dword v55, v[58:59], off
	global_load_dword v57, v[20:21], off offset:84
	s_waitcnt vmcnt(1)
	global_store_dword v[20:21], v55, off offset:84
	s_waitcnt vmcnt(1)
	global_store_dword v[58:59], v57, off
.LBB90_363:
	s_or_b64 exec, exec, s[18:19]
	v_mov_b32_e32 v55, v54
	v_mov_b32_e32 v57, v54
.LBB90_364:
	s_or_b64 exec, exec, s[2:3]
.LBB90_365:
	s_andn2_saveexec_b64 s[0:1], s[0:1]
	s_cbranch_execz .LBB90_367
; %bb.366:
	v_mov_b32_e32 v57, 21
	s_waitcnt vmcnt(22)
	ds_write2_b32 v17, v14, v15 offset0:22 offset1:23
	s_waitcnt vmcnt(20)
	ds_write2_b32 v17, v44, v45 offset0:24 offset1:25
	;; [unrolled: 2-line block ×12, first 2 shown]
.LBB90_367:
	s_or_b64 exec, exec, s[0:1]
	v_cmp_lt_i32_e32 vcc, 21, v57
	s_waitcnt lgkmcnt(0)
	s_barrier
	s_and_saveexec_b64 s[0:1], vcc
	s_cbranch_execz .LBB90_369
; %bb.368:
	ds_read2_b32 v[58:59], v17 offset0:22 offset1:23
	v_mul_f32_e32 v54, v56, v25
	v_mov_b32_e32 v25, v54
	s_waitcnt vmcnt(22) lgkmcnt(0)
	v_pk_fma_f32 v[14:15], v[54:55], v[58:59], v[14:15] op_sel_hi:[0,1,1] neg_lo:[1,0,0] neg_hi:[1,0,0]
	ds_read2_b32 v[58:59], v17 offset0:24 offset1:25
	s_waitcnt vmcnt(20) lgkmcnt(0)
	v_pk_fma_f32 v[44:45], v[54:55], v[58:59], v[44:45] op_sel_hi:[0,1,1] neg_lo:[1,0,0] neg_hi:[1,0,0]
	ds_read2_b32 v[58:59], v17 offset0:26 offset1:27
	;; [unrolled: 3-line block ×11, first 2 shown]
	s_waitcnt vmcnt(0) lgkmcnt(0)
	v_pk_fma_f32 v[48:49], v[54:55], v[58:59], v[48:49] op_sel_hi:[0,1,1] neg_lo:[1,0,0] neg_hi:[1,0,0]
.LBB90_369:
	s_or_b64 exec, exec, s[0:1]
	v_lshl_add_u32 v54, v57, 2, v17
	s_barrier
	s_waitcnt vmcnt(23)
	ds_write_b32 v54, v14
	s_waitcnt lgkmcnt(0)
	s_barrier
	ds_read_b32 v56, v17 offset:88
	s_cmp_lt_i32 s22, 24
	v_mov_b32_e32 v54, 22
	s_cbranch_scc1 .LBB90_372
; %bb.370:
	v_add_u32_e32 v58, 0x5c, v17
	v_mov_b32_e32 v54, 22
	s_mov_b32 s0, 23
.LBB90_371:                             ; =>This Inner Loop Header: Depth=1
	ds_read_b32 v59, v58
	v_mov_b32_e32 v60, s0
	s_add_i32 s0, s0, 1
	v_add_u32_e32 v58, 4, v58
	s_cmp_lg_u32 s22, s0
	s_waitcnt lgkmcnt(0)
	v_cmp_lt_f32_e64 vcc, |v56|, |v59|
	s_nop 1
	v_cndmask_b32_e32 v56, v56, v59, vcc
	v_cndmask_b32_e32 v54, v54, v60, vcc
	s_cbranch_scc1 .LBB90_371
.LBB90_372:
	s_waitcnt lgkmcnt(0)
	v_cmp_eq_f32_e32 vcc, 0, v56
	s_and_saveexec_b64 s[0:1], vcc
	s_xor_b64 s[0:1], exec, s[0:1]
; %bb.373:
	v_cmp_ne_u32_e32 vcc, 0, v19
	s_nop 1
	v_cndmask_b32_e32 v19, 23, v19, vcc
; %bb.374:
	s_andn2_saveexec_b64 s[0:1], s[0:1]
	s_cbranch_execz .LBB90_376
; %bb.375:
	v_div_scale_f32 v58, s[2:3], v56, v56, 1.0
	v_rcp_f32_e32 v59, v58
	v_div_scale_f32 v60, vcc, 1.0, v56, 1.0
	v_fma_f32 v61, -v58, v59, 1.0
	v_fmac_f32_e32 v59, v61, v59
	v_mul_f32_e32 v61, v60, v59
	v_fma_f32 v62, -v58, v61, v60
	v_fmac_f32_e32 v61, v62, v59
	v_fma_f32 v58, -v58, v61, v60
	v_div_fmas_f32 v58, v58, v59, v61
	v_div_fixup_f32 v56, v58, v56, 1.0
.LBB90_376:
	s_or_b64 exec, exec, s[0:1]
	v_cmp_ne_u32_e32 vcc, v57, v54
	s_and_saveexec_b64 s[0:1], vcc
	s_xor_b64 s[0:1], exec, s[0:1]
	s_cbranch_execz .LBB90_382
; %bb.377:
	v_cmp_eq_u32_e32 vcc, 22, v57
	s_and_saveexec_b64 s[2:3], vcc
	s_cbranch_execz .LBB90_381
; %bb.378:
	v_cmp_ne_u32_e32 vcc, 22, v54
	s_xor_b64 s[18:19], s[16:17], -1
	s_and_b64 s[20:21], s[18:19], vcc
	s_and_saveexec_b64 s[18:19], s[20:21]
	s_cbranch_execz .LBB90_380
; %bb.379:
	v_ashrrev_i32_e32 v55, 31, v54
	v_lshl_add_u64 v[58:59], v[54:55], 2, v[20:21]
	global_load_dword v55, v[58:59], off
	global_load_dword v57, v[20:21], off offset:88
	s_waitcnt vmcnt(1)
	global_store_dword v[20:21], v55, off offset:88
	s_waitcnt vmcnt(1)
	global_store_dword v[58:59], v57, off
.LBB90_380:
	s_or_b64 exec, exec, s[18:19]
	v_mov_b32_e32 v55, v54
	v_mov_b32_e32 v57, v54
.LBB90_381:
	s_or_b64 exec, exec, s[2:3]
.LBB90_382:
	s_andn2_saveexec_b64 s[0:1], s[0:1]
	s_cbranch_execz .LBB90_384
; %bb.383:
	s_waitcnt vmcnt(20)
	v_pk_mov_b32 v[58:59], v[14:15], v[44:45] op_sel:[1,0]
	ds_write2_b32 v17, v58, v59 offset0:23 offset1:24
	s_waitcnt vmcnt(18)
	v_pk_mov_b32 v[58:59], v[44:45], v[36:37] op_sel:[1,0]
	ds_write2_b32 v17, v58, v59 offset0:25 offset1:26
	;; [unrolled: 3-line block ×10, first 2 shown]
	s_waitcnt vmcnt(0)
	v_pk_mov_b32 v[58:59], v[50:51], v[48:49] op_sel:[1,0]
	v_mov_b32_e32 v57, 22
	ds_write2_b32 v17, v58, v59 offset0:43 offset1:44
	ds_write_b32 v17, v49 offset:180
.LBB90_384:
	s_or_b64 exec, exec, s[0:1]
	v_cmp_lt_i32_e32 vcc, 22, v57
	s_waitcnt lgkmcnt(0)
	s_barrier
	s_and_saveexec_b64 s[0:1], vcc
	s_cbranch_execz .LBB90_386
; %bb.385:
	ds_read_b32 v54, v17 offset:92
	ds_read2_b32 v[58:59], v17 offset0:24 offset1:25
	v_mul_f32_e32 v14, v56, v14
	s_waitcnt vmcnt(22) lgkmcnt(1)
	v_fma_f32 v15, -v14, v54, v15
	s_waitcnt vmcnt(20) lgkmcnt(0)
	v_pk_fma_f32 v[44:45], v[14:15], v[58:59], v[44:45] op_sel_hi:[0,1,1] neg_lo:[1,0,0] neg_hi:[1,0,0]
	ds_read2_b32 v[58:59], v17 offset0:26 offset1:27
	s_waitcnt vmcnt(18) lgkmcnt(0)
	v_pk_fma_f32 v[36:37], v[14:15], v[58:59], v[36:37] op_sel_hi:[0,1,1] neg_lo:[1,0,0] neg_hi:[1,0,0]
	ds_read2_b32 v[58:59], v17 offset0:28 offset1:29
	;; [unrolled: 3-line block ×10, first 2 shown]
	s_waitcnt vmcnt(0) lgkmcnt(0)
	v_pk_fma_f32 v[48:49], v[14:15], v[58:59], v[48:49] op_sel_hi:[0,1,1] neg_lo:[1,0,0] neg_hi:[1,0,0]
.LBB90_386:
	s_or_b64 exec, exec, s[0:1]
	v_lshl_add_u32 v54, v57, 2, v17
	s_barrier
	s_waitcnt vmcnt(22)
	ds_write_b32 v54, v15
	s_waitcnt lgkmcnt(0)
	s_barrier
	ds_read_b32 v56, v17 offset:92
	s_cmp_lt_i32 s22, 25
	v_mov_b32_e32 v54, 23
	s_cbranch_scc1 .LBB90_389
; %bb.387:
	v_add_u32_e32 v58, 0x60, v17
	v_mov_b32_e32 v54, 23
	s_mov_b32 s0, 24
.LBB90_388:                             ; =>This Inner Loop Header: Depth=1
	ds_read_b32 v59, v58
	v_mov_b32_e32 v60, s0
	s_add_i32 s0, s0, 1
	v_add_u32_e32 v58, 4, v58
	s_cmp_lg_u32 s22, s0
	s_waitcnt lgkmcnt(0)
	v_cmp_lt_f32_e64 vcc, |v56|, |v59|
	s_nop 1
	v_cndmask_b32_e32 v56, v56, v59, vcc
	v_cndmask_b32_e32 v54, v54, v60, vcc
	s_cbranch_scc1 .LBB90_388
.LBB90_389:
	s_waitcnt lgkmcnt(0)
	v_cmp_eq_f32_e32 vcc, 0, v56
	s_and_saveexec_b64 s[0:1], vcc
	s_xor_b64 s[0:1], exec, s[0:1]
; %bb.390:
	v_cmp_ne_u32_e32 vcc, 0, v19
	s_nop 1
	v_cndmask_b32_e32 v19, 24, v19, vcc
; %bb.391:
	s_andn2_saveexec_b64 s[0:1], s[0:1]
	s_cbranch_execz .LBB90_393
; %bb.392:
	v_div_scale_f32 v58, s[2:3], v56, v56, 1.0
	v_rcp_f32_e32 v59, v58
	v_div_scale_f32 v60, vcc, 1.0, v56, 1.0
	v_fma_f32 v61, -v58, v59, 1.0
	v_fmac_f32_e32 v59, v61, v59
	v_mul_f32_e32 v61, v60, v59
	v_fma_f32 v62, -v58, v61, v60
	v_fmac_f32_e32 v61, v62, v59
	v_fma_f32 v58, -v58, v61, v60
	v_div_fmas_f32 v58, v58, v59, v61
	v_div_fixup_f32 v56, v58, v56, 1.0
.LBB90_393:
	s_or_b64 exec, exec, s[0:1]
	v_cmp_ne_u32_e32 vcc, v57, v54
	s_and_saveexec_b64 s[0:1], vcc
	s_xor_b64 s[0:1], exec, s[0:1]
	s_cbranch_execz .LBB90_399
; %bb.394:
	v_cmp_eq_u32_e32 vcc, 23, v57
	s_and_saveexec_b64 s[2:3], vcc
	s_cbranch_execz .LBB90_398
; %bb.395:
	v_cmp_ne_u32_e32 vcc, 23, v54
	s_xor_b64 s[18:19], s[16:17], -1
	s_and_b64 s[20:21], s[18:19], vcc
	s_and_saveexec_b64 s[18:19], s[20:21]
	s_cbranch_execz .LBB90_397
; %bb.396:
	v_ashrrev_i32_e32 v55, 31, v54
	v_lshl_add_u64 v[58:59], v[54:55], 2, v[20:21]
	global_load_dword v55, v[58:59], off
	global_load_dword v57, v[20:21], off offset:92
	s_waitcnt vmcnt(1)
	global_store_dword v[20:21], v55, off offset:92
	s_waitcnt vmcnt(1)
	global_store_dword v[58:59], v57, off
.LBB90_397:
	s_or_b64 exec, exec, s[18:19]
	v_mov_b32_e32 v55, v54
	v_mov_b32_e32 v57, v54
.LBB90_398:
	s_or_b64 exec, exec, s[2:3]
.LBB90_399:
	s_andn2_saveexec_b64 s[0:1], s[0:1]
	s_cbranch_execz .LBB90_401
; %bb.400:
	v_mov_b32_e32 v57, 23
	s_waitcnt vmcnt(20)
	ds_write2_b32 v17, v44, v45 offset0:24 offset1:25
	s_waitcnt vmcnt(18)
	ds_write2_b32 v17, v36, v37 offset0:26 offset1:27
	s_waitcnt vmcnt(16)
	ds_write2_b32 v17, v32, v33 offset0:28 offset1:29
	s_waitcnt vmcnt(14)
	ds_write2_b32 v17, v26, v27 offset0:30 offset1:31
	s_waitcnt vmcnt(12)
	ds_write2_b32 v17, v52, v53 offset0:32 offset1:33
	s_waitcnt vmcnt(10)
	ds_write2_b32 v17, v46, v47 offset0:34 offset1:35
	s_waitcnt vmcnt(8)
	ds_write2_b32 v17, v42, v43 offset0:36 offset1:37
	s_waitcnt vmcnt(6)
	ds_write2_b32 v17, v38, v39 offset0:38 offset1:39
	s_waitcnt vmcnt(4)
	ds_write2_b32 v17, v40, v41 offset0:40 offset1:41
	s_waitcnt vmcnt(2)
	ds_write2_b32 v17, v50, v51 offset0:42 offset1:43
	s_waitcnt vmcnt(0)
	ds_write2_b32 v17, v48, v49 offset0:44 offset1:45
.LBB90_401:
	s_or_b64 exec, exec, s[0:1]
	v_cmp_lt_i32_e32 vcc, 23, v57
	s_waitcnt lgkmcnt(0)
	s_barrier
	s_and_saveexec_b64 s[0:1], vcc
	s_cbranch_execz .LBB90_403
; %bb.402:
	ds_read2_b32 v[58:59], v17 offset0:24 offset1:25
	v_mul_f32_e32 v54, v56, v15
	v_mov_b32_e32 v15, v54
	s_waitcnt vmcnt(20) lgkmcnt(0)
	v_pk_fma_f32 v[44:45], v[54:55], v[58:59], v[44:45] op_sel_hi:[0,1,1] neg_lo:[1,0,0] neg_hi:[1,0,0]
	ds_read2_b32 v[58:59], v17 offset0:26 offset1:27
	s_waitcnt vmcnt(18) lgkmcnt(0)
	v_pk_fma_f32 v[36:37], v[54:55], v[58:59], v[36:37] op_sel_hi:[0,1,1] neg_lo:[1,0,0] neg_hi:[1,0,0]
	ds_read2_b32 v[58:59], v17 offset0:28 offset1:29
	;; [unrolled: 3-line block ×10, first 2 shown]
	s_waitcnt vmcnt(0) lgkmcnt(0)
	v_pk_fma_f32 v[48:49], v[54:55], v[58:59], v[48:49] op_sel_hi:[0,1,1] neg_lo:[1,0,0] neg_hi:[1,0,0]
.LBB90_403:
	s_or_b64 exec, exec, s[0:1]
	v_lshl_add_u32 v54, v57, 2, v17
	s_barrier
	s_waitcnt vmcnt(21)
	ds_write_b32 v54, v44
	s_waitcnt lgkmcnt(0)
	s_barrier
	ds_read_b32 v56, v17 offset:96
	s_cmp_lt_i32 s22, 26
	v_mov_b32_e32 v54, 24
	s_cbranch_scc1 .LBB90_406
; %bb.404:
	v_add_u32_e32 v58, 0x64, v17
	v_mov_b32_e32 v54, 24
	s_mov_b32 s0, 25
.LBB90_405:                             ; =>This Inner Loop Header: Depth=1
	ds_read_b32 v59, v58
	v_mov_b32_e32 v60, s0
	s_add_i32 s0, s0, 1
	v_add_u32_e32 v58, 4, v58
	s_cmp_lg_u32 s22, s0
	s_waitcnt lgkmcnt(0)
	v_cmp_lt_f32_e64 vcc, |v56|, |v59|
	s_nop 1
	v_cndmask_b32_e32 v56, v56, v59, vcc
	v_cndmask_b32_e32 v54, v54, v60, vcc
	s_cbranch_scc1 .LBB90_405
.LBB90_406:
	s_waitcnt lgkmcnt(0)
	v_cmp_eq_f32_e32 vcc, 0, v56
	s_and_saveexec_b64 s[0:1], vcc
	s_xor_b64 s[0:1], exec, s[0:1]
; %bb.407:
	v_cmp_ne_u32_e32 vcc, 0, v19
	s_nop 1
	v_cndmask_b32_e32 v19, 25, v19, vcc
; %bb.408:
	s_andn2_saveexec_b64 s[0:1], s[0:1]
	s_cbranch_execz .LBB90_410
; %bb.409:
	v_div_scale_f32 v58, s[2:3], v56, v56, 1.0
	v_rcp_f32_e32 v59, v58
	v_div_scale_f32 v60, vcc, 1.0, v56, 1.0
	v_fma_f32 v61, -v58, v59, 1.0
	v_fmac_f32_e32 v59, v61, v59
	v_mul_f32_e32 v61, v60, v59
	v_fma_f32 v62, -v58, v61, v60
	v_fmac_f32_e32 v61, v62, v59
	v_fma_f32 v58, -v58, v61, v60
	v_div_fmas_f32 v58, v58, v59, v61
	v_div_fixup_f32 v56, v58, v56, 1.0
.LBB90_410:
	s_or_b64 exec, exec, s[0:1]
	v_cmp_ne_u32_e32 vcc, v57, v54
	s_and_saveexec_b64 s[0:1], vcc
	s_xor_b64 s[0:1], exec, s[0:1]
	s_cbranch_execz .LBB90_416
; %bb.411:
	v_cmp_eq_u32_e32 vcc, 24, v57
	s_and_saveexec_b64 s[2:3], vcc
	s_cbranch_execz .LBB90_415
; %bb.412:
	v_cmp_ne_u32_e32 vcc, 24, v54
	s_xor_b64 s[18:19], s[16:17], -1
	s_and_b64 s[20:21], s[18:19], vcc
	s_and_saveexec_b64 s[18:19], s[20:21]
	s_cbranch_execz .LBB90_414
; %bb.413:
	v_ashrrev_i32_e32 v55, 31, v54
	v_lshl_add_u64 v[58:59], v[54:55], 2, v[20:21]
	global_load_dword v55, v[58:59], off
	global_load_dword v57, v[20:21], off offset:96
	s_waitcnt vmcnt(1)
	global_store_dword v[20:21], v55, off offset:96
	s_waitcnt vmcnt(1)
	global_store_dword v[58:59], v57, off
.LBB90_414:
	s_or_b64 exec, exec, s[18:19]
	v_mov_b32_e32 v55, v54
	v_mov_b32_e32 v57, v54
.LBB90_415:
	s_or_b64 exec, exec, s[2:3]
.LBB90_416:
	s_andn2_saveexec_b64 s[0:1], s[0:1]
	s_cbranch_execz .LBB90_418
; %bb.417:
	s_waitcnt vmcnt(18)
	v_pk_mov_b32 v[58:59], v[44:45], v[36:37] op_sel:[1,0]
	ds_write2_b32 v17, v58, v59 offset0:25 offset1:26
	s_waitcnt vmcnt(16)
	v_pk_mov_b32 v[58:59], v[36:37], v[32:33] op_sel:[1,0]
	ds_write2_b32 v17, v58, v59 offset0:27 offset1:28
	;; [unrolled: 3-line block ×9, first 2 shown]
	s_waitcnt vmcnt(0)
	v_pk_mov_b32 v[58:59], v[50:51], v[48:49] op_sel:[1,0]
	v_mov_b32_e32 v57, 24
	ds_write2_b32 v17, v58, v59 offset0:43 offset1:44
	ds_write_b32 v17, v49 offset:180
.LBB90_418:
	s_or_b64 exec, exec, s[0:1]
	v_cmp_lt_i32_e32 vcc, 24, v57
	s_waitcnt lgkmcnt(0)
	s_barrier
	s_and_saveexec_b64 s[0:1], vcc
	s_cbranch_execz .LBB90_420
; %bb.419:
	ds_read_b32 v54, v17 offset:100
	ds_read2_b32 v[58:59], v17 offset0:26 offset1:27
	v_mul_f32_e32 v44, v56, v44
	s_waitcnt vmcnt(20) lgkmcnt(1)
	v_fma_f32 v45, -v44, v54, v45
	s_waitcnt vmcnt(18) lgkmcnt(0)
	v_pk_fma_f32 v[36:37], v[44:45], v[58:59], v[36:37] op_sel_hi:[0,1,1] neg_lo:[1,0,0] neg_hi:[1,0,0]
	ds_read2_b32 v[58:59], v17 offset0:28 offset1:29
	s_waitcnt vmcnt(16) lgkmcnt(0)
	v_pk_fma_f32 v[32:33], v[44:45], v[58:59], v[32:33] op_sel_hi:[0,1,1] neg_lo:[1,0,0] neg_hi:[1,0,0]
	ds_read2_b32 v[58:59], v17 offset0:30 offset1:31
	;; [unrolled: 3-line block ×9, first 2 shown]
	s_waitcnt vmcnt(0) lgkmcnt(0)
	v_pk_fma_f32 v[48:49], v[44:45], v[58:59], v[48:49] op_sel_hi:[0,1,1] neg_lo:[1,0,0] neg_hi:[1,0,0]
.LBB90_420:
	s_or_b64 exec, exec, s[0:1]
	v_lshl_add_u32 v54, v57, 2, v17
	s_barrier
	s_waitcnt vmcnt(20)
	ds_write_b32 v54, v45
	s_waitcnt lgkmcnt(0)
	s_barrier
	ds_read_b32 v56, v17 offset:100
	s_cmp_lt_i32 s22, 27
	v_mov_b32_e32 v54, 25
	s_cbranch_scc1 .LBB90_423
; %bb.421:
	v_add_u32_e32 v58, 0x68, v17
	v_mov_b32_e32 v54, 25
	s_mov_b32 s0, 26
.LBB90_422:                             ; =>This Inner Loop Header: Depth=1
	ds_read_b32 v59, v58
	v_mov_b32_e32 v60, s0
	s_add_i32 s0, s0, 1
	v_add_u32_e32 v58, 4, v58
	s_cmp_lg_u32 s22, s0
	s_waitcnt lgkmcnt(0)
	v_cmp_lt_f32_e64 vcc, |v56|, |v59|
	s_nop 1
	v_cndmask_b32_e32 v56, v56, v59, vcc
	v_cndmask_b32_e32 v54, v54, v60, vcc
	s_cbranch_scc1 .LBB90_422
.LBB90_423:
	s_waitcnt lgkmcnt(0)
	v_cmp_eq_f32_e32 vcc, 0, v56
	s_and_saveexec_b64 s[0:1], vcc
	s_xor_b64 s[0:1], exec, s[0:1]
; %bb.424:
	v_cmp_ne_u32_e32 vcc, 0, v19
	s_nop 1
	v_cndmask_b32_e32 v19, 26, v19, vcc
; %bb.425:
	s_andn2_saveexec_b64 s[0:1], s[0:1]
	s_cbranch_execz .LBB90_427
; %bb.426:
	v_div_scale_f32 v58, s[2:3], v56, v56, 1.0
	v_rcp_f32_e32 v59, v58
	v_div_scale_f32 v60, vcc, 1.0, v56, 1.0
	v_fma_f32 v61, -v58, v59, 1.0
	v_fmac_f32_e32 v59, v61, v59
	v_mul_f32_e32 v61, v60, v59
	v_fma_f32 v62, -v58, v61, v60
	v_fmac_f32_e32 v61, v62, v59
	v_fma_f32 v58, -v58, v61, v60
	v_div_fmas_f32 v58, v58, v59, v61
	v_div_fixup_f32 v56, v58, v56, 1.0
.LBB90_427:
	s_or_b64 exec, exec, s[0:1]
	v_cmp_ne_u32_e32 vcc, v57, v54
	s_and_saveexec_b64 s[0:1], vcc
	s_xor_b64 s[0:1], exec, s[0:1]
	s_cbranch_execz .LBB90_433
; %bb.428:
	v_cmp_eq_u32_e32 vcc, 25, v57
	s_and_saveexec_b64 s[2:3], vcc
	s_cbranch_execz .LBB90_432
; %bb.429:
	v_cmp_ne_u32_e32 vcc, 25, v54
	s_xor_b64 s[18:19], s[16:17], -1
	s_and_b64 s[20:21], s[18:19], vcc
	s_and_saveexec_b64 s[18:19], s[20:21]
	s_cbranch_execz .LBB90_431
; %bb.430:
	v_ashrrev_i32_e32 v55, 31, v54
	v_lshl_add_u64 v[58:59], v[54:55], 2, v[20:21]
	global_load_dword v55, v[58:59], off
	global_load_dword v57, v[20:21], off offset:100
	s_waitcnt vmcnt(1)
	global_store_dword v[20:21], v55, off offset:100
	s_waitcnt vmcnt(1)
	global_store_dword v[58:59], v57, off
.LBB90_431:
	s_or_b64 exec, exec, s[18:19]
	v_mov_b32_e32 v55, v54
	v_mov_b32_e32 v57, v54
.LBB90_432:
	s_or_b64 exec, exec, s[2:3]
.LBB90_433:
	s_andn2_saveexec_b64 s[0:1], s[0:1]
	s_cbranch_execz .LBB90_435
; %bb.434:
	v_mov_b32_e32 v57, 25
	s_waitcnt vmcnt(18)
	ds_write2_b32 v17, v36, v37 offset0:26 offset1:27
	s_waitcnt vmcnt(16)
	ds_write2_b32 v17, v32, v33 offset0:28 offset1:29
	;; [unrolled: 2-line block ×10, first 2 shown]
.LBB90_435:
	s_or_b64 exec, exec, s[0:1]
	v_cmp_lt_i32_e32 vcc, 25, v57
	s_waitcnt lgkmcnt(0)
	s_barrier
	s_and_saveexec_b64 s[0:1], vcc
	s_cbranch_execz .LBB90_437
; %bb.436:
	ds_read2_b32 v[58:59], v17 offset0:26 offset1:27
	v_mul_f32_e32 v54, v56, v45
	v_mov_b32_e32 v45, v54
	s_waitcnt vmcnt(18) lgkmcnt(0)
	v_pk_fma_f32 v[36:37], v[54:55], v[58:59], v[36:37] op_sel_hi:[0,1,1] neg_lo:[1,0,0] neg_hi:[1,0,0]
	ds_read2_b32 v[58:59], v17 offset0:28 offset1:29
	s_waitcnt vmcnt(16) lgkmcnt(0)
	v_pk_fma_f32 v[32:33], v[54:55], v[58:59], v[32:33] op_sel_hi:[0,1,1] neg_lo:[1,0,0] neg_hi:[1,0,0]
	ds_read2_b32 v[58:59], v17 offset0:30 offset1:31
	;; [unrolled: 3-line block ×9, first 2 shown]
	s_waitcnt vmcnt(0) lgkmcnt(0)
	v_pk_fma_f32 v[48:49], v[54:55], v[58:59], v[48:49] op_sel_hi:[0,1,1] neg_lo:[1,0,0] neg_hi:[1,0,0]
.LBB90_437:
	s_or_b64 exec, exec, s[0:1]
	v_lshl_add_u32 v54, v57, 2, v17
	s_barrier
	s_waitcnt vmcnt(19)
	ds_write_b32 v54, v36
	s_waitcnt lgkmcnt(0)
	s_barrier
	ds_read_b32 v56, v17 offset:104
	s_cmp_lt_i32 s22, 28
	v_mov_b32_e32 v54, 26
	s_cbranch_scc1 .LBB90_440
; %bb.438:
	v_add_u32_e32 v58, 0x6c, v17
	v_mov_b32_e32 v54, 26
	s_mov_b32 s0, 27
.LBB90_439:                             ; =>This Inner Loop Header: Depth=1
	ds_read_b32 v59, v58
	v_mov_b32_e32 v60, s0
	s_add_i32 s0, s0, 1
	v_add_u32_e32 v58, 4, v58
	s_cmp_lg_u32 s22, s0
	s_waitcnt lgkmcnt(0)
	v_cmp_lt_f32_e64 vcc, |v56|, |v59|
	s_nop 1
	v_cndmask_b32_e32 v56, v56, v59, vcc
	v_cndmask_b32_e32 v54, v54, v60, vcc
	s_cbranch_scc1 .LBB90_439
.LBB90_440:
	s_waitcnt lgkmcnt(0)
	v_cmp_eq_f32_e32 vcc, 0, v56
	s_and_saveexec_b64 s[0:1], vcc
	s_xor_b64 s[0:1], exec, s[0:1]
; %bb.441:
	v_cmp_ne_u32_e32 vcc, 0, v19
	s_nop 1
	v_cndmask_b32_e32 v19, 27, v19, vcc
; %bb.442:
	s_andn2_saveexec_b64 s[0:1], s[0:1]
	s_cbranch_execz .LBB90_444
; %bb.443:
	v_div_scale_f32 v58, s[2:3], v56, v56, 1.0
	v_rcp_f32_e32 v59, v58
	v_div_scale_f32 v60, vcc, 1.0, v56, 1.0
	v_fma_f32 v61, -v58, v59, 1.0
	v_fmac_f32_e32 v59, v61, v59
	v_mul_f32_e32 v61, v60, v59
	v_fma_f32 v62, -v58, v61, v60
	v_fmac_f32_e32 v61, v62, v59
	v_fma_f32 v58, -v58, v61, v60
	v_div_fmas_f32 v58, v58, v59, v61
	v_div_fixup_f32 v56, v58, v56, 1.0
.LBB90_444:
	s_or_b64 exec, exec, s[0:1]
	v_cmp_ne_u32_e32 vcc, v57, v54
	s_and_saveexec_b64 s[0:1], vcc
	s_xor_b64 s[0:1], exec, s[0:1]
	s_cbranch_execz .LBB90_450
; %bb.445:
	v_cmp_eq_u32_e32 vcc, 26, v57
	s_and_saveexec_b64 s[2:3], vcc
	s_cbranch_execz .LBB90_449
; %bb.446:
	v_cmp_ne_u32_e32 vcc, 26, v54
	s_xor_b64 s[18:19], s[16:17], -1
	s_and_b64 s[20:21], s[18:19], vcc
	s_and_saveexec_b64 s[18:19], s[20:21]
	s_cbranch_execz .LBB90_448
; %bb.447:
	v_ashrrev_i32_e32 v55, 31, v54
	v_lshl_add_u64 v[58:59], v[54:55], 2, v[20:21]
	global_load_dword v55, v[58:59], off
	global_load_dword v57, v[20:21], off offset:104
	s_waitcnt vmcnt(1)
	global_store_dword v[20:21], v55, off offset:104
	s_waitcnt vmcnt(1)
	global_store_dword v[58:59], v57, off
.LBB90_448:
	s_or_b64 exec, exec, s[18:19]
	v_mov_b32_e32 v55, v54
	v_mov_b32_e32 v57, v54
.LBB90_449:
	s_or_b64 exec, exec, s[2:3]
.LBB90_450:
	s_andn2_saveexec_b64 s[0:1], s[0:1]
	s_cbranch_execz .LBB90_452
; %bb.451:
	s_waitcnt vmcnt(16)
	v_pk_mov_b32 v[58:59], v[36:37], v[32:33] op_sel:[1,0]
	ds_write2_b32 v17, v58, v59 offset0:27 offset1:28
	s_waitcnt vmcnt(14)
	v_pk_mov_b32 v[58:59], v[32:33], v[26:27] op_sel:[1,0]
	ds_write2_b32 v17, v58, v59 offset0:29 offset1:30
	;; [unrolled: 3-line block ×8, first 2 shown]
	s_waitcnt vmcnt(0)
	v_pk_mov_b32 v[58:59], v[50:51], v[48:49] op_sel:[1,0]
	v_mov_b32_e32 v57, 26
	ds_write2_b32 v17, v58, v59 offset0:43 offset1:44
	ds_write_b32 v17, v49 offset:180
.LBB90_452:
	s_or_b64 exec, exec, s[0:1]
	v_cmp_lt_i32_e32 vcc, 26, v57
	s_waitcnt lgkmcnt(0)
	s_barrier
	s_and_saveexec_b64 s[0:1], vcc
	s_cbranch_execz .LBB90_454
; %bb.453:
	ds_read_b32 v54, v17 offset:108
	ds_read2_b32 v[58:59], v17 offset0:28 offset1:29
	v_mul_f32_e32 v36, v56, v36
	s_waitcnt vmcnt(18) lgkmcnt(1)
	v_fma_f32 v37, -v36, v54, v37
	s_waitcnt vmcnt(16) lgkmcnt(0)
	v_pk_fma_f32 v[32:33], v[36:37], v[58:59], v[32:33] op_sel_hi:[0,1,1] neg_lo:[1,0,0] neg_hi:[1,0,0]
	ds_read2_b32 v[58:59], v17 offset0:30 offset1:31
	s_waitcnt vmcnt(14) lgkmcnt(0)
	v_pk_fma_f32 v[26:27], v[36:37], v[58:59], v[26:27] op_sel_hi:[0,1,1] neg_lo:[1,0,0] neg_hi:[1,0,0]
	ds_read2_b32 v[58:59], v17 offset0:32 offset1:33
	;; [unrolled: 3-line block ×8, first 2 shown]
	s_waitcnt vmcnt(0) lgkmcnt(0)
	v_pk_fma_f32 v[48:49], v[36:37], v[58:59], v[48:49] op_sel_hi:[0,1,1] neg_lo:[1,0,0] neg_hi:[1,0,0]
.LBB90_454:
	s_or_b64 exec, exec, s[0:1]
	v_lshl_add_u32 v54, v57, 2, v17
	s_barrier
	s_waitcnt vmcnt(18)
	ds_write_b32 v54, v37
	s_waitcnt lgkmcnt(0)
	s_barrier
	ds_read_b32 v56, v17 offset:108
	s_cmp_lt_i32 s22, 29
	v_mov_b32_e32 v54, 27
	s_cbranch_scc1 .LBB90_457
; %bb.455:
	v_add_u32_e32 v58, 0x70, v17
	v_mov_b32_e32 v54, 27
	s_mov_b32 s0, 28
.LBB90_456:                             ; =>This Inner Loop Header: Depth=1
	ds_read_b32 v59, v58
	v_mov_b32_e32 v60, s0
	s_add_i32 s0, s0, 1
	v_add_u32_e32 v58, 4, v58
	s_cmp_lg_u32 s22, s0
	s_waitcnt lgkmcnt(0)
	v_cmp_lt_f32_e64 vcc, |v56|, |v59|
	s_nop 1
	v_cndmask_b32_e32 v56, v56, v59, vcc
	v_cndmask_b32_e32 v54, v54, v60, vcc
	s_cbranch_scc1 .LBB90_456
.LBB90_457:
	s_waitcnt lgkmcnt(0)
	v_cmp_eq_f32_e32 vcc, 0, v56
	s_and_saveexec_b64 s[0:1], vcc
	s_xor_b64 s[0:1], exec, s[0:1]
; %bb.458:
	v_cmp_ne_u32_e32 vcc, 0, v19
	s_nop 1
	v_cndmask_b32_e32 v19, 28, v19, vcc
; %bb.459:
	s_andn2_saveexec_b64 s[0:1], s[0:1]
	s_cbranch_execz .LBB90_461
; %bb.460:
	v_div_scale_f32 v58, s[2:3], v56, v56, 1.0
	v_rcp_f32_e32 v59, v58
	v_div_scale_f32 v60, vcc, 1.0, v56, 1.0
	v_fma_f32 v61, -v58, v59, 1.0
	v_fmac_f32_e32 v59, v61, v59
	v_mul_f32_e32 v61, v60, v59
	v_fma_f32 v62, -v58, v61, v60
	v_fmac_f32_e32 v61, v62, v59
	v_fma_f32 v58, -v58, v61, v60
	v_div_fmas_f32 v58, v58, v59, v61
	v_div_fixup_f32 v56, v58, v56, 1.0
.LBB90_461:
	s_or_b64 exec, exec, s[0:1]
	v_cmp_ne_u32_e32 vcc, v57, v54
	s_and_saveexec_b64 s[0:1], vcc
	s_xor_b64 s[0:1], exec, s[0:1]
	s_cbranch_execz .LBB90_467
; %bb.462:
	v_cmp_eq_u32_e32 vcc, 27, v57
	s_and_saveexec_b64 s[2:3], vcc
	s_cbranch_execz .LBB90_466
; %bb.463:
	v_cmp_ne_u32_e32 vcc, 27, v54
	s_xor_b64 s[18:19], s[16:17], -1
	s_and_b64 s[20:21], s[18:19], vcc
	s_and_saveexec_b64 s[18:19], s[20:21]
	s_cbranch_execz .LBB90_465
; %bb.464:
	v_ashrrev_i32_e32 v55, 31, v54
	v_lshl_add_u64 v[58:59], v[54:55], 2, v[20:21]
	global_load_dword v55, v[58:59], off
	global_load_dword v57, v[20:21], off offset:108
	s_waitcnt vmcnt(1)
	global_store_dword v[20:21], v55, off offset:108
	s_waitcnt vmcnt(1)
	global_store_dword v[58:59], v57, off
.LBB90_465:
	s_or_b64 exec, exec, s[18:19]
	v_mov_b32_e32 v55, v54
	v_mov_b32_e32 v57, v54
.LBB90_466:
	s_or_b64 exec, exec, s[2:3]
.LBB90_467:
	s_andn2_saveexec_b64 s[0:1], s[0:1]
	s_cbranch_execz .LBB90_469
; %bb.468:
	v_mov_b32_e32 v57, 27
	s_waitcnt vmcnt(16)
	ds_write2_b32 v17, v32, v33 offset0:28 offset1:29
	s_waitcnt vmcnt(14)
	ds_write2_b32 v17, v26, v27 offset0:30 offset1:31
	;; [unrolled: 2-line block ×9, first 2 shown]
.LBB90_469:
	s_or_b64 exec, exec, s[0:1]
	v_cmp_lt_i32_e32 vcc, 27, v57
	s_waitcnt lgkmcnt(0)
	s_barrier
	s_and_saveexec_b64 s[0:1], vcc
	s_cbranch_execz .LBB90_471
; %bb.470:
	ds_read2_b32 v[58:59], v17 offset0:28 offset1:29
	v_mul_f32_e32 v54, v56, v37
	v_mov_b32_e32 v37, v54
	s_waitcnt vmcnt(16) lgkmcnt(0)
	v_pk_fma_f32 v[32:33], v[54:55], v[58:59], v[32:33] op_sel_hi:[0,1,1] neg_lo:[1,0,0] neg_hi:[1,0,0]
	ds_read2_b32 v[58:59], v17 offset0:30 offset1:31
	s_waitcnt vmcnt(14) lgkmcnt(0)
	v_pk_fma_f32 v[26:27], v[54:55], v[58:59], v[26:27] op_sel_hi:[0,1,1] neg_lo:[1,0,0] neg_hi:[1,0,0]
	ds_read2_b32 v[58:59], v17 offset0:32 offset1:33
	s_waitcnt vmcnt(12) lgkmcnt(0)
	v_pk_fma_f32 v[52:53], v[54:55], v[58:59], v[52:53] op_sel_hi:[0,1,1] neg_lo:[1,0,0] neg_hi:[1,0,0]
	ds_read2_b32 v[58:59], v17 offset0:34 offset1:35
	s_waitcnt vmcnt(10) lgkmcnt(0)
	v_pk_fma_f32 v[46:47], v[54:55], v[58:59], v[46:47] op_sel_hi:[0,1,1] neg_lo:[1,0,0] neg_hi:[1,0,0]
	ds_read2_b32 v[58:59], v17 offset0:36 offset1:37
	s_waitcnt vmcnt(8) lgkmcnt(0)
	v_pk_fma_f32 v[42:43], v[54:55], v[58:59], v[42:43] op_sel_hi:[0,1,1] neg_lo:[1,0,0] neg_hi:[1,0,0]
	ds_read2_b32 v[58:59], v17 offset0:38 offset1:39
	s_waitcnt vmcnt(6) lgkmcnt(0)
	v_pk_fma_f32 v[38:39], v[54:55], v[58:59], v[38:39] op_sel_hi:[0,1,1] neg_lo:[1,0,0] neg_hi:[1,0,0]
	ds_read2_b32 v[58:59], v17 offset0:40 offset1:41
	s_waitcnt vmcnt(4) lgkmcnt(0)
	v_pk_fma_f32 v[40:41], v[54:55], v[58:59], v[40:41] op_sel_hi:[0,1,1] neg_lo:[1,0,0] neg_hi:[1,0,0]
	ds_read2_b32 v[58:59], v17 offset0:42 offset1:43
	s_waitcnt vmcnt(2) lgkmcnt(0)
	v_pk_fma_f32 v[50:51], v[54:55], v[58:59], v[50:51] op_sel_hi:[0,1,1] neg_lo:[1,0,0] neg_hi:[1,0,0]
	ds_read2_b32 v[58:59], v17 offset0:44 offset1:45
	s_waitcnt vmcnt(0) lgkmcnt(0)
	v_pk_fma_f32 v[48:49], v[54:55], v[58:59], v[48:49] op_sel_hi:[0,1,1] neg_lo:[1,0,0] neg_hi:[1,0,0]
.LBB90_471:
	s_or_b64 exec, exec, s[0:1]
	v_lshl_add_u32 v54, v57, 2, v17
	s_barrier
	s_waitcnt vmcnt(17)
	ds_write_b32 v54, v32
	s_waitcnt lgkmcnt(0)
	s_barrier
	ds_read_b32 v56, v17 offset:112
	s_cmp_lt_i32 s22, 30
	v_mov_b32_e32 v54, 28
	s_cbranch_scc1 .LBB90_474
; %bb.472:
	v_add_u32_e32 v58, 0x74, v17
	v_mov_b32_e32 v54, 28
	s_mov_b32 s0, 29
.LBB90_473:                             ; =>This Inner Loop Header: Depth=1
	ds_read_b32 v59, v58
	v_mov_b32_e32 v60, s0
	s_add_i32 s0, s0, 1
	v_add_u32_e32 v58, 4, v58
	s_cmp_lg_u32 s22, s0
	s_waitcnt lgkmcnt(0)
	v_cmp_lt_f32_e64 vcc, |v56|, |v59|
	s_nop 1
	v_cndmask_b32_e32 v56, v56, v59, vcc
	v_cndmask_b32_e32 v54, v54, v60, vcc
	s_cbranch_scc1 .LBB90_473
.LBB90_474:
	s_waitcnt lgkmcnt(0)
	v_cmp_eq_f32_e32 vcc, 0, v56
	s_and_saveexec_b64 s[0:1], vcc
	s_xor_b64 s[0:1], exec, s[0:1]
; %bb.475:
	v_cmp_ne_u32_e32 vcc, 0, v19
	s_nop 1
	v_cndmask_b32_e32 v19, 29, v19, vcc
; %bb.476:
	s_andn2_saveexec_b64 s[0:1], s[0:1]
	s_cbranch_execz .LBB90_478
; %bb.477:
	v_div_scale_f32 v58, s[2:3], v56, v56, 1.0
	v_rcp_f32_e32 v59, v58
	v_div_scale_f32 v60, vcc, 1.0, v56, 1.0
	v_fma_f32 v61, -v58, v59, 1.0
	v_fmac_f32_e32 v59, v61, v59
	v_mul_f32_e32 v61, v60, v59
	v_fma_f32 v62, -v58, v61, v60
	v_fmac_f32_e32 v61, v62, v59
	v_fma_f32 v58, -v58, v61, v60
	v_div_fmas_f32 v58, v58, v59, v61
	v_div_fixup_f32 v56, v58, v56, 1.0
.LBB90_478:
	s_or_b64 exec, exec, s[0:1]
	v_cmp_ne_u32_e32 vcc, v57, v54
	s_and_saveexec_b64 s[0:1], vcc
	s_xor_b64 s[0:1], exec, s[0:1]
	s_cbranch_execz .LBB90_484
; %bb.479:
	v_cmp_eq_u32_e32 vcc, 28, v57
	s_and_saveexec_b64 s[2:3], vcc
	s_cbranch_execz .LBB90_483
; %bb.480:
	v_cmp_ne_u32_e32 vcc, 28, v54
	s_xor_b64 s[18:19], s[16:17], -1
	s_and_b64 s[20:21], s[18:19], vcc
	s_and_saveexec_b64 s[18:19], s[20:21]
	s_cbranch_execz .LBB90_482
; %bb.481:
	v_ashrrev_i32_e32 v55, 31, v54
	v_lshl_add_u64 v[58:59], v[54:55], 2, v[20:21]
	global_load_dword v55, v[58:59], off
	global_load_dword v57, v[20:21], off offset:112
	s_waitcnt vmcnt(1)
	global_store_dword v[20:21], v55, off offset:112
	s_waitcnt vmcnt(1)
	global_store_dword v[58:59], v57, off
.LBB90_482:
	s_or_b64 exec, exec, s[18:19]
	v_mov_b32_e32 v55, v54
	v_mov_b32_e32 v57, v54
.LBB90_483:
	s_or_b64 exec, exec, s[2:3]
.LBB90_484:
	s_andn2_saveexec_b64 s[0:1], s[0:1]
	s_cbranch_execz .LBB90_486
; %bb.485:
	s_waitcnt vmcnt(14)
	v_pk_mov_b32 v[58:59], v[32:33], v[26:27] op_sel:[1,0]
	ds_write2_b32 v17, v58, v59 offset0:29 offset1:30
	s_waitcnt vmcnt(12)
	v_pk_mov_b32 v[58:59], v[26:27], v[52:53] op_sel:[1,0]
	ds_write2_b32 v17, v58, v59 offset0:31 offset1:32
	;; [unrolled: 3-line block ×7, first 2 shown]
	s_waitcnt vmcnt(0)
	v_pk_mov_b32 v[58:59], v[50:51], v[48:49] op_sel:[1,0]
	v_mov_b32_e32 v57, 28
	ds_write2_b32 v17, v58, v59 offset0:43 offset1:44
	ds_write_b32 v17, v49 offset:180
.LBB90_486:
	s_or_b64 exec, exec, s[0:1]
	v_cmp_lt_i32_e32 vcc, 28, v57
	s_waitcnt lgkmcnt(0)
	s_barrier
	s_and_saveexec_b64 s[0:1], vcc
	s_cbranch_execz .LBB90_488
; %bb.487:
	ds_read_b32 v54, v17 offset:116
	ds_read2_b32 v[58:59], v17 offset0:30 offset1:31
	v_mul_f32_e32 v32, v56, v32
	s_waitcnt vmcnt(16) lgkmcnt(1)
	v_fma_f32 v33, -v32, v54, v33
	s_waitcnt vmcnt(14) lgkmcnt(0)
	v_pk_fma_f32 v[26:27], v[32:33], v[58:59], v[26:27] op_sel_hi:[0,1,1] neg_lo:[1,0,0] neg_hi:[1,0,0]
	ds_read2_b32 v[58:59], v17 offset0:32 offset1:33
	s_waitcnt vmcnt(12) lgkmcnt(0)
	v_pk_fma_f32 v[52:53], v[32:33], v[58:59], v[52:53] op_sel_hi:[0,1,1] neg_lo:[1,0,0] neg_hi:[1,0,0]
	ds_read2_b32 v[58:59], v17 offset0:34 offset1:35
	;; [unrolled: 3-line block ×7, first 2 shown]
	s_waitcnt vmcnt(0) lgkmcnt(0)
	v_pk_fma_f32 v[48:49], v[32:33], v[58:59], v[48:49] op_sel_hi:[0,1,1] neg_lo:[1,0,0] neg_hi:[1,0,0]
.LBB90_488:
	s_or_b64 exec, exec, s[0:1]
	v_lshl_add_u32 v54, v57, 2, v17
	s_barrier
	s_waitcnt vmcnt(16)
	ds_write_b32 v54, v33
	s_waitcnt lgkmcnt(0)
	s_barrier
	ds_read_b32 v56, v17 offset:116
	s_cmp_lt_i32 s22, 31
	v_mov_b32_e32 v54, 29
	s_cbranch_scc1 .LBB90_491
; %bb.489:
	v_add_u32_e32 v58, 0x78, v17
	v_mov_b32_e32 v54, 29
	s_mov_b32 s0, 30
.LBB90_490:                             ; =>This Inner Loop Header: Depth=1
	ds_read_b32 v59, v58
	v_mov_b32_e32 v60, s0
	s_add_i32 s0, s0, 1
	v_add_u32_e32 v58, 4, v58
	s_cmp_lg_u32 s22, s0
	s_waitcnt lgkmcnt(0)
	v_cmp_lt_f32_e64 vcc, |v56|, |v59|
	s_nop 1
	v_cndmask_b32_e32 v56, v56, v59, vcc
	v_cndmask_b32_e32 v54, v54, v60, vcc
	s_cbranch_scc1 .LBB90_490
.LBB90_491:
	s_waitcnt lgkmcnt(0)
	v_cmp_eq_f32_e32 vcc, 0, v56
	s_and_saveexec_b64 s[0:1], vcc
	s_xor_b64 s[0:1], exec, s[0:1]
; %bb.492:
	v_cmp_ne_u32_e32 vcc, 0, v19
	s_nop 1
	v_cndmask_b32_e32 v19, 30, v19, vcc
; %bb.493:
	s_andn2_saveexec_b64 s[0:1], s[0:1]
	s_cbranch_execz .LBB90_495
; %bb.494:
	v_div_scale_f32 v58, s[2:3], v56, v56, 1.0
	v_rcp_f32_e32 v59, v58
	v_div_scale_f32 v60, vcc, 1.0, v56, 1.0
	v_fma_f32 v61, -v58, v59, 1.0
	v_fmac_f32_e32 v59, v61, v59
	v_mul_f32_e32 v61, v60, v59
	v_fma_f32 v62, -v58, v61, v60
	v_fmac_f32_e32 v61, v62, v59
	v_fma_f32 v58, -v58, v61, v60
	v_div_fmas_f32 v58, v58, v59, v61
	v_div_fixup_f32 v56, v58, v56, 1.0
.LBB90_495:
	s_or_b64 exec, exec, s[0:1]
	v_cmp_ne_u32_e32 vcc, v57, v54
	s_and_saveexec_b64 s[0:1], vcc
	s_xor_b64 s[0:1], exec, s[0:1]
	s_cbranch_execz .LBB90_501
; %bb.496:
	v_cmp_eq_u32_e32 vcc, 29, v57
	s_and_saveexec_b64 s[2:3], vcc
	s_cbranch_execz .LBB90_500
; %bb.497:
	v_cmp_ne_u32_e32 vcc, 29, v54
	s_xor_b64 s[18:19], s[16:17], -1
	s_and_b64 s[20:21], s[18:19], vcc
	s_and_saveexec_b64 s[18:19], s[20:21]
	s_cbranch_execz .LBB90_499
; %bb.498:
	v_ashrrev_i32_e32 v55, 31, v54
	v_lshl_add_u64 v[58:59], v[54:55], 2, v[20:21]
	global_load_dword v55, v[58:59], off
	global_load_dword v57, v[20:21], off offset:116
	s_waitcnt vmcnt(1)
	global_store_dword v[20:21], v55, off offset:116
	s_waitcnt vmcnt(1)
	global_store_dword v[58:59], v57, off
.LBB90_499:
	s_or_b64 exec, exec, s[18:19]
	v_mov_b32_e32 v55, v54
	v_mov_b32_e32 v57, v54
.LBB90_500:
	s_or_b64 exec, exec, s[2:3]
.LBB90_501:
	s_andn2_saveexec_b64 s[0:1], s[0:1]
	s_cbranch_execz .LBB90_503
; %bb.502:
	v_mov_b32_e32 v57, 29
	s_waitcnt vmcnt(14)
	ds_write2_b32 v17, v26, v27 offset0:30 offset1:31
	s_waitcnt vmcnt(12)
	ds_write2_b32 v17, v52, v53 offset0:32 offset1:33
	;; [unrolled: 2-line block ×8, first 2 shown]
.LBB90_503:
	s_or_b64 exec, exec, s[0:1]
	v_cmp_lt_i32_e32 vcc, 29, v57
	s_waitcnt lgkmcnt(0)
	s_barrier
	s_and_saveexec_b64 s[0:1], vcc
	s_cbranch_execz .LBB90_505
; %bb.504:
	ds_read2_b32 v[58:59], v17 offset0:30 offset1:31
	v_mul_f32_e32 v54, v56, v33
	v_mov_b32_e32 v33, v54
	s_waitcnt vmcnt(14) lgkmcnt(0)
	v_pk_fma_f32 v[26:27], v[54:55], v[58:59], v[26:27] op_sel_hi:[0,1,1] neg_lo:[1,0,0] neg_hi:[1,0,0]
	ds_read2_b32 v[58:59], v17 offset0:32 offset1:33
	s_waitcnt vmcnt(12) lgkmcnt(0)
	v_pk_fma_f32 v[52:53], v[54:55], v[58:59], v[52:53] op_sel_hi:[0,1,1] neg_lo:[1,0,0] neg_hi:[1,0,0]
	ds_read2_b32 v[58:59], v17 offset0:34 offset1:35
	;; [unrolled: 3-line block ×7, first 2 shown]
	s_waitcnt vmcnt(0) lgkmcnt(0)
	v_pk_fma_f32 v[48:49], v[54:55], v[58:59], v[48:49] op_sel_hi:[0,1,1] neg_lo:[1,0,0] neg_hi:[1,0,0]
.LBB90_505:
	s_or_b64 exec, exec, s[0:1]
	v_lshl_add_u32 v54, v57, 2, v17
	s_barrier
	s_waitcnt vmcnt(15)
	ds_write_b32 v54, v26
	s_waitcnt lgkmcnt(0)
	s_barrier
	ds_read_b32 v56, v17 offset:120
	s_cmp_lt_i32 s22, 32
	v_mov_b32_e32 v54, 30
	s_cbranch_scc1 .LBB90_508
; %bb.506:
	v_add_u32_e32 v58, 0x7c, v17
	v_mov_b32_e32 v54, 30
	s_mov_b32 s0, 31
.LBB90_507:                             ; =>This Inner Loop Header: Depth=1
	ds_read_b32 v59, v58
	v_mov_b32_e32 v60, s0
	s_add_i32 s0, s0, 1
	v_add_u32_e32 v58, 4, v58
	s_cmp_lg_u32 s22, s0
	s_waitcnt lgkmcnt(0)
	v_cmp_lt_f32_e64 vcc, |v56|, |v59|
	s_nop 1
	v_cndmask_b32_e32 v56, v56, v59, vcc
	v_cndmask_b32_e32 v54, v54, v60, vcc
	s_cbranch_scc1 .LBB90_507
.LBB90_508:
	s_waitcnt lgkmcnt(0)
	v_cmp_eq_f32_e32 vcc, 0, v56
	s_and_saveexec_b64 s[0:1], vcc
	s_xor_b64 s[0:1], exec, s[0:1]
; %bb.509:
	v_cmp_ne_u32_e32 vcc, 0, v19
	s_nop 1
	v_cndmask_b32_e32 v19, 31, v19, vcc
; %bb.510:
	s_andn2_saveexec_b64 s[0:1], s[0:1]
	s_cbranch_execz .LBB90_512
; %bb.511:
	v_div_scale_f32 v58, s[2:3], v56, v56, 1.0
	v_rcp_f32_e32 v59, v58
	v_div_scale_f32 v60, vcc, 1.0, v56, 1.0
	v_fma_f32 v61, -v58, v59, 1.0
	v_fmac_f32_e32 v59, v61, v59
	v_mul_f32_e32 v61, v60, v59
	v_fma_f32 v62, -v58, v61, v60
	v_fmac_f32_e32 v61, v62, v59
	v_fma_f32 v58, -v58, v61, v60
	v_div_fmas_f32 v58, v58, v59, v61
	v_div_fixup_f32 v56, v58, v56, 1.0
.LBB90_512:
	s_or_b64 exec, exec, s[0:1]
	v_cmp_ne_u32_e32 vcc, v57, v54
	s_and_saveexec_b64 s[0:1], vcc
	s_xor_b64 s[0:1], exec, s[0:1]
	s_cbranch_execz .LBB90_518
; %bb.513:
	v_cmp_eq_u32_e32 vcc, 30, v57
	s_and_saveexec_b64 s[2:3], vcc
	s_cbranch_execz .LBB90_517
; %bb.514:
	v_cmp_ne_u32_e32 vcc, 30, v54
	s_xor_b64 s[18:19], s[16:17], -1
	s_and_b64 s[20:21], s[18:19], vcc
	s_and_saveexec_b64 s[18:19], s[20:21]
	s_cbranch_execz .LBB90_516
; %bb.515:
	v_ashrrev_i32_e32 v55, 31, v54
	v_lshl_add_u64 v[58:59], v[54:55], 2, v[20:21]
	global_load_dword v55, v[58:59], off
	global_load_dword v57, v[20:21], off offset:120
	s_waitcnt vmcnt(1)
	global_store_dword v[20:21], v55, off offset:120
	s_waitcnt vmcnt(1)
	global_store_dword v[58:59], v57, off
.LBB90_516:
	s_or_b64 exec, exec, s[18:19]
	v_mov_b32_e32 v55, v54
	v_mov_b32_e32 v57, v54
.LBB90_517:
	s_or_b64 exec, exec, s[2:3]
.LBB90_518:
	s_andn2_saveexec_b64 s[0:1], s[0:1]
	s_cbranch_execz .LBB90_520
; %bb.519:
	s_waitcnt vmcnt(12)
	v_pk_mov_b32 v[58:59], v[26:27], v[52:53] op_sel:[1,0]
	ds_write2_b32 v17, v58, v59 offset0:31 offset1:32
	s_waitcnt vmcnt(10)
	v_pk_mov_b32 v[58:59], v[52:53], v[46:47] op_sel:[1,0]
	ds_write2_b32 v17, v58, v59 offset0:33 offset1:34
	;; [unrolled: 3-line block ×6, first 2 shown]
	s_waitcnt vmcnt(0)
	v_pk_mov_b32 v[58:59], v[50:51], v[48:49] op_sel:[1,0]
	v_mov_b32_e32 v57, 30
	ds_write2_b32 v17, v58, v59 offset0:43 offset1:44
	ds_write_b32 v17, v49 offset:180
.LBB90_520:
	s_or_b64 exec, exec, s[0:1]
	v_cmp_lt_i32_e32 vcc, 30, v57
	s_waitcnt lgkmcnt(0)
	s_barrier
	s_and_saveexec_b64 s[0:1], vcc
	s_cbranch_execz .LBB90_522
; %bb.521:
	ds_read_b32 v54, v17 offset:124
	ds_read2_b32 v[58:59], v17 offset0:32 offset1:33
	v_mul_f32_e32 v26, v56, v26
	s_waitcnt vmcnt(14) lgkmcnt(1)
	v_fma_f32 v27, -v26, v54, v27
	s_waitcnt vmcnt(12) lgkmcnt(0)
	v_pk_fma_f32 v[52:53], v[26:27], v[58:59], v[52:53] op_sel_hi:[0,1,1] neg_lo:[1,0,0] neg_hi:[1,0,0]
	ds_read2_b32 v[58:59], v17 offset0:34 offset1:35
	s_waitcnt vmcnt(10) lgkmcnt(0)
	v_pk_fma_f32 v[46:47], v[26:27], v[58:59], v[46:47] op_sel_hi:[0,1,1] neg_lo:[1,0,0] neg_hi:[1,0,0]
	ds_read2_b32 v[58:59], v17 offset0:36 offset1:37
	;; [unrolled: 3-line block ×6, first 2 shown]
	s_waitcnt vmcnt(0) lgkmcnt(0)
	v_pk_fma_f32 v[48:49], v[26:27], v[58:59], v[48:49] op_sel_hi:[0,1,1] neg_lo:[1,0,0] neg_hi:[1,0,0]
.LBB90_522:
	s_or_b64 exec, exec, s[0:1]
	v_lshl_add_u32 v54, v57, 2, v17
	s_barrier
	s_waitcnt vmcnt(14)
	ds_write_b32 v54, v27
	s_waitcnt lgkmcnt(0)
	s_barrier
	ds_read_b32 v56, v17 offset:124
	s_cmp_lt_i32 s22, 33
	v_mov_b32_e32 v54, 31
	s_cbranch_scc1 .LBB90_525
; %bb.523:
	v_add_u32_e32 v58, 0x80, v17
	v_mov_b32_e32 v54, 31
	s_mov_b32 s0, 32
.LBB90_524:                             ; =>This Inner Loop Header: Depth=1
	ds_read_b32 v59, v58
	v_mov_b32_e32 v60, s0
	s_add_i32 s0, s0, 1
	v_add_u32_e32 v58, 4, v58
	s_cmp_lg_u32 s22, s0
	s_waitcnt lgkmcnt(0)
	v_cmp_lt_f32_e64 vcc, |v56|, |v59|
	s_nop 1
	v_cndmask_b32_e32 v56, v56, v59, vcc
	v_cndmask_b32_e32 v54, v54, v60, vcc
	s_cbranch_scc1 .LBB90_524
.LBB90_525:
	s_waitcnt lgkmcnt(0)
	v_cmp_eq_f32_e32 vcc, 0, v56
	s_and_saveexec_b64 s[0:1], vcc
	s_xor_b64 s[0:1], exec, s[0:1]
; %bb.526:
	v_cmp_ne_u32_e32 vcc, 0, v19
	s_nop 1
	v_cndmask_b32_e32 v19, 32, v19, vcc
; %bb.527:
	s_andn2_saveexec_b64 s[0:1], s[0:1]
	s_cbranch_execz .LBB90_529
; %bb.528:
	v_div_scale_f32 v58, s[2:3], v56, v56, 1.0
	v_rcp_f32_e32 v59, v58
	v_div_scale_f32 v60, vcc, 1.0, v56, 1.0
	v_fma_f32 v61, -v58, v59, 1.0
	v_fmac_f32_e32 v59, v61, v59
	v_mul_f32_e32 v61, v60, v59
	v_fma_f32 v62, -v58, v61, v60
	v_fmac_f32_e32 v61, v62, v59
	v_fma_f32 v58, -v58, v61, v60
	v_div_fmas_f32 v58, v58, v59, v61
	v_div_fixup_f32 v56, v58, v56, 1.0
.LBB90_529:
	s_or_b64 exec, exec, s[0:1]
	v_cmp_ne_u32_e32 vcc, v57, v54
	s_and_saveexec_b64 s[0:1], vcc
	s_xor_b64 s[0:1], exec, s[0:1]
	s_cbranch_execz .LBB90_535
; %bb.530:
	v_cmp_eq_u32_e32 vcc, 31, v57
	s_and_saveexec_b64 s[2:3], vcc
	s_cbranch_execz .LBB90_534
; %bb.531:
	v_cmp_ne_u32_e32 vcc, 31, v54
	s_xor_b64 s[18:19], s[16:17], -1
	s_and_b64 s[20:21], s[18:19], vcc
	s_and_saveexec_b64 s[18:19], s[20:21]
	s_cbranch_execz .LBB90_533
; %bb.532:
	v_ashrrev_i32_e32 v55, 31, v54
	v_lshl_add_u64 v[58:59], v[54:55], 2, v[20:21]
	global_load_dword v55, v[58:59], off
	global_load_dword v57, v[20:21], off offset:124
	s_waitcnt vmcnt(1)
	global_store_dword v[20:21], v55, off offset:124
	s_waitcnt vmcnt(1)
	global_store_dword v[58:59], v57, off
.LBB90_533:
	s_or_b64 exec, exec, s[18:19]
	v_mov_b32_e32 v55, v54
	v_mov_b32_e32 v57, v54
.LBB90_534:
	s_or_b64 exec, exec, s[2:3]
.LBB90_535:
	s_andn2_saveexec_b64 s[0:1], s[0:1]
	s_cbranch_execz .LBB90_537
; %bb.536:
	v_mov_b32_e32 v57, 31
	s_waitcnt vmcnt(12)
	ds_write2_b32 v17, v52, v53 offset0:32 offset1:33
	s_waitcnt vmcnt(10)
	ds_write2_b32 v17, v46, v47 offset0:34 offset1:35
	;; [unrolled: 2-line block ×7, first 2 shown]
.LBB90_537:
	s_or_b64 exec, exec, s[0:1]
	v_cmp_lt_i32_e32 vcc, 31, v57
	s_waitcnt lgkmcnt(0)
	s_barrier
	s_and_saveexec_b64 s[0:1], vcc
	s_cbranch_execz .LBB90_539
; %bb.538:
	ds_read2_b32 v[58:59], v17 offset0:32 offset1:33
	v_mul_f32_e32 v54, v56, v27
	v_mov_b32_e32 v27, v54
	s_waitcnt vmcnt(12) lgkmcnt(0)
	v_pk_fma_f32 v[52:53], v[54:55], v[58:59], v[52:53] op_sel_hi:[0,1,1] neg_lo:[1,0,0] neg_hi:[1,0,0]
	ds_read2_b32 v[58:59], v17 offset0:34 offset1:35
	s_waitcnt vmcnt(10) lgkmcnt(0)
	v_pk_fma_f32 v[46:47], v[54:55], v[58:59], v[46:47] op_sel_hi:[0,1,1] neg_lo:[1,0,0] neg_hi:[1,0,0]
	ds_read2_b32 v[58:59], v17 offset0:36 offset1:37
	;; [unrolled: 3-line block ×6, first 2 shown]
	s_waitcnt vmcnt(0) lgkmcnt(0)
	v_pk_fma_f32 v[48:49], v[54:55], v[58:59], v[48:49] op_sel_hi:[0,1,1] neg_lo:[1,0,0] neg_hi:[1,0,0]
.LBB90_539:
	s_or_b64 exec, exec, s[0:1]
	v_lshl_add_u32 v54, v57, 2, v17
	s_barrier
	s_waitcnt vmcnt(13)
	ds_write_b32 v54, v52
	s_waitcnt lgkmcnt(0)
	s_barrier
	ds_read_b32 v56, v17 offset:128
	s_cmp_lt_i32 s22, 34
	v_mov_b32_e32 v54, 32
	s_cbranch_scc1 .LBB90_542
; %bb.540:
	v_add_u32_e32 v58, 0x84, v17
	v_mov_b32_e32 v54, 32
	s_mov_b32 s0, 33
.LBB90_541:                             ; =>This Inner Loop Header: Depth=1
	ds_read_b32 v59, v58
	v_mov_b32_e32 v60, s0
	s_add_i32 s0, s0, 1
	v_add_u32_e32 v58, 4, v58
	s_cmp_lg_u32 s22, s0
	s_waitcnt lgkmcnt(0)
	v_cmp_lt_f32_e64 vcc, |v56|, |v59|
	s_nop 1
	v_cndmask_b32_e32 v56, v56, v59, vcc
	v_cndmask_b32_e32 v54, v54, v60, vcc
	s_cbranch_scc1 .LBB90_541
.LBB90_542:
	s_waitcnt lgkmcnt(0)
	v_cmp_eq_f32_e32 vcc, 0, v56
	s_and_saveexec_b64 s[0:1], vcc
	s_xor_b64 s[0:1], exec, s[0:1]
; %bb.543:
	v_cmp_ne_u32_e32 vcc, 0, v19
	s_nop 1
	v_cndmask_b32_e32 v19, 33, v19, vcc
; %bb.544:
	s_andn2_saveexec_b64 s[0:1], s[0:1]
	s_cbranch_execz .LBB90_546
; %bb.545:
	v_div_scale_f32 v58, s[2:3], v56, v56, 1.0
	v_rcp_f32_e32 v59, v58
	v_div_scale_f32 v60, vcc, 1.0, v56, 1.0
	v_fma_f32 v61, -v58, v59, 1.0
	v_fmac_f32_e32 v59, v61, v59
	v_mul_f32_e32 v61, v60, v59
	v_fma_f32 v62, -v58, v61, v60
	v_fmac_f32_e32 v61, v62, v59
	v_fma_f32 v58, -v58, v61, v60
	v_div_fmas_f32 v58, v58, v59, v61
	v_div_fixup_f32 v56, v58, v56, 1.0
.LBB90_546:
	s_or_b64 exec, exec, s[0:1]
	v_cmp_ne_u32_e32 vcc, v57, v54
	s_and_saveexec_b64 s[0:1], vcc
	s_xor_b64 s[0:1], exec, s[0:1]
	s_cbranch_execz .LBB90_552
; %bb.547:
	v_cmp_eq_u32_e32 vcc, 32, v57
	s_and_saveexec_b64 s[2:3], vcc
	s_cbranch_execz .LBB90_551
; %bb.548:
	v_cmp_ne_u32_e32 vcc, 32, v54
	s_xor_b64 s[18:19], s[16:17], -1
	s_and_b64 s[20:21], s[18:19], vcc
	s_and_saveexec_b64 s[18:19], s[20:21]
	s_cbranch_execz .LBB90_550
; %bb.549:
	v_ashrrev_i32_e32 v55, 31, v54
	v_lshl_add_u64 v[58:59], v[54:55], 2, v[20:21]
	global_load_dword v55, v[58:59], off
	global_load_dword v57, v[20:21], off offset:128
	s_waitcnt vmcnt(1)
	global_store_dword v[20:21], v55, off offset:128
	s_waitcnt vmcnt(1)
	global_store_dword v[58:59], v57, off
.LBB90_550:
	s_or_b64 exec, exec, s[18:19]
	v_mov_b32_e32 v55, v54
	v_mov_b32_e32 v57, v54
.LBB90_551:
	s_or_b64 exec, exec, s[2:3]
.LBB90_552:
	s_andn2_saveexec_b64 s[0:1], s[0:1]
	s_cbranch_execz .LBB90_554
; %bb.553:
	s_waitcnt vmcnt(10)
	v_pk_mov_b32 v[58:59], v[52:53], v[46:47] op_sel:[1,0]
	ds_write2_b32 v17, v58, v59 offset0:33 offset1:34
	s_waitcnt vmcnt(8)
	v_pk_mov_b32 v[58:59], v[46:47], v[42:43] op_sel:[1,0]
	ds_write2_b32 v17, v58, v59 offset0:35 offset1:36
	;; [unrolled: 3-line block ×5, first 2 shown]
	s_waitcnt vmcnt(0)
	v_pk_mov_b32 v[58:59], v[50:51], v[48:49] op_sel:[1,0]
	v_mov_b32_e32 v57, 32
	ds_write2_b32 v17, v58, v59 offset0:43 offset1:44
	ds_write_b32 v17, v49 offset:180
.LBB90_554:
	s_or_b64 exec, exec, s[0:1]
	v_cmp_lt_i32_e32 vcc, 32, v57
	s_waitcnt lgkmcnt(0)
	s_barrier
	s_and_saveexec_b64 s[0:1], vcc
	s_cbranch_execz .LBB90_556
; %bb.555:
	ds_read_b32 v54, v17 offset:132
	ds_read2_b32 v[58:59], v17 offset0:34 offset1:35
	v_mul_f32_e32 v52, v56, v52
	s_waitcnt vmcnt(12) lgkmcnt(1)
	v_fma_f32 v53, -v52, v54, v53
	s_waitcnt vmcnt(10) lgkmcnt(0)
	v_pk_fma_f32 v[46:47], v[52:53], v[58:59], v[46:47] op_sel_hi:[0,1,1] neg_lo:[1,0,0] neg_hi:[1,0,0]
	ds_read2_b32 v[58:59], v17 offset0:36 offset1:37
	s_waitcnt vmcnt(8) lgkmcnt(0)
	v_pk_fma_f32 v[42:43], v[52:53], v[58:59], v[42:43] op_sel_hi:[0,1,1] neg_lo:[1,0,0] neg_hi:[1,0,0]
	ds_read2_b32 v[58:59], v17 offset0:38 offset1:39
	;; [unrolled: 3-line block ×5, first 2 shown]
	s_waitcnt vmcnt(0) lgkmcnt(0)
	v_pk_fma_f32 v[48:49], v[52:53], v[58:59], v[48:49] op_sel_hi:[0,1,1] neg_lo:[1,0,0] neg_hi:[1,0,0]
.LBB90_556:
	s_or_b64 exec, exec, s[0:1]
	v_lshl_add_u32 v54, v57, 2, v17
	s_barrier
	s_waitcnt vmcnt(12)
	ds_write_b32 v54, v53
	s_waitcnt lgkmcnt(0)
	s_barrier
	ds_read_b32 v56, v17 offset:132
	s_cmp_lt_i32 s22, 35
	v_mov_b32_e32 v54, 33
	s_cbranch_scc1 .LBB90_559
; %bb.557:
	v_add_u32_e32 v58, 0x88, v17
	v_mov_b32_e32 v54, 33
	s_mov_b32 s0, 34
.LBB90_558:                             ; =>This Inner Loop Header: Depth=1
	ds_read_b32 v59, v58
	v_mov_b32_e32 v60, s0
	s_add_i32 s0, s0, 1
	v_add_u32_e32 v58, 4, v58
	s_cmp_lg_u32 s22, s0
	s_waitcnt lgkmcnt(0)
	v_cmp_lt_f32_e64 vcc, |v56|, |v59|
	s_nop 1
	v_cndmask_b32_e32 v56, v56, v59, vcc
	v_cndmask_b32_e32 v54, v54, v60, vcc
	s_cbranch_scc1 .LBB90_558
.LBB90_559:
	s_waitcnt lgkmcnt(0)
	v_cmp_eq_f32_e32 vcc, 0, v56
	s_and_saveexec_b64 s[0:1], vcc
	s_xor_b64 s[0:1], exec, s[0:1]
; %bb.560:
	v_cmp_ne_u32_e32 vcc, 0, v19
	s_nop 1
	v_cndmask_b32_e32 v19, 34, v19, vcc
; %bb.561:
	s_andn2_saveexec_b64 s[0:1], s[0:1]
	s_cbranch_execz .LBB90_563
; %bb.562:
	v_div_scale_f32 v58, s[2:3], v56, v56, 1.0
	v_rcp_f32_e32 v59, v58
	v_div_scale_f32 v60, vcc, 1.0, v56, 1.0
	v_fma_f32 v61, -v58, v59, 1.0
	v_fmac_f32_e32 v59, v61, v59
	v_mul_f32_e32 v61, v60, v59
	v_fma_f32 v62, -v58, v61, v60
	v_fmac_f32_e32 v61, v62, v59
	v_fma_f32 v58, -v58, v61, v60
	v_div_fmas_f32 v58, v58, v59, v61
	v_div_fixup_f32 v56, v58, v56, 1.0
.LBB90_563:
	s_or_b64 exec, exec, s[0:1]
	v_cmp_ne_u32_e32 vcc, v57, v54
	s_and_saveexec_b64 s[0:1], vcc
	s_xor_b64 s[0:1], exec, s[0:1]
	s_cbranch_execz .LBB90_569
; %bb.564:
	v_cmp_eq_u32_e32 vcc, 33, v57
	s_and_saveexec_b64 s[2:3], vcc
	s_cbranch_execz .LBB90_568
; %bb.565:
	v_cmp_ne_u32_e32 vcc, 33, v54
	s_xor_b64 s[18:19], s[16:17], -1
	s_and_b64 s[20:21], s[18:19], vcc
	s_and_saveexec_b64 s[18:19], s[20:21]
	s_cbranch_execz .LBB90_567
; %bb.566:
	v_ashrrev_i32_e32 v55, 31, v54
	v_lshl_add_u64 v[58:59], v[54:55], 2, v[20:21]
	global_load_dword v55, v[58:59], off
	global_load_dword v57, v[20:21], off offset:132
	s_waitcnt vmcnt(1)
	global_store_dword v[20:21], v55, off offset:132
	s_waitcnt vmcnt(1)
	global_store_dword v[58:59], v57, off
.LBB90_567:
	s_or_b64 exec, exec, s[18:19]
	v_mov_b32_e32 v55, v54
	v_mov_b32_e32 v57, v54
.LBB90_568:
	s_or_b64 exec, exec, s[2:3]
.LBB90_569:
	s_andn2_saveexec_b64 s[0:1], s[0:1]
	s_cbranch_execz .LBB90_571
; %bb.570:
	v_mov_b32_e32 v57, 33
	s_waitcnt vmcnt(10)
	ds_write2_b32 v17, v46, v47 offset0:34 offset1:35
	s_waitcnt vmcnt(8)
	ds_write2_b32 v17, v42, v43 offset0:36 offset1:37
	;; [unrolled: 2-line block ×6, first 2 shown]
.LBB90_571:
	s_or_b64 exec, exec, s[0:1]
	v_cmp_lt_i32_e32 vcc, 33, v57
	s_waitcnt lgkmcnt(0)
	s_barrier
	s_and_saveexec_b64 s[0:1], vcc
	s_cbranch_execz .LBB90_573
; %bb.572:
	ds_read2_b32 v[58:59], v17 offset0:34 offset1:35
	v_mul_f32_e32 v54, v56, v53
	v_mov_b32_e32 v53, v54
	s_waitcnt vmcnt(10) lgkmcnt(0)
	v_pk_fma_f32 v[46:47], v[54:55], v[58:59], v[46:47] op_sel_hi:[0,1,1] neg_lo:[1,0,0] neg_hi:[1,0,0]
	ds_read2_b32 v[58:59], v17 offset0:36 offset1:37
	s_waitcnt vmcnt(8) lgkmcnt(0)
	v_pk_fma_f32 v[42:43], v[54:55], v[58:59], v[42:43] op_sel_hi:[0,1,1] neg_lo:[1,0,0] neg_hi:[1,0,0]
	ds_read2_b32 v[58:59], v17 offset0:38 offset1:39
	;; [unrolled: 3-line block ×5, first 2 shown]
	s_waitcnt vmcnt(0) lgkmcnt(0)
	v_pk_fma_f32 v[48:49], v[54:55], v[58:59], v[48:49] op_sel_hi:[0,1,1] neg_lo:[1,0,0] neg_hi:[1,0,0]
.LBB90_573:
	s_or_b64 exec, exec, s[0:1]
	v_lshl_add_u32 v54, v57, 2, v17
	s_barrier
	s_waitcnt vmcnt(11)
	ds_write_b32 v54, v46
	s_waitcnt lgkmcnt(0)
	s_barrier
	ds_read_b32 v56, v17 offset:136
	s_cmp_lt_i32 s22, 36
	v_mov_b32_e32 v54, 34
	s_cbranch_scc1 .LBB90_576
; %bb.574:
	v_add_u32_e32 v58, 0x8c, v17
	v_mov_b32_e32 v54, 34
	s_mov_b32 s0, 35
.LBB90_575:                             ; =>This Inner Loop Header: Depth=1
	ds_read_b32 v59, v58
	v_mov_b32_e32 v60, s0
	s_add_i32 s0, s0, 1
	v_add_u32_e32 v58, 4, v58
	s_cmp_lg_u32 s22, s0
	s_waitcnt lgkmcnt(0)
	v_cmp_lt_f32_e64 vcc, |v56|, |v59|
	s_nop 1
	v_cndmask_b32_e32 v56, v56, v59, vcc
	v_cndmask_b32_e32 v54, v54, v60, vcc
	s_cbranch_scc1 .LBB90_575
.LBB90_576:
	s_waitcnt lgkmcnt(0)
	v_cmp_eq_f32_e32 vcc, 0, v56
	s_and_saveexec_b64 s[0:1], vcc
	s_xor_b64 s[0:1], exec, s[0:1]
; %bb.577:
	v_cmp_ne_u32_e32 vcc, 0, v19
	s_nop 1
	v_cndmask_b32_e32 v19, 35, v19, vcc
; %bb.578:
	s_andn2_saveexec_b64 s[0:1], s[0:1]
	s_cbranch_execz .LBB90_580
; %bb.579:
	v_div_scale_f32 v58, s[2:3], v56, v56, 1.0
	v_rcp_f32_e32 v59, v58
	v_div_scale_f32 v60, vcc, 1.0, v56, 1.0
	v_fma_f32 v61, -v58, v59, 1.0
	v_fmac_f32_e32 v59, v61, v59
	v_mul_f32_e32 v61, v60, v59
	v_fma_f32 v62, -v58, v61, v60
	v_fmac_f32_e32 v61, v62, v59
	v_fma_f32 v58, -v58, v61, v60
	v_div_fmas_f32 v58, v58, v59, v61
	v_div_fixup_f32 v56, v58, v56, 1.0
.LBB90_580:
	s_or_b64 exec, exec, s[0:1]
	v_cmp_ne_u32_e32 vcc, v57, v54
	s_and_saveexec_b64 s[0:1], vcc
	s_xor_b64 s[0:1], exec, s[0:1]
	s_cbranch_execz .LBB90_586
; %bb.581:
	v_cmp_eq_u32_e32 vcc, 34, v57
	s_and_saveexec_b64 s[2:3], vcc
	s_cbranch_execz .LBB90_585
; %bb.582:
	v_cmp_ne_u32_e32 vcc, 34, v54
	s_xor_b64 s[18:19], s[16:17], -1
	s_and_b64 s[20:21], s[18:19], vcc
	s_and_saveexec_b64 s[18:19], s[20:21]
	s_cbranch_execz .LBB90_584
; %bb.583:
	v_ashrrev_i32_e32 v55, 31, v54
	v_lshl_add_u64 v[58:59], v[54:55], 2, v[20:21]
	global_load_dword v55, v[58:59], off
	global_load_dword v57, v[20:21], off offset:136
	s_waitcnt vmcnt(1)
	global_store_dword v[20:21], v55, off offset:136
	s_waitcnt vmcnt(1)
	global_store_dword v[58:59], v57, off
.LBB90_584:
	s_or_b64 exec, exec, s[18:19]
	v_mov_b32_e32 v55, v54
	v_mov_b32_e32 v57, v54
.LBB90_585:
	s_or_b64 exec, exec, s[2:3]
.LBB90_586:
	s_andn2_saveexec_b64 s[0:1], s[0:1]
	s_cbranch_execz .LBB90_588
; %bb.587:
	s_waitcnt vmcnt(8)
	v_pk_mov_b32 v[58:59], v[46:47], v[42:43] op_sel:[1,0]
	ds_write2_b32 v17, v58, v59 offset0:35 offset1:36
	s_waitcnt vmcnt(6)
	v_pk_mov_b32 v[58:59], v[42:43], v[38:39] op_sel:[1,0]
	ds_write2_b32 v17, v58, v59 offset0:37 offset1:38
	;; [unrolled: 3-line block ×4, first 2 shown]
	s_waitcnt vmcnt(0)
	v_pk_mov_b32 v[58:59], v[50:51], v[48:49] op_sel:[1,0]
	v_mov_b32_e32 v57, 34
	ds_write2_b32 v17, v58, v59 offset0:43 offset1:44
	ds_write_b32 v17, v49 offset:180
.LBB90_588:
	s_or_b64 exec, exec, s[0:1]
	v_cmp_lt_i32_e32 vcc, 34, v57
	s_waitcnt lgkmcnt(0)
	s_barrier
	s_and_saveexec_b64 s[0:1], vcc
	s_cbranch_execz .LBB90_590
; %bb.589:
	ds_read_b32 v54, v17 offset:140
	ds_read2_b32 v[58:59], v17 offset0:36 offset1:37
	v_mul_f32_e32 v46, v56, v46
	s_waitcnt vmcnt(10) lgkmcnt(1)
	v_fma_f32 v47, -v46, v54, v47
	s_waitcnt vmcnt(8) lgkmcnt(0)
	v_pk_fma_f32 v[42:43], v[46:47], v[58:59], v[42:43] op_sel_hi:[0,1,1] neg_lo:[1,0,0] neg_hi:[1,0,0]
	ds_read2_b32 v[58:59], v17 offset0:38 offset1:39
	s_waitcnt vmcnt(6) lgkmcnt(0)
	v_pk_fma_f32 v[38:39], v[46:47], v[58:59], v[38:39] op_sel_hi:[0,1,1] neg_lo:[1,0,0] neg_hi:[1,0,0]
	ds_read2_b32 v[58:59], v17 offset0:40 offset1:41
	;; [unrolled: 3-line block ×4, first 2 shown]
	s_waitcnt vmcnt(0) lgkmcnt(0)
	v_pk_fma_f32 v[48:49], v[46:47], v[58:59], v[48:49] op_sel_hi:[0,1,1] neg_lo:[1,0,0] neg_hi:[1,0,0]
.LBB90_590:
	s_or_b64 exec, exec, s[0:1]
	v_lshl_add_u32 v54, v57, 2, v17
	s_barrier
	s_waitcnt vmcnt(10)
	ds_write_b32 v54, v47
	s_waitcnt lgkmcnt(0)
	s_barrier
	ds_read_b32 v56, v17 offset:140
	s_cmp_lt_i32 s22, 37
	v_mov_b32_e32 v54, 35
	s_cbranch_scc1 .LBB90_593
; %bb.591:
	v_add_u32_e32 v58, 0x90, v17
	v_mov_b32_e32 v54, 35
	s_mov_b32 s0, 36
.LBB90_592:                             ; =>This Inner Loop Header: Depth=1
	ds_read_b32 v59, v58
	v_mov_b32_e32 v60, s0
	s_add_i32 s0, s0, 1
	v_add_u32_e32 v58, 4, v58
	s_cmp_lg_u32 s22, s0
	s_waitcnt lgkmcnt(0)
	v_cmp_lt_f32_e64 vcc, |v56|, |v59|
	s_nop 1
	v_cndmask_b32_e32 v56, v56, v59, vcc
	v_cndmask_b32_e32 v54, v54, v60, vcc
	s_cbranch_scc1 .LBB90_592
.LBB90_593:
	s_waitcnt lgkmcnt(0)
	v_cmp_eq_f32_e32 vcc, 0, v56
	s_and_saveexec_b64 s[0:1], vcc
	s_xor_b64 s[0:1], exec, s[0:1]
; %bb.594:
	v_cmp_ne_u32_e32 vcc, 0, v19
	s_nop 1
	v_cndmask_b32_e32 v19, 36, v19, vcc
; %bb.595:
	s_andn2_saveexec_b64 s[0:1], s[0:1]
	s_cbranch_execz .LBB90_597
; %bb.596:
	v_div_scale_f32 v58, s[2:3], v56, v56, 1.0
	v_rcp_f32_e32 v59, v58
	v_div_scale_f32 v60, vcc, 1.0, v56, 1.0
	v_fma_f32 v61, -v58, v59, 1.0
	v_fmac_f32_e32 v59, v61, v59
	v_mul_f32_e32 v61, v60, v59
	v_fma_f32 v62, -v58, v61, v60
	v_fmac_f32_e32 v61, v62, v59
	v_fma_f32 v58, -v58, v61, v60
	v_div_fmas_f32 v58, v58, v59, v61
	v_div_fixup_f32 v56, v58, v56, 1.0
.LBB90_597:
	s_or_b64 exec, exec, s[0:1]
	v_cmp_ne_u32_e32 vcc, v57, v54
	s_and_saveexec_b64 s[0:1], vcc
	s_xor_b64 s[0:1], exec, s[0:1]
	s_cbranch_execz .LBB90_603
; %bb.598:
	v_cmp_eq_u32_e32 vcc, 35, v57
	s_and_saveexec_b64 s[2:3], vcc
	s_cbranch_execz .LBB90_602
; %bb.599:
	v_cmp_ne_u32_e32 vcc, 35, v54
	s_xor_b64 s[18:19], s[16:17], -1
	s_and_b64 s[20:21], s[18:19], vcc
	s_and_saveexec_b64 s[18:19], s[20:21]
	s_cbranch_execz .LBB90_601
; %bb.600:
	v_ashrrev_i32_e32 v55, 31, v54
	v_lshl_add_u64 v[58:59], v[54:55], 2, v[20:21]
	global_load_dword v55, v[58:59], off
	global_load_dword v57, v[20:21], off offset:140
	s_waitcnt vmcnt(1)
	global_store_dword v[20:21], v55, off offset:140
	s_waitcnt vmcnt(1)
	global_store_dword v[58:59], v57, off
.LBB90_601:
	s_or_b64 exec, exec, s[18:19]
	v_mov_b32_e32 v55, v54
	v_mov_b32_e32 v57, v54
.LBB90_602:
	s_or_b64 exec, exec, s[2:3]
.LBB90_603:
	s_andn2_saveexec_b64 s[0:1], s[0:1]
	s_cbranch_execz .LBB90_605
; %bb.604:
	v_mov_b32_e32 v57, 35
	s_waitcnt vmcnt(8)
	ds_write2_b32 v17, v42, v43 offset0:36 offset1:37
	s_waitcnt vmcnt(6)
	ds_write2_b32 v17, v38, v39 offset0:38 offset1:39
	;; [unrolled: 2-line block ×5, first 2 shown]
.LBB90_605:
	s_or_b64 exec, exec, s[0:1]
	v_cmp_lt_i32_e32 vcc, 35, v57
	s_waitcnt lgkmcnt(0)
	s_barrier
	s_and_saveexec_b64 s[0:1], vcc
	s_cbranch_execz .LBB90_607
; %bb.606:
	ds_read2_b32 v[58:59], v17 offset0:36 offset1:37
	v_mul_f32_e32 v54, v56, v47
	v_mov_b32_e32 v47, v54
	s_waitcnt vmcnt(8) lgkmcnt(0)
	v_pk_fma_f32 v[42:43], v[54:55], v[58:59], v[42:43] op_sel_hi:[0,1,1] neg_lo:[1,0,0] neg_hi:[1,0,0]
	ds_read2_b32 v[58:59], v17 offset0:38 offset1:39
	s_waitcnt vmcnt(6) lgkmcnt(0)
	v_pk_fma_f32 v[38:39], v[54:55], v[58:59], v[38:39] op_sel_hi:[0,1,1] neg_lo:[1,0,0] neg_hi:[1,0,0]
	ds_read2_b32 v[58:59], v17 offset0:40 offset1:41
	;; [unrolled: 3-line block ×4, first 2 shown]
	s_waitcnt vmcnt(0) lgkmcnt(0)
	v_pk_fma_f32 v[48:49], v[54:55], v[58:59], v[48:49] op_sel_hi:[0,1,1] neg_lo:[1,0,0] neg_hi:[1,0,0]
.LBB90_607:
	s_or_b64 exec, exec, s[0:1]
	v_lshl_add_u32 v54, v57, 2, v17
	s_barrier
	s_waitcnt vmcnt(9)
	ds_write_b32 v54, v42
	s_waitcnt lgkmcnt(0)
	s_barrier
	ds_read_b32 v56, v17 offset:144
	s_cmp_lt_i32 s22, 38
	v_mov_b32_e32 v54, 36
	s_cbranch_scc1 .LBB90_610
; %bb.608:
	v_add_u32_e32 v58, 0x94, v17
	v_mov_b32_e32 v54, 36
	s_mov_b32 s0, 37
.LBB90_609:                             ; =>This Inner Loop Header: Depth=1
	ds_read_b32 v59, v58
	v_mov_b32_e32 v60, s0
	s_add_i32 s0, s0, 1
	v_add_u32_e32 v58, 4, v58
	s_cmp_lg_u32 s22, s0
	s_waitcnt lgkmcnt(0)
	v_cmp_lt_f32_e64 vcc, |v56|, |v59|
	s_nop 1
	v_cndmask_b32_e32 v56, v56, v59, vcc
	v_cndmask_b32_e32 v54, v54, v60, vcc
	s_cbranch_scc1 .LBB90_609
.LBB90_610:
	s_waitcnt lgkmcnt(0)
	v_cmp_eq_f32_e32 vcc, 0, v56
	s_and_saveexec_b64 s[0:1], vcc
	s_xor_b64 s[0:1], exec, s[0:1]
; %bb.611:
	v_cmp_ne_u32_e32 vcc, 0, v19
	s_nop 1
	v_cndmask_b32_e32 v19, 37, v19, vcc
; %bb.612:
	s_andn2_saveexec_b64 s[0:1], s[0:1]
	s_cbranch_execz .LBB90_614
; %bb.613:
	v_div_scale_f32 v58, s[2:3], v56, v56, 1.0
	v_rcp_f32_e32 v59, v58
	v_div_scale_f32 v60, vcc, 1.0, v56, 1.0
	v_fma_f32 v61, -v58, v59, 1.0
	v_fmac_f32_e32 v59, v61, v59
	v_mul_f32_e32 v61, v60, v59
	v_fma_f32 v62, -v58, v61, v60
	v_fmac_f32_e32 v61, v62, v59
	v_fma_f32 v58, -v58, v61, v60
	v_div_fmas_f32 v58, v58, v59, v61
	v_div_fixup_f32 v56, v58, v56, 1.0
.LBB90_614:
	s_or_b64 exec, exec, s[0:1]
	v_cmp_ne_u32_e32 vcc, v57, v54
	s_and_saveexec_b64 s[0:1], vcc
	s_xor_b64 s[0:1], exec, s[0:1]
	s_cbranch_execz .LBB90_620
; %bb.615:
	v_cmp_eq_u32_e32 vcc, 36, v57
	s_and_saveexec_b64 s[2:3], vcc
	s_cbranch_execz .LBB90_619
; %bb.616:
	v_cmp_ne_u32_e32 vcc, 36, v54
	s_xor_b64 s[18:19], s[16:17], -1
	s_and_b64 s[20:21], s[18:19], vcc
	s_and_saveexec_b64 s[18:19], s[20:21]
	s_cbranch_execz .LBB90_618
; %bb.617:
	v_ashrrev_i32_e32 v55, 31, v54
	v_lshl_add_u64 v[58:59], v[54:55], 2, v[20:21]
	global_load_dword v55, v[58:59], off
	global_load_dword v57, v[20:21], off offset:144
	s_waitcnt vmcnt(1)
	global_store_dword v[20:21], v55, off offset:144
	s_waitcnt vmcnt(1)
	global_store_dword v[58:59], v57, off
.LBB90_618:
	s_or_b64 exec, exec, s[18:19]
	v_mov_b32_e32 v55, v54
	v_mov_b32_e32 v57, v54
.LBB90_619:
	s_or_b64 exec, exec, s[2:3]
.LBB90_620:
	s_andn2_saveexec_b64 s[0:1], s[0:1]
	s_cbranch_execz .LBB90_622
; %bb.621:
	s_waitcnt vmcnt(6)
	v_pk_mov_b32 v[58:59], v[42:43], v[38:39] op_sel:[1,0]
	ds_write2_b32 v17, v58, v59 offset0:37 offset1:38
	s_waitcnt vmcnt(4)
	v_pk_mov_b32 v[58:59], v[38:39], v[40:41] op_sel:[1,0]
	ds_write2_b32 v17, v58, v59 offset0:39 offset1:40
	;; [unrolled: 3-line block ×3, first 2 shown]
	s_waitcnt vmcnt(0)
	v_pk_mov_b32 v[58:59], v[50:51], v[48:49] op_sel:[1,0]
	v_mov_b32_e32 v57, 36
	ds_write2_b32 v17, v58, v59 offset0:43 offset1:44
	ds_write_b32 v17, v49 offset:180
.LBB90_622:
	s_or_b64 exec, exec, s[0:1]
	v_cmp_lt_i32_e32 vcc, 36, v57
	s_waitcnt lgkmcnt(0)
	s_barrier
	s_and_saveexec_b64 s[0:1], vcc
	s_cbranch_execz .LBB90_624
; %bb.623:
	ds_read_b32 v54, v17 offset:148
	ds_read2_b32 v[58:59], v17 offset0:38 offset1:39
	v_mul_f32_e32 v42, v56, v42
	s_waitcnt vmcnt(8) lgkmcnt(1)
	v_fma_f32 v43, -v42, v54, v43
	s_waitcnt vmcnt(6) lgkmcnt(0)
	v_pk_fma_f32 v[38:39], v[42:43], v[58:59], v[38:39] op_sel_hi:[0,1,1] neg_lo:[1,0,0] neg_hi:[1,0,0]
	ds_read2_b32 v[58:59], v17 offset0:40 offset1:41
	s_waitcnt vmcnt(4) lgkmcnt(0)
	v_pk_fma_f32 v[40:41], v[42:43], v[58:59], v[40:41] op_sel_hi:[0,1,1] neg_lo:[1,0,0] neg_hi:[1,0,0]
	ds_read2_b32 v[58:59], v17 offset0:42 offset1:43
	;; [unrolled: 3-line block ×3, first 2 shown]
	s_waitcnt vmcnt(0) lgkmcnt(0)
	v_pk_fma_f32 v[48:49], v[42:43], v[58:59], v[48:49] op_sel_hi:[0,1,1] neg_lo:[1,0,0] neg_hi:[1,0,0]
.LBB90_624:
	s_or_b64 exec, exec, s[0:1]
	v_lshl_add_u32 v54, v57, 2, v17
	s_barrier
	s_waitcnt vmcnt(8)
	ds_write_b32 v54, v43
	s_waitcnt lgkmcnt(0)
	s_barrier
	ds_read_b32 v56, v17 offset:148
	s_cmp_lt_i32 s22, 39
	v_mov_b32_e32 v54, 37
	s_cbranch_scc1 .LBB90_627
; %bb.625:
	v_add_u32_e32 v58, 0x98, v17
	v_mov_b32_e32 v54, 37
	s_mov_b32 s0, 38
.LBB90_626:                             ; =>This Inner Loop Header: Depth=1
	ds_read_b32 v59, v58
	v_mov_b32_e32 v60, s0
	s_add_i32 s0, s0, 1
	v_add_u32_e32 v58, 4, v58
	s_cmp_lg_u32 s22, s0
	s_waitcnt lgkmcnt(0)
	v_cmp_lt_f32_e64 vcc, |v56|, |v59|
	s_nop 1
	v_cndmask_b32_e32 v56, v56, v59, vcc
	v_cndmask_b32_e32 v54, v54, v60, vcc
	s_cbranch_scc1 .LBB90_626
.LBB90_627:
	s_waitcnt lgkmcnt(0)
	v_cmp_eq_f32_e32 vcc, 0, v56
	s_and_saveexec_b64 s[0:1], vcc
	s_xor_b64 s[0:1], exec, s[0:1]
; %bb.628:
	v_cmp_ne_u32_e32 vcc, 0, v19
	s_nop 1
	v_cndmask_b32_e32 v19, 38, v19, vcc
; %bb.629:
	s_andn2_saveexec_b64 s[0:1], s[0:1]
	s_cbranch_execz .LBB90_631
; %bb.630:
	v_div_scale_f32 v58, s[2:3], v56, v56, 1.0
	v_rcp_f32_e32 v59, v58
	v_div_scale_f32 v60, vcc, 1.0, v56, 1.0
	v_fma_f32 v61, -v58, v59, 1.0
	v_fmac_f32_e32 v59, v61, v59
	v_mul_f32_e32 v61, v60, v59
	v_fma_f32 v62, -v58, v61, v60
	v_fmac_f32_e32 v61, v62, v59
	v_fma_f32 v58, -v58, v61, v60
	v_div_fmas_f32 v58, v58, v59, v61
	v_div_fixup_f32 v56, v58, v56, 1.0
.LBB90_631:
	s_or_b64 exec, exec, s[0:1]
	v_cmp_ne_u32_e32 vcc, v57, v54
	s_and_saveexec_b64 s[0:1], vcc
	s_xor_b64 s[0:1], exec, s[0:1]
	s_cbranch_execz .LBB90_637
; %bb.632:
	v_cmp_eq_u32_e32 vcc, 37, v57
	s_and_saveexec_b64 s[2:3], vcc
	s_cbranch_execz .LBB90_636
; %bb.633:
	v_cmp_ne_u32_e32 vcc, 37, v54
	s_xor_b64 s[18:19], s[16:17], -1
	s_and_b64 s[20:21], s[18:19], vcc
	s_and_saveexec_b64 s[18:19], s[20:21]
	s_cbranch_execz .LBB90_635
; %bb.634:
	v_ashrrev_i32_e32 v55, 31, v54
	v_lshl_add_u64 v[58:59], v[54:55], 2, v[20:21]
	global_load_dword v55, v[58:59], off
	global_load_dword v57, v[20:21], off offset:148
	s_waitcnt vmcnt(1)
	global_store_dword v[20:21], v55, off offset:148
	s_waitcnt vmcnt(1)
	global_store_dword v[58:59], v57, off
.LBB90_635:
	s_or_b64 exec, exec, s[18:19]
	v_mov_b32_e32 v55, v54
	v_mov_b32_e32 v57, v54
.LBB90_636:
	s_or_b64 exec, exec, s[2:3]
.LBB90_637:
	s_andn2_saveexec_b64 s[0:1], s[0:1]
	s_cbranch_execz .LBB90_639
; %bb.638:
	v_mov_b32_e32 v57, 37
	s_waitcnt vmcnt(6)
	ds_write2_b32 v17, v38, v39 offset0:38 offset1:39
	s_waitcnt vmcnt(4)
	ds_write2_b32 v17, v40, v41 offset0:40 offset1:41
	;; [unrolled: 2-line block ×4, first 2 shown]
.LBB90_639:
	s_or_b64 exec, exec, s[0:1]
	v_cmp_lt_i32_e32 vcc, 37, v57
	s_waitcnt lgkmcnt(0)
	s_barrier
	s_and_saveexec_b64 s[0:1], vcc
	s_cbranch_execz .LBB90_641
; %bb.640:
	ds_read2_b32 v[58:59], v17 offset0:38 offset1:39
	v_mul_f32_e32 v54, v56, v43
	v_mov_b32_e32 v43, v54
	s_waitcnt vmcnt(6) lgkmcnt(0)
	v_pk_fma_f32 v[38:39], v[54:55], v[58:59], v[38:39] op_sel_hi:[0,1,1] neg_lo:[1,0,0] neg_hi:[1,0,0]
	ds_read2_b32 v[58:59], v17 offset0:40 offset1:41
	s_waitcnt vmcnt(4) lgkmcnt(0)
	v_pk_fma_f32 v[40:41], v[54:55], v[58:59], v[40:41] op_sel_hi:[0,1,1] neg_lo:[1,0,0] neg_hi:[1,0,0]
	ds_read2_b32 v[58:59], v17 offset0:42 offset1:43
	;; [unrolled: 3-line block ×3, first 2 shown]
	s_waitcnt vmcnt(0) lgkmcnt(0)
	v_pk_fma_f32 v[48:49], v[54:55], v[58:59], v[48:49] op_sel_hi:[0,1,1] neg_lo:[1,0,0] neg_hi:[1,0,0]
.LBB90_641:
	s_or_b64 exec, exec, s[0:1]
	v_lshl_add_u32 v54, v57, 2, v17
	s_barrier
	s_waitcnt vmcnt(7)
	ds_write_b32 v54, v38
	s_waitcnt lgkmcnt(0)
	s_barrier
	ds_read_b32 v56, v17 offset:152
	s_cmp_lt_i32 s22, 40
	v_mov_b32_e32 v54, 38
	s_cbranch_scc1 .LBB90_644
; %bb.642:
	v_add_u32_e32 v58, 0x9c, v17
	v_mov_b32_e32 v54, 38
	s_mov_b32 s0, 39
.LBB90_643:                             ; =>This Inner Loop Header: Depth=1
	ds_read_b32 v59, v58
	v_mov_b32_e32 v60, s0
	s_add_i32 s0, s0, 1
	v_add_u32_e32 v58, 4, v58
	s_cmp_lg_u32 s22, s0
	s_waitcnt lgkmcnt(0)
	v_cmp_lt_f32_e64 vcc, |v56|, |v59|
	s_nop 1
	v_cndmask_b32_e32 v56, v56, v59, vcc
	v_cndmask_b32_e32 v54, v54, v60, vcc
	s_cbranch_scc1 .LBB90_643
.LBB90_644:
	s_waitcnt lgkmcnt(0)
	v_cmp_eq_f32_e32 vcc, 0, v56
	s_and_saveexec_b64 s[0:1], vcc
	s_xor_b64 s[0:1], exec, s[0:1]
; %bb.645:
	v_cmp_ne_u32_e32 vcc, 0, v19
	s_nop 1
	v_cndmask_b32_e32 v19, 39, v19, vcc
; %bb.646:
	s_andn2_saveexec_b64 s[0:1], s[0:1]
	s_cbranch_execz .LBB90_648
; %bb.647:
	v_div_scale_f32 v58, s[2:3], v56, v56, 1.0
	v_rcp_f32_e32 v59, v58
	v_div_scale_f32 v60, vcc, 1.0, v56, 1.0
	v_fma_f32 v61, -v58, v59, 1.0
	v_fmac_f32_e32 v59, v61, v59
	v_mul_f32_e32 v61, v60, v59
	v_fma_f32 v62, -v58, v61, v60
	v_fmac_f32_e32 v61, v62, v59
	v_fma_f32 v58, -v58, v61, v60
	v_div_fmas_f32 v58, v58, v59, v61
	v_div_fixup_f32 v56, v58, v56, 1.0
.LBB90_648:
	s_or_b64 exec, exec, s[0:1]
	v_cmp_ne_u32_e32 vcc, v57, v54
	s_and_saveexec_b64 s[0:1], vcc
	s_xor_b64 s[0:1], exec, s[0:1]
	s_cbranch_execz .LBB90_654
; %bb.649:
	v_cmp_eq_u32_e32 vcc, 38, v57
	s_and_saveexec_b64 s[2:3], vcc
	s_cbranch_execz .LBB90_653
; %bb.650:
	v_cmp_ne_u32_e32 vcc, 38, v54
	s_xor_b64 s[18:19], s[16:17], -1
	s_and_b64 s[20:21], s[18:19], vcc
	s_and_saveexec_b64 s[18:19], s[20:21]
	s_cbranch_execz .LBB90_652
; %bb.651:
	v_ashrrev_i32_e32 v55, 31, v54
	v_lshl_add_u64 v[58:59], v[54:55], 2, v[20:21]
	global_load_dword v55, v[58:59], off
	global_load_dword v57, v[20:21], off offset:152
	s_waitcnt vmcnt(1)
	global_store_dword v[20:21], v55, off offset:152
	s_waitcnt vmcnt(1)
	global_store_dword v[58:59], v57, off
.LBB90_652:
	s_or_b64 exec, exec, s[18:19]
	v_mov_b32_e32 v55, v54
	v_mov_b32_e32 v57, v54
.LBB90_653:
	s_or_b64 exec, exec, s[2:3]
.LBB90_654:
	s_andn2_saveexec_b64 s[0:1], s[0:1]
	s_cbranch_execz .LBB90_656
; %bb.655:
	s_waitcnt vmcnt(4)
	v_pk_mov_b32 v[58:59], v[38:39], v[40:41] op_sel:[1,0]
	ds_write2_b32 v17, v58, v59 offset0:39 offset1:40
	s_waitcnt vmcnt(2)
	v_pk_mov_b32 v[58:59], v[40:41], v[50:51] op_sel:[1,0]
	ds_write2_b32 v17, v58, v59 offset0:41 offset1:42
	s_waitcnt vmcnt(0)
	v_pk_mov_b32 v[58:59], v[50:51], v[48:49] op_sel:[1,0]
	v_mov_b32_e32 v57, 38
	ds_write2_b32 v17, v58, v59 offset0:43 offset1:44
	ds_write_b32 v17, v49 offset:180
.LBB90_656:
	s_or_b64 exec, exec, s[0:1]
	v_cmp_lt_i32_e32 vcc, 38, v57
	s_waitcnt lgkmcnt(0)
	s_barrier
	s_and_saveexec_b64 s[0:1], vcc
	s_cbranch_execz .LBB90_658
; %bb.657:
	ds_read_b32 v54, v17 offset:156
	ds_read2_b32 v[58:59], v17 offset0:40 offset1:41
	ds_read2_b32 v[60:61], v17 offset0:42 offset1:43
	;; [unrolled: 1-line block ×3, first 2 shown]
	v_mul_f32_e32 v38, v56, v38
	s_waitcnt vmcnt(6) lgkmcnt(3)
	v_fma_f32 v39, -v38, v54, v39
	s_waitcnt vmcnt(4) lgkmcnt(2)
	v_pk_fma_f32 v[40:41], v[38:39], v[58:59], v[40:41] op_sel_hi:[0,1,1] neg_lo:[1,0,0] neg_hi:[1,0,0]
	s_waitcnt vmcnt(2) lgkmcnt(1)
	v_pk_fma_f32 v[50:51], v[38:39], v[60:61], v[50:51] op_sel_hi:[0,1,1] neg_lo:[1,0,0] neg_hi:[1,0,0]
	;; [unrolled: 2-line block ×3, first 2 shown]
.LBB90_658:
	s_or_b64 exec, exec, s[0:1]
	v_lshl_add_u32 v54, v57, 2, v17
	s_barrier
	s_waitcnt vmcnt(6)
	ds_write_b32 v54, v39
	s_waitcnt lgkmcnt(0)
	s_barrier
	ds_read_b32 v56, v17 offset:156
	s_cmp_lt_i32 s22, 41
	v_mov_b32_e32 v54, 39
	s_cbranch_scc1 .LBB90_661
; %bb.659:
	v_add_u32_e32 v58, 0xa0, v17
	v_mov_b32_e32 v54, 39
	s_mov_b32 s0, 40
.LBB90_660:                             ; =>This Inner Loop Header: Depth=1
	ds_read_b32 v59, v58
	v_mov_b32_e32 v60, s0
	s_add_i32 s0, s0, 1
	v_add_u32_e32 v58, 4, v58
	s_cmp_lg_u32 s22, s0
	s_waitcnt lgkmcnt(0)
	v_cmp_lt_f32_e64 vcc, |v56|, |v59|
	s_nop 1
	v_cndmask_b32_e32 v56, v56, v59, vcc
	v_cndmask_b32_e32 v54, v54, v60, vcc
	s_cbranch_scc1 .LBB90_660
.LBB90_661:
	s_waitcnt lgkmcnt(0)
	v_cmp_eq_f32_e32 vcc, 0, v56
	s_and_saveexec_b64 s[0:1], vcc
	s_xor_b64 s[0:1], exec, s[0:1]
; %bb.662:
	v_cmp_ne_u32_e32 vcc, 0, v19
	s_nop 1
	v_cndmask_b32_e32 v19, 40, v19, vcc
; %bb.663:
	s_andn2_saveexec_b64 s[0:1], s[0:1]
	s_cbranch_execz .LBB90_665
; %bb.664:
	v_div_scale_f32 v58, s[2:3], v56, v56, 1.0
	v_rcp_f32_e32 v59, v58
	v_div_scale_f32 v60, vcc, 1.0, v56, 1.0
	v_fma_f32 v61, -v58, v59, 1.0
	v_fmac_f32_e32 v59, v61, v59
	v_mul_f32_e32 v61, v60, v59
	v_fma_f32 v62, -v58, v61, v60
	v_fmac_f32_e32 v61, v62, v59
	v_fma_f32 v58, -v58, v61, v60
	v_div_fmas_f32 v58, v58, v59, v61
	v_div_fixup_f32 v56, v58, v56, 1.0
.LBB90_665:
	s_or_b64 exec, exec, s[0:1]
	v_cmp_ne_u32_e32 vcc, v57, v54
	s_and_saveexec_b64 s[0:1], vcc
	s_xor_b64 s[0:1], exec, s[0:1]
	s_cbranch_execz .LBB90_671
; %bb.666:
	v_cmp_eq_u32_e32 vcc, 39, v57
	s_and_saveexec_b64 s[2:3], vcc
	s_cbranch_execz .LBB90_670
; %bb.667:
	v_cmp_ne_u32_e32 vcc, 39, v54
	s_xor_b64 s[18:19], s[16:17], -1
	s_and_b64 s[20:21], s[18:19], vcc
	s_and_saveexec_b64 s[18:19], s[20:21]
	s_cbranch_execz .LBB90_669
; %bb.668:
	v_ashrrev_i32_e32 v55, 31, v54
	v_lshl_add_u64 v[58:59], v[54:55], 2, v[20:21]
	global_load_dword v55, v[58:59], off
	global_load_dword v57, v[20:21], off offset:156
	s_waitcnt vmcnt(1)
	global_store_dword v[20:21], v55, off offset:156
	s_waitcnt vmcnt(1)
	global_store_dword v[58:59], v57, off
.LBB90_669:
	s_or_b64 exec, exec, s[18:19]
	v_mov_b32_e32 v55, v54
	v_mov_b32_e32 v57, v54
.LBB90_670:
	s_or_b64 exec, exec, s[2:3]
.LBB90_671:
	s_andn2_saveexec_b64 s[0:1], s[0:1]
	s_cbranch_execz .LBB90_673
; %bb.672:
	v_mov_b32_e32 v57, 39
	s_waitcnt vmcnt(4)
	ds_write2_b32 v17, v40, v41 offset0:40 offset1:41
	s_waitcnt vmcnt(2)
	ds_write2_b32 v17, v50, v51 offset0:42 offset1:43
	;; [unrolled: 2-line block ×3, first 2 shown]
.LBB90_673:
	s_or_b64 exec, exec, s[0:1]
	v_cmp_lt_i32_e32 vcc, 39, v57
	s_waitcnt lgkmcnt(0)
	s_barrier
	s_and_saveexec_b64 s[0:1], vcc
	s_cbranch_execz .LBB90_675
; %bb.674:
	ds_read2_b32 v[58:59], v17 offset0:40 offset1:41
	ds_read2_b32 v[60:61], v17 offset0:42 offset1:43
	;; [unrolled: 1-line block ×3, first 2 shown]
	v_mul_f32_e32 v54, v56, v39
	v_mov_b32_e32 v39, v54
	s_waitcnt vmcnt(4) lgkmcnt(2)
	v_pk_fma_f32 v[40:41], v[54:55], v[58:59], v[40:41] op_sel_hi:[0,1,1] neg_lo:[1,0,0] neg_hi:[1,0,0]
	s_waitcnt vmcnt(2) lgkmcnt(1)
	v_pk_fma_f32 v[50:51], v[54:55], v[60:61], v[50:51] op_sel_hi:[0,1,1] neg_lo:[1,0,0] neg_hi:[1,0,0]
	s_waitcnt vmcnt(0) lgkmcnt(0)
	v_pk_fma_f32 v[48:49], v[54:55], v[62:63], v[48:49] op_sel_hi:[0,1,1] neg_lo:[1,0,0] neg_hi:[1,0,0]
.LBB90_675:
	s_or_b64 exec, exec, s[0:1]
	v_lshl_add_u32 v54, v57, 2, v17
	s_barrier
	s_waitcnt vmcnt(5)
	ds_write_b32 v54, v40
	s_waitcnt lgkmcnt(0)
	s_barrier
	ds_read_b32 v56, v17 offset:160
	s_cmp_lt_i32 s22, 42
	v_mov_b32_e32 v54, 40
	s_cbranch_scc1 .LBB90_678
; %bb.676:
	v_add_u32_e32 v58, 0xa4, v17
	v_mov_b32_e32 v54, 40
	s_mov_b32 s0, 41
.LBB90_677:                             ; =>This Inner Loop Header: Depth=1
	ds_read_b32 v59, v58
	v_mov_b32_e32 v60, s0
	s_add_i32 s0, s0, 1
	v_add_u32_e32 v58, 4, v58
	s_cmp_lg_u32 s22, s0
	s_waitcnt lgkmcnt(0)
	v_cmp_lt_f32_e64 vcc, |v56|, |v59|
	s_nop 1
	v_cndmask_b32_e32 v56, v56, v59, vcc
	v_cndmask_b32_e32 v54, v54, v60, vcc
	s_cbranch_scc1 .LBB90_677
.LBB90_678:
	s_waitcnt lgkmcnt(0)
	v_cmp_eq_f32_e32 vcc, 0, v56
	s_and_saveexec_b64 s[0:1], vcc
	s_xor_b64 s[0:1], exec, s[0:1]
; %bb.679:
	v_cmp_ne_u32_e32 vcc, 0, v19
	s_nop 1
	v_cndmask_b32_e32 v19, 41, v19, vcc
; %bb.680:
	s_andn2_saveexec_b64 s[0:1], s[0:1]
	s_cbranch_execz .LBB90_682
; %bb.681:
	v_div_scale_f32 v58, s[2:3], v56, v56, 1.0
	v_rcp_f32_e32 v59, v58
	v_div_scale_f32 v60, vcc, 1.0, v56, 1.0
	v_fma_f32 v61, -v58, v59, 1.0
	v_fmac_f32_e32 v59, v61, v59
	v_mul_f32_e32 v61, v60, v59
	v_fma_f32 v62, -v58, v61, v60
	v_fmac_f32_e32 v61, v62, v59
	v_fma_f32 v58, -v58, v61, v60
	v_div_fmas_f32 v58, v58, v59, v61
	v_div_fixup_f32 v56, v58, v56, 1.0
.LBB90_682:
	s_or_b64 exec, exec, s[0:1]
	v_cmp_ne_u32_e32 vcc, v57, v54
	s_and_saveexec_b64 s[0:1], vcc
	s_xor_b64 s[0:1], exec, s[0:1]
	s_cbranch_execz .LBB90_688
; %bb.683:
	v_cmp_eq_u32_e32 vcc, 40, v57
	s_and_saveexec_b64 s[2:3], vcc
	s_cbranch_execz .LBB90_687
; %bb.684:
	v_cmp_ne_u32_e32 vcc, 40, v54
	s_xor_b64 s[18:19], s[16:17], -1
	s_and_b64 s[20:21], s[18:19], vcc
	s_and_saveexec_b64 s[18:19], s[20:21]
	s_cbranch_execz .LBB90_686
; %bb.685:
	v_ashrrev_i32_e32 v55, 31, v54
	v_lshl_add_u64 v[58:59], v[54:55], 2, v[20:21]
	global_load_dword v55, v[58:59], off
	global_load_dword v57, v[20:21], off offset:160
	s_waitcnt vmcnt(1)
	global_store_dword v[20:21], v55, off offset:160
	s_waitcnt vmcnt(1)
	global_store_dword v[58:59], v57, off
.LBB90_686:
	s_or_b64 exec, exec, s[18:19]
	v_mov_b32_e32 v55, v54
	v_mov_b32_e32 v57, v54
.LBB90_687:
	s_or_b64 exec, exec, s[2:3]
.LBB90_688:
	s_andn2_saveexec_b64 s[0:1], s[0:1]
	s_cbranch_execz .LBB90_690
; %bb.689:
	s_waitcnt vmcnt(2)
	v_pk_mov_b32 v[58:59], v[40:41], v[50:51] op_sel:[1,0]
	ds_write2_b32 v17, v58, v59 offset0:41 offset1:42
	s_waitcnt vmcnt(0)
	v_pk_mov_b32 v[58:59], v[50:51], v[48:49] op_sel:[1,0]
	v_mov_b32_e32 v57, 40
	ds_write2_b32 v17, v58, v59 offset0:43 offset1:44
	ds_write_b32 v17, v49 offset:180
.LBB90_690:
	s_or_b64 exec, exec, s[0:1]
	v_cmp_lt_i32_e32 vcc, 40, v57
	s_waitcnt lgkmcnt(0)
	s_barrier
	s_and_saveexec_b64 s[0:1], vcc
	s_cbranch_execz .LBB90_692
; %bb.691:
	ds_read_b32 v54, v17 offset:164
	ds_read2_b32 v[58:59], v17 offset0:42 offset1:43
	ds_read2_b32 v[60:61], v17 offset0:44 offset1:45
	v_mul_f32_e32 v40, v56, v40
	s_waitcnt vmcnt(4) lgkmcnt(2)
	v_fma_f32 v41, -v40, v54, v41
	s_waitcnt vmcnt(2) lgkmcnt(1)
	v_pk_fma_f32 v[50:51], v[40:41], v[58:59], v[50:51] op_sel_hi:[0,1,1] neg_lo:[1,0,0] neg_hi:[1,0,0]
	s_waitcnt vmcnt(0) lgkmcnt(0)
	v_pk_fma_f32 v[48:49], v[40:41], v[60:61], v[48:49] op_sel_hi:[0,1,1] neg_lo:[1,0,0] neg_hi:[1,0,0]
.LBB90_692:
	s_or_b64 exec, exec, s[0:1]
	v_lshl_add_u32 v54, v57, 2, v17
	s_barrier
	s_waitcnt vmcnt(4)
	ds_write_b32 v54, v41
	s_waitcnt lgkmcnt(0)
	s_barrier
	ds_read_b32 v56, v17 offset:164
	s_cmp_lt_i32 s22, 43
	v_mov_b32_e32 v54, 41
	s_cbranch_scc1 .LBB90_695
; %bb.693:
	v_add_u32_e32 v58, 0xa8, v17
	v_mov_b32_e32 v54, 41
	s_mov_b32 s0, 42
.LBB90_694:                             ; =>This Inner Loop Header: Depth=1
	ds_read_b32 v59, v58
	v_mov_b32_e32 v60, s0
	s_add_i32 s0, s0, 1
	v_add_u32_e32 v58, 4, v58
	s_cmp_lg_u32 s22, s0
	s_waitcnt lgkmcnt(0)
	v_cmp_lt_f32_e64 vcc, |v56|, |v59|
	s_nop 1
	v_cndmask_b32_e32 v56, v56, v59, vcc
	v_cndmask_b32_e32 v54, v54, v60, vcc
	s_cbranch_scc1 .LBB90_694
.LBB90_695:
	s_waitcnt lgkmcnt(0)
	v_cmp_eq_f32_e32 vcc, 0, v56
	s_and_saveexec_b64 s[0:1], vcc
	s_xor_b64 s[0:1], exec, s[0:1]
; %bb.696:
	v_cmp_ne_u32_e32 vcc, 0, v19
	s_nop 1
	v_cndmask_b32_e32 v19, 42, v19, vcc
; %bb.697:
	s_andn2_saveexec_b64 s[0:1], s[0:1]
	s_cbranch_execz .LBB90_699
; %bb.698:
	v_div_scale_f32 v58, s[2:3], v56, v56, 1.0
	v_rcp_f32_e32 v59, v58
	v_div_scale_f32 v60, vcc, 1.0, v56, 1.0
	v_fma_f32 v61, -v58, v59, 1.0
	v_fmac_f32_e32 v59, v61, v59
	v_mul_f32_e32 v61, v60, v59
	v_fma_f32 v62, -v58, v61, v60
	v_fmac_f32_e32 v61, v62, v59
	v_fma_f32 v58, -v58, v61, v60
	v_div_fmas_f32 v58, v58, v59, v61
	v_div_fixup_f32 v56, v58, v56, 1.0
.LBB90_699:
	s_or_b64 exec, exec, s[0:1]
	v_cmp_ne_u32_e32 vcc, v57, v54
	s_and_saveexec_b64 s[0:1], vcc
	s_xor_b64 s[0:1], exec, s[0:1]
	s_cbranch_execz .LBB90_705
; %bb.700:
	v_cmp_eq_u32_e32 vcc, 41, v57
	s_and_saveexec_b64 s[2:3], vcc
	s_cbranch_execz .LBB90_704
; %bb.701:
	v_cmp_ne_u32_e32 vcc, 41, v54
	s_xor_b64 s[18:19], s[16:17], -1
	s_and_b64 s[20:21], s[18:19], vcc
	s_and_saveexec_b64 s[18:19], s[20:21]
	s_cbranch_execz .LBB90_703
; %bb.702:
	v_ashrrev_i32_e32 v55, 31, v54
	v_lshl_add_u64 v[58:59], v[54:55], 2, v[20:21]
	global_load_dword v55, v[58:59], off
	global_load_dword v57, v[20:21], off offset:164
	s_waitcnt vmcnt(1)
	global_store_dword v[20:21], v55, off offset:164
	s_waitcnt vmcnt(1)
	global_store_dword v[58:59], v57, off
.LBB90_703:
	s_or_b64 exec, exec, s[18:19]
	v_mov_b32_e32 v55, v54
	v_mov_b32_e32 v57, v54
.LBB90_704:
	s_or_b64 exec, exec, s[2:3]
.LBB90_705:
	s_andn2_saveexec_b64 s[0:1], s[0:1]
	s_cbranch_execz .LBB90_707
; %bb.706:
	v_mov_b32_e32 v57, 41
	s_waitcnt vmcnt(2)
	ds_write2_b32 v17, v50, v51 offset0:42 offset1:43
	s_waitcnt vmcnt(0)
	ds_write2_b32 v17, v48, v49 offset0:44 offset1:45
.LBB90_707:
	s_or_b64 exec, exec, s[0:1]
	v_cmp_lt_i32_e32 vcc, 41, v57
	s_waitcnt lgkmcnt(0)
	s_barrier
	s_and_saveexec_b64 s[0:1], vcc
	s_cbranch_execz .LBB90_709
; %bb.708:
	ds_read2_b32 v[58:59], v17 offset0:42 offset1:43
	ds_read2_b32 v[60:61], v17 offset0:44 offset1:45
	v_mul_f32_e32 v54, v56, v41
	v_mov_b32_e32 v41, v54
	s_waitcnt vmcnt(2) lgkmcnt(1)
	v_pk_fma_f32 v[50:51], v[54:55], v[58:59], v[50:51] op_sel_hi:[0,1,1] neg_lo:[1,0,0] neg_hi:[1,0,0]
	s_waitcnt vmcnt(0) lgkmcnt(0)
	v_pk_fma_f32 v[48:49], v[54:55], v[60:61], v[48:49] op_sel_hi:[0,1,1] neg_lo:[1,0,0] neg_hi:[1,0,0]
.LBB90_709:
	s_or_b64 exec, exec, s[0:1]
	v_lshl_add_u32 v54, v57, 2, v17
	s_barrier
	s_waitcnt vmcnt(3)
	ds_write_b32 v54, v50
	s_waitcnt lgkmcnt(0)
	s_barrier
	ds_read_b32 v56, v17 offset:168
	s_cmp_lt_i32 s22, 44
	v_mov_b32_e32 v54, 42
	s_cbranch_scc1 .LBB90_712
; %bb.710:
	v_add_u32_e32 v58, 0xac, v17
	v_mov_b32_e32 v54, 42
	s_mov_b32 s0, 43
.LBB90_711:                             ; =>This Inner Loop Header: Depth=1
	ds_read_b32 v59, v58
	v_mov_b32_e32 v60, s0
	s_add_i32 s0, s0, 1
	v_add_u32_e32 v58, 4, v58
	s_cmp_lg_u32 s22, s0
	s_waitcnt lgkmcnt(0)
	v_cmp_lt_f32_e64 vcc, |v56|, |v59|
	s_nop 1
	v_cndmask_b32_e32 v56, v56, v59, vcc
	v_cndmask_b32_e32 v54, v54, v60, vcc
	s_cbranch_scc1 .LBB90_711
.LBB90_712:
	s_waitcnt lgkmcnt(0)
	v_cmp_eq_f32_e32 vcc, 0, v56
	s_and_saveexec_b64 s[0:1], vcc
	s_xor_b64 s[0:1], exec, s[0:1]
; %bb.713:
	v_cmp_ne_u32_e32 vcc, 0, v19
	s_nop 1
	v_cndmask_b32_e32 v19, 43, v19, vcc
; %bb.714:
	s_andn2_saveexec_b64 s[0:1], s[0:1]
	s_cbranch_execz .LBB90_716
; %bb.715:
	v_div_scale_f32 v58, s[2:3], v56, v56, 1.0
	v_rcp_f32_e32 v59, v58
	v_div_scale_f32 v60, vcc, 1.0, v56, 1.0
	v_fma_f32 v61, -v58, v59, 1.0
	v_fmac_f32_e32 v59, v61, v59
	v_mul_f32_e32 v61, v60, v59
	v_fma_f32 v62, -v58, v61, v60
	v_fmac_f32_e32 v61, v62, v59
	v_fma_f32 v58, -v58, v61, v60
	v_div_fmas_f32 v58, v58, v59, v61
	v_div_fixup_f32 v56, v58, v56, 1.0
.LBB90_716:
	s_or_b64 exec, exec, s[0:1]
	v_cmp_ne_u32_e32 vcc, v57, v54
	s_and_saveexec_b64 s[0:1], vcc
	s_xor_b64 s[0:1], exec, s[0:1]
	s_cbranch_execz .LBB90_722
; %bb.717:
	v_cmp_eq_u32_e32 vcc, 42, v57
	s_and_saveexec_b64 s[2:3], vcc
	s_cbranch_execz .LBB90_721
; %bb.718:
	v_cmp_ne_u32_e32 vcc, 42, v54
	s_xor_b64 s[18:19], s[16:17], -1
	s_and_b64 s[20:21], s[18:19], vcc
	s_and_saveexec_b64 s[18:19], s[20:21]
	s_cbranch_execz .LBB90_720
; %bb.719:
	v_ashrrev_i32_e32 v55, 31, v54
	v_lshl_add_u64 v[58:59], v[54:55], 2, v[20:21]
	global_load_dword v55, v[58:59], off
	global_load_dword v57, v[20:21], off offset:168
	s_waitcnt vmcnt(1)
	global_store_dword v[20:21], v55, off offset:168
	s_waitcnt vmcnt(1)
	global_store_dword v[58:59], v57, off
.LBB90_720:
	s_or_b64 exec, exec, s[18:19]
	v_mov_b32_e32 v55, v54
	v_mov_b32_e32 v57, v54
.LBB90_721:
	s_or_b64 exec, exec, s[2:3]
.LBB90_722:
	s_andn2_saveexec_b64 s[0:1], s[0:1]
	s_cbranch_execz .LBB90_724
; %bb.723:
	s_waitcnt vmcnt(0)
	v_pk_mov_b32 v[58:59], v[50:51], v[48:49] op_sel:[1,0]
	v_mov_b32_e32 v57, 42
	ds_write2_b32 v17, v58, v59 offset0:43 offset1:44
	ds_write_b32 v17, v49 offset:180
.LBB90_724:
	s_or_b64 exec, exec, s[0:1]
	v_cmp_lt_i32_e32 vcc, 42, v57
	s_waitcnt lgkmcnt(0)
	s_barrier
	s_and_saveexec_b64 s[0:1], vcc
	s_cbranch_execz .LBB90_726
; %bb.725:
	ds_read_b32 v54, v17 offset:172
	ds_read2_b32 v[58:59], v17 offset0:44 offset1:45
	v_mul_f32_e32 v50, v56, v50
	s_waitcnt vmcnt(2) lgkmcnt(1)
	v_fma_f32 v51, -v50, v54, v51
	s_waitcnt vmcnt(0) lgkmcnt(0)
	v_pk_fma_f32 v[48:49], v[50:51], v[58:59], v[48:49] op_sel_hi:[0,1,1] neg_lo:[1,0,0] neg_hi:[1,0,0]
.LBB90_726:
	s_or_b64 exec, exec, s[0:1]
	v_lshl_add_u32 v54, v57, 2, v17
	s_barrier
	s_waitcnt vmcnt(2)
	ds_write_b32 v54, v51
	s_waitcnt lgkmcnt(0)
	s_barrier
	ds_read_b32 v56, v17 offset:172
	s_cmp_lt_i32 s22, 45
	v_mov_b32_e32 v54, 43
	s_cbranch_scc1 .LBB90_729
; %bb.727:
	v_add_u32_e32 v58, 0xb0, v17
	v_mov_b32_e32 v54, 43
	s_mov_b32 s0, 44
.LBB90_728:                             ; =>This Inner Loop Header: Depth=1
	ds_read_b32 v59, v58
	v_mov_b32_e32 v60, s0
	s_add_i32 s0, s0, 1
	v_add_u32_e32 v58, 4, v58
	s_cmp_lg_u32 s22, s0
	s_waitcnt lgkmcnt(0)
	v_cmp_lt_f32_e64 vcc, |v56|, |v59|
	s_nop 1
	v_cndmask_b32_e32 v56, v56, v59, vcc
	v_cndmask_b32_e32 v54, v54, v60, vcc
	s_cbranch_scc1 .LBB90_728
.LBB90_729:
	s_waitcnt lgkmcnt(0)
	v_cmp_eq_f32_e32 vcc, 0, v56
	s_and_saveexec_b64 s[0:1], vcc
	s_xor_b64 s[0:1], exec, s[0:1]
; %bb.730:
	v_cmp_ne_u32_e32 vcc, 0, v19
	s_nop 1
	v_cndmask_b32_e32 v19, 44, v19, vcc
; %bb.731:
	s_andn2_saveexec_b64 s[0:1], s[0:1]
	s_cbranch_execz .LBB90_733
; %bb.732:
	v_div_scale_f32 v58, s[2:3], v56, v56, 1.0
	v_rcp_f32_e32 v59, v58
	v_div_scale_f32 v60, vcc, 1.0, v56, 1.0
	v_fma_f32 v61, -v58, v59, 1.0
	v_fmac_f32_e32 v59, v61, v59
	v_mul_f32_e32 v61, v60, v59
	v_fma_f32 v62, -v58, v61, v60
	v_fmac_f32_e32 v61, v62, v59
	v_fma_f32 v58, -v58, v61, v60
	v_div_fmas_f32 v58, v58, v59, v61
	v_div_fixup_f32 v56, v58, v56, 1.0
.LBB90_733:
	s_or_b64 exec, exec, s[0:1]
	v_cmp_ne_u32_e32 vcc, v57, v54
	s_and_saveexec_b64 s[0:1], vcc
	s_xor_b64 s[0:1], exec, s[0:1]
	s_cbranch_execz .LBB90_739
; %bb.734:
	v_cmp_eq_u32_e32 vcc, 43, v57
	s_and_saveexec_b64 s[2:3], vcc
	s_cbranch_execz .LBB90_738
; %bb.735:
	v_cmp_ne_u32_e32 vcc, 43, v54
	s_xor_b64 s[18:19], s[16:17], -1
	s_and_b64 s[20:21], s[18:19], vcc
	s_and_saveexec_b64 s[18:19], s[20:21]
	s_cbranch_execz .LBB90_737
; %bb.736:
	v_ashrrev_i32_e32 v55, 31, v54
	v_lshl_add_u64 v[58:59], v[54:55], 2, v[20:21]
	global_load_dword v55, v[58:59], off
	global_load_dword v57, v[20:21], off offset:172
	s_waitcnt vmcnt(1)
	global_store_dword v[20:21], v55, off offset:172
	s_waitcnt vmcnt(1)
	global_store_dword v[58:59], v57, off
.LBB90_737:
	s_or_b64 exec, exec, s[18:19]
	v_mov_b32_e32 v55, v54
	v_mov_b32_e32 v57, v54
.LBB90_738:
	s_or_b64 exec, exec, s[2:3]
.LBB90_739:
	s_andn2_saveexec_b64 s[0:1], s[0:1]
	s_cbranch_execz .LBB90_741
; %bb.740:
	v_mov_b32_e32 v57, 43
	s_waitcnt vmcnt(0)
	ds_write2_b32 v17, v48, v49 offset0:44 offset1:45
.LBB90_741:
	s_or_b64 exec, exec, s[0:1]
	v_cmp_lt_i32_e32 vcc, 43, v57
	s_waitcnt lgkmcnt(0)
	s_barrier
	s_and_saveexec_b64 s[0:1], vcc
	s_cbranch_execz .LBB90_743
; %bb.742:
	ds_read2_b32 v[58:59], v17 offset0:44 offset1:45
	v_mul_f32_e32 v54, v56, v51
	v_mov_b32_e32 v51, v54
	s_waitcnt vmcnt(0) lgkmcnt(0)
	v_pk_fma_f32 v[48:49], v[54:55], v[58:59], v[48:49] op_sel_hi:[0,1,1] neg_lo:[1,0,0] neg_hi:[1,0,0]
.LBB90_743:
	s_or_b64 exec, exec, s[0:1]
	v_lshl_add_u32 v54, v57, 2, v17
	s_barrier
	s_waitcnt vmcnt(1)
	ds_write_b32 v54, v48
	s_waitcnt lgkmcnt(0)
	s_barrier
	ds_read_b32 v56, v17 offset:176
	s_cmp_lt_i32 s22, 46
	v_mov_b32_e32 v54, 44
	s_cbranch_scc1 .LBB90_746
; %bb.744:
	v_add_u32_e32 v58, 0xb4, v17
	v_mov_b32_e32 v54, 44
	s_mov_b32 s0, 45
.LBB90_745:                             ; =>This Inner Loop Header: Depth=1
	ds_read_b32 v59, v58
	v_mov_b32_e32 v60, s0
	s_add_i32 s0, s0, 1
	v_add_u32_e32 v58, 4, v58
	s_cmp_lg_u32 s22, s0
	s_waitcnt lgkmcnt(0)
	v_cmp_lt_f32_e64 vcc, |v56|, |v59|
	s_nop 1
	v_cndmask_b32_e32 v56, v56, v59, vcc
	v_cndmask_b32_e32 v54, v54, v60, vcc
	s_cbranch_scc1 .LBB90_745
.LBB90_746:
	s_waitcnt lgkmcnt(0)
	v_cmp_eq_f32_e32 vcc, 0, v56
	s_and_saveexec_b64 s[0:1], vcc
	s_xor_b64 s[0:1], exec, s[0:1]
; %bb.747:
	v_cmp_ne_u32_e32 vcc, 0, v19
	s_nop 1
	v_cndmask_b32_e32 v19, 45, v19, vcc
; %bb.748:
	s_andn2_saveexec_b64 s[0:1], s[0:1]
	s_cbranch_execz .LBB90_750
; %bb.749:
	v_div_scale_f32 v58, s[2:3], v56, v56, 1.0
	v_rcp_f32_e32 v59, v58
	v_div_scale_f32 v60, vcc, 1.0, v56, 1.0
	v_fma_f32 v61, -v58, v59, 1.0
	v_fmac_f32_e32 v59, v61, v59
	v_mul_f32_e32 v61, v60, v59
	v_fma_f32 v62, -v58, v61, v60
	v_fmac_f32_e32 v61, v62, v59
	v_fma_f32 v58, -v58, v61, v60
	v_div_fmas_f32 v58, v58, v59, v61
	v_div_fixup_f32 v56, v58, v56, 1.0
.LBB90_750:
	s_or_b64 exec, exec, s[0:1]
	v_cmp_ne_u32_e32 vcc, v57, v54
	s_and_saveexec_b64 s[0:1], vcc
	s_xor_b64 s[0:1], exec, s[0:1]
	s_cbranch_execz .LBB90_756
; %bb.751:
	v_cmp_eq_u32_e32 vcc, 44, v57
	s_and_saveexec_b64 s[2:3], vcc
	s_cbranch_execz .LBB90_755
; %bb.752:
	v_cmp_ne_u32_e32 vcc, 44, v54
	s_xor_b64 s[18:19], s[16:17], -1
	s_and_b64 s[20:21], s[18:19], vcc
	s_and_saveexec_b64 s[18:19], s[20:21]
	s_cbranch_execz .LBB90_754
; %bb.753:
	v_ashrrev_i32_e32 v55, 31, v54
	v_lshl_add_u64 v[58:59], v[54:55], 2, v[20:21]
	global_load_dword v55, v[58:59], off
	global_load_dword v57, v[20:21], off offset:176
	s_waitcnt vmcnt(1)
	global_store_dword v[20:21], v55, off offset:176
	s_waitcnt vmcnt(1)
	global_store_dword v[58:59], v57, off
.LBB90_754:
	s_or_b64 exec, exec, s[18:19]
	v_mov_b32_e32 v55, v54
	v_mov_b32_e32 v57, v54
.LBB90_755:
	s_or_b64 exec, exec, s[2:3]
.LBB90_756:
	s_andn2_saveexec_b64 s[0:1], s[0:1]
	s_cbranch_execz .LBB90_758
; %bb.757:
	v_mov_b32_e32 v57, 44
	s_waitcnt vmcnt(0)
	ds_write_b32 v17, v49 offset:180
.LBB90_758:
	s_or_b64 exec, exec, s[0:1]
	v_cmp_lt_i32_e32 vcc, 44, v57
	s_waitcnt lgkmcnt(0)
	s_barrier
	s_and_saveexec_b64 s[0:1], vcc
	s_cbranch_execz .LBB90_760
; %bb.759:
	ds_read_b32 v54, v17 offset:180
	v_mul_f32_e32 v48, v56, v48
	s_waitcnt vmcnt(0) lgkmcnt(0)
	v_fma_f32 v49, -v48, v54, v49
.LBB90_760:
	s_or_b64 exec, exec, s[0:1]
	v_lshl_add_u32 v54, v57, 2, v17
	s_barrier
	s_waitcnt vmcnt(0)
	ds_write_b32 v54, v49
	s_waitcnt lgkmcnt(0)
	s_barrier
	ds_read_b32 v58, v17 offset:180
	s_cmp_lt_i32 s22, 47
	v_mov_b32_e32 v54, 45
	s_cbranch_scc1 .LBB90_763
; %bb.761:
	v_add_u32_e32 v17, 0xb8, v17
	v_mov_b32_e32 v54, 45
	s_mov_b32 s0, 46
.LBB90_762:                             ; =>This Inner Loop Header: Depth=1
	ds_read_b32 v56, v17
	v_mov_b32_e32 v59, s0
	s_add_i32 s0, s0, 1
	v_add_u32_e32 v17, 4, v17
	s_cmp_lg_u32 s22, s0
	s_waitcnt lgkmcnt(0)
	v_cmp_lt_f32_e64 vcc, |v58|, |v56|
	s_nop 1
	v_cndmask_b32_e32 v58, v58, v56, vcc
	v_cndmask_b32_e32 v54, v54, v59, vcc
	s_cbranch_scc1 .LBB90_762
.LBB90_763:
	s_waitcnt lgkmcnt(0)
	v_cmp_eq_f32_e32 vcc, 0, v58
	s_and_saveexec_b64 s[0:1], vcc
	s_xor_b64 s[0:1], exec, s[0:1]
; %bb.764:
	v_cmp_ne_u32_e32 vcc, 0, v19
	s_nop 1
	v_cndmask_b32_e32 v19, 46, v19, vcc
; %bb.765:
	s_andn2_saveexec_b64 s[0:1], s[0:1]
	s_cbranch_execz .LBB90_767
; %bb.766:
	v_div_scale_f32 v17, s[2:3], v58, v58, 1.0
	v_rcp_f32_e32 v56, v17
	v_div_scale_f32 v59, vcc, 1.0, v58, 1.0
	v_fma_f32 v60, -v17, v56, 1.0
	v_fmac_f32_e32 v56, v60, v56
	v_mul_f32_e32 v60, v59, v56
	v_fma_f32 v61, -v17, v60, v59
	v_fmac_f32_e32 v60, v61, v56
	v_fma_f32 v17, -v17, v60, v59
	v_div_fmas_f32 v17, v17, v56, v60
	v_div_fixup_f32 v58, v17, v58, 1.0
.LBB90_767:
	s_or_b64 exec, exec, s[0:1]
	v_cmp_ne_u32_e32 vcc, v57, v54
	v_mov_b32_e32 v56, 45
	s_and_saveexec_b64 s[0:1], vcc
	s_cbranch_execz .LBB90_773
; %bb.768:
	v_cmp_eq_u32_e32 vcc, 45, v57
	s_and_saveexec_b64 s[2:3], vcc
	s_cbranch_execz .LBB90_772
; %bb.769:
	v_cmp_ne_u32_e32 vcc, 45, v54
	s_xor_b64 s[16:17], s[16:17], -1
	s_and_b64 s[18:19], s[16:17], vcc
	s_and_saveexec_b64 s[16:17], s[18:19]
	s_cbranch_execz .LBB90_771
; %bb.770:
	v_ashrrev_i32_e32 v55, 31, v54
	v_lshl_add_u64 v[56:57], v[54:55], 2, v[20:21]
	global_load_dword v17, v[56:57], off
	global_load_dword v55, v[20:21], off offset:180
	s_waitcnt vmcnt(1)
	global_store_dword v[20:21], v17, off offset:180
	s_waitcnt vmcnt(1)
	global_store_dword v[56:57], v55, off
.LBB90_771:
	s_or_b64 exec, exec, s[16:17]
	v_mov_b32_e32 v55, v54
	v_mov_b32_e32 v57, v54
.LBB90_772:
	s_or_b64 exec, exec, s[2:3]
	v_mov_b32_e32 v56, v57
.LBB90_773:
	s_or_b64 exec, exec, s[0:1]
	v_cmp_gt_i32_e32 vcc, 46, v56
	v_ashrrev_i32_e32 v57, 31, v56
	s_barrier
	s_barrier
	s_and_saveexec_b64 s[0:1], vcc
	s_cbranch_execz .LBB90_775
; %bb.774:
	v_mul_lo_u32 v17, s11, v4
	v_mul_lo_u32 v54, s10, v5
	v_mad_u64_u32 v[60:61], s[2:3], s10, v4, 0
	v_mov_b32_e32 v20, s6
	v_mov_b32_e32 v21, s7
	v_add3_u32 v61, v61, v54, v17
	v_lshl_add_u64 v[20:21], v[60:61], 2, v[20:21]
	v_lshl_add_u64 v[20:21], s[8:9], 2, v[20:21]
	;; [unrolled: 1-line block ×3, first 2 shown]
	v_add3_u32 v17, v55, s15, 1
	global_store_dword v[20:21], v17, off
.LBB90_775:
	s_or_b64 exec, exec, s[0:1]
	v_cmp_eq_u32_e32 vcc, 0, v56
	s_and_saveexec_b64 s[2:3], vcc
	s_cbranch_execz .LBB90_778
; %bb.776:
	v_mov_b32_e32 v20, s4
	v_mov_b32_e32 v21, s5
	v_lshl_add_u64 v[4:5], v[4:5], 2, v[20:21]
	global_load_dword v17, v[4:5], off
	v_cmp_ne_u32_e64 s[0:1], 0, v19
	s_waitcnt vmcnt(0)
	v_cmp_eq_u32_e32 vcc, 0, v17
	s_and_b64 s[0:1], vcc, s[0:1]
	s_and_b64 exec, exec, s[0:1]
	s_cbranch_execz .LBB90_778
; %bb.777:
	v_add_u32_e32 v17, s15, v19
	global_store_dword v[4:5], v17, off
.LBB90_778:
	s_or_b64 exec, exec, s[2:3]
	v_mul_f32_e32 v4, v58, v49
	v_cmp_lt_i32_e32 vcc, 45, v56
	s_nop 1
	v_cndmask_b32_e32 v19, v49, v4, vcc
	v_lshl_add_u64 v[4:5], v[56:57], 2, v[2:3]
	global_store_dword v[4:5], v18, off
	v_lshl_add_u64 v[4:5], s[12:13], 2, v[4:5]
	global_store_dword v[4:5], v16, off
	v_add_u32_e32 v4, s14, v56
	v_ashrrev_i32_e32 v5, 31, v4
	v_lshl_add_u64 v[16:17], v[4:5], 2, v[2:3]
	v_add_u32_e32 v4, s12, v4
	v_ashrrev_i32_e32 v5, 31, v4
	global_store_dword v[16:17], v10, off
	v_lshl_add_u64 v[16:17], v[4:5], 2, v[2:3]
	v_add_u32_e32 v4, s12, v4
	v_ashrrev_i32_e32 v5, 31, v4
	global_store_dword v[16:17], v11, off
	;; [unrolled: 4-line block ×5, first 2 shown]
	v_lshl_add_u64 v[6:7], v[4:5], 2, v[2:3]
	v_add_u32_e32 v0, s12, v4
	global_store_dword v[6:7], v1, off
	v_ashrrev_i32_e32 v1, 31, v0
	v_lshl_add_u64 v[4:5], v[0:1], 2, v[2:3]
	v_add_u32_e32 v0, s12, v0
	v_ashrrev_i32_e32 v1, 31, v0
	global_store_dword v[4:5], v28, off
	v_lshl_add_u64 v[4:5], v[0:1], 2, v[2:3]
	v_add_u32_e32 v0, s12, v0
	v_ashrrev_i32_e32 v1, 31, v0
	global_store_dword v[4:5], v29, off
	;; [unrolled: 4-line block ×36, first 2 shown]
	v_lshl_add_u64 v[4:5], v[0:1], 2, v[2:3]
	v_add_u32_e32 v0, s12, v0
	v_ashrrev_i32_e32 v1, 31, v0
	v_lshl_add_u64 v[0:1], v[0:1], 2, v[2:3]
	global_store_dword v[4:5], v48, off
	global_store_dword v[0:1], v19, off
.LBB90_779:
	s_endpgm
	.section	.rodata,"a",@progbits
	.p2align	6, 0x0
	.amdhsa_kernel _ZN9rocsolver6v33100L18getf2_small_kernelILi46EfiiPfEEvT1_T3_lS3_lPS3_llPT2_S3_S3_S5_l
		.amdhsa_group_segment_fixed_size 0
		.amdhsa_private_segment_fixed_size 0
		.amdhsa_kernarg_size 352
		.amdhsa_user_sgpr_count 2
		.amdhsa_user_sgpr_dispatch_ptr 0
		.amdhsa_user_sgpr_queue_ptr 0
		.amdhsa_user_sgpr_kernarg_segment_ptr 1
		.amdhsa_user_sgpr_dispatch_id 0
		.amdhsa_user_sgpr_kernarg_preload_length 0
		.amdhsa_user_sgpr_kernarg_preload_offset 0
		.amdhsa_user_sgpr_private_segment_size 0
		.amdhsa_uses_dynamic_stack 0
		.amdhsa_enable_private_segment 0
		.amdhsa_system_sgpr_workgroup_id_x 1
		.amdhsa_system_sgpr_workgroup_id_y 1
		.amdhsa_system_sgpr_workgroup_id_z 0
		.amdhsa_system_sgpr_workgroup_info 0
		.amdhsa_system_vgpr_workitem_id 1
		.amdhsa_next_free_vgpr 68
		.amdhsa_next_free_sgpr 26
		.amdhsa_accum_offset 68
		.amdhsa_reserve_vcc 1
		.amdhsa_float_round_mode_32 0
		.amdhsa_float_round_mode_16_64 0
		.amdhsa_float_denorm_mode_32 3
		.amdhsa_float_denorm_mode_16_64 3
		.amdhsa_dx10_clamp 1
		.amdhsa_ieee_mode 1
		.amdhsa_fp16_overflow 0
		.amdhsa_tg_split 0
		.amdhsa_exception_fp_ieee_invalid_op 0
		.amdhsa_exception_fp_denorm_src 0
		.amdhsa_exception_fp_ieee_div_zero 0
		.amdhsa_exception_fp_ieee_overflow 0
		.amdhsa_exception_fp_ieee_underflow 0
		.amdhsa_exception_fp_ieee_inexact 0
		.amdhsa_exception_int_div_zero 0
	.end_amdhsa_kernel
	.section	.text._ZN9rocsolver6v33100L18getf2_small_kernelILi46EfiiPfEEvT1_T3_lS3_lPS3_llPT2_S3_S3_S5_l,"axG",@progbits,_ZN9rocsolver6v33100L18getf2_small_kernelILi46EfiiPfEEvT1_T3_lS3_lPS3_llPT2_S3_S3_S5_l,comdat
.Lfunc_end90:
	.size	_ZN9rocsolver6v33100L18getf2_small_kernelILi46EfiiPfEEvT1_T3_lS3_lPS3_llPT2_S3_S3_S5_l, .Lfunc_end90-_ZN9rocsolver6v33100L18getf2_small_kernelILi46EfiiPfEEvT1_T3_lS3_lPS3_llPT2_S3_S3_S5_l
                                        ; -- End function
	.set _ZN9rocsolver6v33100L18getf2_small_kernelILi46EfiiPfEEvT1_T3_lS3_lPS3_llPT2_S3_S3_S5_l.num_vgpr, 68
	.set _ZN9rocsolver6v33100L18getf2_small_kernelILi46EfiiPfEEvT1_T3_lS3_lPS3_llPT2_S3_S3_S5_l.num_agpr, 0
	.set _ZN9rocsolver6v33100L18getf2_small_kernelILi46EfiiPfEEvT1_T3_lS3_lPS3_llPT2_S3_S3_S5_l.numbered_sgpr, 26
	.set _ZN9rocsolver6v33100L18getf2_small_kernelILi46EfiiPfEEvT1_T3_lS3_lPS3_llPT2_S3_S3_S5_l.num_named_barrier, 0
	.set _ZN9rocsolver6v33100L18getf2_small_kernelILi46EfiiPfEEvT1_T3_lS3_lPS3_llPT2_S3_S3_S5_l.private_seg_size, 0
	.set _ZN9rocsolver6v33100L18getf2_small_kernelILi46EfiiPfEEvT1_T3_lS3_lPS3_llPT2_S3_S3_S5_l.uses_vcc, 1
	.set _ZN9rocsolver6v33100L18getf2_small_kernelILi46EfiiPfEEvT1_T3_lS3_lPS3_llPT2_S3_S3_S5_l.uses_flat_scratch, 0
	.set _ZN9rocsolver6v33100L18getf2_small_kernelILi46EfiiPfEEvT1_T3_lS3_lPS3_llPT2_S3_S3_S5_l.has_dyn_sized_stack, 0
	.set _ZN9rocsolver6v33100L18getf2_small_kernelILi46EfiiPfEEvT1_T3_lS3_lPS3_llPT2_S3_S3_S5_l.has_recursion, 0
	.set _ZN9rocsolver6v33100L18getf2_small_kernelILi46EfiiPfEEvT1_T3_lS3_lPS3_llPT2_S3_S3_S5_l.has_indirect_call, 0
	.section	.AMDGPU.csdata,"",@progbits
; Kernel info:
; codeLenInByte = 39424
; TotalNumSgprs: 32
; NumVgprs: 68
; NumAgprs: 0
; TotalNumVgprs: 68
; ScratchSize: 0
; MemoryBound: 0
; FloatMode: 240
; IeeeMode: 1
; LDSByteSize: 0 bytes/workgroup (compile time only)
; SGPRBlocks: 3
; VGPRBlocks: 8
; NumSGPRsForWavesPerEU: 32
; NumVGPRsForWavesPerEU: 68
; AccumOffset: 68
; Occupancy: 7
; WaveLimiterHint : 0
; COMPUTE_PGM_RSRC2:SCRATCH_EN: 0
; COMPUTE_PGM_RSRC2:USER_SGPR: 2
; COMPUTE_PGM_RSRC2:TRAP_HANDLER: 0
; COMPUTE_PGM_RSRC2:TGID_X_EN: 1
; COMPUTE_PGM_RSRC2:TGID_Y_EN: 1
; COMPUTE_PGM_RSRC2:TGID_Z_EN: 0
; COMPUTE_PGM_RSRC2:TIDIG_COMP_CNT: 1
; COMPUTE_PGM_RSRC3_GFX90A:ACCUM_OFFSET: 16
; COMPUTE_PGM_RSRC3_GFX90A:TG_SPLIT: 0
	.section	.text._ZN9rocsolver6v33100L23getf2_npvt_small_kernelILi46EfiiPfEEvT1_T3_lS3_lPT2_S3_S3_,"axG",@progbits,_ZN9rocsolver6v33100L23getf2_npvt_small_kernelILi46EfiiPfEEvT1_T3_lS3_lPT2_S3_S3_,comdat
	.globl	_ZN9rocsolver6v33100L23getf2_npvt_small_kernelILi46EfiiPfEEvT1_T3_lS3_lPT2_S3_S3_ ; -- Begin function _ZN9rocsolver6v33100L23getf2_npvt_small_kernelILi46EfiiPfEEvT1_T3_lS3_lPT2_S3_S3_
	.p2align	8
	.type	_ZN9rocsolver6v33100L23getf2_npvt_small_kernelILi46EfiiPfEEvT1_T3_lS3_lPT2_S3_S3_,@function
_ZN9rocsolver6v33100L23getf2_npvt_small_kernelILi46EfiiPfEEvT1_T3_lS3_lPT2_S3_S3_: ; @_ZN9rocsolver6v33100L23getf2_npvt_small_kernelILi46EfiiPfEEvT1_T3_lS3_lPT2_S3_S3_
; %bb.0:
	s_load_dword s2, s[0:1], 0x44
	s_load_dwordx2 s[8:9], s[0:1], 0x30
	v_bfe_u32 v141, v0, 10, 10
	s_waitcnt lgkmcnt(0)
	s_lshr_b32 s10, s2, 16
	s_mul_i32 s3, s3, s10
	v_add_u32_e32 v24, s3, v141
	v_cmp_gt_i32_e32 vcc, s8, v24
	s_and_saveexec_b64 s[2:3], vcc
	s_cbranch_execz .LBB91_254
; %bb.1:
	s_load_dwordx4 s[12:15], s[0:1], 0x8
	s_load_dword s2, s[0:1], 0x18
	s_load_dwordx4 s[4:7], s[0:1], 0x20
	v_ashrrev_i32_e32 v25, 31, v24
	v_and_b32_e32 v139, 0x3ff, v0
	s_waitcnt lgkmcnt(0)
	v_mov_b32_e32 v0, s12
	v_mov_b32_e32 v1, s13
	v_mad_u64_u32 v[2:3], s[0:1], s4, v24, 0
	v_mul_lo_u32 v4, s5, v24
	v_mul_lo_u32 v5, s4, v25
	s_add_i32 s0, s2, s2
	v_add3_u32 v3, v3, v5, v4
	v_add_u32_e32 v4, s0, v139
	v_add_u32_e32 v6, s2, v4
	;; [unrolled: 1-line block ×42, first 2 shown]
	v_lshl_add_u64 v[0:1], v[2:3], 2, v[0:1]
	v_add_u32_e32 v92, s2, v88
	v_lshl_add_u64 v[90:91], s[14:15], 2, v[0:1]
	v_ashrrev_i32_e32 v5, 31, v4
	v_ashrrev_i32_e32 v7, 31, v6
	v_ashrrev_i32_e32 v9, 31, v8
	v_ashrrev_i32_e32 v11, 31, v10
	v_ashrrev_i32_e32 v13, 31, v12
	v_ashrrev_i32_e32 v15, 31, v14
	v_ashrrev_i32_e32 v17, 31, v16
	v_ashrrev_i32_e32 v19, 31, v18
	v_ashrrev_i32_e32 v21, 31, v20
	v_ashrrev_i32_e32 v23, 31, v22
	v_ashrrev_i32_e32 v27, 31, v26
	v_ashrrev_i32_e32 v29, 31, v28
	v_ashrrev_i32_e32 v31, 31, v30
	v_ashrrev_i32_e32 v33, 31, v32
	v_ashrrev_i32_e32 v35, 31, v34
	v_ashrrev_i32_e32 v37, 31, v36
	v_ashrrev_i32_e32 v39, 31, v38
	v_ashrrev_i32_e32 v41, 31, v40
	v_ashrrev_i32_e32 v43, 31, v42
	v_ashrrev_i32_e32 v45, 31, v44
	v_ashrrev_i32_e32 v47, 31, v46
	v_ashrrev_i32_e32 v49, 31, v48
	v_ashrrev_i32_e32 v51, 31, v50
	v_ashrrev_i32_e32 v53, 31, v52
	v_ashrrev_i32_e32 v55, 31, v54
	v_ashrrev_i32_e32 v57, 31, v56
	v_ashrrev_i32_e32 v59, 31, v58
	v_ashrrev_i32_e32 v61, 31, v60
	v_ashrrev_i32_e32 v63, 31, v62
	v_ashrrev_i32_e32 v65, 31, v64
	v_ashrrev_i32_e32 v67, 31, v66
	v_ashrrev_i32_e32 v69, 31, v68
	v_ashrrev_i32_e32 v71, 31, v70
	v_ashrrev_i32_e32 v73, 31, v72
	v_ashrrev_i32_e32 v75, 31, v74
	v_ashrrev_i32_e32 v77, 31, v76
	v_ashrrev_i32_e32 v79, 31, v78
	v_ashrrev_i32_e32 v81, 31, v80
	v_ashrrev_i32_e32 v83, 31, v82
	v_ashrrev_i32_e32 v85, 31, v84
	v_ashrrev_i32_e32 v87, 31, v86
	v_ashrrev_i32_e32 v89, 31, v88
	v_ashrrev_i32_e32 v93, 31, v92
	v_lshl_add_u64 v[2:3], v[4:5], 2, v[90:91]
	v_lshl_add_u64 v[4:5], v[6:7], 2, v[90:91]
	;; [unrolled: 1-line block ×43, first 2 shown]
	v_add_u32_e32 v92, s2, v92
	v_lshlrev_b32_e32 v0, 2, v139
	v_mov_b32_e32 v1, 0
	v_ashrrev_i32_e32 v93, 31, v92
	v_lshl_add_u64 v[0:1], v[90:91], 0, v[0:1]
	v_lshl_add_u64 v[90:91], v[92:93], 2, v[90:91]
	global_load_dword v126, v[14:15], off
	global_load_dword v127, v[16:17], off
	global_load_dword v108, v[18:19], off
	global_load_dword v109, v[20:21], off
	global_load_dword v124, v[22:23], off
	global_load_dword v125, v[26:27], off
	global_load_dword v106, v[28:29], off
	global_load_dword v107, v[30:31], off
	global_load_dword v122, v[32:33], off
	global_load_dword v123, v[34:35], off
	global_load_dword v104, v[36:37], off
	global_load_dword v105, v[38:39], off
	global_load_dword v120, v[40:41], off
	global_load_dword v121, v[42:43], off
	global_load_dword v102, v[44:45], off
	global_load_dword v103, v[46:47], off
	global_load_dword v118, v[48:49], off
	global_load_dword v119, v[50:51], off
	global_load_dword v100, v[52:53], off
	global_load_dword v101, v[54:55], off
	global_load_dword v116, v[56:57], off
	global_load_dword v117, v[58:59], off
	global_load_dword v98, v[60:61], off
	global_load_dword v99, v[62:63], off
	global_load_dword v114, v[64:65], off
	global_load_dword v115, v[66:67], off
	global_load_dword v96, v[68:69], off
	global_load_dword v97, v[70:71], off
	global_load_dword v112, v[72:73], off
	global_load_dword v113, v[74:75], off
	global_load_dword v94, v[76:77], off
	global_load_dword v95, v[78:79], off
	global_load_dword v110, v[80:81], off
	global_load_dword v111, v[82:83], off
	global_load_dword v92, v[84:85], off
	global_load_dword v93, v[86:87], off
	global_load_dword v128, v[88:89], off
	global_load_dword v129, v[90:91], off
	s_ashr_i32 s3, s2, 31
	v_lshl_add_u64 v[136:137], s[2:3], 2, v[0:1]
	global_load_dword v132, v[2:3], off
	global_load_dword v133, v[4:5], off
	;; [unrolled: 1-line block ×8, first 2 shown]
	s_mulk_i32 s10, 0xb8
	s_movk_i32 s0, 0xb8
	s_add_i32 s1, s10, 0
	v_mad_u32_u24 v143, v141, s0, 0
	v_lshl_add_u32 v141, v141, 2, s1
	v_cmp_ne_u32_e64 s[2:3], 0, v139
	v_cmp_eq_u32_e64 s[0:1], 0, v139
	s_and_saveexec_b64 s[4:5], s[0:1]
	s_cbranch_execz .LBB91_4
; %bb.2:
	s_waitcnt vmcnt(1)
	ds_write_b32 v141, v138
	s_waitcnt vmcnt(0)
	ds_write2_b32 v143, v140, v132 offset0:1 offset1:2
	ds_write2_b32 v143, v133, v134 offset0:3 offset1:4
	;; [unrolled: 1-line block ×22, first 2 shown]
	ds_write_b32 v143, v129 offset:180
	ds_read_b32 v142, v141
	s_waitcnt lgkmcnt(0)
	v_cmp_neq_f32_e32 vcc, 0, v142
	s_and_b64 exec, exec, vcc
	s_cbranch_execz .LBB91_4
; %bb.3:
	v_div_scale_f32 v144, s[10:11], v142, v142, 1.0
	v_rcp_f32_e32 v145, v144
	v_div_scale_f32 v146, vcc, 1.0, v142, 1.0
	v_fma_f32 v147, -v144, v145, 1.0
	v_fmac_f32_e32 v145, v147, v145
	v_mul_f32_e32 v147, v146, v145
	v_fma_f32 v148, -v144, v147, v146
	v_fmac_f32_e32 v147, v148, v145
	v_fma_f32 v144, -v144, v147, v146
	v_div_fmas_f32 v144, v144, v145, v147
	v_div_fixup_f32 v142, v144, v142, 1.0
	ds_write_b32 v141, v142
.LBB91_4:
	s_or_b64 exec, exec, s[4:5]
	s_waitcnt lgkmcnt(0)
	s_barrier
	ds_read_b32 v142, v141
	s_and_saveexec_b64 s[4:5], s[2:3]
	s_cbranch_execz .LBB91_6
; %bb.5:
	ds_read_b32 v152, v143 offset:4
	ds_read2_b64 v[144:147], v143 offset0:1 offset1:2
	ds_read2_b64 v[148:151], v143 offset0:3 offset1:4
	s_waitcnt vmcnt(1) lgkmcnt(3)
	v_mul_f32_e32 v138, v142, v138
	s_waitcnt vmcnt(0) lgkmcnt(2)
	v_fma_f32 v140, -v138, v152, v140
	s_waitcnt lgkmcnt(1)
	v_pk_fma_f32 v[132:133], v[138:139], v[144:145], v[132:133] op_sel_hi:[0,1,1] neg_lo:[1,0,0] neg_hi:[1,0,0]
	ds_read2_b64 v[152:155], v143 offset0:5 offset1:6
	v_pk_fma_f32 v[134:135], v[138:139], v[146:147], v[134:135] op_sel_hi:[0,1,1] neg_lo:[1,0,0] neg_hi:[1,0,0]
	s_waitcnt lgkmcnt(1)
	v_pk_fma_f32 v[130:131], v[138:139], v[148:149], v[130:131] op_sel_hi:[0,1,1] neg_lo:[1,0,0] neg_hi:[1,0,0]
	ds_read2_b64 v[144:147], v143 offset0:7 offset1:8
	v_pk_fma_f32 v[126:127], v[138:139], v[150:151], v[126:127] op_sel_hi:[0,1,1] neg_lo:[1,0,0] neg_hi:[1,0,0]
	ds_read2_b64 v[148:151], v143 offset0:9 offset1:10
	s_waitcnt lgkmcnt(2)
	v_pk_fma_f32 v[108:109], v[138:139], v[152:153], v[108:109] op_sel_hi:[0,1,1] neg_lo:[1,0,0] neg_hi:[1,0,0]
	v_pk_fma_f32 v[124:125], v[138:139], v[154:155], v[124:125] op_sel_hi:[0,1,1] neg_lo:[1,0,0] neg_hi:[1,0,0]
	s_waitcnt lgkmcnt(1)
	v_pk_fma_f32 v[106:107], v[138:139], v[144:145], v[106:107] op_sel_hi:[0,1,1] neg_lo:[1,0,0] neg_hi:[1,0,0]
	ds_read2_b64 v[152:155], v143 offset0:11 offset1:12
	v_pk_fma_f32 v[122:123], v[138:139], v[146:147], v[122:123] op_sel_hi:[0,1,1] neg_lo:[1,0,0] neg_hi:[1,0,0]
	s_waitcnt lgkmcnt(1)
	v_pk_fma_f32 v[104:105], v[138:139], v[148:149], v[104:105] op_sel_hi:[0,1,1] neg_lo:[1,0,0] neg_hi:[1,0,0]
	ds_read2_b64 v[144:147], v143 offset0:13 offset1:14
	v_pk_fma_f32 v[120:121], v[138:139], v[150:151], v[120:121] op_sel_hi:[0,1,1] neg_lo:[1,0,0] neg_hi:[1,0,0]
	ds_read2_b64 v[148:151], v143 offset0:15 offset1:16
	s_waitcnt lgkmcnt(2)
	v_pk_fma_f32 v[102:103], v[138:139], v[152:153], v[102:103] op_sel_hi:[0,1,1] neg_lo:[1,0,0] neg_hi:[1,0,0]
	v_pk_fma_f32 v[118:119], v[138:139], v[154:155], v[118:119] op_sel_hi:[0,1,1] neg_lo:[1,0,0] neg_hi:[1,0,0]
	s_waitcnt lgkmcnt(1)
	v_pk_fma_f32 v[100:101], v[138:139], v[144:145], v[100:101] op_sel_hi:[0,1,1] neg_lo:[1,0,0] neg_hi:[1,0,0]
	v_pk_fma_f32 v[116:117], v[138:139], v[146:147], v[116:117] op_sel_hi:[0,1,1] neg_lo:[1,0,0] neg_hi:[1,0,0]
	ds_read2_b64 v[144:147], v143 offset0:17 offset1:18
	s_waitcnt lgkmcnt(1)
	v_pk_fma_f32 v[98:99], v[138:139], v[148:149], v[98:99] op_sel_hi:[0,1,1] neg_lo:[1,0,0] neg_hi:[1,0,0]
	ds_read2_b64 v[152:155], v143 offset0:19 offset1:20
	v_pk_fma_f32 v[114:115], v[138:139], v[150:151], v[114:115] op_sel_hi:[0,1,1] neg_lo:[1,0,0] neg_hi:[1,0,0]
	ds_read2_b64 v[148:151], v143 offset0:21 offset1:22
	s_waitcnt lgkmcnt(2)
	v_pk_fma_f32 v[96:97], v[138:139], v[144:145], v[96:97] op_sel_hi:[0,1,1] neg_lo:[1,0,0] neg_hi:[1,0,0]
	v_pk_fma_f32 v[112:113], v[138:139], v[146:147], v[112:113] op_sel_hi:[0,1,1] neg_lo:[1,0,0] neg_hi:[1,0,0]
	s_waitcnt lgkmcnt(1)
	v_pk_fma_f32 v[94:95], v[138:139], v[152:153], v[94:95] op_sel_hi:[0,1,1] neg_lo:[1,0,0] neg_hi:[1,0,0]
	v_pk_fma_f32 v[110:111], v[138:139], v[154:155], v[110:111] op_sel_hi:[0,1,1] neg_lo:[1,0,0] neg_hi:[1,0,0]
	s_waitcnt lgkmcnt(0)
	v_pk_fma_f32 v[92:93], v[138:139], v[148:149], v[92:93] op_sel_hi:[0,1,1] neg_lo:[1,0,0] neg_hi:[1,0,0]
	v_pk_fma_f32 v[128:129], v[138:139], v[150:151], v[128:129] op_sel_hi:[0,1,1] neg_lo:[1,0,0] neg_hi:[1,0,0]
.LBB91_6:
	s_or_b64 exec, exec, s[4:5]
	v_cmp_eq_u32_e32 vcc, 1, v139
	s_waitcnt lgkmcnt(0)
	s_barrier
	s_and_saveexec_b64 s[2:3], vcc
	s_cbranch_execz .LBB91_9
; %bb.7:
	s_waitcnt vmcnt(0)
	ds_write_b32 v141, v140
	ds_write2_b64 v143, v[132:133], v[134:135] offset0:1 offset1:2
	ds_write2_b64 v143, v[130:131], v[126:127] offset0:3 offset1:4
	;; [unrolled: 1-line block ×11, first 2 shown]
	ds_read_b32 v144, v141
	s_waitcnt lgkmcnt(0)
	v_cmp_neq_f32_e32 vcc, 0, v144
	s_and_b64 exec, exec, vcc
	s_cbranch_execz .LBB91_9
; %bb.8:
	v_div_scale_f32 v145, s[4:5], v144, v144, 1.0
	v_rcp_f32_e32 v146, v145
	v_div_scale_f32 v147, vcc, 1.0, v144, 1.0
	v_fma_f32 v148, -v145, v146, 1.0
	v_fmac_f32_e32 v146, v148, v146
	v_mul_f32_e32 v148, v147, v146
	v_fma_f32 v149, -v145, v148, v147
	v_fmac_f32_e32 v148, v149, v146
	v_fma_f32 v145, -v145, v148, v147
	v_div_fmas_f32 v145, v145, v146, v148
	v_div_fixup_f32 v144, v145, v144, 1.0
	ds_write_b32 v141, v144
.LBB91_9:
	s_or_b64 exec, exec, s[2:3]
	s_waitcnt lgkmcnt(0)
	s_barrier
	ds_read_b32 v144, v141
	v_cmp_lt_u32_e32 vcc, 1, v139
	s_and_saveexec_b64 s[2:3], vcc
	s_cbranch_execz .LBB91_11
; %bb.10:
	ds_read2_b64 v[146:149], v143 offset0:1 offset1:2
	ds_read2_b64 v[150:153], v143 offset0:3 offset1:4
	s_waitcnt vmcnt(0) lgkmcnt(2)
	v_mul_f32_e32 v140, v144, v140
	ds_read2_b64 v[154:157], v143 offset0:5 offset1:6
	s_waitcnt lgkmcnt(2)
	v_pk_fma_f32 v[132:133], v[140:141], v[146:147], v[132:133] op_sel_hi:[0,1,1] neg_lo:[1,0,0] neg_hi:[1,0,0]
	v_pk_fma_f32 v[134:135], v[140:141], v[148:149], v[134:135] op_sel_hi:[0,1,1] neg_lo:[1,0,0] neg_hi:[1,0,0]
	s_waitcnt lgkmcnt(1)
	v_pk_fma_f32 v[130:131], v[140:141], v[150:151], v[130:131] op_sel_hi:[0,1,1] neg_lo:[1,0,0] neg_hi:[1,0,0]
	ds_read2_b64 v[146:149], v143 offset0:7 offset1:8
	v_pk_fma_f32 v[126:127], v[140:141], v[152:153], v[126:127] op_sel_hi:[0,1,1] neg_lo:[1,0,0] neg_hi:[1,0,0]
	ds_read2_b64 v[150:153], v143 offset0:9 offset1:10
	s_waitcnt lgkmcnt(2)
	v_pk_fma_f32 v[108:109], v[140:141], v[154:155], v[108:109] op_sel_hi:[0,1,1] neg_lo:[1,0,0] neg_hi:[1,0,0]
	v_pk_fma_f32 v[124:125], v[140:141], v[156:157], v[124:125] op_sel_hi:[0,1,1] neg_lo:[1,0,0] neg_hi:[1,0,0]
	s_waitcnt lgkmcnt(1)
	v_pk_fma_f32 v[106:107], v[140:141], v[146:147], v[106:107] op_sel_hi:[0,1,1] neg_lo:[1,0,0] neg_hi:[1,0,0]
	ds_read2_b64 v[154:157], v143 offset0:11 offset1:12
	v_pk_fma_f32 v[122:123], v[140:141], v[148:149], v[122:123] op_sel_hi:[0,1,1] neg_lo:[1,0,0] neg_hi:[1,0,0]
	s_waitcnt lgkmcnt(1)
	v_pk_fma_f32 v[104:105], v[140:141], v[150:151], v[104:105] op_sel_hi:[0,1,1] neg_lo:[1,0,0] neg_hi:[1,0,0]
	ds_read2_b64 v[146:149], v143 offset0:13 offset1:14
	v_pk_fma_f32 v[120:121], v[140:141], v[152:153], v[120:121] op_sel_hi:[0,1,1] neg_lo:[1,0,0] neg_hi:[1,0,0]
	ds_read2_b64 v[150:153], v143 offset0:15 offset1:16
	s_waitcnt lgkmcnt(2)
	v_pk_fma_f32 v[102:103], v[140:141], v[154:155], v[102:103] op_sel_hi:[0,1,1] neg_lo:[1,0,0] neg_hi:[1,0,0]
	v_pk_fma_f32 v[118:119], v[140:141], v[156:157], v[118:119] op_sel_hi:[0,1,1] neg_lo:[1,0,0] neg_hi:[1,0,0]
	s_waitcnt lgkmcnt(1)
	v_pk_fma_f32 v[100:101], v[140:141], v[146:147], v[100:101] op_sel_hi:[0,1,1] neg_lo:[1,0,0] neg_hi:[1,0,0]
	v_pk_fma_f32 v[116:117], v[140:141], v[148:149], v[116:117] op_sel_hi:[0,1,1] neg_lo:[1,0,0] neg_hi:[1,0,0]
	ds_read2_b64 v[146:149], v143 offset0:17 offset1:18
	ds_read2_b64 v[154:157], v143 offset0:19 offset1:20
	s_waitcnt lgkmcnt(2)
	v_pk_fma_f32 v[98:99], v[140:141], v[150:151], v[98:99] op_sel_hi:[0,1,1] neg_lo:[1,0,0] neg_hi:[1,0,0]
	v_pk_fma_f32 v[114:115], v[140:141], v[152:153], v[114:115] op_sel_hi:[0,1,1] neg_lo:[1,0,0] neg_hi:[1,0,0]
	ds_read2_b64 v[150:153], v143 offset0:21 offset1:22
	s_waitcnt lgkmcnt(2)
	v_pk_fma_f32 v[96:97], v[140:141], v[146:147], v[96:97] op_sel_hi:[0,1,1] neg_lo:[1,0,0] neg_hi:[1,0,0]
	v_pk_fma_f32 v[112:113], v[140:141], v[148:149], v[112:113] op_sel_hi:[0,1,1] neg_lo:[1,0,0] neg_hi:[1,0,0]
	s_waitcnt lgkmcnt(1)
	v_pk_fma_f32 v[94:95], v[140:141], v[154:155], v[94:95] op_sel_hi:[0,1,1] neg_lo:[1,0,0] neg_hi:[1,0,0]
	v_pk_fma_f32 v[110:111], v[140:141], v[156:157], v[110:111] op_sel_hi:[0,1,1] neg_lo:[1,0,0] neg_hi:[1,0,0]
	;; [unrolled: 3-line block ×3, first 2 shown]
.LBB91_11:
	s_or_b64 exec, exec, s[2:3]
	v_cmp_eq_u32_e32 vcc, 2, v139
	s_waitcnt lgkmcnt(0)
	s_barrier
	s_and_saveexec_b64 s[2:3], vcc
	s_cbranch_execz .LBB91_14
; %bb.12:
	s_waitcnt vmcnt(4)
	v_pk_mov_b32 v[146:147], v[132:133], v[134:135] op_sel:[1,0]
	ds_write_b32 v141, v132
	ds_write2_b32 v143, v146, v147 offset0:3 offset1:4
	s_waitcnt vmcnt(2)
	v_pk_mov_b32 v[146:147], v[134:135], v[130:131] op_sel:[1,0]
	ds_write2_b32 v143, v146, v147 offset0:5 offset1:6
	v_pk_mov_b32 v[146:147], v[130:131], v[126:127] op_sel:[1,0]
	ds_write2_b32 v143, v146, v147 offset0:7 offset1:8
	;; [unrolled: 2-line block ×20, first 2 shown]
	ds_write_b32 v143, v129 offset:180
	ds_read_b32 v145, v141
	s_waitcnt lgkmcnt(0)
	v_cmp_neq_f32_e32 vcc, 0, v145
	s_and_b64 exec, exec, vcc
	s_cbranch_execz .LBB91_14
; %bb.13:
	v_div_scale_f32 v146, s[4:5], v145, v145, 1.0
	v_rcp_f32_e32 v147, v146
	v_div_scale_f32 v148, vcc, 1.0, v145, 1.0
	v_fma_f32 v149, -v146, v147, 1.0
	v_fmac_f32_e32 v147, v149, v147
	v_mul_f32_e32 v149, v148, v147
	v_fma_f32 v150, -v146, v149, v148
	v_fmac_f32_e32 v149, v150, v147
	v_fma_f32 v146, -v146, v149, v148
	v_div_fmas_f32 v146, v146, v147, v149
	v_div_fixup_f32 v145, v146, v145, 1.0
	ds_write_b32 v141, v145
.LBB91_14:
	s_or_b64 exec, exec, s[2:3]
	s_waitcnt lgkmcnt(0)
	s_barrier
	ds_read_b32 v145, v141
	v_cmp_lt_u32_e32 vcc, 2, v139
	s_and_saveexec_b64 s[2:3], vcc
	s_cbranch_execz .LBB91_16
; %bb.15:
	ds_read_b32 v158, v143 offset:12
	ds_read2_b64 v[146:149], v143 offset0:2 offset1:3
	ds_read2_b64 v[150:153], v143 offset0:4 offset1:5
	;; [unrolled: 1-line block ×3, first 2 shown]
	s_waitcnt vmcnt(7) lgkmcnt(4)
	v_mul_f32_e32 v132, v145, v132
	s_waitcnt vmcnt(6) lgkmcnt(3)
	v_fma_f32 v133, -v132, v158, v133
	s_waitcnt vmcnt(4) lgkmcnt(2)
	v_pk_fma_f32 v[134:135], v[132:133], v[146:147], v[134:135] op_sel_hi:[0,1,1] neg_lo:[1,0,0] neg_hi:[1,0,0]
	s_waitcnt vmcnt(2)
	v_pk_fma_f32 v[130:131], v[132:133], v[148:149], v[130:131] op_sel_hi:[0,1,1] neg_lo:[1,0,0] neg_hi:[1,0,0]
	s_waitcnt lgkmcnt(1)
	v_pk_fma_f32 v[126:127], v[132:133], v[150:151], v[126:127] op_sel_hi:[0,1,1] neg_lo:[1,0,0] neg_hi:[1,0,0]
	ds_read2_b64 v[146:149], v143 offset0:8 offset1:9
	v_pk_fma_f32 v[108:109], v[132:133], v[152:153], v[108:109] op_sel_hi:[0,1,1] neg_lo:[1,0,0] neg_hi:[1,0,0]
	ds_read2_b64 v[150:153], v143 offset0:10 offset1:11
	s_waitcnt lgkmcnt(2)
	v_pk_fma_f32 v[124:125], v[132:133], v[154:155], v[124:125] op_sel_hi:[0,1,1] neg_lo:[1,0,0] neg_hi:[1,0,0]
	v_pk_fma_f32 v[106:107], v[132:133], v[156:157], v[106:107] op_sel_hi:[0,1,1] neg_lo:[1,0,0] neg_hi:[1,0,0]
	s_waitcnt lgkmcnt(1)
	v_pk_fma_f32 v[122:123], v[132:133], v[146:147], v[122:123] op_sel_hi:[0,1,1] neg_lo:[1,0,0] neg_hi:[1,0,0]
	ds_read2_b64 v[154:157], v143 offset0:12 offset1:13
	v_pk_fma_f32 v[104:105], v[132:133], v[148:149], v[104:105] op_sel_hi:[0,1,1] neg_lo:[1,0,0] neg_hi:[1,0,0]
	s_waitcnt lgkmcnt(1)
	v_pk_fma_f32 v[120:121], v[132:133], v[150:151], v[120:121] op_sel_hi:[0,1,1] neg_lo:[1,0,0] neg_hi:[1,0,0]
	ds_read2_b64 v[146:149], v143 offset0:14 offset1:15
	v_pk_fma_f32 v[102:103], v[132:133], v[152:153], v[102:103] op_sel_hi:[0,1,1] neg_lo:[1,0,0] neg_hi:[1,0,0]
	ds_read2_b64 v[150:153], v143 offset0:16 offset1:17
	s_waitcnt lgkmcnt(2)
	v_pk_fma_f32 v[118:119], v[132:133], v[154:155], v[118:119] op_sel_hi:[0,1,1] neg_lo:[1,0,0] neg_hi:[1,0,0]
	v_pk_fma_f32 v[100:101], v[132:133], v[156:157], v[100:101] op_sel_hi:[0,1,1] neg_lo:[1,0,0] neg_hi:[1,0,0]
	s_waitcnt lgkmcnt(1)
	v_pk_fma_f32 v[116:117], v[132:133], v[146:147], v[116:117] op_sel_hi:[0,1,1] neg_lo:[1,0,0] neg_hi:[1,0,0]
	v_pk_fma_f32 v[98:99], v[132:133], v[148:149], v[98:99] op_sel_hi:[0,1,1] neg_lo:[1,0,0] neg_hi:[1,0,0]
	ds_read2_b64 v[146:149], v143 offset0:18 offset1:19
	s_waitcnt lgkmcnt(1)
	v_pk_fma_f32 v[114:115], v[132:133], v[150:151], v[114:115] op_sel_hi:[0,1,1] neg_lo:[1,0,0] neg_hi:[1,0,0]
	ds_read2_b64 v[154:157], v143 offset0:20 offset1:21
	ds_read_b64 v[150:151], v143 offset:176
	v_pk_fma_f32 v[96:97], v[132:133], v[152:153], v[96:97] op_sel_hi:[0,1,1] neg_lo:[1,0,0] neg_hi:[1,0,0]
	s_waitcnt lgkmcnt(2)
	v_pk_fma_f32 v[112:113], v[132:133], v[146:147], v[112:113] op_sel_hi:[0,1,1] neg_lo:[1,0,0] neg_hi:[1,0,0]
	v_pk_fma_f32 v[94:95], v[132:133], v[148:149], v[94:95] op_sel_hi:[0,1,1] neg_lo:[1,0,0] neg_hi:[1,0,0]
	s_waitcnt lgkmcnt(1)
	v_pk_fma_f32 v[110:111], v[132:133], v[154:155], v[110:111] op_sel_hi:[0,1,1] neg_lo:[1,0,0] neg_hi:[1,0,0]
	;; [unrolled: 3-line block ×3, first 2 shown]
.LBB91_16:
	s_or_b64 exec, exec, s[2:3]
	v_cmp_eq_u32_e32 vcc, 3, v139
	s_waitcnt lgkmcnt(0)
	s_barrier
	s_and_saveexec_b64 s[2:3], vcc
	s_cbranch_execz .LBB91_19
; %bb.17:
	s_waitcnt vmcnt(5)
	v_mov_b32_e32 v146, v134
	s_waitcnt vmcnt(4)
	v_mov_b32_e32 v147, v135
	;; [unrolled: 2-line block ×4, first 2 shown]
	ds_write_b32 v141, v133
	ds_write2_b64 v143, v[146:147], v[148:149] offset0:2 offset1:3
	v_mov_b32_e32 v146, v126
	v_mov_b32_e32 v147, v127
	v_mov_b32_e32 v148, v108
	v_mov_b32_e32 v149, v109
	ds_write2_b64 v143, v[146:147], v[148:149] offset0:4 offset1:5
	v_mov_b32_e32 v146, v124
	v_mov_b32_e32 v147, v125
	v_mov_b32_e32 v148, v106
	v_mov_b32_e32 v149, v107
	;; [unrolled: 5-line block ×9, first 2 shown]
	ds_write2_b64 v143, v[146:147], v[148:149] offset0:20 offset1:21
	ds_write_b64 v143, v[128:129] offset:176
	ds_read_b32 v146, v141
	s_waitcnt lgkmcnt(0)
	v_cmp_neq_f32_e32 vcc, 0, v146
	s_and_b64 exec, exec, vcc
	s_cbranch_execz .LBB91_19
; %bb.18:
	v_div_scale_f32 v147, s[4:5], v146, v146, 1.0
	v_rcp_f32_e32 v148, v147
	v_div_scale_f32 v149, vcc, 1.0, v146, 1.0
	v_fma_f32 v150, -v147, v148, 1.0
	v_fmac_f32_e32 v148, v150, v148
	v_mul_f32_e32 v150, v149, v148
	v_fma_f32 v151, -v147, v150, v149
	v_fmac_f32_e32 v150, v151, v148
	v_fma_f32 v147, -v147, v150, v149
	v_div_fmas_f32 v147, v147, v148, v150
	v_div_fixup_f32 v146, v147, v146, 1.0
	ds_write_b32 v141, v146
.LBB91_19:
	s_or_b64 exec, exec, s[2:3]
	s_waitcnt lgkmcnt(0)
	s_barrier
	ds_read_b32 v146, v141
	v_cmp_lt_u32_e32 vcc, 3, v139
	s_and_saveexec_b64 s[2:3], vcc
	s_cbranch_execz .LBB91_21
; %bb.20:
	ds_read2_b64 v[148:151], v143 offset0:2 offset1:3
	ds_read2_b64 v[152:155], v143 offset0:4 offset1:5
	s_waitcnt vmcnt(6) lgkmcnt(2)
	v_mul_f32_e32 v160, v146, v133
	ds_read2_b64 v[156:159], v143 offset0:6 offset1:7
	v_mov_b32_e32 v133, v160
	s_waitcnt vmcnt(4) lgkmcnt(2)
	v_pk_fma_f32 v[134:135], v[160:161], v[148:149], v[134:135] op_sel_hi:[0,1,1] neg_lo:[1,0,0] neg_hi:[1,0,0]
	s_waitcnt vmcnt(2)
	v_pk_fma_f32 v[130:131], v[160:161], v[150:151], v[130:131] op_sel_hi:[0,1,1] neg_lo:[1,0,0] neg_hi:[1,0,0]
	s_waitcnt lgkmcnt(1)
	v_pk_fma_f32 v[126:127], v[160:161], v[152:153], v[126:127] op_sel_hi:[0,1,1] neg_lo:[1,0,0] neg_hi:[1,0,0]
	ds_read2_b64 v[148:151], v143 offset0:8 offset1:9
	v_pk_fma_f32 v[108:109], v[160:161], v[154:155], v[108:109] op_sel_hi:[0,1,1] neg_lo:[1,0,0] neg_hi:[1,0,0]
	ds_read2_b64 v[152:155], v143 offset0:10 offset1:11
	s_waitcnt lgkmcnt(2)
	v_pk_fma_f32 v[124:125], v[160:161], v[156:157], v[124:125] op_sel_hi:[0,1,1] neg_lo:[1,0,0] neg_hi:[1,0,0]
	v_pk_fma_f32 v[106:107], v[160:161], v[158:159], v[106:107] op_sel_hi:[0,1,1] neg_lo:[1,0,0] neg_hi:[1,0,0]
	s_waitcnt lgkmcnt(1)
	v_pk_fma_f32 v[122:123], v[160:161], v[148:149], v[122:123] op_sel_hi:[0,1,1] neg_lo:[1,0,0] neg_hi:[1,0,0]
	ds_read2_b64 v[156:159], v143 offset0:12 offset1:13
	v_pk_fma_f32 v[104:105], v[160:161], v[150:151], v[104:105] op_sel_hi:[0,1,1] neg_lo:[1,0,0] neg_hi:[1,0,0]
	s_waitcnt lgkmcnt(1)
	v_pk_fma_f32 v[120:121], v[160:161], v[152:153], v[120:121] op_sel_hi:[0,1,1] neg_lo:[1,0,0] neg_hi:[1,0,0]
	ds_read2_b64 v[148:151], v143 offset0:14 offset1:15
	v_pk_fma_f32 v[102:103], v[160:161], v[154:155], v[102:103] op_sel_hi:[0,1,1] neg_lo:[1,0,0] neg_hi:[1,0,0]
	ds_read2_b64 v[152:155], v143 offset0:16 offset1:17
	s_waitcnt lgkmcnt(2)
	v_pk_fma_f32 v[118:119], v[160:161], v[156:157], v[118:119] op_sel_hi:[0,1,1] neg_lo:[1,0,0] neg_hi:[1,0,0]
	v_pk_fma_f32 v[100:101], v[160:161], v[158:159], v[100:101] op_sel_hi:[0,1,1] neg_lo:[1,0,0] neg_hi:[1,0,0]
	s_waitcnt lgkmcnt(1)
	v_pk_fma_f32 v[116:117], v[160:161], v[148:149], v[116:117] op_sel_hi:[0,1,1] neg_lo:[1,0,0] neg_hi:[1,0,0]
	v_pk_fma_f32 v[98:99], v[160:161], v[150:151], v[98:99] op_sel_hi:[0,1,1] neg_lo:[1,0,0] neg_hi:[1,0,0]
	ds_read2_b64 v[148:151], v143 offset0:18 offset1:19
	ds_read2_b64 v[156:159], v143 offset0:20 offset1:21
	s_waitcnt lgkmcnt(2)
	v_pk_fma_f32 v[114:115], v[160:161], v[152:153], v[114:115] op_sel_hi:[0,1,1] neg_lo:[1,0,0] neg_hi:[1,0,0]
	ds_read_b64 v[152:153], v143 offset:176
	v_pk_fma_f32 v[96:97], v[160:161], v[154:155], v[96:97] op_sel_hi:[0,1,1] neg_lo:[1,0,0] neg_hi:[1,0,0]
	s_waitcnt lgkmcnt(2)
	v_pk_fma_f32 v[112:113], v[160:161], v[148:149], v[112:113] op_sel_hi:[0,1,1] neg_lo:[1,0,0] neg_hi:[1,0,0]
	v_pk_fma_f32 v[94:95], v[160:161], v[150:151], v[94:95] op_sel_hi:[0,1,1] neg_lo:[1,0,0] neg_hi:[1,0,0]
	s_waitcnt lgkmcnt(1)
	v_pk_fma_f32 v[110:111], v[160:161], v[156:157], v[110:111] op_sel_hi:[0,1,1] neg_lo:[1,0,0] neg_hi:[1,0,0]
	;; [unrolled: 3-line block ×3, first 2 shown]
.LBB91_21:
	s_or_b64 exec, exec, s[2:3]
	v_cmp_eq_u32_e32 vcc, 4, v139
	s_waitcnt lgkmcnt(0)
	s_barrier
	s_and_saveexec_b64 s[2:3], vcc
	s_cbranch_execz .LBB91_24
; %bb.22:
	s_waitcnt vmcnt(2)
	v_pk_mov_b32 v[148:149], v[134:135], v[130:131] op_sel:[1,0]
	ds_write_b32 v141, v134
	ds_write2_b32 v143, v148, v149 offset0:5 offset1:6
	v_pk_mov_b32 v[148:149], v[130:131], v[126:127] op_sel:[1,0]
	ds_write2_b32 v143, v148, v149 offset0:7 offset1:8
	v_pk_mov_b32 v[148:149], v[126:127], v[108:109] op_sel:[1,0]
	;; [unrolled: 2-line block ×19, first 2 shown]
	ds_write2_b32 v143, v148, v149 offset0:43 offset1:44
	ds_write_b32 v143, v129 offset:180
	ds_read_b32 v147, v141
	s_waitcnt lgkmcnt(0)
	v_cmp_neq_f32_e32 vcc, 0, v147
	s_and_b64 exec, exec, vcc
	s_cbranch_execz .LBB91_24
; %bb.23:
	v_div_scale_f32 v148, s[4:5], v147, v147, 1.0
	v_rcp_f32_e32 v149, v148
	v_div_scale_f32 v150, vcc, 1.0, v147, 1.0
	v_fma_f32 v151, -v148, v149, 1.0
	v_fmac_f32_e32 v149, v151, v149
	v_mul_f32_e32 v151, v150, v149
	v_fma_f32 v152, -v148, v151, v150
	v_fmac_f32_e32 v151, v152, v149
	v_fma_f32 v148, -v148, v151, v150
	v_div_fmas_f32 v148, v148, v149, v151
	v_div_fixup_f32 v147, v148, v147, 1.0
	ds_write_b32 v141, v147
.LBB91_24:
	s_or_b64 exec, exec, s[2:3]
	s_waitcnt lgkmcnt(0)
	s_barrier
	ds_read_b32 v147, v141
	v_cmp_lt_u32_e32 vcc, 4, v139
	s_and_saveexec_b64 s[2:3], vcc
	s_cbranch_execz .LBB91_26
; %bb.25:
	ds_read_b32 v160, v143 offset:20
	ds_read2_b64 v[148:151], v143 offset0:3 offset1:4
	s_waitcnt vmcnt(5) lgkmcnt(2)
	v_mul_f32_e32 v134, v147, v134
	ds_read2_b64 v[152:155], v143 offset0:5 offset1:6
	ds_read2_b64 v[156:159], v143 offset0:7 offset1:8
	s_waitcnt vmcnt(4) lgkmcnt(3)
	v_fma_f32 v135, -v134, v160, v135
	s_waitcnt vmcnt(2) lgkmcnt(2)
	v_pk_fma_f32 v[130:131], v[134:135], v[148:149], v[130:131] op_sel_hi:[0,1,1] neg_lo:[1,0,0] neg_hi:[1,0,0]
	v_pk_fma_f32 v[126:127], v[134:135], v[150:151], v[126:127] op_sel_hi:[0,1,1] neg_lo:[1,0,0] neg_hi:[1,0,0]
	ds_read2_b64 v[148:151], v143 offset0:9 offset1:10
	s_waitcnt lgkmcnt(2)
	v_pk_fma_f32 v[108:109], v[134:135], v[152:153], v[108:109] op_sel_hi:[0,1,1] neg_lo:[1,0,0] neg_hi:[1,0,0]
	v_pk_fma_f32 v[124:125], v[134:135], v[154:155], v[124:125] op_sel_hi:[0,1,1] neg_lo:[1,0,0] neg_hi:[1,0,0]
	s_waitcnt lgkmcnt(1)
	v_pk_fma_f32 v[106:107], v[134:135], v[156:157], v[106:107] op_sel_hi:[0,1,1] neg_lo:[1,0,0] neg_hi:[1,0,0]
	ds_read2_b64 v[152:155], v143 offset0:11 offset1:12
	v_pk_fma_f32 v[122:123], v[134:135], v[158:159], v[122:123] op_sel_hi:[0,1,1] neg_lo:[1,0,0] neg_hi:[1,0,0]
	s_waitcnt lgkmcnt(1)
	v_pk_fma_f32 v[104:105], v[134:135], v[148:149], v[104:105] op_sel_hi:[0,1,1] neg_lo:[1,0,0] neg_hi:[1,0,0]
	ds_read2_b64 v[156:159], v143 offset0:13 offset1:14
	v_pk_fma_f32 v[120:121], v[134:135], v[150:151], v[120:121] op_sel_hi:[0,1,1] neg_lo:[1,0,0] neg_hi:[1,0,0]
	ds_read2_b64 v[148:151], v143 offset0:15 offset1:16
	s_waitcnt lgkmcnt(2)
	v_pk_fma_f32 v[102:103], v[134:135], v[152:153], v[102:103] op_sel_hi:[0,1,1] neg_lo:[1,0,0] neg_hi:[1,0,0]
	v_pk_fma_f32 v[118:119], v[134:135], v[154:155], v[118:119] op_sel_hi:[0,1,1] neg_lo:[1,0,0] neg_hi:[1,0,0]
	s_waitcnt lgkmcnt(1)
	v_pk_fma_f32 v[100:101], v[134:135], v[156:157], v[100:101] op_sel_hi:[0,1,1] neg_lo:[1,0,0] neg_hi:[1,0,0]
	v_pk_fma_f32 v[116:117], v[134:135], v[158:159], v[116:117] op_sel_hi:[0,1,1] neg_lo:[1,0,0] neg_hi:[1,0,0]
	ds_read2_b64 v[152:155], v143 offset0:17 offset1:18
	ds_read2_b64 v[156:159], v143 offset0:19 offset1:20
	s_waitcnt lgkmcnt(2)
	v_pk_fma_f32 v[98:99], v[134:135], v[148:149], v[98:99] op_sel_hi:[0,1,1] neg_lo:[1,0,0] neg_hi:[1,0,0]
	v_pk_fma_f32 v[114:115], v[134:135], v[150:151], v[114:115] op_sel_hi:[0,1,1] neg_lo:[1,0,0] neg_hi:[1,0,0]
	ds_read2_b64 v[148:151], v143 offset0:21 offset1:22
	s_waitcnt lgkmcnt(2)
	v_pk_fma_f32 v[96:97], v[134:135], v[152:153], v[96:97] op_sel_hi:[0,1,1] neg_lo:[1,0,0] neg_hi:[1,0,0]
	v_pk_fma_f32 v[112:113], v[134:135], v[154:155], v[112:113] op_sel_hi:[0,1,1] neg_lo:[1,0,0] neg_hi:[1,0,0]
	s_waitcnt lgkmcnt(1)
	v_pk_fma_f32 v[94:95], v[134:135], v[156:157], v[94:95] op_sel_hi:[0,1,1] neg_lo:[1,0,0] neg_hi:[1,0,0]
	v_pk_fma_f32 v[110:111], v[134:135], v[158:159], v[110:111] op_sel_hi:[0,1,1] neg_lo:[1,0,0] neg_hi:[1,0,0]
	s_waitcnt lgkmcnt(0)
	v_pk_fma_f32 v[92:93], v[134:135], v[148:149], v[92:93] op_sel_hi:[0,1,1] neg_lo:[1,0,0] neg_hi:[1,0,0]
	v_pk_fma_f32 v[128:129], v[134:135], v[150:151], v[128:129] op_sel_hi:[0,1,1] neg_lo:[1,0,0] neg_hi:[1,0,0]
.LBB91_26:
	s_or_b64 exec, exec, s[2:3]
	v_cmp_ne_u32_e32 vcc, 5, v139
	s_waitcnt lgkmcnt(0)
	s_barrier
	s_and_saveexec_b64 s[2:3], vcc
	s_xor_b64 s[2:3], exec, s[2:3]
	s_andn2_saveexec_b64 s[2:3], s[2:3]
	s_cbranch_execz .LBB91_30
; %bb.27:
	s_waitcnt vmcnt(4)
	ds_write_b32 v141, v135
	s_waitcnt vmcnt(2)
	ds_write2_b64 v143, v[130:131], v[126:127] offset0:3 offset1:4
	ds_write2_b64 v143, v[108:109], v[124:125] offset0:5 offset1:6
	ds_write2_b64 v143, v[106:107], v[122:123] offset0:7 offset1:8
	ds_write2_b64 v143, v[104:105], v[120:121] offset0:9 offset1:10
	ds_write2_b64 v143, v[102:103], v[118:119] offset0:11 offset1:12
	ds_write2_b64 v143, v[100:101], v[116:117] offset0:13 offset1:14
	ds_write2_b64 v143, v[98:99], v[114:115] offset0:15 offset1:16
	ds_write2_b64 v143, v[96:97], v[112:113] offset0:17 offset1:18
	ds_write2_b64 v143, v[94:95], v[110:111] offset0:19 offset1:20
	ds_write2_b64 v143, v[92:93], v[128:129] offset0:21 offset1:22
	ds_read_b32 v148, v141
	s_waitcnt lgkmcnt(0)
	v_cmp_neq_f32_e32 vcc, 0, v148
	s_and_saveexec_b64 s[4:5], vcc
	s_cbranch_execz .LBB91_29
; %bb.28:
	v_div_scale_f32 v149, s[10:11], v148, v148, 1.0
	v_rcp_f32_e32 v150, v149
	v_div_scale_f32 v151, vcc, 1.0, v148, 1.0
	v_fma_f32 v152, -v149, v150, 1.0
	v_fmac_f32_e32 v150, v152, v150
	v_mul_f32_e32 v152, v151, v150
	v_fma_f32 v153, -v149, v152, v151
	v_fmac_f32_e32 v152, v153, v150
	v_fma_f32 v149, -v149, v152, v151
	v_div_fmas_f32 v149, v149, v150, v152
	v_div_fixup_f32 v148, v149, v148, 1.0
	ds_write_b32 v141, v148
.LBB91_29:
	s_or_b64 exec, exec, s[4:5]
.LBB91_30:
	s_or_b64 exec, exec, s[2:3]
	s_waitcnt lgkmcnt(0)
	s_barrier
	ds_read_b32 v148, v141
	v_cmp_lt_u32_e32 vcc, 5, v139
	s_and_saveexec_b64 s[2:3], vcc
	s_cbranch_execz .LBB91_32
; %bb.31:
	ds_read2_b64 v[150:153], v143 offset0:3 offset1:4
	ds_read2_b64 v[154:157], v143 offset0:5 offset1:6
	s_waitcnt vmcnt(4) lgkmcnt(2)
	v_mul_f32_e32 v162, v148, v135
	ds_read2_b64 v[158:161], v143 offset0:7 offset1:8
	v_mov_b32_e32 v135, v162
	s_waitcnt vmcnt(2) lgkmcnt(2)
	v_pk_fma_f32 v[130:131], v[162:163], v[150:151], v[130:131] op_sel_hi:[0,1,1] neg_lo:[1,0,0] neg_hi:[1,0,0]
	v_pk_fma_f32 v[126:127], v[162:163], v[152:153], v[126:127] op_sel_hi:[0,1,1] neg_lo:[1,0,0] neg_hi:[1,0,0]
	ds_read2_b64 v[150:153], v143 offset0:9 offset1:10
	s_waitcnt lgkmcnt(2)
	v_pk_fma_f32 v[108:109], v[162:163], v[154:155], v[108:109] op_sel_hi:[0,1,1] neg_lo:[1,0,0] neg_hi:[1,0,0]
	v_pk_fma_f32 v[124:125], v[162:163], v[156:157], v[124:125] op_sel_hi:[0,1,1] neg_lo:[1,0,0] neg_hi:[1,0,0]
	s_waitcnt lgkmcnt(1)
	v_pk_fma_f32 v[106:107], v[162:163], v[158:159], v[106:107] op_sel_hi:[0,1,1] neg_lo:[1,0,0] neg_hi:[1,0,0]
	ds_read2_b64 v[154:157], v143 offset0:11 offset1:12
	v_pk_fma_f32 v[122:123], v[162:163], v[160:161], v[122:123] op_sel_hi:[0,1,1] neg_lo:[1,0,0] neg_hi:[1,0,0]
	s_waitcnt lgkmcnt(1)
	v_pk_fma_f32 v[104:105], v[162:163], v[150:151], v[104:105] op_sel_hi:[0,1,1] neg_lo:[1,0,0] neg_hi:[1,0,0]
	ds_read2_b64 v[158:161], v143 offset0:13 offset1:14
	v_pk_fma_f32 v[120:121], v[162:163], v[152:153], v[120:121] op_sel_hi:[0,1,1] neg_lo:[1,0,0] neg_hi:[1,0,0]
	ds_read2_b64 v[150:153], v143 offset0:15 offset1:16
	s_waitcnt lgkmcnt(2)
	v_pk_fma_f32 v[102:103], v[162:163], v[154:155], v[102:103] op_sel_hi:[0,1,1] neg_lo:[1,0,0] neg_hi:[1,0,0]
	v_pk_fma_f32 v[118:119], v[162:163], v[156:157], v[118:119] op_sel_hi:[0,1,1] neg_lo:[1,0,0] neg_hi:[1,0,0]
	s_waitcnt lgkmcnt(1)
	v_pk_fma_f32 v[100:101], v[162:163], v[158:159], v[100:101] op_sel_hi:[0,1,1] neg_lo:[1,0,0] neg_hi:[1,0,0]
	v_pk_fma_f32 v[116:117], v[162:163], v[160:161], v[116:117] op_sel_hi:[0,1,1] neg_lo:[1,0,0] neg_hi:[1,0,0]
	ds_read2_b64 v[154:157], v143 offset0:17 offset1:18
	s_waitcnt lgkmcnt(1)
	v_pk_fma_f32 v[98:99], v[162:163], v[150:151], v[98:99] op_sel_hi:[0,1,1] neg_lo:[1,0,0] neg_hi:[1,0,0]
	ds_read2_b64 v[158:161], v143 offset0:19 offset1:20
	v_pk_fma_f32 v[114:115], v[162:163], v[152:153], v[114:115] op_sel_hi:[0,1,1] neg_lo:[1,0,0] neg_hi:[1,0,0]
	ds_read2_b64 v[150:153], v143 offset0:21 offset1:22
	s_waitcnt lgkmcnt(2)
	v_pk_fma_f32 v[96:97], v[162:163], v[154:155], v[96:97] op_sel_hi:[0,1,1] neg_lo:[1,0,0] neg_hi:[1,0,0]
	v_pk_fma_f32 v[112:113], v[162:163], v[156:157], v[112:113] op_sel_hi:[0,1,1] neg_lo:[1,0,0] neg_hi:[1,0,0]
	s_waitcnt lgkmcnt(1)
	v_pk_fma_f32 v[94:95], v[162:163], v[158:159], v[94:95] op_sel_hi:[0,1,1] neg_lo:[1,0,0] neg_hi:[1,0,0]
	v_pk_fma_f32 v[110:111], v[162:163], v[160:161], v[110:111] op_sel_hi:[0,1,1] neg_lo:[1,0,0] neg_hi:[1,0,0]
	;; [unrolled: 3-line block ×3, first 2 shown]
.LBB91_32:
	s_or_b64 exec, exec, s[2:3]
	v_cmp_eq_u32_e32 vcc, 6, v139
	s_waitcnt lgkmcnt(0)
	s_barrier
	s_and_saveexec_b64 s[2:3], vcc
	s_cbranch_execz .LBB91_35
; %bb.33:
	s_waitcnt vmcnt(2)
	v_pk_mov_b32 v[150:151], v[130:131], v[126:127] op_sel:[1,0]
	ds_write_b32 v141, v130
	ds_write2_b32 v143, v150, v151 offset0:7 offset1:8
	v_pk_mov_b32 v[150:151], v[126:127], v[108:109] op_sel:[1,0]
	ds_write2_b32 v143, v150, v151 offset0:9 offset1:10
	v_pk_mov_b32 v[150:151], v[108:109], v[124:125] op_sel:[1,0]
	;; [unrolled: 2-line block ×18, first 2 shown]
	ds_write2_b32 v143, v150, v151 offset0:43 offset1:44
	ds_write_b32 v143, v129 offset:180
	ds_read_b32 v149, v141
	s_waitcnt lgkmcnt(0)
	v_cmp_neq_f32_e32 vcc, 0, v149
	s_and_b64 exec, exec, vcc
	s_cbranch_execz .LBB91_35
; %bb.34:
	v_div_scale_f32 v150, s[4:5], v149, v149, 1.0
	v_rcp_f32_e32 v151, v150
	v_div_scale_f32 v152, vcc, 1.0, v149, 1.0
	v_fma_f32 v153, -v150, v151, 1.0
	v_fmac_f32_e32 v151, v153, v151
	v_mul_f32_e32 v153, v152, v151
	v_fma_f32 v154, -v150, v153, v152
	v_fmac_f32_e32 v153, v154, v151
	v_fma_f32 v150, -v150, v153, v152
	v_div_fmas_f32 v150, v150, v151, v153
	v_div_fixup_f32 v149, v150, v149, 1.0
	ds_write_b32 v141, v149
.LBB91_35:
	s_or_b64 exec, exec, s[2:3]
	s_waitcnt lgkmcnt(0)
	s_barrier
	ds_read_b32 v149, v141
	v_cmp_lt_u32_e32 vcc, 6, v139
	s_and_saveexec_b64 s[2:3], vcc
	s_cbranch_execz .LBB91_37
; %bb.36:
	ds_read_b32 v162, v143 offset:28
	ds_read2_b64 v[150:153], v143 offset0:4 offset1:5
	s_waitcnt vmcnt(3) lgkmcnt(2)
	v_mul_f32_e32 v130, v149, v130
	ds_read2_b64 v[154:157], v143 offset0:6 offset1:7
	ds_read2_b64 v[158:161], v143 offset0:8 offset1:9
	s_waitcnt vmcnt(2) lgkmcnt(3)
	v_fma_f32 v131, -v130, v162, v131
	s_waitcnt lgkmcnt(2)
	v_pk_fma_f32 v[126:127], v[130:131], v[150:151], v[126:127] op_sel_hi:[0,1,1] neg_lo:[1,0,0] neg_hi:[1,0,0]
	v_pk_fma_f32 v[108:109], v[130:131], v[152:153], v[108:109] op_sel_hi:[0,1,1] neg_lo:[1,0,0] neg_hi:[1,0,0]
	ds_read2_b64 v[150:153], v143 offset0:10 offset1:11
	s_waitcnt lgkmcnt(2)
	v_pk_fma_f32 v[124:125], v[130:131], v[154:155], v[124:125] op_sel_hi:[0,1,1] neg_lo:[1,0,0] neg_hi:[1,0,0]
	v_pk_fma_f32 v[106:107], v[130:131], v[156:157], v[106:107] op_sel_hi:[0,1,1] neg_lo:[1,0,0] neg_hi:[1,0,0]
	s_waitcnt lgkmcnt(1)
	v_pk_fma_f32 v[122:123], v[130:131], v[158:159], v[122:123] op_sel_hi:[0,1,1] neg_lo:[1,0,0] neg_hi:[1,0,0]
	ds_read2_b64 v[154:157], v143 offset0:12 offset1:13
	v_pk_fma_f32 v[104:105], v[130:131], v[160:161], v[104:105] op_sel_hi:[0,1,1] neg_lo:[1,0,0] neg_hi:[1,0,0]
	s_waitcnt lgkmcnt(1)
	v_pk_fma_f32 v[120:121], v[130:131], v[150:151], v[120:121] op_sel_hi:[0,1,1] neg_lo:[1,0,0] neg_hi:[1,0,0]
	ds_read2_b64 v[158:161], v143 offset0:14 offset1:15
	v_pk_fma_f32 v[102:103], v[130:131], v[152:153], v[102:103] op_sel_hi:[0,1,1] neg_lo:[1,0,0] neg_hi:[1,0,0]
	ds_read2_b64 v[150:153], v143 offset0:16 offset1:17
	s_waitcnt lgkmcnt(2)
	v_pk_fma_f32 v[118:119], v[130:131], v[154:155], v[118:119] op_sel_hi:[0,1,1] neg_lo:[1,0,0] neg_hi:[1,0,0]
	v_pk_fma_f32 v[100:101], v[130:131], v[156:157], v[100:101] op_sel_hi:[0,1,1] neg_lo:[1,0,0] neg_hi:[1,0,0]
	s_waitcnt lgkmcnt(1)
	v_pk_fma_f32 v[116:117], v[130:131], v[158:159], v[116:117] op_sel_hi:[0,1,1] neg_lo:[1,0,0] neg_hi:[1,0,0]
	v_pk_fma_f32 v[98:99], v[130:131], v[160:161], v[98:99] op_sel_hi:[0,1,1] neg_lo:[1,0,0] neg_hi:[1,0,0]
	ds_read2_b64 v[154:157], v143 offset0:18 offset1:19
	ds_read2_b64 v[158:161], v143 offset0:20 offset1:21
	s_waitcnt lgkmcnt(2)
	v_pk_fma_f32 v[114:115], v[130:131], v[150:151], v[114:115] op_sel_hi:[0,1,1] neg_lo:[1,0,0] neg_hi:[1,0,0]
	ds_read_b64 v[150:151], v143 offset:176
	v_pk_fma_f32 v[96:97], v[130:131], v[152:153], v[96:97] op_sel_hi:[0,1,1] neg_lo:[1,0,0] neg_hi:[1,0,0]
	s_waitcnt lgkmcnt(2)
	v_pk_fma_f32 v[112:113], v[130:131], v[154:155], v[112:113] op_sel_hi:[0,1,1] neg_lo:[1,0,0] neg_hi:[1,0,0]
	v_pk_fma_f32 v[94:95], v[130:131], v[156:157], v[94:95] op_sel_hi:[0,1,1] neg_lo:[1,0,0] neg_hi:[1,0,0]
	s_waitcnt lgkmcnt(1)
	v_pk_fma_f32 v[110:111], v[130:131], v[158:159], v[110:111] op_sel_hi:[0,1,1] neg_lo:[1,0,0] neg_hi:[1,0,0]
	;; [unrolled: 3-line block ×3, first 2 shown]
.LBB91_37:
	s_or_b64 exec, exec, s[2:3]
	v_cmp_ne_u32_e32 vcc, 7, v139
	s_waitcnt lgkmcnt(0)
	s_barrier
	s_and_saveexec_b64 s[2:3], vcc
	s_xor_b64 s[2:3], exec, s[2:3]
	s_andn2_saveexec_b64 s[2:3], s[2:3]
	s_cbranch_execz .LBB91_41
; %bb.38:
	s_waitcnt vmcnt(45)
	v_mov_b32_e32 v150, v126
	s_waitcnt vmcnt(44)
	v_mov_b32_e32 v151, v127
	;; [unrolled: 2-line block ×4, first 2 shown]
	s_waitcnt vmcnt(2)
	ds_write_b32 v141, v131
	ds_write2_b64 v143, v[150:151], v[152:153] offset0:4 offset1:5
	v_mov_b32_e32 v150, v124
	v_mov_b32_e32 v151, v125
	v_mov_b32_e32 v152, v106
	v_mov_b32_e32 v153, v107
	ds_write2_b64 v143, v[150:151], v[152:153] offset0:6 offset1:7
	v_mov_b32_e32 v150, v122
	v_mov_b32_e32 v151, v123
	v_mov_b32_e32 v152, v104
	v_mov_b32_e32 v153, v105
	;; [unrolled: 5-line block ×8, first 2 shown]
	ds_write2_b64 v143, v[150:151], v[152:153] offset0:20 offset1:21
	ds_write_b64 v143, v[128:129] offset:176
	ds_read_b32 v150, v141
	s_waitcnt lgkmcnt(0)
	v_cmp_neq_f32_e32 vcc, 0, v150
	s_and_saveexec_b64 s[4:5], vcc
	s_cbranch_execz .LBB91_40
; %bb.39:
	v_div_scale_f32 v151, s[10:11], v150, v150, 1.0
	v_rcp_f32_e32 v152, v151
	v_div_scale_f32 v153, vcc, 1.0, v150, 1.0
	v_fma_f32 v154, -v151, v152, 1.0
	v_fmac_f32_e32 v152, v154, v152
	v_mul_f32_e32 v154, v153, v152
	v_fma_f32 v155, -v151, v154, v153
	v_fmac_f32_e32 v154, v155, v152
	v_fma_f32 v151, -v151, v154, v153
	v_div_fmas_f32 v151, v151, v152, v154
	v_div_fixup_f32 v150, v151, v150, 1.0
	ds_write_b32 v141, v150
.LBB91_40:
	s_or_b64 exec, exec, s[4:5]
.LBB91_41:
	s_or_b64 exec, exec, s[2:3]
	s_waitcnt lgkmcnt(0)
	s_barrier
	ds_read_b32 v150, v141
	v_cmp_lt_u32_e32 vcc, 7, v139
	s_and_saveexec_b64 s[2:3], vcc
	s_cbranch_execz .LBB91_43
; %bb.42:
	ds_read2_b64 v[152:155], v143 offset0:4 offset1:5
	ds_read2_b64 v[156:159], v143 offset0:6 offset1:7
	s_waitcnt vmcnt(2) lgkmcnt(2)
	v_mul_f32_e32 v164, v150, v131
	ds_read2_b64 v[160:163], v143 offset0:8 offset1:9
	v_mov_b32_e32 v131, v164
	s_waitcnt lgkmcnt(2)
	v_pk_fma_f32 v[126:127], v[164:165], v[152:153], v[126:127] op_sel_hi:[0,1,1] neg_lo:[1,0,0] neg_hi:[1,0,0]
	v_pk_fma_f32 v[108:109], v[164:165], v[154:155], v[108:109] op_sel_hi:[0,1,1] neg_lo:[1,0,0] neg_hi:[1,0,0]
	ds_read2_b64 v[152:155], v143 offset0:10 offset1:11
	s_waitcnt lgkmcnt(2)
	v_pk_fma_f32 v[124:125], v[164:165], v[156:157], v[124:125] op_sel_hi:[0,1,1] neg_lo:[1,0,0] neg_hi:[1,0,0]
	v_pk_fma_f32 v[106:107], v[164:165], v[158:159], v[106:107] op_sel_hi:[0,1,1] neg_lo:[1,0,0] neg_hi:[1,0,0]
	s_waitcnt lgkmcnt(1)
	v_pk_fma_f32 v[122:123], v[164:165], v[160:161], v[122:123] op_sel_hi:[0,1,1] neg_lo:[1,0,0] neg_hi:[1,0,0]
	ds_read2_b64 v[156:159], v143 offset0:12 offset1:13
	v_pk_fma_f32 v[104:105], v[164:165], v[162:163], v[104:105] op_sel_hi:[0,1,1] neg_lo:[1,0,0] neg_hi:[1,0,0]
	s_waitcnt lgkmcnt(1)
	v_pk_fma_f32 v[120:121], v[164:165], v[152:153], v[120:121] op_sel_hi:[0,1,1] neg_lo:[1,0,0] neg_hi:[1,0,0]
	ds_read2_b64 v[160:163], v143 offset0:14 offset1:15
	v_pk_fma_f32 v[102:103], v[164:165], v[154:155], v[102:103] op_sel_hi:[0,1,1] neg_lo:[1,0,0] neg_hi:[1,0,0]
	ds_read2_b64 v[152:155], v143 offset0:16 offset1:17
	s_waitcnt lgkmcnt(2)
	v_pk_fma_f32 v[118:119], v[164:165], v[156:157], v[118:119] op_sel_hi:[0,1,1] neg_lo:[1,0,0] neg_hi:[1,0,0]
	v_pk_fma_f32 v[100:101], v[164:165], v[158:159], v[100:101] op_sel_hi:[0,1,1] neg_lo:[1,0,0] neg_hi:[1,0,0]
	s_waitcnt lgkmcnt(1)
	v_pk_fma_f32 v[116:117], v[164:165], v[160:161], v[116:117] op_sel_hi:[0,1,1] neg_lo:[1,0,0] neg_hi:[1,0,0]
	v_pk_fma_f32 v[98:99], v[164:165], v[162:163], v[98:99] op_sel_hi:[0,1,1] neg_lo:[1,0,0] neg_hi:[1,0,0]
	ds_read2_b64 v[156:159], v143 offset0:18 offset1:19
	s_waitcnt lgkmcnt(1)
	v_pk_fma_f32 v[114:115], v[164:165], v[152:153], v[114:115] op_sel_hi:[0,1,1] neg_lo:[1,0,0] neg_hi:[1,0,0]
	ds_read2_b64 v[160:163], v143 offset0:20 offset1:21
	ds_read_b64 v[152:153], v143 offset:176
	v_pk_fma_f32 v[96:97], v[164:165], v[154:155], v[96:97] op_sel_hi:[0,1,1] neg_lo:[1,0,0] neg_hi:[1,0,0]
	s_waitcnt lgkmcnt(2)
	v_pk_fma_f32 v[112:113], v[164:165], v[156:157], v[112:113] op_sel_hi:[0,1,1] neg_lo:[1,0,0] neg_hi:[1,0,0]
	v_pk_fma_f32 v[94:95], v[164:165], v[158:159], v[94:95] op_sel_hi:[0,1,1] neg_lo:[1,0,0] neg_hi:[1,0,0]
	s_waitcnt lgkmcnt(1)
	v_pk_fma_f32 v[110:111], v[164:165], v[160:161], v[110:111] op_sel_hi:[0,1,1] neg_lo:[1,0,0] neg_hi:[1,0,0]
	;; [unrolled: 3-line block ×3, first 2 shown]
.LBB91_43:
	s_or_b64 exec, exec, s[2:3]
	v_cmp_eq_u32_e32 vcc, 8, v139
	s_waitcnt lgkmcnt(0)
	s_barrier
	s_and_saveexec_b64 s[2:3], vcc
	s_cbranch_execz .LBB91_46
; %bb.44:
	s_waitcnt vmcnt(42)
	v_pk_mov_b32 v[152:153], v[126:127], v[108:109] op_sel:[1,0]
	ds_write_b32 v141, v126
	ds_write2_b32 v143, v152, v153 offset0:9 offset1:10
	s_waitcnt vmcnt(40)
	v_pk_mov_b32 v[152:153], v[108:109], v[124:125] op_sel:[1,0]
	ds_write2_b32 v143, v152, v153 offset0:11 offset1:12
	s_waitcnt vmcnt(38)
	v_pk_mov_b32 v[152:153], v[124:125], v[106:107] op_sel:[1,0]
	;; [unrolled: 3-line block ×17, first 2 shown]
	ds_write2_b32 v143, v152, v153 offset0:43 offset1:44
	ds_write_b32 v143, v129 offset:180
	ds_read_b32 v151, v141
	s_waitcnt lgkmcnt(0)
	v_cmp_neq_f32_e32 vcc, 0, v151
	s_and_b64 exec, exec, vcc
	s_cbranch_execz .LBB91_46
; %bb.45:
	v_div_scale_f32 v152, s[4:5], v151, v151, 1.0
	v_rcp_f32_e32 v153, v152
	v_div_scale_f32 v154, vcc, 1.0, v151, 1.0
	v_fma_f32 v155, -v152, v153, 1.0
	v_fmac_f32_e32 v153, v155, v153
	v_mul_f32_e32 v155, v154, v153
	v_fma_f32 v156, -v152, v155, v154
	v_fmac_f32_e32 v155, v156, v153
	v_fma_f32 v152, -v152, v155, v154
	v_div_fmas_f32 v152, v152, v153, v155
	v_div_fixup_f32 v151, v152, v151, 1.0
	ds_write_b32 v141, v151
.LBB91_46:
	s_or_b64 exec, exec, s[2:3]
	s_waitcnt lgkmcnt(0)
	s_barrier
	ds_read_b32 v151, v141
	v_cmp_lt_u32_e32 vcc, 8, v139
	s_and_saveexec_b64 s[2:3], vcc
	s_cbranch_execz .LBB91_48
; %bb.47:
	ds_read_b32 v164, v143 offset:36
	ds_read2_b64 v[152:155], v143 offset0:5 offset1:6
	ds_read2_b64 v[156:159], v143 offset0:7 offset1:8
	;; [unrolled: 1-line block ×3, first 2 shown]
	s_waitcnt vmcnt(45) lgkmcnt(4)
	v_mul_f32_e32 v126, v151, v126
	s_waitcnt vmcnt(44) lgkmcnt(3)
	v_fma_f32 v127, -v126, v164, v127
	s_waitcnt vmcnt(42) lgkmcnt(2)
	v_pk_fma_f32 v[108:109], v[126:127], v[152:153], v[108:109] op_sel_hi:[0,1,1] neg_lo:[1,0,0] neg_hi:[1,0,0]
	s_waitcnt vmcnt(40)
	v_pk_fma_f32 v[124:125], v[126:127], v[154:155], v[124:125] op_sel_hi:[0,1,1] neg_lo:[1,0,0] neg_hi:[1,0,0]
	s_waitcnt vmcnt(38) lgkmcnt(1)
	v_pk_fma_f32 v[106:107], v[126:127], v[156:157], v[106:107] op_sel_hi:[0,1,1] neg_lo:[1,0,0] neg_hi:[1,0,0]
	ds_read2_b64 v[152:155], v143 offset0:11 offset1:12
	s_waitcnt vmcnt(36)
	v_pk_fma_f32 v[122:123], v[126:127], v[158:159], v[122:123] op_sel_hi:[0,1,1] neg_lo:[1,0,0] neg_hi:[1,0,0]
	s_waitcnt vmcnt(34) lgkmcnt(1)
	v_pk_fma_f32 v[104:105], v[126:127], v[160:161], v[104:105] op_sel_hi:[0,1,1] neg_lo:[1,0,0] neg_hi:[1,0,0]
	ds_read2_b64 v[156:159], v143 offset0:13 offset1:14
	s_waitcnt vmcnt(32)
	v_pk_fma_f32 v[120:121], v[126:127], v[162:163], v[120:121] op_sel_hi:[0,1,1] neg_lo:[1,0,0] neg_hi:[1,0,0]
	ds_read2_b64 v[160:163], v143 offset0:15 offset1:16
	s_waitcnt vmcnt(30) lgkmcnt(2)
	v_pk_fma_f32 v[102:103], v[126:127], v[152:153], v[102:103] op_sel_hi:[0,1,1] neg_lo:[1,0,0] neg_hi:[1,0,0]
	s_waitcnt vmcnt(28)
	v_pk_fma_f32 v[118:119], v[126:127], v[154:155], v[118:119] op_sel_hi:[0,1,1] neg_lo:[1,0,0] neg_hi:[1,0,0]
	s_waitcnt vmcnt(26) lgkmcnt(1)
	v_pk_fma_f32 v[100:101], v[126:127], v[156:157], v[100:101] op_sel_hi:[0,1,1] neg_lo:[1,0,0] neg_hi:[1,0,0]
	s_waitcnt vmcnt(24)
	v_pk_fma_f32 v[116:117], v[126:127], v[158:159], v[116:117] op_sel_hi:[0,1,1] neg_lo:[1,0,0] neg_hi:[1,0,0]
	ds_read2_b64 v[152:155], v143 offset0:17 offset1:18
	s_waitcnt vmcnt(22) lgkmcnt(1)
	v_pk_fma_f32 v[98:99], v[126:127], v[160:161], v[98:99] op_sel_hi:[0,1,1] neg_lo:[1,0,0] neg_hi:[1,0,0]
	ds_read2_b64 v[156:159], v143 offset0:19 offset1:20
	s_waitcnt vmcnt(20)
	v_pk_fma_f32 v[114:115], v[126:127], v[162:163], v[114:115] op_sel_hi:[0,1,1] neg_lo:[1,0,0] neg_hi:[1,0,0]
	ds_read2_b64 v[160:163], v143 offset0:21 offset1:22
	s_waitcnt vmcnt(18) lgkmcnt(2)
	v_pk_fma_f32 v[96:97], v[126:127], v[152:153], v[96:97] op_sel_hi:[0,1,1] neg_lo:[1,0,0] neg_hi:[1,0,0]
	s_waitcnt vmcnt(16)
	v_pk_fma_f32 v[112:113], v[126:127], v[154:155], v[112:113] op_sel_hi:[0,1,1] neg_lo:[1,0,0] neg_hi:[1,0,0]
	s_waitcnt vmcnt(14) lgkmcnt(1)
	v_pk_fma_f32 v[94:95], v[126:127], v[156:157], v[94:95] op_sel_hi:[0,1,1] neg_lo:[1,0,0] neg_hi:[1,0,0]
	s_waitcnt vmcnt(12)
	v_pk_fma_f32 v[110:111], v[126:127], v[158:159], v[110:111] op_sel_hi:[0,1,1] neg_lo:[1,0,0] neg_hi:[1,0,0]
	;; [unrolled: 4-line block ×3, first 2 shown]
.LBB91_48:
	s_or_b64 exec, exec, s[2:3]
	v_cmp_ne_u32_e32 vcc, 9, v139
	s_waitcnt lgkmcnt(0)
	s_barrier
	s_and_saveexec_b64 s[2:3], vcc
	s_xor_b64 s[2:3], exec, s[2:3]
	s_andn2_saveexec_b64 s[2:3], s[2:3]
	s_cbranch_execz .LBB91_52
; %bb.49:
	s_waitcnt vmcnt(44)
	ds_write_b32 v141, v127
	s_waitcnt vmcnt(40)
	ds_write2_b64 v143, v[108:109], v[124:125] offset0:5 offset1:6
	s_waitcnt vmcnt(36)
	ds_write2_b64 v143, v[106:107], v[122:123] offset0:7 offset1:8
	;; [unrolled: 2-line block ×9, first 2 shown]
	ds_read_b32 v152, v141
	s_waitcnt lgkmcnt(0)
	v_cmp_neq_f32_e32 vcc, 0, v152
	s_and_saveexec_b64 s[4:5], vcc
	s_cbranch_execz .LBB91_51
; %bb.50:
	v_div_scale_f32 v153, s[10:11], v152, v152, 1.0
	v_rcp_f32_e32 v154, v153
	v_div_scale_f32 v155, vcc, 1.0, v152, 1.0
	v_fma_f32 v156, -v153, v154, 1.0
	v_fmac_f32_e32 v154, v156, v154
	v_mul_f32_e32 v156, v155, v154
	v_fma_f32 v157, -v153, v156, v155
	v_fmac_f32_e32 v156, v157, v154
	v_fma_f32 v153, -v153, v156, v155
	v_div_fmas_f32 v153, v153, v154, v156
	v_div_fixup_f32 v152, v153, v152, 1.0
	ds_write_b32 v141, v152
.LBB91_51:
	s_or_b64 exec, exec, s[4:5]
.LBB91_52:
	s_or_b64 exec, exec, s[2:3]
	s_waitcnt lgkmcnt(0)
	s_barrier
	ds_read_b32 v152, v141
	v_cmp_lt_u32_e32 vcc, 9, v139
	s_and_saveexec_b64 s[2:3], vcc
	s_cbranch_execz .LBB91_54
; %bb.53:
	ds_read2_b64 v[154:157], v143 offset0:5 offset1:6
	ds_read2_b64 v[158:161], v143 offset0:7 offset1:8
	;; [unrolled: 1-line block ×3, first 2 shown]
	s_waitcnt vmcnt(44) lgkmcnt(3)
	v_mul_f32_e32 v166, v152, v127
	v_mov_b32_e32 v127, v166
	s_waitcnt vmcnt(42) lgkmcnt(2)
	v_pk_fma_f32 v[108:109], v[166:167], v[154:155], v[108:109] op_sel_hi:[0,1,1] neg_lo:[1,0,0] neg_hi:[1,0,0]
	s_waitcnt vmcnt(40)
	v_pk_fma_f32 v[124:125], v[166:167], v[156:157], v[124:125] op_sel_hi:[0,1,1] neg_lo:[1,0,0] neg_hi:[1,0,0]
	s_waitcnt vmcnt(38) lgkmcnt(1)
	v_pk_fma_f32 v[106:107], v[166:167], v[158:159], v[106:107] op_sel_hi:[0,1,1] neg_lo:[1,0,0] neg_hi:[1,0,0]
	ds_read2_b64 v[154:157], v143 offset0:11 offset1:12
	s_waitcnt vmcnt(36)
	v_pk_fma_f32 v[122:123], v[166:167], v[160:161], v[122:123] op_sel_hi:[0,1,1] neg_lo:[1,0,0] neg_hi:[1,0,0]
	s_waitcnt vmcnt(34) lgkmcnt(1)
	v_pk_fma_f32 v[104:105], v[166:167], v[162:163], v[104:105] op_sel_hi:[0,1,1] neg_lo:[1,0,0] neg_hi:[1,0,0]
	ds_read2_b64 v[158:161], v143 offset0:13 offset1:14
	s_waitcnt vmcnt(32)
	v_pk_fma_f32 v[120:121], v[166:167], v[164:165], v[120:121] op_sel_hi:[0,1,1] neg_lo:[1,0,0] neg_hi:[1,0,0]
	ds_read2_b64 v[162:165], v143 offset0:15 offset1:16
	s_waitcnt vmcnt(30) lgkmcnt(2)
	v_pk_fma_f32 v[102:103], v[166:167], v[154:155], v[102:103] op_sel_hi:[0,1,1] neg_lo:[1,0,0] neg_hi:[1,0,0]
	s_waitcnt vmcnt(28)
	v_pk_fma_f32 v[118:119], v[166:167], v[156:157], v[118:119] op_sel_hi:[0,1,1] neg_lo:[1,0,0] neg_hi:[1,0,0]
	s_waitcnt vmcnt(26) lgkmcnt(1)
	v_pk_fma_f32 v[100:101], v[166:167], v[158:159], v[100:101] op_sel_hi:[0,1,1] neg_lo:[1,0,0] neg_hi:[1,0,0]
	s_waitcnt vmcnt(24)
	v_pk_fma_f32 v[116:117], v[166:167], v[160:161], v[116:117] op_sel_hi:[0,1,1] neg_lo:[1,0,0] neg_hi:[1,0,0]
	ds_read2_b64 v[154:157], v143 offset0:17 offset1:18
	ds_read2_b64 v[158:161], v143 offset0:19 offset1:20
	s_waitcnt vmcnt(22) lgkmcnt(2)
	v_pk_fma_f32 v[98:99], v[166:167], v[162:163], v[98:99] op_sel_hi:[0,1,1] neg_lo:[1,0,0] neg_hi:[1,0,0]
	s_waitcnt vmcnt(20)
	v_pk_fma_f32 v[114:115], v[166:167], v[164:165], v[114:115] op_sel_hi:[0,1,1] neg_lo:[1,0,0] neg_hi:[1,0,0]
	ds_read2_b64 v[162:165], v143 offset0:21 offset1:22
	s_waitcnt vmcnt(18) lgkmcnt(2)
	v_pk_fma_f32 v[96:97], v[166:167], v[154:155], v[96:97] op_sel_hi:[0,1,1] neg_lo:[1,0,0] neg_hi:[1,0,0]
	s_waitcnt vmcnt(16)
	v_pk_fma_f32 v[112:113], v[166:167], v[156:157], v[112:113] op_sel_hi:[0,1,1] neg_lo:[1,0,0] neg_hi:[1,0,0]
	s_waitcnt vmcnt(14) lgkmcnt(1)
	v_pk_fma_f32 v[94:95], v[166:167], v[158:159], v[94:95] op_sel_hi:[0,1,1] neg_lo:[1,0,0] neg_hi:[1,0,0]
	s_waitcnt vmcnt(12)
	v_pk_fma_f32 v[110:111], v[166:167], v[160:161], v[110:111] op_sel_hi:[0,1,1] neg_lo:[1,0,0] neg_hi:[1,0,0]
	;; [unrolled: 4-line block ×3, first 2 shown]
.LBB91_54:
	s_or_b64 exec, exec, s[2:3]
	v_cmp_eq_u32_e32 vcc, 10, v139
	s_waitcnt lgkmcnt(0)
	s_barrier
	s_and_saveexec_b64 s[2:3], vcc
	s_cbranch_execz .LBB91_57
; %bb.55:
	s_waitcnt vmcnt(40)
	v_pk_mov_b32 v[154:155], v[108:109], v[124:125] op_sel:[1,0]
	ds_write_b32 v141, v108
	ds_write2_b32 v143, v154, v155 offset0:11 offset1:12
	s_waitcnt vmcnt(38)
	v_pk_mov_b32 v[154:155], v[124:125], v[106:107] op_sel:[1,0]
	ds_write2_b32 v143, v154, v155 offset0:13 offset1:14
	s_waitcnt vmcnt(36)
	v_pk_mov_b32 v[154:155], v[106:107], v[122:123] op_sel:[1,0]
	;; [unrolled: 3-line block ×16, first 2 shown]
	ds_write2_b32 v143, v154, v155 offset0:43 offset1:44
	ds_write_b32 v143, v129 offset:180
	ds_read_b32 v153, v141
	s_waitcnt lgkmcnt(0)
	v_cmp_neq_f32_e32 vcc, 0, v153
	s_and_b64 exec, exec, vcc
	s_cbranch_execz .LBB91_57
; %bb.56:
	v_div_scale_f32 v154, s[4:5], v153, v153, 1.0
	v_rcp_f32_e32 v155, v154
	v_div_scale_f32 v156, vcc, 1.0, v153, 1.0
	v_fma_f32 v157, -v154, v155, 1.0
	v_fmac_f32_e32 v155, v157, v155
	v_mul_f32_e32 v157, v156, v155
	v_fma_f32 v158, -v154, v157, v156
	v_fmac_f32_e32 v157, v158, v155
	v_fma_f32 v154, -v154, v157, v156
	v_div_fmas_f32 v154, v154, v155, v157
	v_div_fixup_f32 v153, v154, v153, 1.0
	ds_write_b32 v141, v153
.LBB91_57:
	s_or_b64 exec, exec, s[2:3]
	s_waitcnt lgkmcnt(0)
	s_barrier
	ds_read_b32 v153, v141
	v_cmp_lt_u32_e32 vcc, 10, v139
	s_and_saveexec_b64 s[2:3], vcc
	s_cbranch_execz .LBB91_59
; %bb.58:
	ds_read_b32 v166, v143 offset:44
	ds_read2_b64 v[154:157], v143 offset0:6 offset1:7
	ds_read2_b64 v[158:161], v143 offset0:8 offset1:9
	;; [unrolled: 1-line block ×3, first 2 shown]
	s_waitcnt vmcnt(43) lgkmcnt(4)
	v_mul_f32_e32 v108, v153, v108
	s_waitcnt vmcnt(42) lgkmcnt(3)
	v_fma_f32 v109, -v108, v166, v109
	s_waitcnt vmcnt(40) lgkmcnt(2)
	v_pk_fma_f32 v[124:125], v[108:109], v[154:155], v[124:125] op_sel_hi:[0,1,1] neg_lo:[1,0,0] neg_hi:[1,0,0]
	s_waitcnt vmcnt(38)
	v_pk_fma_f32 v[106:107], v[108:109], v[156:157], v[106:107] op_sel_hi:[0,1,1] neg_lo:[1,0,0] neg_hi:[1,0,0]
	s_waitcnt vmcnt(36) lgkmcnt(1)
	v_pk_fma_f32 v[122:123], v[108:109], v[158:159], v[122:123] op_sel_hi:[0,1,1] neg_lo:[1,0,0] neg_hi:[1,0,0]
	ds_read2_b64 v[154:157], v143 offset0:12 offset1:13
	s_waitcnt vmcnt(34)
	v_pk_fma_f32 v[104:105], v[108:109], v[160:161], v[104:105] op_sel_hi:[0,1,1] neg_lo:[1,0,0] neg_hi:[1,0,0]
	s_waitcnt vmcnt(32) lgkmcnt(1)
	v_pk_fma_f32 v[120:121], v[108:109], v[162:163], v[120:121] op_sel_hi:[0,1,1] neg_lo:[1,0,0] neg_hi:[1,0,0]
	ds_read2_b64 v[158:161], v143 offset0:14 offset1:15
	s_waitcnt vmcnt(30)
	v_pk_fma_f32 v[102:103], v[108:109], v[164:165], v[102:103] op_sel_hi:[0,1,1] neg_lo:[1,0,0] neg_hi:[1,0,0]
	ds_read2_b64 v[162:165], v143 offset0:16 offset1:17
	s_waitcnt vmcnt(28) lgkmcnt(2)
	v_pk_fma_f32 v[118:119], v[108:109], v[154:155], v[118:119] op_sel_hi:[0,1,1] neg_lo:[1,0,0] neg_hi:[1,0,0]
	s_waitcnt vmcnt(26)
	v_pk_fma_f32 v[100:101], v[108:109], v[156:157], v[100:101] op_sel_hi:[0,1,1] neg_lo:[1,0,0] neg_hi:[1,0,0]
	s_waitcnt vmcnt(24) lgkmcnt(1)
	v_pk_fma_f32 v[116:117], v[108:109], v[158:159], v[116:117] op_sel_hi:[0,1,1] neg_lo:[1,0,0] neg_hi:[1,0,0]
	s_waitcnt vmcnt(22)
	v_pk_fma_f32 v[98:99], v[108:109], v[160:161], v[98:99] op_sel_hi:[0,1,1] neg_lo:[1,0,0] neg_hi:[1,0,0]
	ds_read2_b64 v[154:157], v143 offset0:18 offset1:19
	s_waitcnt vmcnt(20) lgkmcnt(1)
	v_pk_fma_f32 v[114:115], v[108:109], v[162:163], v[114:115] op_sel_hi:[0,1,1] neg_lo:[1,0,0] neg_hi:[1,0,0]
	ds_read2_b64 v[158:161], v143 offset0:20 offset1:21
	ds_read_b64 v[162:163], v143 offset:176
	s_waitcnt vmcnt(18)
	v_pk_fma_f32 v[96:97], v[108:109], v[164:165], v[96:97] op_sel_hi:[0,1,1] neg_lo:[1,0,0] neg_hi:[1,0,0]
	s_waitcnt vmcnt(16) lgkmcnt(2)
	v_pk_fma_f32 v[112:113], v[108:109], v[154:155], v[112:113] op_sel_hi:[0,1,1] neg_lo:[1,0,0] neg_hi:[1,0,0]
	s_waitcnt vmcnt(14)
	v_pk_fma_f32 v[94:95], v[108:109], v[156:157], v[94:95] op_sel_hi:[0,1,1] neg_lo:[1,0,0] neg_hi:[1,0,0]
	s_waitcnt vmcnt(12) lgkmcnt(1)
	v_pk_fma_f32 v[110:111], v[108:109], v[158:159], v[110:111] op_sel_hi:[0,1,1] neg_lo:[1,0,0] neg_hi:[1,0,0]
	s_waitcnt vmcnt(10)
	v_pk_fma_f32 v[92:93], v[108:109], v[160:161], v[92:93] op_sel_hi:[0,1,1] neg_lo:[1,0,0] neg_hi:[1,0,0]
	s_waitcnt vmcnt(8) lgkmcnt(0)
	v_pk_fma_f32 v[128:129], v[108:109], v[162:163], v[128:129] op_sel_hi:[0,1,1] neg_lo:[1,0,0] neg_hi:[1,0,0]
.LBB91_59:
	s_or_b64 exec, exec, s[2:3]
	v_cmp_ne_u32_e32 vcc, 11, v139
	s_waitcnt lgkmcnt(0)
	s_barrier
	s_and_saveexec_b64 s[2:3], vcc
	s_xor_b64 s[2:3], exec, s[2:3]
	s_andn2_saveexec_b64 s[2:3], s[2:3]
	s_cbranch_execz .LBB91_63
; %bb.60:
	s_waitcnt vmcnt(41)
	v_mov_b32_e32 v154, v124
	s_waitcnt vmcnt(40)
	v_mov_b32_e32 v155, v125
	;; [unrolled: 2-line block ×4, first 2 shown]
	ds_write_b32 v141, v109
	ds_write2_b64 v143, v[154:155], v[156:157] offset0:6 offset1:7
	s_waitcnt vmcnt(37)
	v_mov_b32_e32 v154, v122
	s_waitcnt vmcnt(36)
	v_mov_b32_e32 v155, v123
	s_waitcnt vmcnt(35)
	v_mov_b32_e32 v156, v104
	s_waitcnt vmcnt(34)
	v_mov_b32_e32 v157, v105
	ds_write2_b64 v143, v[154:155], v[156:157] offset0:8 offset1:9
	s_waitcnt vmcnt(33)
	v_mov_b32_e32 v154, v120
	s_waitcnt vmcnt(32)
	v_mov_b32_e32 v155, v121
	s_waitcnt vmcnt(31)
	v_mov_b32_e32 v156, v102
	s_waitcnt vmcnt(30)
	v_mov_b32_e32 v157, v103
	ds_write2_b64 v143, v[154:155], v[156:157] offset0:10 offset1:11
	s_waitcnt vmcnt(29)
	v_mov_b32_e32 v154, v118
	s_waitcnt vmcnt(28)
	v_mov_b32_e32 v155, v119
	s_waitcnt vmcnt(27)
	v_mov_b32_e32 v156, v100
	s_waitcnt vmcnt(26)
	v_mov_b32_e32 v157, v101
	ds_write2_b64 v143, v[154:155], v[156:157] offset0:12 offset1:13
	s_waitcnt vmcnt(25)
	v_mov_b32_e32 v154, v116
	s_waitcnt vmcnt(24)
	v_mov_b32_e32 v155, v117
	s_waitcnt vmcnt(23)
	v_mov_b32_e32 v156, v98
	s_waitcnt vmcnt(22)
	v_mov_b32_e32 v157, v99
	ds_write2_b64 v143, v[154:155], v[156:157] offset0:14 offset1:15
	s_waitcnt vmcnt(21)
	v_mov_b32_e32 v154, v114
	s_waitcnt vmcnt(20)
	v_mov_b32_e32 v155, v115
	s_waitcnt vmcnt(19)
	v_mov_b32_e32 v156, v96
	s_waitcnt vmcnt(18)
	v_mov_b32_e32 v157, v97
	ds_write2_b64 v143, v[154:155], v[156:157] offset0:16 offset1:17
	s_waitcnt vmcnt(17)
	v_mov_b32_e32 v154, v112
	s_waitcnt vmcnt(16)
	v_mov_b32_e32 v155, v113
	s_waitcnt vmcnt(15)
	v_mov_b32_e32 v156, v94
	s_waitcnt vmcnt(14)
	v_mov_b32_e32 v157, v95
	ds_write2_b64 v143, v[154:155], v[156:157] offset0:18 offset1:19
	s_waitcnt vmcnt(13)
	v_mov_b32_e32 v154, v110
	s_waitcnt vmcnt(12)
	v_mov_b32_e32 v155, v111
	s_waitcnt vmcnt(11)
	v_mov_b32_e32 v156, v92
	s_waitcnt vmcnt(10)
	v_mov_b32_e32 v157, v93
	ds_write2_b64 v143, v[154:155], v[156:157] offset0:20 offset1:21
	s_waitcnt vmcnt(8)
	ds_write_b64 v143, v[128:129] offset:176
	ds_read_b32 v154, v141
	s_waitcnt lgkmcnt(0)
	v_cmp_neq_f32_e32 vcc, 0, v154
	s_and_saveexec_b64 s[4:5], vcc
	s_cbranch_execz .LBB91_62
; %bb.61:
	v_div_scale_f32 v155, s[10:11], v154, v154, 1.0
	v_rcp_f32_e32 v156, v155
	v_div_scale_f32 v157, vcc, 1.0, v154, 1.0
	v_fma_f32 v158, -v155, v156, 1.0
	v_fmac_f32_e32 v156, v158, v156
	v_mul_f32_e32 v158, v157, v156
	v_fma_f32 v159, -v155, v158, v157
	v_fmac_f32_e32 v158, v159, v156
	v_fma_f32 v155, -v155, v158, v157
	v_div_fmas_f32 v155, v155, v156, v158
	v_div_fixup_f32 v154, v155, v154, 1.0
	ds_write_b32 v141, v154
.LBB91_62:
	s_or_b64 exec, exec, s[4:5]
.LBB91_63:
	s_or_b64 exec, exec, s[2:3]
	s_waitcnt lgkmcnt(0)
	s_barrier
	ds_read_b32 v154, v141
	v_cmp_lt_u32_e32 vcc, 11, v139
	s_and_saveexec_b64 s[2:3], vcc
	s_cbranch_execz .LBB91_65
; %bb.64:
	ds_read2_b64 v[156:159], v143 offset0:6 offset1:7
	ds_read2_b64 v[160:163], v143 offset0:8 offset1:9
	;; [unrolled: 1-line block ×3, first 2 shown]
	s_waitcnt vmcnt(42) lgkmcnt(3)
	v_mul_f32_e32 v168, v154, v109
	v_mov_b32_e32 v109, v168
	s_waitcnt vmcnt(40) lgkmcnt(2)
	v_pk_fma_f32 v[124:125], v[168:169], v[156:157], v[124:125] op_sel_hi:[0,1,1] neg_lo:[1,0,0] neg_hi:[1,0,0]
	s_waitcnt vmcnt(38)
	v_pk_fma_f32 v[106:107], v[168:169], v[158:159], v[106:107] op_sel_hi:[0,1,1] neg_lo:[1,0,0] neg_hi:[1,0,0]
	s_waitcnt vmcnt(36) lgkmcnt(1)
	v_pk_fma_f32 v[122:123], v[168:169], v[160:161], v[122:123] op_sel_hi:[0,1,1] neg_lo:[1,0,0] neg_hi:[1,0,0]
	ds_read2_b64 v[156:159], v143 offset0:12 offset1:13
	s_waitcnt vmcnt(34)
	v_pk_fma_f32 v[104:105], v[168:169], v[162:163], v[104:105] op_sel_hi:[0,1,1] neg_lo:[1,0,0] neg_hi:[1,0,0]
	s_waitcnt vmcnt(32) lgkmcnt(1)
	v_pk_fma_f32 v[120:121], v[168:169], v[164:165], v[120:121] op_sel_hi:[0,1,1] neg_lo:[1,0,0] neg_hi:[1,0,0]
	ds_read2_b64 v[160:163], v143 offset0:14 offset1:15
	s_waitcnt vmcnt(30)
	v_pk_fma_f32 v[102:103], v[168:169], v[166:167], v[102:103] op_sel_hi:[0,1,1] neg_lo:[1,0,0] neg_hi:[1,0,0]
	ds_read2_b64 v[164:167], v143 offset0:16 offset1:17
	s_waitcnt vmcnt(28) lgkmcnt(2)
	v_pk_fma_f32 v[118:119], v[168:169], v[156:157], v[118:119] op_sel_hi:[0,1,1] neg_lo:[1,0,0] neg_hi:[1,0,0]
	s_waitcnt vmcnt(26)
	v_pk_fma_f32 v[100:101], v[168:169], v[158:159], v[100:101] op_sel_hi:[0,1,1] neg_lo:[1,0,0] neg_hi:[1,0,0]
	s_waitcnt vmcnt(24) lgkmcnt(1)
	v_pk_fma_f32 v[116:117], v[168:169], v[160:161], v[116:117] op_sel_hi:[0,1,1] neg_lo:[1,0,0] neg_hi:[1,0,0]
	s_waitcnt vmcnt(22)
	v_pk_fma_f32 v[98:99], v[168:169], v[162:163], v[98:99] op_sel_hi:[0,1,1] neg_lo:[1,0,0] neg_hi:[1,0,0]
	ds_read2_b64 v[156:159], v143 offset0:18 offset1:19
	ds_read2_b64 v[160:163], v143 offset0:20 offset1:21
	s_waitcnt vmcnt(20) lgkmcnt(2)
	v_pk_fma_f32 v[114:115], v[168:169], v[164:165], v[114:115] op_sel_hi:[0,1,1] neg_lo:[1,0,0] neg_hi:[1,0,0]
	ds_read_b64 v[164:165], v143 offset:176
	s_waitcnt vmcnt(18)
	v_pk_fma_f32 v[96:97], v[168:169], v[166:167], v[96:97] op_sel_hi:[0,1,1] neg_lo:[1,0,0] neg_hi:[1,0,0]
	s_waitcnt vmcnt(16) lgkmcnt(2)
	v_pk_fma_f32 v[112:113], v[168:169], v[156:157], v[112:113] op_sel_hi:[0,1,1] neg_lo:[1,0,0] neg_hi:[1,0,0]
	s_waitcnt vmcnt(14)
	v_pk_fma_f32 v[94:95], v[168:169], v[158:159], v[94:95] op_sel_hi:[0,1,1] neg_lo:[1,0,0] neg_hi:[1,0,0]
	s_waitcnt vmcnt(12) lgkmcnt(1)
	v_pk_fma_f32 v[110:111], v[168:169], v[160:161], v[110:111] op_sel_hi:[0,1,1] neg_lo:[1,0,0] neg_hi:[1,0,0]
	;; [unrolled: 4-line block ×3, first 2 shown]
.LBB91_65:
	s_or_b64 exec, exec, s[2:3]
	v_cmp_eq_u32_e32 vcc, 12, v139
	s_waitcnt lgkmcnt(0)
	s_barrier
	s_and_saveexec_b64 s[2:3], vcc
	s_cbranch_execz .LBB91_68
; %bb.66:
	s_waitcnt vmcnt(38)
	v_pk_mov_b32 v[156:157], v[124:125], v[106:107] op_sel:[1,0]
	ds_write_b32 v141, v124
	ds_write2_b32 v143, v156, v157 offset0:13 offset1:14
	s_waitcnt vmcnt(36)
	v_pk_mov_b32 v[156:157], v[106:107], v[122:123] op_sel:[1,0]
	ds_write2_b32 v143, v156, v157 offset0:15 offset1:16
	s_waitcnt vmcnt(34)
	v_pk_mov_b32 v[156:157], v[122:123], v[104:105] op_sel:[1,0]
	;; [unrolled: 3-line block ×15, first 2 shown]
	ds_write2_b32 v143, v156, v157 offset0:43 offset1:44
	ds_write_b32 v143, v129 offset:180
	ds_read_b32 v155, v141
	s_waitcnt lgkmcnt(0)
	v_cmp_neq_f32_e32 vcc, 0, v155
	s_and_b64 exec, exec, vcc
	s_cbranch_execz .LBB91_68
; %bb.67:
	v_div_scale_f32 v156, s[4:5], v155, v155, 1.0
	v_rcp_f32_e32 v157, v156
	v_div_scale_f32 v158, vcc, 1.0, v155, 1.0
	v_fma_f32 v159, -v156, v157, 1.0
	v_fmac_f32_e32 v157, v159, v157
	v_mul_f32_e32 v159, v158, v157
	v_fma_f32 v160, -v156, v159, v158
	v_fmac_f32_e32 v159, v160, v157
	v_fma_f32 v156, -v156, v159, v158
	v_div_fmas_f32 v156, v156, v157, v159
	v_div_fixup_f32 v155, v156, v155, 1.0
	ds_write_b32 v141, v155
.LBB91_68:
	s_or_b64 exec, exec, s[2:3]
	s_waitcnt lgkmcnt(0)
	s_barrier
	ds_read_b32 v155, v141
	v_cmp_lt_u32_e32 vcc, 12, v139
	s_and_saveexec_b64 s[2:3], vcc
	s_cbranch_execz .LBB91_70
; %bb.69:
	ds_read_b32 v156, v143 offset:52
	s_waitcnt vmcnt(41) lgkmcnt(1)
	v_mul_f32_e32 v124, v155, v124
	s_waitcnt vmcnt(40) lgkmcnt(0)
	v_fma_f32 v125, -v124, v156, v125
	ds_read2_b64 v[156:159], v143 offset0:7 offset1:8
	s_waitcnt vmcnt(38) lgkmcnt(0)
	v_pk_fma_f32 v[106:107], v[124:125], v[156:157], v[106:107] op_sel_hi:[0,1,1] neg_lo:[1,0,0] neg_hi:[1,0,0]
	s_waitcnt vmcnt(36)
	v_pk_fma_f32 v[122:123], v[124:125], v[158:159], v[122:123] op_sel_hi:[0,1,1] neg_lo:[1,0,0] neg_hi:[1,0,0]
	ds_read2_b64 v[156:159], v143 offset0:9 offset1:10
	s_waitcnt vmcnt(34) lgkmcnt(0)
	v_pk_fma_f32 v[104:105], v[124:125], v[156:157], v[104:105] op_sel_hi:[0,1,1] neg_lo:[1,0,0] neg_hi:[1,0,0]
	s_waitcnt vmcnt(32)
	v_pk_fma_f32 v[120:121], v[124:125], v[158:159], v[120:121] op_sel_hi:[0,1,1] neg_lo:[1,0,0] neg_hi:[1,0,0]
	;; [unrolled: 5-line block ×8, first 2 shown]
.LBB91_70:
	s_or_b64 exec, exec, s[2:3]
	v_cmp_ne_u32_e32 vcc, 13, v139
	s_waitcnt lgkmcnt(0)
	s_barrier
	s_and_saveexec_b64 s[2:3], vcc
	s_xor_b64 s[2:3], exec, s[2:3]
	s_andn2_saveexec_b64 s[2:3], s[2:3]
	s_cbranch_execz .LBB91_74
; %bb.71:
	s_waitcnt vmcnt(40)
	ds_write_b32 v141, v125
	s_waitcnt vmcnt(36)
	ds_write2_b64 v143, v[106:107], v[122:123] offset0:7 offset1:8
	s_waitcnt vmcnt(32)
	ds_write2_b64 v143, v[104:105], v[120:121] offset0:9 offset1:10
	;; [unrolled: 2-line block ×8, first 2 shown]
	ds_read_b32 v156, v141
	s_waitcnt lgkmcnt(0)
	v_cmp_neq_f32_e32 vcc, 0, v156
	s_and_saveexec_b64 s[4:5], vcc
	s_cbranch_execz .LBB91_73
; %bb.72:
	v_div_scale_f32 v157, s[10:11], v156, v156, 1.0
	v_rcp_f32_e32 v158, v157
	v_div_scale_f32 v159, vcc, 1.0, v156, 1.0
	v_fma_f32 v160, -v157, v158, 1.0
	v_fmac_f32_e32 v158, v160, v158
	v_mul_f32_e32 v160, v159, v158
	v_fma_f32 v161, -v157, v160, v159
	v_fmac_f32_e32 v160, v161, v158
	v_fma_f32 v157, -v157, v160, v159
	v_div_fmas_f32 v157, v157, v158, v160
	v_div_fixup_f32 v156, v157, v156, 1.0
	ds_write_b32 v141, v156
.LBB91_73:
	s_or_b64 exec, exec, s[4:5]
.LBB91_74:
	s_or_b64 exec, exec, s[2:3]
	s_waitcnt lgkmcnt(0)
	s_barrier
	ds_read_b32 v156, v141
	v_cmp_lt_u32_e32 vcc, 13, v139
	s_and_saveexec_b64 s[2:3], vcc
	s_cbranch_execz .LBB91_76
; %bb.75:
	ds_read2_b64 v[158:161], v143 offset0:7 offset1:8
	s_waitcnt vmcnt(40) lgkmcnt(1)
	v_mul_f32_e32 v162, v156, v125
	v_mov_b32_e32 v125, v162
	s_waitcnt vmcnt(38) lgkmcnt(0)
	v_pk_fma_f32 v[106:107], v[162:163], v[158:159], v[106:107] op_sel_hi:[0,1,1] neg_lo:[1,0,0] neg_hi:[1,0,0]
	s_waitcnt vmcnt(36)
	v_pk_fma_f32 v[122:123], v[162:163], v[160:161], v[122:123] op_sel_hi:[0,1,1] neg_lo:[1,0,0] neg_hi:[1,0,0]
	ds_read2_b64 v[158:161], v143 offset0:9 offset1:10
	s_waitcnt vmcnt(34) lgkmcnt(0)
	v_pk_fma_f32 v[104:105], v[162:163], v[158:159], v[104:105] op_sel_hi:[0,1,1] neg_lo:[1,0,0] neg_hi:[1,0,0]
	s_waitcnt vmcnt(32)
	v_pk_fma_f32 v[120:121], v[162:163], v[160:161], v[120:121] op_sel_hi:[0,1,1] neg_lo:[1,0,0] neg_hi:[1,0,0]
	ds_read2_b64 v[158:161], v143 offset0:11 offset1:12
	;; [unrolled: 5-line block ×7, first 2 shown]
	s_waitcnt vmcnt(10) lgkmcnt(0)
	v_pk_fma_f32 v[92:93], v[162:163], v[158:159], v[92:93] op_sel_hi:[0,1,1] neg_lo:[1,0,0] neg_hi:[1,0,0]
	s_waitcnt vmcnt(8)
	v_pk_fma_f32 v[128:129], v[162:163], v[160:161], v[128:129] op_sel_hi:[0,1,1] neg_lo:[1,0,0] neg_hi:[1,0,0]
.LBB91_76:
	s_or_b64 exec, exec, s[2:3]
	v_cmp_eq_u32_e32 vcc, 14, v139
	s_waitcnt lgkmcnt(0)
	s_barrier
	s_and_saveexec_b64 s[2:3], vcc
	s_cbranch_execz .LBB91_79
; %bb.77:
	s_waitcnt vmcnt(36)
	v_pk_mov_b32 v[158:159], v[106:107], v[122:123] op_sel:[1,0]
	ds_write_b32 v141, v106
	ds_write2_b32 v143, v158, v159 offset0:15 offset1:16
	s_waitcnt vmcnt(34)
	v_pk_mov_b32 v[158:159], v[122:123], v[104:105] op_sel:[1,0]
	ds_write2_b32 v143, v158, v159 offset0:17 offset1:18
	s_waitcnt vmcnt(32)
	v_pk_mov_b32 v[158:159], v[104:105], v[120:121] op_sel:[1,0]
	;; [unrolled: 3-line block ×14, first 2 shown]
	ds_write2_b32 v143, v158, v159 offset0:43 offset1:44
	ds_write_b32 v143, v129 offset:180
	ds_read_b32 v157, v141
	s_waitcnt lgkmcnt(0)
	v_cmp_neq_f32_e32 vcc, 0, v157
	s_and_b64 exec, exec, vcc
	s_cbranch_execz .LBB91_79
; %bb.78:
	v_div_scale_f32 v158, s[4:5], v157, v157, 1.0
	v_rcp_f32_e32 v159, v158
	v_div_scale_f32 v160, vcc, 1.0, v157, 1.0
	v_fma_f32 v161, -v158, v159, 1.0
	v_fmac_f32_e32 v159, v161, v159
	v_mul_f32_e32 v161, v160, v159
	v_fma_f32 v162, -v158, v161, v160
	v_fmac_f32_e32 v161, v162, v159
	v_fma_f32 v158, -v158, v161, v160
	v_div_fmas_f32 v158, v158, v159, v161
	v_div_fixup_f32 v157, v158, v157, 1.0
	ds_write_b32 v141, v157
.LBB91_79:
	s_or_b64 exec, exec, s[2:3]
	s_waitcnt lgkmcnt(0)
	s_barrier
	ds_read_b32 v157, v141
	v_cmp_lt_u32_e32 vcc, 14, v139
	s_and_saveexec_b64 s[2:3], vcc
	s_cbranch_execz .LBB91_81
; %bb.80:
	ds_read_b32 v158, v143 offset:60
	s_waitcnt vmcnt(39) lgkmcnt(1)
	v_mul_f32_e32 v106, v157, v106
	s_waitcnt vmcnt(38) lgkmcnt(0)
	v_fma_f32 v107, -v106, v158, v107
	ds_read2_b64 v[158:161], v143 offset0:8 offset1:9
	s_waitcnt vmcnt(36) lgkmcnt(0)
	v_pk_fma_f32 v[122:123], v[106:107], v[158:159], v[122:123] op_sel_hi:[0,1,1] neg_lo:[1,0,0] neg_hi:[1,0,0]
	s_waitcnt vmcnt(34)
	v_pk_fma_f32 v[104:105], v[106:107], v[160:161], v[104:105] op_sel_hi:[0,1,1] neg_lo:[1,0,0] neg_hi:[1,0,0]
	ds_read2_b64 v[158:161], v143 offset0:10 offset1:11
	s_waitcnt vmcnt(32) lgkmcnt(0)
	v_pk_fma_f32 v[120:121], v[106:107], v[158:159], v[120:121] op_sel_hi:[0,1,1] neg_lo:[1,0,0] neg_hi:[1,0,0]
	s_waitcnt vmcnt(30)
	v_pk_fma_f32 v[102:103], v[106:107], v[160:161], v[102:103] op_sel_hi:[0,1,1] neg_lo:[1,0,0] neg_hi:[1,0,0]
	;; [unrolled: 5-line block ×6, first 2 shown]
	ds_read2_b64 v[158:161], v143 offset0:20 offset1:21
	s_waitcnt vmcnt(12) lgkmcnt(0)
	v_pk_fma_f32 v[110:111], v[106:107], v[158:159], v[110:111] op_sel_hi:[0,1,1] neg_lo:[1,0,0] neg_hi:[1,0,0]
	ds_read_b64 v[158:159], v143 offset:176
	s_waitcnt vmcnt(10)
	v_pk_fma_f32 v[92:93], v[106:107], v[160:161], v[92:93] op_sel_hi:[0,1,1] neg_lo:[1,0,0] neg_hi:[1,0,0]
	s_waitcnt vmcnt(8) lgkmcnt(0)
	v_pk_fma_f32 v[128:129], v[106:107], v[158:159], v[128:129] op_sel_hi:[0,1,1] neg_lo:[1,0,0] neg_hi:[1,0,0]
.LBB91_81:
	s_or_b64 exec, exec, s[2:3]
	v_cmp_ne_u32_e32 vcc, 15, v139
	s_waitcnt lgkmcnt(0)
	s_barrier
	s_and_saveexec_b64 s[2:3], vcc
	s_xor_b64 s[2:3], exec, s[2:3]
	s_andn2_saveexec_b64 s[2:3], s[2:3]
	s_cbranch_execz .LBB91_85
; %bb.82:
	s_waitcnt vmcnt(37)
	v_mov_b32_e32 v158, v122
	s_waitcnt vmcnt(36)
	v_mov_b32_e32 v159, v123
	;; [unrolled: 2-line block ×4, first 2 shown]
	ds_write_b32 v141, v107
	ds_write2_b64 v143, v[158:159], v[160:161] offset0:8 offset1:9
	s_waitcnt vmcnt(33)
	v_mov_b32_e32 v158, v120
	s_waitcnt vmcnt(32)
	v_mov_b32_e32 v159, v121
	s_waitcnt vmcnt(31)
	v_mov_b32_e32 v160, v102
	s_waitcnt vmcnt(30)
	v_mov_b32_e32 v161, v103
	ds_write2_b64 v143, v[158:159], v[160:161] offset0:10 offset1:11
	s_waitcnt vmcnt(29)
	v_mov_b32_e32 v158, v118
	s_waitcnt vmcnt(28)
	v_mov_b32_e32 v159, v119
	s_waitcnt vmcnt(27)
	v_mov_b32_e32 v160, v100
	s_waitcnt vmcnt(26)
	v_mov_b32_e32 v161, v101
	ds_write2_b64 v143, v[158:159], v[160:161] offset0:12 offset1:13
	s_waitcnt vmcnt(25)
	v_mov_b32_e32 v158, v116
	s_waitcnt vmcnt(24)
	v_mov_b32_e32 v159, v117
	s_waitcnt vmcnt(23)
	v_mov_b32_e32 v160, v98
	s_waitcnt vmcnt(22)
	v_mov_b32_e32 v161, v99
	ds_write2_b64 v143, v[158:159], v[160:161] offset0:14 offset1:15
	s_waitcnt vmcnt(21)
	v_mov_b32_e32 v158, v114
	s_waitcnt vmcnt(20)
	v_mov_b32_e32 v159, v115
	s_waitcnt vmcnt(19)
	v_mov_b32_e32 v160, v96
	s_waitcnt vmcnt(18)
	v_mov_b32_e32 v161, v97
	ds_write2_b64 v143, v[158:159], v[160:161] offset0:16 offset1:17
	s_waitcnt vmcnt(17)
	v_mov_b32_e32 v158, v112
	s_waitcnt vmcnt(16)
	v_mov_b32_e32 v159, v113
	s_waitcnt vmcnt(15)
	v_mov_b32_e32 v160, v94
	s_waitcnt vmcnt(14)
	v_mov_b32_e32 v161, v95
	ds_write2_b64 v143, v[158:159], v[160:161] offset0:18 offset1:19
	s_waitcnt vmcnt(13)
	v_mov_b32_e32 v158, v110
	s_waitcnt vmcnt(12)
	v_mov_b32_e32 v159, v111
	s_waitcnt vmcnt(11)
	v_mov_b32_e32 v160, v92
	s_waitcnt vmcnt(10)
	v_mov_b32_e32 v161, v93
	ds_write2_b64 v143, v[158:159], v[160:161] offset0:20 offset1:21
	s_waitcnt vmcnt(8)
	ds_write_b64 v143, v[128:129] offset:176
	ds_read_b32 v158, v141
	s_waitcnt lgkmcnt(0)
	v_cmp_neq_f32_e32 vcc, 0, v158
	s_and_saveexec_b64 s[4:5], vcc
	s_cbranch_execz .LBB91_84
; %bb.83:
	v_div_scale_f32 v159, s[10:11], v158, v158, 1.0
	v_rcp_f32_e32 v160, v159
	v_div_scale_f32 v161, vcc, 1.0, v158, 1.0
	v_fma_f32 v162, -v159, v160, 1.0
	v_fmac_f32_e32 v160, v162, v160
	v_mul_f32_e32 v162, v161, v160
	v_fma_f32 v163, -v159, v162, v161
	v_fmac_f32_e32 v162, v163, v160
	v_fma_f32 v159, -v159, v162, v161
	v_div_fmas_f32 v159, v159, v160, v162
	v_div_fixup_f32 v158, v159, v158, 1.0
	ds_write_b32 v141, v158
.LBB91_84:
	s_or_b64 exec, exec, s[4:5]
.LBB91_85:
	s_or_b64 exec, exec, s[2:3]
	s_waitcnt lgkmcnt(0)
	s_barrier
	ds_read_b32 v158, v141
	v_cmp_lt_u32_e32 vcc, 15, v139
	s_and_saveexec_b64 s[2:3], vcc
	s_cbranch_execz .LBB91_87
; %bb.86:
	ds_read2_b64 v[160:163], v143 offset0:8 offset1:9
	s_waitcnt vmcnt(38) lgkmcnt(1)
	v_mul_f32_e32 v164, v158, v107
	v_mov_b32_e32 v107, v164
	s_waitcnt vmcnt(36) lgkmcnt(0)
	v_pk_fma_f32 v[122:123], v[164:165], v[160:161], v[122:123] op_sel_hi:[0,1,1] neg_lo:[1,0,0] neg_hi:[1,0,0]
	s_waitcnt vmcnt(34)
	v_pk_fma_f32 v[104:105], v[164:165], v[162:163], v[104:105] op_sel_hi:[0,1,1] neg_lo:[1,0,0] neg_hi:[1,0,0]
	ds_read2_b64 v[160:163], v143 offset0:10 offset1:11
	s_waitcnt vmcnt(32) lgkmcnt(0)
	v_pk_fma_f32 v[120:121], v[164:165], v[160:161], v[120:121] op_sel_hi:[0,1,1] neg_lo:[1,0,0] neg_hi:[1,0,0]
	s_waitcnt vmcnt(30)
	v_pk_fma_f32 v[102:103], v[164:165], v[162:163], v[102:103] op_sel_hi:[0,1,1] neg_lo:[1,0,0] neg_hi:[1,0,0]
	ds_read2_b64 v[160:163], v143 offset0:12 offset1:13
	;; [unrolled: 5-line block ×6, first 2 shown]
	s_waitcnt vmcnt(12) lgkmcnt(0)
	v_pk_fma_f32 v[110:111], v[164:165], v[160:161], v[110:111] op_sel_hi:[0,1,1] neg_lo:[1,0,0] neg_hi:[1,0,0]
	ds_read_b64 v[160:161], v143 offset:176
	s_waitcnt vmcnt(10)
	v_pk_fma_f32 v[92:93], v[164:165], v[162:163], v[92:93] op_sel_hi:[0,1,1] neg_lo:[1,0,0] neg_hi:[1,0,0]
	s_waitcnt vmcnt(8) lgkmcnt(0)
	v_pk_fma_f32 v[128:129], v[164:165], v[160:161], v[128:129] op_sel_hi:[0,1,1] neg_lo:[1,0,0] neg_hi:[1,0,0]
.LBB91_87:
	s_or_b64 exec, exec, s[2:3]
	v_cmp_eq_u32_e32 vcc, 16, v139
	s_waitcnt lgkmcnt(0)
	s_barrier
	s_and_saveexec_b64 s[2:3], vcc
	s_cbranch_execz .LBB91_90
; %bb.88:
	s_waitcnt vmcnt(34)
	v_pk_mov_b32 v[160:161], v[122:123], v[104:105] op_sel:[1,0]
	ds_write_b32 v141, v122
	ds_write2_b32 v143, v160, v161 offset0:17 offset1:18
	s_waitcnt vmcnt(32)
	v_pk_mov_b32 v[160:161], v[104:105], v[120:121] op_sel:[1,0]
	ds_write2_b32 v143, v160, v161 offset0:19 offset1:20
	s_waitcnt vmcnt(30)
	v_pk_mov_b32 v[160:161], v[120:121], v[102:103] op_sel:[1,0]
	;; [unrolled: 3-line block ×13, first 2 shown]
	ds_write2_b32 v143, v160, v161 offset0:43 offset1:44
	ds_write_b32 v143, v129 offset:180
	ds_read_b32 v159, v141
	s_waitcnt lgkmcnt(0)
	v_cmp_neq_f32_e32 vcc, 0, v159
	s_and_b64 exec, exec, vcc
	s_cbranch_execz .LBB91_90
; %bb.89:
	v_div_scale_f32 v160, s[4:5], v159, v159, 1.0
	v_rcp_f32_e32 v161, v160
	v_div_scale_f32 v162, vcc, 1.0, v159, 1.0
	v_fma_f32 v163, -v160, v161, 1.0
	v_fmac_f32_e32 v161, v163, v161
	v_mul_f32_e32 v163, v162, v161
	v_fma_f32 v164, -v160, v163, v162
	v_fmac_f32_e32 v163, v164, v161
	v_fma_f32 v160, -v160, v163, v162
	v_div_fmas_f32 v160, v160, v161, v163
	v_div_fixup_f32 v159, v160, v159, 1.0
	ds_write_b32 v141, v159
.LBB91_90:
	s_or_b64 exec, exec, s[2:3]
	s_waitcnt lgkmcnt(0)
	s_barrier
	ds_read_b32 v159, v141
	v_cmp_lt_u32_e32 vcc, 16, v139
	s_and_saveexec_b64 s[2:3], vcc
	s_cbranch_execz .LBB91_92
; %bb.91:
	ds_read_b32 v160, v143 offset:68
	s_waitcnt vmcnt(37) lgkmcnt(1)
	v_mul_f32_e32 v122, v159, v122
	s_waitcnt vmcnt(36) lgkmcnt(0)
	v_fma_f32 v123, -v122, v160, v123
	ds_read2_b64 v[160:163], v143 offset0:9 offset1:10
	s_waitcnt vmcnt(34) lgkmcnt(0)
	v_pk_fma_f32 v[104:105], v[122:123], v[160:161], v[104:105] op_sel_hi:[0,1,1] neg_lo:[1,0,0] neg_hi:[1,0,0]
	s_waitcnt vmcnt(32)
	v_pk_fma_f32 v[120:121], v[122:123], v[162:163], v[120:121] op_sel_hi:[0,1,1] neg_lo:[1,0,0] neg_hi:[1,0,0]
	ds_read2_b64 v[160:163], v143 offset0:11 offset1:12
	s_waitcnt vmcnt(30) lgkmcnt(0)
	v_pk_fma_f32 v[102:103], v[122:123], v[160:161], v[102:103] op_sel_hi:[0,1,1] neg_lo:[1,0,0] neg_hi:[1,0,0]
	s_waitcnt vmcnt(28)
	v_pk_fma_f32 v[118:119], v[122:123], v[162:163], v[118:119] op_sel_hi:[0,1,1] neg_lo:[1,0,0] neg_hi:[1,0,0]
	;; [unrolled: 5-line block ×7, first 2 shown]
.LBB91_92:
	s_or_b64 exec, exec, s[2:3]
	v_cmp_ne_u32_e32 vcc, 17, v139
	s_waitcnt lgkmcnt(0)
	s_barrier
	s_and_saveexec_b64 s[2:3], vcc
	s_xor_b64 s[2:3], exec, s[2:3]
	s_andn2_saveexec_b64 s[2:3], s[2:3]
	s_cbranch_execz .LBB91_96
; %bb.93:
	s_waitcnt vmcnt(36)
	ds_write_b32 v141, v123
	s_waitcnt vmcnt(32)
	ds_write2_b64 v143, v[104:105], v[120:121] offset0:9 offset1:10
	s_waitcnt vmcnt(28)
	ds_write2_b64 v143, v[102:103], v[118:119] offset0:11 offset1:12
	;; [unrolled: 2-line block ×7, first 2 shown]
	ds_read_b32 v160, v141
	s_waitcnt lgkmcnt(0)
	v_cmp_neq_f32_e32 vcc, 0, v160
	s_and_saveexec_b64 s[4:5], vcc
	s_cbranch_execz .LBB91_95
; %bb.94:
	v_div_scale_f32 v161, s[10:11], v160, v160, 1.0
	v_rcp_f32_e32 v162, v161
	v_div_scale_f32 v163, vcc, 1.0, v160, 1.0
	v_fma_f32 v164, -v161, v162, 1.0
	v_fmac_f32_e32 v162, v164, v162
	v_mul_f32_e32 v164, v163, v162
	v_fma_f32 v165, -v161, v164, v163
	v_fmac_f32_e32 v164, v165, v162
	v_fma_f32 v161, -v161, v164, v163
	v_div_fmas_f32 v161, v161, v162, v164
	v_div_fixup_f32 v160, v161, v160, 1.0
	ds_write_b32 v141, v160
.LBB91_95:
	s_or_b64 exec, exec, s[4:5]
.LBB91_96:
	s_or_b64 exec, exec, s[2:3]
	s_waitcnt lgkmcnt(0)
	s_barrier
	ds_read_b32 v160, v141
	v_cmp_lt_u32_e32 vcc, 17, v139
	s_and_saveexec_b64 s[2:3], vcc
	s_cbranch_execz .LBB91_98
; %bb.97:
	ds_read2_b64 v[162:165], v143 offset0:9 offset1:10
	s_waitcnt vmcnt(36) lgkmcnt(1)
	v_mul_f32_e32 v166, v160, v123
	v_mov_b32_e32 v123, v166
	s_waitcnt vmcnt(34) lgkmcnt(0)
	v_pk_fma_f32 v[104:105], v[166:167], v[162:163], v[104:105] op_sel_hi:[0,1,1] neg_lo:[1,0,0] neg_hi:[1,0,0]
	s_waitcnt vmcnt(32)
	v_pk_fma_f32 v[120:121], v[166:167], v[164:165], v[120:121] op_sel_hi:[0,1,1] neg_lo:[1,0,0] neg_hi:[1,0,0]
	ds_read2_b64 v[162:165], v143 offset0:11 offset1:12
	s_waitcnt vmcnt(30) lgkmcnt(0)
	v_pk_fma_f32 v[102:103], v[166:167], v[162:163], v[102:103] op_sel_hi:[0,1,1] neg_lo:[1,0,0] neg_hi:[1,0,0]
	s_waitcnt vmcnt(28)
	v_pk_fma_f32 v[118:119], v[166:167], v[164:165], v[118:119] op_sel_hi:[0,1,1] neg_lo:[1,0,0] neg_hi:[1,0,0]
	ds_read2_b64 v[162:165], v143 offset0:13 offset1:14
	;; [unrolled: 5-line block ×6, first 2 shown]
	s_waitcnt vmcnt(10) lgkmcnt(0)
	v_pk_fma_f32 v[92:93], v[166:167], v[162:163], v[92:93] op_sel_hi:[0,1,1] neg_lo:[1,0,0] neg_hi:[1,0,0]
	s_waitcnt vmcnt(8)
	v_pk_fma_f32 v[128:129], v[166:167], v[164:165], v[128:129] op_sel_hi:[0,1,1] neg_lo:[1,0,0] neg_hi:[1,0,0]
.LBB91_98:
	s_or_b64 exec, exec, s[2:3]
	v_cmp_eq_u32_e32 vcc, 18, v139
	s_waitcnt lgkmcnt(0)
	s_barrier
	s_and_saveexec_b64 s[2:3], vcc
	s_cbranch_execz .LBB91_101
; %bb.99:
	s_waitcnt vmcnt(32)
	v_pk_mov_b32 v[162:163], v[104:105], v[120:121] op_sel:[1,0]
	ds_write_b32 v141, v104
	ds_write2_b32 v143, v162, v163 offset0:19 offset1:20
	s_waitcnt vmcnt(30)
	v_pk_mov_b32 v[162:163], v[120:121], v[102:103] op_sel:[1,0]
	ds_write2_b32 v143, v162, v163 offset0:21 offset1:22
	s_waitcnt vmcnt(28)
	v_pk_mov_b32 v[162:163], v[102:103], v[118:119] op_sel:[1,0]
	;; [unrolled: 3-line block ×12, first 2 shown]
	ds_write2_b32 v143, v162, v163 offset0:43 offset1:44
	ds_write_b32 v143, v129 offset:180
	ds_read_b32 v161, v141
	s_waitcnt lgkmcnt(0)
	v_cmp_neq_f32_e32 vcc, 0, v161
	s_and_b64 exec, exec, vcc
	s_cbranch_execz .LBB91_101
; %bb.100:
	v_div_scale_f32 v162, s[4:5], v161, v161, 1.0
	v_rcp_f32_e32 v163, v162
	v_div_scale_f32 v164, vcc, 1.0, v161, 1.0
	v_fma_f32 v165, -v162, v163, 1.0
	v_fmac_f32_e32 v163, v165, v163
	v_mul_f32_e32 v165, v164, v163
	v_fma_f32 v166, -v162, v165, v164
	v_fmac_f32_e32 v165, v166, v163
	v_fma_f32 v162, -v162, v165, v164
	v_div_fmas_f32 v162, v162, v163, v165
	v_div_fixup_f32 v161, v162, v161, 1.0
	ds_write_b32 v141, v161
.LBB91_101:
	s_or_b64 exec, exec, s[2:3]
	s_waitcnt lgkmcnt(0)
	s_barrier
	ds_read_b32 v161, v141
	v_cmp_lt_u32_e32 vcc, 18, v139
	s_and_saveexec_b64 s[2:3], vcc
	s_cbranch_execz .LBB91_103
; %bb.102:
	ds_read_b32 v162, v143 offset:76
	s_waitcnt vmcnt(35) lgkmcnt(1)
	v_mul_f32_e32 v104, v161, v104
	s_waitcnt vmcnt(34) lgkmcnt(0)
	v_fma_f32 v105, -v104, v162, v105
	ds_read2_b64 v[162:165], v143 offset0:10 offset1:11
	s_waitcnt vmcnt(32) lgkmcnt(0)
	v_pk_fma_f32 v[120:121], v[104:105], v[162:163], v[120:121] op_sel_hi:[0,1,1] neg_lo:[1,0,0] neg_hi:[1,0,0]
	s_waitcnt vmcnt(30)
	v_pk_fma_f32 v[102:103], v[104:105], v[164:165], v[102:103] op_sel_hi:[0,1,1] neg_lo:[1,0,0] neg_hi:[1,0,0]
	ds_read2_b64 v[162:165], v143 offset0:12 offset1:13
	s_waitcnt vmcnt(28) lgkmcnt(0)
	v_pk_fma_f32 v[118:119], v[104:105], v[162:163], v[118:119] op_sel_hi:[0,1,1] neg_lo:[1,0,0] neg_hi:[1,0,0]
	s_waitcnt vmcnt(26)
	v_pk_fma_f32 v[100:101], v[104:105], v[164:165], v[100:101] op_sel_hi:[0,1,1] neg_lo:[1,0,0] neg_hi:[1,0,0]
	;; [unrolled: 5-line block ×5, first 2 shown]
	ds_read2_b64 v[162:165], v143 offset0:20 offset1:21
	s_waitcnt vmcnt(12) lgkmcnt(0)
	v_pk_fma_f32 v[110:111], v[104:105], v[162:163], v[110:111] op_sel_hi:[0,1,1] neg_lo:[1,0,0] neg_hi:[1,0,0]
	ds_read_b64 v[162:163], v143 offset:176
	s_waitcnt vmcnt(10)
	v_pk_fma_f32 v[92:93], v[104:105], v[164:165], v[92:93] op_sel_hi:[0,1,1] neg_lo:[1,0,0] neg_hi:[1,0,0]
	s_waitcnt vmcnt(8) lgkmcnt(0)
	v_pk_fma_f32 v[128:129], v[104:105], v[162:163], v[128:129] op_sel_hi:[0,1,1] neg_lo:[1,0,0] neg_hi:[1,0,0]
.LBB91_103:
	s_or_b64 exec, exec, s[2:3]
	v_cmp_ne_u32_e32 vcc, 19, v139
	s_waitcnt lgkmcnt(0)
	s_barrier
	s_and_saveexec_b64 s[2:3], vcc
	s_xor_b64 s[2:3], exec, s[2:3]
	s_andn2_saveexec_b64 s[2:3], s[2:3]
	s_cbranch_execz .LBB91_107
; %bb.104:
	s_waitcnt vmcnt(33)
	v_mov_b32_e32 v162, v120
	s_waitcnt vmcnt(32)
	v_mov_b32_e32 v163, v121
	;; [unrolled: 2-line block ×4, first 2 shown]
	ds_write_b32 v141, v105
	ds_write2_b64 v143, v[162:163], v[164:165] offset0:10 offset1:11
	s_waitcnt vmcnt(29)
	v_mov_b32_e32 v162, v118
	s_waitcnt vmcnt(28)
	v_mov_b32_e32 v163, v119
	s_waitcnt vmcnt(27)
	v_mov_b32_e32 v164, v100
	s_waitcnt vmcnt(26)
	v_mov_b32_e32 v165, v101
	ds_write2_b64 v143, v[162:163], v[164:165] offset0:12 offset1:13
	s_waitcnt vmcnt(25)
	v_mov_b32_e32 v162, v116
	s_waitcnt vmcnt(24)
	v_mov_b32_e32 v163, v117
	s_waitcnt vmcnt(23)
	v_mov_b32_e32 v164, v98
	s_waitcnt vmcnt(22)
	v_mov_b32_e32 v165, v99
	;; [unrolled: 9-line block ×5, first 2 shown]
	ds_write2_b64 v143, v[162:163], v[164:165] offset0:20 offset1:21
	s_waitcnt vmcnt(8)
	ds_write_b64 v143, v[128:129] offset:176
	ds_read_b32 v162, v141
	s_waitcnt lgkmcnt(0)
	v_cmp_neq_f32_e32 vcc, 0, v162
	s_and_saveexec_b64 s[4:5], vcc
	s_cbranch_execz .LBB91_106
; %bb.105:
	v_div_scale_f32 v163, s[10:11], v162, v162, 1.0
	v_rcp_f32_e32 v164, v163
	v_div_scale_f32 v165, vcc, 1.0, v162, 1.0
	v_fma_f32 v166, -v163, v164, 1.0
	v_fmac_f32_e32 v164, v166, v164
	v_mul_f32_e32 v166, v165, v164
	v_fma_f32 v167, -v163, v166, v165
	v_fmac_f32_e32 v166, v167, v164
	v_fma_f32 v163, -v163, v166, v165
	v_div_fmas_f32 v163, v163, v164, v166
	v_div_fixup_f32 v162, v163, v162, 1.0
	ds_write_b32 v141, v162
.LBB91_106:
	s_or_b64 exec, exec, s[4:5]
.LBB91_107:
	s_or_b64 exec, exec, s[2:3]
	s_waitcnt lgkmcnt(0)
	s_barrier
	ds_read_b32 v162, v141
	v_cmp_lt_u32_e32 vcc, 19, v139
	s_and_saveexec_b64 s[2:3], vcc
	s_cbranch_execz .LBB91_109
; %bb.108:
	ds_read2_b64 v[164:167], v143 offset0:10 offset1:11
	s_waitcnt vmcnt(34) lgkmcnt(1)
	v_mul_f32_e32 v168, v162, v105
	v_mov_b32_e32 v105, v168
	s_waitcnt vmcnt(32) lgkmcnt(0)
	v_pk_fma_f32 v[120:121], v[168:169], v[164:165], v[120:121] op_sel_hi:[0,1,1] neg_lo:[1,0,0] neg_hi:[1,0,0]
	s_waitcnt vmcnt(30)
	v_pk_fma_f32 v[102:103], v[168:169], v[166:167], v[102:103] op_sel_hi:[0,1,1] neg_lo:[1,0,0] neg_hi:[1,0,0]
	ds_read2_b64 v[164:167], v143 offset0:12 offset1:13
	s_waitcnt vmcnt(28) lgkmcnt(0)
	v_pk_fma_f32 v[118:119], v[168:169], v[164:165], v[118:119] op_sel_hi:[0,1,1] neg_lo:[1,0,0] neg_hi:[1,0,0]
	s_waitcnt vmcnt(26)
	v_pk_fma_f32 v[100:101], v[168:169], v[166:167], v[100:101] op_sel_hi:[0,1,1] neg_lo:[1,0,0] neg_hi:[1,0,0]
	ds_read2_b64 v[164:167], v143 offset0:14 offset1:15
	;; [unrolled: 5-line block ×5, first 2 shown]
	s_waitcnt vmcnt(12) lgkmcnt(0)
	v_pk_fma_f32 v[110:111], v[168:169], v[164:165], v[110:111] op_sel_hi:[0,1,1] neg_lo:[1,0,0] neg_hi:[1,0,0]
	ds_read_b64 v[164:165], v143 offset:176
	s_waitcnt vmcnt(10)
	v_pk_fma_f32 v[92:93], v[168:169], v[166:167], v[92:93] op_sel_hi:[0,1,1] neg_lo:[1,0,0] neg_hi:[1,0,0]
	s_waitcnt vmcnt(8) lgkmcnt(0)
	v_pk_fma_f32 v[128:129], v[168:169], v[164:165], v[128:129] op_sel_hi:[0,1,1] neg_lo:[1,0,0] neg_hi:[1,0,0]
.LBB91_109:
	s_or_b64 exec, exec, s[2:3]
	v_cmp_eq_u32_e32 vcc, 20, v139
	s_waitcnt lgkmcnt(0)
	s_barrier
	s_and_saveexec_b64 s[2:3], vcc
	s_cbranch_execz .LBB91_112
; %bb.110:
	s_waitcnt vmcnt(30)
	v_pk_mov_b32 v[164:165], v[120:121], v[102:103] op_sel:[1,0]
	ds_write_b32 v141, v120
	ds_write2_b32 v143, v164, v165 offset0:21 offset1:22
	s_waitcnt vmcnt(28)
	v_pk_mov_b32 v[164:165], v[102:103], v[118:119] op_sel:[1,0]
	ds_write2_b32 v143, v164, v165 offset0:23 offset1:24
	s_waitcnt vmcnt(26)
	v_pk_mov_b32 v[164:165], v[118:119], v[100:101] op_sel:[1,0]
	;; [unrolled: 3-line block ×11, first 2 shown]
	ds_write2_b32 v143, v164, v165 offset0:43 offset1:44
	ds_write_b32 v143, v129 offset:180
	ds_read_b32 v163, v141
	s_waitcnt lgkmcnt(0)
	v_cmp_neq_f32_e32 vcc, 0, v163
	s_and_b64 exec, exec, vcc
	s_cbranch_execz .LBB91_112
; %bb.111:
	v_div_scale_f32 v164, s[4:5], v163, v163, 1.0
	v_rcp_f32_e32 v165, v164
	v_div_scale_f32 v166, vcc, 1.0, v163, 1.0
	v_fma_f32 v167, -v164, v165, 1.0
	v_fmac_f32_e32 v165, v167, v165
	v_mul_f32_e32 v167, v166, v165
	v_fma_f32 v168, -v164, v167, v166
	v_fmac_f32_e32 v167, v168, v165
	v_fma_f32 v164, -v164, v167, v166
	v_div_fmas_f32 v164, v164, v165, v167
	v_div_fixup_f32 v163, v164, v163, 1.0
	ds_write_b32 v141, v163
.LBB91_112:
	s_or_b64 exec, exec, s[2:3]
	s_waitcnt lgkmcnt(0)
	s_barrier
	ds_read_b32 v163, v141
	v_cmp_lt_u32_e32 vcc, 20, v139
	s_and_saveexec_b64 s[2:3], vcc
	s_cbranch_execz .LBB91_114
; %bb.113:
	ds_read_b32 v176, v143 offset:84
	ds_read2_b64 v[164:167], v143 offset0:11 offset1:12
	ds_read2_b64 v[168:171], v143 offset0:13 offset1:14
	;; [unrolled: 1-line block ×3, first 2 shown]
	s_waitcnt vmcnt(33) lgkmcnt(4)
	v_mul_f32_e32 v120, v163, v120
	s_waitcnt vmcnt(32) lgkmcnt(3)
	v_fma_f32 v121, -v120, v176, v121
	s_waitcnt vmcnt(30) lgkmcnt(2)
	v_pk_fma_f32 v[102:103], v[120:121], v[164:165], v[102:103] op_sel_hi:[0,1,1] neg_lo:[1,0,0] neg_hi:[1,0,0]
	s_waitcnt vmcnt(28)
	v_pk_fma_f32 v[118:119], v[120:121], v[166:167], v[118:119] op_sel_hi:[0,1,1] neg_lo:[1,0,0] neg_hi:[1,0,0]
	s_waitcnt vmcnt(26) lgkmcnt(1)
	v_pk_fma_f32 v[100:101], v[120:121], v[168:169], v[100:101] op_sel_hi:[0,1,1] neg_lo:[1,0,0] neg_hi:[1,0,0]
	s_waitcnt vmcnt(24)
	v_pk_fma_f32 v[116:117], v[120:121], v[170:171], v[116:117] op_sel_hi:[0,1,1] neg_lo:[1,0,0] neg_hi:[1,0,0]
	ds_read2_b64 v[164:167], v143 offset0:17 offset1:18
	ds_read2_b64 v[168:171], v143 offset0:19 offset1:20
	s_waitcnt vmcnt(22) lgkmcnt(2)
	v_pk_fma_f32 v[98:99], v[120:121], v[172:173], v[98:99] op_sel_hi:[0,1,1] neg_lo:[1,0,0] neg_hi:[1,0,0]
	s_waitcnt vmcnt(20)
	v_pk_fma_f32 v[114:115], v[120:121], v[174:175], v[114:115] op_sel_hi:[0,1,1] neg_lo:[1,0,0] neg_hi:[1,0,0]
	ds_read2_b64 v[172:175], v143 offset0:21 offset1:22
	s_waitcnt vmcnt(18) lgkmcnt(2)
	v_pk_fma_f32 v[96:97], v[120:121], v[164:165], v[96:97] op_sel_hi:[0,1,1] neg_lo:[1,0,0] neg_hi:[1,0,0]
	s_waitcnt vmcnt(16)
	v_pk_fma_f32 v[112:113], v[120:121], v[166:167], v[112:113] op_sel_hi:[0,1,1] neg_lo:[1,0,0] neg_hi:[1,0,0]
	s_waitcnt vmcnt(14) lgkmcnt(1)
	v_pk_fma_f32 v[94:95], v[120:121], v[168:169], v[94:95] op_sel_hi:[0,1,1] neg_lo:[1,0,0] neg_hi:[1,0,0]
	s_waitcnt vmcnt(12)
	v_pk_fma_f32 v[110:111], v[120:121], v[170:171], v[110:111] op_sel_hi:[0,1,1] neg_lo:[1,0,0] neg_hi:[1,0,0]
	;; [unrolled: 4-line block ×3, first 2 shown]
.LBB91_114:
	s_or_b64 exec, exec, s[2:3]
	v_cmp_ne_u32_e32 vcc, 21, v139
	s_waitcnt lgkmcnt(0)
	s_barrier
	s_and_saveexec_b64 s[2:3], vcc
	s_xor_b64 s[2:3], exec, s[2:3]
	s_andn2_saveexec_b64 s[2:3], s[2:3]
	s_cbranch_execz .LBB91_118
; %bb.115:
	s_waitcnt vmcnt(32)
	ds_write_b32 v141, v121
	s_waitcnt vmcnt(28)
	ds_write2_b64 v143, v[102:103], v[118:119] offset0:11 offset1:12
	s_waitcnt vmcnt(24)
	ds_write2_b64 v143, v[100:101], v[116:117] offset0:13 offset1:14
	s_waitcnt vmcnt(20)
	ds_write2_b64 v143, v[98:99], v[114:115] offset0:15 offset1:16
	s_waitcnt vmcnt(16)
	ds_write2_b64 v143, v[96:97], v[112:113] offset0:17 offset1:18
	s_waitcnt vmcnt(12)
	ds_write2_b64 v143, v[94:95], v[110:111] offset0:19 offset1:20
	s_waitcnt vmcnt(8)
	ds_write2_b64 v143, v[92:93], v[128:129] offset0:21 offset1:22
	ds_read_b32 v164, v141
	s_waitcnt lgkmcnt(0)
	v_cmp_neq_f32_e32 vcc, 0, v164
	s_and_saveexec_b64 s[4:5], vcc
	s_cbranch_execz .LBB91_117
; %bb.116:
	v_div_scale_f32 v165, s[10:11], v164, v164, 1.0
	v_rcp_f32_e32 v166, v165
	v_div_scale_f32 v167, vcc, 1.0, v164, 1.0
	v_fma_f32 v168, -v165, v166, 1.0
	v_fmac_f32_e32 v166, v168, v166
	v_mul_f32_e32 v168, v167, v166
	v_fma_f32 v169, -v165, v168, v167
	v_fmac_f32_e32 v168, v169, v166
	v_fma_f32 v165, -v165, v168, v167
	v_div_fmas_f32 v165, v165, v166, v168
	v_div_fixup_f32 v164, v165, v164, 1.0
	ds_write_b32 v141, v164
.LBB91_117:
	s_or_b64 exec, exec, s[4:5]
.LBB91_118:
	s_or_b64 exec, exec, s[2:3]
	s_waitcnt lgkmcnt(0)
	s_barrier
	ds_read_b32 v164, v141
	v_cmp_lt_u32_e32 vcc, 21, v139
	s_and_saveexec_b64 s[2:3], vcc
	s_cbranch_execz .LBB91_120
; %bb.119:
	ds_read2_b64 v[166:169], v143 offset0:11 offset1:12
	ds_read2_b64 v[170:173], v143 offset0:13 offset1:14
	;; [unrolled: 1-line block ×3, first 2 shown]
	s_waitcnt vmcnt(32) lgkmcnt(3)
	v_mul_f32_e32 v178, v164, v121
	v_mov_b32_e32 v121, v178
	s_waitcnt vmcnt(30) lgkmcnt(2)
	v_pk_fma_f32 v[102:103], v[178:179], v[166:167], v[102:103] op_sel_hi:[0,1,1] neg_lo:[1,0,0] neg_hi:[1,0,0]
	s_waitcnt vmcnt(28)
	v_pk_fma_f32 v[118:119], v[178:179], v[168:169], v[118:119] op_sel_hi:[0,1,1] neg_lo:[1,0,0] neg_hi:[1,0,0]
	s_waitcnt vmcnt(26) lgkmcnt(1)
	v_pk_fma_f32 v[100:101], v[178:179], v[170:171], v[100:101] op_sel_hi:[0,1,1] neg_lo:[1,0,0] neg_hi:[1,0,0]
	s_waitcnt vmcnt(24)
	v_pk_fma_f32 v[116:117], v[178:179], v[172:173], v[116:117] op_sel_hi:[0,1,1] neg_lo:[1,0,0] neg_hi:[1,0,0]
	ds_read2_b64 v[166:169], v143 offset0:17 offset1:18
	s_waitcnt vmcnt(22) lgkmcnt(1)
	v_pk_fma_f32 v[98:99], v[178:179], v[174:175], v[98:99] op_sel_hi:[0,1,1] neg_lo:[1,0,0] neg_hi:[1,0,0]
	ds_read2_b64 v[170:173], v143 offset0:19 offset1:20
	s_waitcnt vmcnt(20)
	v_pk_fma_f32 v[114:115], v[178:179], v[176:177], v[114:115] op_sel_hi:[0,1,1] neg_lo:[1,0,0] neg_hi:[1,0,0]
	ds_read2_b64 v[174:177], v143 offset0:21 offset1:22
	s_waitcnt vmcnt(18) lgkmcnt(2)
	v_pk_fma_f32 v[96:97], v[178:179], v[166:167], v[96:97] op_sel_hi:[0,1,1] neg_lo:[1,0,0] neg_hi:[1,0,0]
	s_waitcnt vmcnt(16)
	v_pk_fma_f32 v[112:113], v[178:179], v[168:169], v[112:113] op_sel_hi:[0,1,1] neg_lo:[1,0,0] neg_hi:[1,0,0]
	s_waitcnt vmcnt(14) lgkmcnt(1)
	v_pk_fma_f32 v[94:95], v[178:179], v[170:171], v[94:95] op_sel_hi:[0,1,1] neg_lo:[1,0,0] neg_hi:[1,0,0]
	s_waitcnt vmcnt(12)
	v_pk_fma_f32 v[110:111], v[178:179], v[172:173], v[110:111] op_sel_hi:[0,1,1] neg_lo:[1,0,0] neg_hi:[1,0,0]
	;; [unrolled: 4-line block ×3, first 2 shown]
.LBB91_120:
	s_or_b64 exec, exec, s[2:3]
	v_cmp_eq_u32_e32 vcc, 22, v139
	s_waitcnt lgkmcnt(0)
	s_barrier
	s_and_saveexec_b64 s[2:3], vcc
	s_cbranch_execz .LBB91_123
; %bb.121:
	s_waitcnt vmcnt(28)
	v_pk_mov_b32 v[166:167], v[102:103], v[118:119] op_sel:[1,0]
	ds_write_b32 v141, v102
	ds_write2_b32 v143, v166, v167 offset0:23 offset1:24
	s_waitcnt vmcnt(26)
	v_pk_mov_b32 v[166:167], v[118:119], v[100:101] op_sel:[1,0]
	ds_write2_b32 v143, v166, v167 offset0:25 offset1:26
	s_waitcnt vmcnt(24)
	v_pk_mov_b32 v[166:167], v[100:101], v[116:117] op_sel:[1,0]
	;; [unrolled: 3-line block ×10, first 2 shown]
	ds_write2_b32 v143, v166, v167 offset0:43 offset1:44
	ds_write_b32 v143, v129 offset:180
	ds_read_b32 v165, v141
	s_waitcnt lgkmcnt(0)
	v_cmp_neq_f32_e32 vcc, 0, v165
	s_and_b64 exec, exec, vcc
	s_cbranch_execz .LBB91_123
; %bb.122:
	v_div_scale_f32 v166, s[4:5], v165, v165, 1.0
	v_rcp_f32_e32 v167, v166
	v_div_scale_f32 v168, vcc, 1.0, v165, 1.0
	v_fma_f32 v169, -v166, v167, 1.0
	v_fmac_f32_e32 v167, v169, v167
	v_mul_f32_e32 v169, v168, v167
	v_fma_f32 v170, -v166, v169, v168
	v_fmac_f32_e32 v169, v170, v167
	v_fma_f32 v166, -v166, v169, v168
	v_div_fmas_f32 v166, v166, v167, v169
	v_div_fixup_f32 v165, v166, v165, 1.0
	ds_write_b32 v141, v165
.LBB91_123:
	s_or_b64 exec, exec, s[2:3]
	s_waitcnt lgkmcnt(0)
	s_barrier
	ds_read_b32 v165, v141
	v_cmp_lt_u32_e32 vcc, 22, v139
	s_and_saveexec_b64 s[2:3], vcc
	s_cbranch_execz .LBB91_125
; %bb.124:
	ds_read_b32 v178, v143 offset:92
	ds_read2_b64 v[166:169], v143 offset0:12 offset1:13
	ds_read2_b64 v[170:173], v143 offset0:14 offset1:15
	;; [unrolled: 1-line block ×3, first 2 shown]
	s_waitcnt vmcnt(31) lgkmcnt(4)
	v_mul_f32_e32 v102, v165, v102
	s_waitcnt vmcnt(30) lgkmcnt(3)
	v_fma_f32 v103, -v102, v178, v103
	s_waitcnt vmcnt(28) lgkmcnt(2)
	v_pk_fma_f32 v[118:119], v[102:103], v[166:167], v[118:119] op_sel_hi:[0,1,1] neg_lo:[1,0,0] neg_hi:[1,0,0]
	s_waitcnt vmcnt(26)
	v_pk_fma_f32 v[100:101], v[102:103], v[168:169], v[100:101] op_sel_hi:[0,1,1] neg_lo:[1,0,0] neg_hi:[1,0,0]
	s_waitcnt vmcnt(24) lgkmcnt(1)
	v_pk_fma_f32 v[116:117], v[102:103], v[170:171], v[116:117] op_sel_hi:[0,1,1] neg_lo:[1,0,0] neg_hi:[1,0,0]
	s_waitcnt vmcnt(22)
	v_pk_fma_f32 v[98:99], v[102:103], v[172:173], v[98:99] op_sel_hi:[0,1,1] neg_lo:[1,0,0] neg_hi:[1,0,0]
	ds_read2_b64 v[166:169], v143 offset0:18 offset1:19
	ds_read2_b64 v[170:173], v143 offset0:20 offset1:21
	s_waitcnt vmcnt(20) lgkmcnt(2)
	v_pk_fma_f32 v[114:115], v[102:103], v[174:175], v[114:115] op_sel_hi:[0,1,1] neg_lo:[1,0,0] neg_hi:[1,0,0]
	ds_read_b64 v[174:175], v143 offset:176
	s_waitcnt vmcnt(18)
	v_pk_fma_f32 v[96:97], v[102:103], v[176:177], v[96:97] op_sel_hi:[0,1,1] neg_lo:[1,0,0] neg_hi:[1,0,0]
	s_waitcnt vmcnt(16) lgkmcnt(2)
	v_pk_fma_f32 v[112:113], v[102:103], v[166:167], v[112:113] op_sel_hi:[0,1,1] neg_lo:[1,0,0] neg_hi:[1,0,0]
	s_waitcnt vmcnt(14)
	v_pk_fma_f32 v[94:95], v[102:103], v[168:169], v[94:95] op_sel_hi:[0,1,1] neg_lo:[1,0,0] neg_hi:[1,0,0]
	s_waitcnt vmcnt(12) lgkmcnt(1)
	v_pk_fma_f32 v[110:111], v[102:103], v[170:171], v[110:111] op_sel_hi:[0,1,1] neg_lo:[1,0,0] neg_hi:[1,0,0]
	;; [unrolled: 4-line block ×3, first 2 shown]
.LBB91_125:
	s_or_b64 exec, exec, s[2:3]
	v_cmp_ne_u32_e32 vcc, 23, v139
	s_waitcnt lgkmcnt(0)
	s_barrier
	s_and_saveexec_b64 s[2:3], vcc
	s_xor_b64 s[2:3], exec, s[2:3]
	s_andn2_saveexec_b64 s[2:3], s[2:3]
	s_cbranch_execz .LBB91_129
; %bb.126:
	s_waitcnt vmcnt(29)
	v_mov_b32_e32 v166, v118
	s_waitcnt vmcnt(28)
	v_mov_b32_e32 v167, v119
	;; [unrolled: 2-line block ×4, first 2 shown]
	ds_write_b32 v141, v103
	ds_write2_b64 v143, v[166:167], v[168:169] offset0:12 offset1:13
	s_waitcnt vmcnt(25)
	v_mov_b32_e32 v166, v116
	s_waitcnt vmcnt(24)
	v_mov_b32_e32 v167, v117
	s_waitcnt vmcnt(23)
	v_mov_b32_e32 v168, v98
	s_waitcnt vmcnt(22)
	v_mov_b32_e32 v169, v99
	ds_write2_b64 v143, v[166:167], v[168:169] offset0:14 offset1:15
	s_waitcnt vmcnt(21)
	v_mov_b32_e32 v166, v114
	s_waitcnt vmcnt(20)
	v_mov_b32_e32 v167, v115
	s_waitcnt vmcnt(19)
	v_mov_b32_e32 v168, v96
	s_waitcnt vmcnt(18)
	v_mov_b32_e32 v169, v97
	;; [unrolled: 9-line block ×4, first 2 shown]
	ds_write2_b64 v143, v[166:167], v[168:169] offset0:20 offset1:21
	s_waitcnt vmcnt(8)
	ds_write_b64 v143, v[128:129] offset:176
	ds_read_b32 v166, v141
	s_waitcnt lgkmcnt(0)
	v_cmp_neq_f32_e32 vcc, 0, v166
	s_and_saveexec_b64 s[4:5], vcc
	s_cbranch_execz .LBB91_128
; %bb.127:
	v_div_scale_f32 v167, s[10:11], v166, v166, 1.0
	v_rcp_f32_e32 v168, v167
	v_div_scale_f32 v169, vcc, 1.0, v166, 1.0
	v_fma_f32 v170, -v167, v168, 1.0
	v_fmac_f32_e32 v168, v170, v168
	v_mul_f32_e32 v170, v169, v168
	v_fma_f32 v171, -v167, v170, v169
	v_fmac_f32_e32 v170, v171, v168
	v_fma_f32 v167, -v167, v170, v169
	v_div_fmas_f32 v167, v167, v168, v170
	v_div_fixup_f32 v166, v167, v166, 1.0
	ds_write_b32 v141, v166
.LBB91_128:
	s_or_b64 exec, exec, s[4:5]
.LBB91_129:
	s_or_b64 exec, exec, s[2:3]
	s_waitcnt lgkmcnt(0)
	s_barrier
	ds_read_b32 v166, v141
	v_cmp_lt_u32_e32 vcc, 23, v139
	s_and_saveexec_b64 s[2:3], vcc
	s_cbranch_execz .LBB91_131
; %bb.130:
	ds_read2_b64 v[168:171], v143 offset0:12 offset1:13
	ds_read2_b64 v[172:175], v143 offset0:14 offset1:15
	;; [unrolled: 1-line block ×3, first 2 shown]
	s_waitcnt vmcnt(30) lgkmcnt(3)
	v_mul_f32_e32 v180, v166, v103
	v_mov_b32_e32 v103, v180
	s_waitcnt vmcnt(28) lgkmcnt(2)
	v_pk_fma_f32 v[118:119], v[180:181], v[168:169], v[118:119] op_sel_hi:[0,1,1] neg_lo:[1,0,0] neg_hi:[1,0,0]
	s_waitcnt vmcnt(26)
	v_pk_fma_f32 v[100:101], v[180:181], v[170:171], v[100:101] op_sel_hi:[0,1,1] neg_lo:[1,0,0] neg_hi:[1,0,0]
	s_waitcnt vmcnt(24) lgkmcnt(1)
	v_pk_fma_f32 v[116:117], v[180:181], v[172:173], v[116:117] op_sel_hi:[0,1,1] neg_lo:[1,0,0] neg_hi:[1,0,0]
	s_waitcnt vmcnt(22)
	v_pk_fma_f32 v[98:99], v[180:181], v[174:175], v[98:99] op_sel_hi:[0,1,1] neg_lo:[1,0,0] neg_hi:[1,0,0]
	ds_read2_b64 v[168:171], v143 offset0:18 offset1:19
	s_waitcnt vmcnt(20) lgkmcnt(1)
	v_pk_fma_f32 v[114:115], v[180:181], v[176:177], v[114:115] op_sel_hi:[0,1,1] neg_lo:[1,0,0] neg_hi:[1,0,0]
	ds_read2_b64 v[172:175], v143 offset0:20 offset1:21
	ds_read_b64 v[176:177], v143 offset:176
	s_waitcnt vmcnt(18)
	v_pk_fma_f32 v[96:97], v[180:181], v[178:179], v[96:97] op_sel_hi:[0,1,1] neg_lo:[1,0,0] neg_hi:[1,0,0]
	s_waitcnt vmcnt(16) lgkmcnt(2)
	v_pk_fma_f32 v[112:113], v[180:181], v[168:169], v[112:113] op_sel_hi:[0,1,1] neg_lo:[1,0,0] neg_hi:[1,0,0]
	s_waitcnt vmcnt(14)
	v_pk_fma_f32 v[94:95], v[180:181], v[170:171], v[94:95] op_sel_hi:[0,1,1] neg_lo:[1,0,0] neg_hi:[1,0,0]
	s_waitcnt vmcnt(12) lgkmcnt(1)
	v_pk_fma_f32 v[110:111], v[180:181], v[172:173], v[110:111] op_sel_hi:[0,1,1] neg_lo:[1,0,0] neg_hi:[1,0,0]
	s_waitcnt vmcnt(10)
	v_pk_fma_f32 v[92:93], v[180:181], v[174:175], v[92:93] op_sel_hi:[0,1,1] neg_lo:[1,0,0] neg_hi:[1,0,0]
	s_waitcnt vmcnt(8) lgkmcnt(0)
	v_pk_fma_f32 v[128:129], v[180:181], v[176:177], v[128:129] op_sel_hi:[0,1,1] neg_lo:[1,0,0] neg_hi:[1,0,0]
.LBB91_131:
	s_or_b64 exec, exec, s[2:3]
	v_cmp_eq_u32_e32 vcc, 24, v139
	s_waitcnt lgkmcnt(0)
	s_barrier
	s_and_saveexec_b64 s[2:3], vcc
	s_cbranch_execz .LBB91_134
; %bb.132:
	s_waitcnt vmcnt(26)
	v_pk_mov_b32 v[168:169], v[118:119], v[100:101] op_sel:[1,0]
	ds_write_b32 v141, v118
	ds_write2_b32 v143, v168, v169 offset0:25 offset1:26
	s_waitcnt vmcnt(24)
	v_pk_mov_b32 v[168:169], v[100:101], v[116:117] op_sel:[1,0]
	ds_write2_b32 v143, v168, v169 offset0:27 offset1:28
	s_waitcnt vmcnt(22)
	v_pk_mov_b32 v[168:169], v[116:117], v[98:99] op_sel:[1,0]
	;; [unrolled: 3-line block ×9, first 2 shown]
	ds_write2_b32 v143, v168, v169 offset0:43 offset1:44
	ds_write_b32 v143, v129 offset:180
	ds_read_b32 v167, v141
	s_waitcnt lgkmcnt(0)
	v_cmp_neq_f32_e32 vcc, 0, v167
	s_and_b64 exec, exec, vcc
	s_cbranch_execz .LBB91_134
; %bb.133:
	v_div_scale_f32 v168, s[4:5], v167, v167, 1.0
	v_rcp_f32_e32 v169, v168
	v_div_scale_f32 v170, vcc, 1.0, v167, 1.0
	v_fma_f32 v171, -v168, v169, 1.0
	v_fmac_f32_e32 v169, v171, v169
	v_mul_f32_e32 v171, v170, v169
	v_fma_f32 v172, -v168, v171, v170
	v_fmac_f32_e32 v171, v172, v169
	v_fma_f32 v168, -v168, v171, v170
	v_div_fmas_f32 v168, v168, v169, v171
	v_div_fixup_f32 v167, v168, v167, 1.0
	ds_write_b32 v141, v167
.LBB91_134:
	s_or_b64 exec, exec, s[2:3]
	s_waitcnt lgkmcnt(0)
	s_barrier
	ds_read_b32 v167, v141
	v_cmp_lt_u32_e32 vcc, 24, v139
	s_and_saveexec_b64 s[2:3], vcc
	s_cbranch_execz .LBB91_136
; %bb.135:
	ds_read_b32 v176, v143 offset:100
	ds_read2_b64 v[168:171], v143 offset0:13 offset1:14
	ds_read2_b64 v[172:175], v143 offset0:15 offset1:16
	s_waitcnt vmcnt(29) lgkmcnt(3)
	v_mul_f32_e32 v118, v167, v118
	s_waitcnt vmcnt(28) lgkmcnt(2)
	v_fma_f32 v119, -v118, v176, v119
	s_waitcnt vmcnt(26) lgkmcnt(1)
	v_pk_fma_f32 v[100:101], v[118:119], v[168:169], v[100:101] op_sel_hi:[0,1,1] neg_lo:[1,0,0] neg_hi:[1,0,0]
	s_waitcnt vmcnt(24)
	v_pk_fma_f32 v[116:117], v[118:119], v[170:171], v[116:117] op_sel_hi:[0,1,1] neg_lo:[1,0,0] neg_hi:[1,0,0]
	ds_read2_b64 v[168:171], v143 offset0:17 offset1:18
	s_waitcnt vmcnt(22) lgkmcnt(1)
	v_pk_fma_f32 v[98:99], v[118:119], v[172:173], v[98:99] op_sel_hi:[0,1,1] neg_lo:[1,0,0] neg_hi:[1,0,0]
	ds_read2_b64 v[176:179], v143 offset0:19 offset1:20
	s_waitcnt vmcnt(20)
	v_pk_fma_f32 v[114:115], v[118:119], v[174:175], v[114:115] op_sel_hi:[0,1,1] neg_lo:[1,0,0] neg_hi:[1,0,0]
	ds_read2_b64 v[172:175], v143 offset0:21 offset1:22
	s_waitcnt vmcnt(18) lgkmcnt(2)
	v_pk_fma_f32 v[96:97], v[118:119], v[168:169], v[96:97] op_sel_hi:[0,1,1] neg_lo:[1,0,0] neg_hi:[1,0,0]
	s_waitcnt vmcnt(16)
	v_pk_fma_f32 v[112:113], v[118:119], v[170:171], v[112:113] op_sel_hi:[0,1,1] neg_lo:[1,0,0] neg_hi:[1,0,0]
	s_waitcnt vmcnt(14) lgkmcnt(1)
	v_pk_fma_f32 v[94:95], v[118:119], v[176:177], v[94:95] op_sel_hi:[0,1,1] neg_lo:[1,0,0] neg_hi:[1,0,0]
	s_waitcnt vmcnt(12)
	v_pk_fma_f32 v[110:111], v[118:119], v[178:179], v[110:111] op_sel_hi:[0,1,1] neg_lo:[1,0,0] neg_hi:[1,0,0]
	;; [unrolled: 4-line block ×3, first 2 shown]
.LBB91_136:
	s_or_b64 exec, exec, s[2:3]
	v_cmp_ne_u32_e32 vcc, 25, v139
	s_waitcnt lgkmcnt(0)
	s_barrier
	s_and_saveexec_b64 s[2:3], vcc
	s_xor_b64 s[2:3], exec, s[2:3]
	s_andn2_saveexec_b64 s[2:3], s[2:3]
	s_cbranch_execz .LBB91_140
; %bb.137:
	s_waitcnt vmcnt(28)
	ds_write_b32 v141, v119
	s_waitcnt vmcnt(24)
	ds_write2_b64 v143, v[100:101], v[116:117] offset0:13 offset1:14
	s_waitcnt vmcnt(20)
	ds_write2_b64 v143, v[98:99], v[114:115] offset0:15 offset1:16
	;; [unrolled: 2-line block ×5, first 2 shown]
	ds_read_b32 v168, v141
	s_waitcnt lgkmcnt(0)
	v_cmp_neq_f32_e32 vcc, 0, v168
	s_and_saveexec_b64 s[4:5], vcc
	s_cbranch_execz .LBB91_139
; %bb.138:
	v_div_scale_f32 v169, s[10:11], v168, v168, 1.0
	v_rcp_f32_e32 v170, v169
	v_div_scale_f32 v171, vcc, 1.0, v168, 1.0
	v_fma_f32 v172, -v169, v170, 1.0
	v_fmac_f32_e32 v170, v172, v170
	v_mul_f32_e32 v172, v171, v170
	v_fma_f32 v173, -v169, v172, v171
	v_fmac_f32_e32 v172, v173, v170
	v_fma_f32 v169, -v169, v172, v171
	v_div_fmas_f32 v169, v169, v170, v172
	v_div_fixup_f32 v168, v169, v168, 1.0
	ds_write_b32 v141, v168
.LBB91_139:
	s_or_b64 exec, exec, s[4:5]
.LBB91_140:
	s_or_b64 exec, exec, s[2:3]
	s_waitcnt lgkmcnt(0)
	s_barrier
	ds_read_b32 v168, v141
	v_cmp_lt_u32_e32 vcc, 25, v139
	s_and_saveexec_b64 s[2:3], vcc
	s_cbranch_execz .LBB91_142
; %bb.141:
	ds_read2_b64 v[170:173], v143 offset0:13 offset1:14
	ds_read2_b64 v[174:177], v143 offset0:15 offset1:16
	s_waitcnt vmcnt(28) lgkmcnt(2)
	v_mul_f32_e32 v182, v168, v119
	ds_read2_b64 v[178:181], v143 offset0:17 offset1:18
	v_mov_b32_e32 v119, v182
	s_waitcnt vmcnt(26) lgkmcnt(2)
	v_pk_fma_f32 v[100:101], v[182:183], v[170:171], v[100:101] op_sel_hi:[0,1,1] neg_lo:[1,0,0] neg_hi:[1,0,0]
	s_waitcnt vmcnt(24)
	v_pk_fma_f32 v[116:117], v[182:183], v[172:173], v[116:117] op_sel_hi:[0,1,1] neg_lo:[1,0,0] neg_hi:[1,0,0]
	s_waitcnt vmcnt(22) lgkmcnt(1)
	v_pk_fma_f32 v[98:99], v[182:183], v[174:175], v[98:99] op_sel_hi:[0,1,1] neg_lo:[1,0,0] neg_hi:[1,0,0]
	ds_read2_b64 v[170:173], v143 offset0:19 offset1:20
	s_waitcnt vmcnt(20)
	v_pk_fma_f32 v[114:115], v[182:183], v[176:177], v[114:115] op_sel_hi:[0,1,1] neg_lo:[1,0,0] neg_hi:[1,0,0]
	ds_read2_b64 v[174:177], v143 offset0:21 offset1:22
	s_waitcnt vmcnt(18) lgkmcnt(2)
	v_pk_fma_f32 v[96:97], v[182:183], v[178:179], v[96:97] op_sel_hi:[0,1,1] neg_lo:[1,0,0] neg_hi:[1,0,0]
	s_waitcnt vmcnt(16)
	v_pk_fma_f32 v[112:113], v[182:183], v[180:181], v[112:113] op_sel_hi:[0,1,1] neg_lo:[1,0,0] neg_hi:[1,0,0]
	s_waitcnt vmcnt(14) lgkmcnt(1)
	v_pk_fma_f32 v[94:95], v[182:183], v[170:171], v[94:95] op_sel_hi:[0,1,1] neg_lo:[1,0,0] neg_hi:[1,0,0]
	s_waitcnt vmcnt(12)
	v_pk_fma_f32 v[110:111], v[182:183], v[172:173], v[110:111] op_sel_hi:[0,1,1] neg_lo:[1,0,0] neg_hi:[1,0,0]
	;; [unrolled: 4-line block ×3, first 2 shown]
.LBB91_142:
	s_or_b64 exec, exec, s[2:3]
	v_cmp_eq_u32_e32 vcc, 26, v139
	s_waitcnt lgkmcnt(0)
	s_barrier
	s_and_saveexec_b64 s[2:3], vcc
	s_cbranch_execz .LBB91_145
; %bb.143:
	s_waitcnt vmcnt(24)
	v_pk_mov_b32 v[170:171], v[100:101], v[116:117] op_sel:[1,0]
	ds_write_b32 v141, v100
	ds_write2_b32 v143, v170, v171 offset0:27 offset1:28
	s_waitcnt vmcnt(22)
	v_pk_mov_b32 v[170:171], v[116:117], v[98:99] op_sel:[1,0]
	ds_write2_b32 v143, v170, v171 offset0:29 offset1:30
	s_waitcnt vmcnt(20)
	v_pk_mov_b32 v[170:171], v[98:99], v[114:115] op_sel:[1,0]
	;; [unrolled: 3-line block ×8, first 2 shown]
	ds_write2_b32 v143, v170, v171 offset0:43 offset1:44
	ds_write_b32 v143, v129 offset:180
	ds_read_b32 v169, v141
	s_waitcnt lgkmcnt(0)
	v_cmp_neq_f32_e32 vcc, 0, v169
	s_and_b64 exec, exec, vcc
	s_cbranch_execz .LBB91_145
; %bb.144:
	v_div_scale_f32 v170, s[4:5], v169, v169, 1.0
	v_rcp_f32_e32 v171, v170
	v_div_scale_f32 v172, vcc, 1.0, v169, 1.0
	v_fma_f32 v173, -v170, v171, 1.0
	v_fmac_f32_e32 v171, v173, v171
	v_mul_f32_e32 v173, v172, v171
	v_fma_f32 v174, -v170, v173, v172
	v_fmac_f32_e32 v173, v174, v171
	v_fma_f32 v170, -v170, v173, v172
	v_div_fmas_f32 v170, v170, v171, v173
	v_div_fixup_f32 v169, v170, v169, 1.0
	ds_write_b32 v141, v169
.LBB91_145:
	s_or_b64 exec, exec, s[2:3]
	s_waitcnt lgkmcnt(0)
	s_barrier
	ds_read_b32 v169, v141
	v_cmp_lt_u32_e32 vcc, 26, v139
	s_and_saveexec_b64 s[2:3], vcc
	s_cbranch_execz .LBB91_147
; %bb.146:
	ds_read_b32 v178, v143 offset:108
	ds_read2_b64 v[170:173], v143 offset0:14 offset1:15
	ds_read2_b64 v[174:177], v143 offset0:16 offset1:17
	s_waitcnt vmcnt(27) lgkmcnt(3)
	v_mul_f32_e32 v100, v169, v100
	s_waitcnt vmcnt(26) lgkmcnt(2)
	v_fma_f32 v101, -v100, v178, v101
	s_waitcnt vmcnt(24) lgkmcnt(1)
	v_pk_fma_f32 v[116:117], v[100:101], v[170:171], v[116:117] op_sel_hi:[0,1,1] neg_lo:[1,0,0] neg_hi:[1,0,0]
	s_waitcnt vmcnt(22)
	v_pk_fma_f32 v[98:99], v[100:101], v[172:173], v[98:99] op_sel_hi:[0,1,1] neg_lo:[1,0,0] neg_hi:[1,0,0]
	ds_read2_b64 v[170:173], v143 offset0:18 offset1:19
	s_waitcnt vmcnt(20) lgkmcnt(1)
	v_pk_fma_f32 v[114:115], v[100:101], v[174:175], v[114:115] op_sel_hi:[0,1,1] neg_lo:[1,0,0] neg_hi:[1,0,0]
	ds_read2_b64 v[178:181], v143 offset0:20 offset1:21
	ds_read_b64 v[174:175], v143 offset:176
	s_waitcnt vmcnt(18)
	v_pk_fma_f32 v[96:97], v[100:101], v[176:177], v[96:97] op_sel_hi:[0,1,1] neg_lo:[1,0,0] neg_hi:[1,0,0]
	s_waitcnt vmcnt(16) lgkmcnt(2)
	v_pk_fma_f32 v[112:113], v[100:101], v[170:171], v[112:113] op_sel_hi:[0,1,1] neg_lo:[1,0,0] neg_hi:[1,0,0]
	s_waitcnt vmcnt(14)
	v_pk_fma_f32 v[94:95], v[100:101], v[172:173], v[94:95] op_sel_hi:[0,1,1] neg_lo:[1,0,0] neg_hi:[1,0,0]
	s_waitcnt vmcnt(12) lgkmcnt(1)
	v_pk_fma_f32 v[110:111], v[100:101], v[178:179], v[110:111] op_sel_hi:[0,1,1] neg_lo:[1,0,0] neg_hi:[1,0,0]
	;; [unrolled: 4-line block ×3, first 2 shown]
.LBB91_147:
	s_or_b64 exec, exec, s[2:3]
	v_cmp_ne_u32_e32 vcc, 27, v139
	s_waitcnt lgkmcnt(0)
	s_barrier
	s_and_saveexec_b64 s[2:3], vcc
	s_xor_b64 s[2:3], exec, s[2:3]
	s_andn2_saveexec_b64 s[2:3], s[2:3]
	s_cbranch_execz .LBB91_151
; %bb.148:
	s_waitcnt vmcnt(25)
	v_mov_b32_e32 v170, v116
	s_waitcnt vmcnt(24)
	v_mov_b32_e32 v171, v117
	;; [unrolled: 2-line block ×4, first 2 shown]
	ds_write_b32 v141, v101
	ds_write2_b64 v143, v[170:171], v[172:173] offset0:14 offset1:15
	s_waitcnt vmcnt(21)
	v_mov_b32_e32 v170, v114
	s_waitcnt vmcnt(20)
	v_mov_b32_e32 v171, v115
	s_waitcnt vmcnt(19)
	v_mov_b32_e32 v172, v96
	s_waitcnt vmcnt(18)
	v_mov_b32_e32 v173, v97
	ds_write2_b64 v143, v[170:171], v[172:173] offset0:16 offset1:17
	s_waitcnt vmcnt(17)
	v_mov_b32_e32 v170, v112
	s_waitcnt vmcnt(16)
	v_mov_b32_e32 v171, v113
	s_waitcnt vmcnt(15)
	v_mov_b32_e32 v172, v94
	s_waitcnt vmcnt(14)
	v_mov_b32_e32 v173, v95
	ds_write2_b64 v143, v[170:171], v[172:173] offset0:18 offset1:19
	s_waitcnt vmcnt(13)
	v_mov_b32_e32 v170, v110
	s_waitcnt vmcnt(12)
	v_mov_b32_e32 v171, v111
	s_waitcnt vmcnt(11)
	v_mov_b32_e32 v172, v92
	s_waitcnt vmcnt(10)
	v_mov_b32_e32 v173, v93
	ds_write2_b64 v143, v[170:171], v[172:173] offset0:20 offset1:21
	s_waitcnt vmcnt(8)
	ds_write_b64 v143, v[128:129] offset:176
	ds_read_b32 v170, v141
	s_waitcnt lgkmcnt(0)
	v_cmp_neq_f32_e32 vcc, 0, v170
	s_and_saveexec_b64 s[4:5], vcc
	s_cbranch_execz .LBB91_150
; %bb.149:
	v_div_scale_f32 v171, s[10:11], v170, v170, 1.0
	v_rcp_f32_e32 v172, v171
	v_div_scale_f32 v173, vcc, 1.0, v170, 1.0
	v_fma_f32 v174, -v171, v172, 1.0
	v_fmac_f32_e32 v172, v174, v172
	v_mul_f32_e32 v174, v173, v172
	v_fma_f32 v175, -v171, v174, v173
	v_fmac_f32_e32 v174, v175, v172
	v_fma_f32 v171, -v171, v174, v173
	v_div_fmas_f32 v171, v171, v172, v174
	v_div_fixup_f32 v170, v171, v170, 1.0
	ds_write_b32 v141, v170
.LBB91_150:
	s_or_b64 exec, exec, s[4:5]
.LBB91_151:
	s_or_b64 exec, exec, s[2:3]
	s_waitcnt lgkmcnt(0)
	s_barrier
	ds_read_b32 v170, v141
	v_cmp_lt_u32_e32 vcc, 27, v139
	s_and_saveexec_b64 s[2:3], vcc
	s_cbranch_execz .LBB91_153
; %bb.152:
	ds_read2_b64 v[172:175], v143 offset0:14 offset1:15
	ds_read2_b64 v[176:179], v143 offset0:16 offset1:17
	s_waitcnt vmcnt(26) lgkmcnt(2)
	v_mul_f32_e32 v184, v170, v101
	ds_read2_b64 v[180:183], v143 offset0:18 offset1:19
	v_mov_b32_e32 v101, v184
	s_waitcnt vmcnt(24) lgkmcnt(2)
	v_pk_fma_f32 v[116:117], v[184:185], v[172:173], v[116:117] op_sel_hi:[0,1,1] neg_lo:[1,0,0] neg_hi:[1,0,0]
	s_waitcnt vmcnt(22)
	v_pk_fma_f32 v[98:99], v[184:185], v[174:175], v[98:99] op_sel_hi:[0,1,1] neg_lo:[1,0,0] neg_hi:[1,0,0]
	s_waitcnt vmcnt(20) lgkmcnt(1)
	v_pk_fma_f32 v[114:115], v[184:185], v[176:177], v[114:115] op_sel_hi:[0,1,1] neg_lo:[1,0,0] neg_hi:[1,0,0]
	ds_read2_b64 v[172:175], v143 offset0:20 offset1:21
	ds_read_b64 v[176:177], v143 offset:176
	s_waitcnt vmcnt(18)
	v_pk_fma_f32 v[96:97], v[184:185], v[178:179], v[96:97] op_sel_hi:[0,1,1] neg_lo:[1,0,0] neg_hi:[1,0,0]
	s_waitcnt vmcnt(16) lgkmcnt(2)
	v_pk_fma_f32 v[112:113], v[184:185], v[180:181], v[112:113] op_sel_hi:[0,1,1] neg_lo:[1,0,0] neg_hi:[1,0,0]
	s_waitcnt vmcnt(14)
	v_pk_fma_f32 v[94:95], v[184:185], v[182:183], v[94:95] op_sel_hi:[0,1,1] neg_lo:[1,0,0] neg_hi:[1,0,0]
	s_waitcnt vmcnt(12) lgkmcnt(1)
	v_pk_fma_f32 v[110:111], v[184:185], v[172:173], v[110:111] op_sel_hi:[0,1,1] neg_lo:[1,0,0] neg_hi:[1,0,0]
	;; [unrolled: 4-line block ×3, first 2 shown]
.LBB91_153:
	s_or_b64 exec, exec, s[2:3]
	v_cmp_eq_u32_e32 vcc, 28, v139
	s_waitcnt lgkmcnt(0)
	s_barrier
	s_and_saveexec_b64 s[2:3], vcc
	s_cbranch_execz .LBB91_156
; %bb.154:
	s_waitcnt vmcnt(22)
	v_pk_mov_b32 v[172:173], v[116:117], v[98:99] op_sel:[1,0]
	ds_write_b32 v141, v116
	ds_write2_b32 v143, v172, v173 offset0:29 offset1:30
	s_waitcnt vmcnt(20)
	v_pk_mov_b32 v[172:173], v[98:99], v[114:115] op_sel:[1,0]
	ds_write2_b32 v143, v172, v173 offset0:31 offset1:32
	s_waitcnt vmcnt(18)
	v_pk_mov_b32 v[172:173], v[114:115], v[96:97] op_sel:[1,0]
	;; [unrolled: 3-line block ×7, first 2 shown]
	ds_write2_b32 v143, v172, v173 offset0:43 offset1:44
	ds_write_b32 v143, v129 offset:180
	ds_read_b32 v171, v141
	s_waitcnt lgkmcnt(0)
	v_cmp_neq_f32_e32 vcc, 0, v171
	s_and_b64 exec, exec, vcc
	s_cbranch_execz .LBB91_156
; %bb.155:
	v_div_scale_f32 v172, s[4:5], v171, v171, 1.0
	v_rcp_f32_e32 v173, v172
	v_div_scale_f32 v174, vcc, 1.0, v171, 1.0
	v_fma_f32 v175, -v172, v173, 1.0
	v_fmac_f32_e32 v173, v175, v173
	v_mul_f32_e32 v175, v174, v173
	v_fma_f32 v176, -v172, v175, v174
	v_fmac_f32_e32 v175, v176, v173
	v_fma_f32 v172, -v172, v175, v174
	v_div_fmas_f32 v172, v172, v173, v175
	v_div_fixup_f32 v171, v172, v171, 1.0
	ds_write_b32 v141, v171
.LBB91_156:
	s_or_b64 exec, exec, s[2:3]
	s_waitcnt lgkmcnt(0)
	s_barrier
	ds_read_b32 v171, v141
	v_cmp_lt_u32_e32 vcc, 28, v139
	s_and_saveexec_b64 s[2:3], vcc
	s_cbranch_execz .LBB91_158
; %bb.157:
	ds_read_b32 v184, v143 offset:116
	ds_read2_b64 v[172:175], v143 offset0:15 offset1:16
	s_waitcnt vmcnt(25) lgkmcnt(2)
	v_mul_f32_e32 v116, v171, v116
	ds_read2_b64 v[176:179], v143 offset0:17 offset1:18
	ds_read2_b64 v[180:183], v143 offset0:19 offset1:20
	s_waitcnt vmcnt(24) lgkmcnt(3)
	v_fma_f32 v117, -v116, v184, v117
	s_waitcnt vmcnt(22) lgkmcnt(2)
	v_pk_fma_f32 v[98:99], v[116:117], v[172:173], v[98:99] op_sel_hi:[0,1,1] neg_lo:[1,0,0] neg_hi:[1,0,0]
	s_waitcnt vmcnt(20)
	v_pk_fma_f32 v[114:115], v[116:117], v[174:175], v[114:115] op_sel_hi:[0,1,1] neg_lo:[1,0,0] neg_hi:[1,0,0]
	ds_read2_b64 v[172:175], v143 offset0:21 offset1:22
	s_waitcnt vmcnt(18) lgkmcnt(2)
	v_pk_fma_f32 v[96:97], v[116:117], v[176:177], v[96:97] op_sel_hi:[0,1,1] neg_lo:[1,0,0] neg_hi:[1,0,0]
	s_waitcnt vmcnt(16)
	v_pk_fma_f32 v[112:113], v[116:117], v[178:179], v[112:113] op_sel_hi:[0,1,1] neg_lo:[1,0,0] neg_hi:[1,0,0]
	s_waitcnt vmcnt(14) lgkmcnt(1)
	v_pk_fma_f32 v[94:95], v[116:117], v[180:181], v[94:95] op_sel_hi:[0,1,1] neg_lo:[1,0,0] neg_hi:[1,0,0]
	s_waitcnt vmcnt(12)
	v_pk_fma_f32 v[110:111], v[116:117], v[182:183], v[110:111] op_sel_hi:[0,1,1] neg_lo:[1,0,0] neg_hi:[1,0,0]
	;; [unrolled: 4-line block ×3, first 2 shown]
.LBB91_158:
	s_or_b64 exec, exec, s[2:3]
	v_cmp_ne_u32_e32 vcc, 29, v139
	s_waitcnt lgkmcnt(0)
	s_barrier
	s_and_saveexec_b64 s[2:3], vcc
	s_xor_b64 s[2:3], exec, s[2:3]
	s_andn2_saveexec_b64 s[2:3], s[2:3]
	s_cbranch_execz .LBB91_162
; %bb.159:
	s_waitcnt vmcnt(24)
	ds_write_b32 v141, v117
	s_waitcnt vmcnt(20)
	ds_write2_b64 v143, v[98:99], v[114:115] offset0:15 offset1:16
	s_waitcnt vmcnt(16)
	ds_write2_b64 v143, v[96:97], v[112:113] offset0:17 offset1:18
	;; [unrolled: 2-line block ×4, first 2 shown]
	ds_read_b32 v172, v141
	s_waitcnt lgkmcnt(0)
	v_cmp_neq_f32_e32 vcc, 0, v172
	s_and_saveexec_b64 s[4:5], vcc
	s_cbranch_execz .LBB91_161
; %bb.160:
	v_div_scale_f32 v173, s[10:11], v172, v172, 1.0
	v_rcp_f32_e32 v174, v173
	v_div_scale_f32 v175, vcc, 1.0, v172, 1.0
	v_fma_f32 v176, -v173, v174, 1.0
	v_fmac_f32_e32 v174, v176, v174
	v_mul_f32_e32 v176, v175, v174
	v_fma_f32 v177, -v173, v176, v175
	v_fmac_f32_e32 v176, v177, v174
	v_fma_f32 v173, -v173, v176, v175
	v_div_fmas_f32 v173, v173, v174, v176
	v_div_fixup_f32 v172, v173, v172, 1.0
	ds_write_b32 v141, v172
.LBB91_161:
	s_or_b64 exec, exec, s[4:5]
.LBB91_162:
	s_or_b64 exec, exec, s[2:3]
	s_waitcnt lgkmcnt(0)
	s_barrier
	ds_read_b32 v172, v141
	v_cmp_lt_u32_e32 vcc, 29, v139
	s_and_saveexec_b64 s[2:3], vcc
	s_cbranch_execz .LBB91_164
; %bb.163:
	ds_read2_b64 v[174:177], v143 offset0:15 offset1:16
	s_waitcnt vmcnt(24) lgkmcnt(1)
	v_mul_f32_e32 v186, v172, v117
	ds_read2_b64 v[178:181], v143 offset0:17 offset1:18
	ds_read2_b64 v[182:185], v143 offset0:19 offset1:20
	v_mov_b32_e32 v117, v186
	s_waitcnt vmcnt(22) lgkmcnt(2)
	v_pk_fma_f32 v[98:99], v[186:187], v[174:175], v[98:99] op_sel_hi:[0,1,1] neg_lo:[1,0,0] neg_hi:[1,0,0]
	s_waitcnt vmcnt(20)
	v_pk_fma_f32 v[114:115], v[186:187], v[176:177], v[114:115] op_sel_hi:[0,1,1] neg_lo:[1,0,0] neg_hi:[1,0,0]
	ds_read2_b64 v[174:177], v143 offset0:21 offset1:22
	s_waitcnt vmcnt(18) lgkmcnt(2)
	v_pk_fma_f32 v[96:97], v[186:187], v[178:179], v[96:97] op_sel_hi:[0,1,1] neg_lo:[1,0,0] neg_hi:[1,0,0]
	s_waitcnt vmcnt(16)
	v_pk_fma_f32 v[112:113], v[186:187], v[180:181], v[112:113] op_sel_hi:[0,1,1] neg_lo:[1,0,0] neg_hi:[1,0,0]
	s_waitcnt vmcnt(14) lgkmcnt(1)
	v_pk_fma_f32 v[94:95], v[186:187], v[182:183], v[94:95] op_sel_hi:[0,1,1] neg_lo:[1,0,0] neg_hi:[1,0,0]
	s_waitcnt vmcnt(12)
	v_pk_fma_f32 v[110:111], v[186:187], v[184:185], v[110:111] op_sel_hi:[0,1,1] neg_lo:[1,0,0] neg_hi:[1,0,0]
	;; [unrolled: 4-line block ×3, first 2 shown]
.LBB91_164:
	s_or_b64 exec, exec, s[2:3]
	v_cmp_eq_u32_e32 vcc, 30, v139
	s_waitcnt lgkmcnt(0)
	s_barrier
	s_and_saveexec_b64 s[2:3], vcc
	s_cbranch_execz .LBB91_167
; %bb.165:
	s_waitcnt vmcnt(20)
	v_pk_mov_b32 v[174:175], v[98:99], v[114:115] op_sel:[1,0]
	ds_write_b32 v141, v98
	ds_write2_b32 v143, v174, v175 offset0:31 offset1:32
	s_waitcnt vmcnt(18)
	v_pk_mov_b32 v[174:175], v[114:115], v[96:97] op_sel:[1,0]
	ds_write2_b32 v143, v174, v175 offset0:33 offset1:34
	s_waitcnt vmcnt(16)
	v_pk_mov_b32 v[174:175], v[96:97], v[112:113] op_sel:[1,0]
	;; [unrolled: 3-line block ×6, first 2 shown]
	ds_write2_b32 v143, v174, v175 offset0:43 offset1:44
	ds_write_b32 v143, v129 offset:180
	ds_read_b32 v173, v141
	s_waitcnt lgkmcnt(0)
	v_cmp_neq_f32_e32 vcc, 0, v173
	s_and_b64 exec, exec, vcc
	s_cbranch_execz .LBB91_167
; %bb.166:
	v_div_scale_f32 v174, s[4:5], v173, v173, 1.0
	v_rcp_f32_e32 v175, v174
	v_div_scale_f32 v176, vcc, 1.0, v173, 1.0
	v_fma_f32 v177, -v174, v175, 1.0
	v_fmac_f32_e32 v175, v177, v175
	v_mul_f32_e32 v177, v176, v175
	v_fma_f32 v178, -v174, v177, v176
	v_fmac_f32_e32 v177, v178, v175
	v_fma_f32 v174, -v174, v177, v176
	v_div_fmas_f32 v174, v174, v175, v177
	v_div_fixup_f32 v173, v174, v173, 1.0
	ds_write_b32 v141, v173
.LBB91_167:
	s_or_b64 exec, exec, s[2:3]
	s_waitcnt lgkmcnt(0)
	s_barrier
	ds_read_b32 v173, v141
	v_cmp_lt_u32_e32 vcc, 30, v139
	s_and_saveexec_b64 s[2:3], vcc
	s_cbranch_execz .LBB91_169
; %bb.168:
	ds_read_b32 v182, v143 offset:124
	s_waitcnt vmcnt(23) lgkmcnt(1)
	v_mul_f32_e32 v98, v173, v98
	ds_read2_b64 v[174:177], v143 offset0:16 offset1:17
	ds_read_b64 v[186:187], v143 offset:176
	ds_read2_b64 v[178:181], v143 offset0:18 offset1:19
	s_waitcnt vmcnt(22) lgkmcnt(3)
	v_fma_f32 v99, -v98, v182, v99
	ds_read2_b64 v[182:185], v143 offset0:20 offset1:21
	s_waitcnt vmcnt(20) lgkmcnt(3)
	v_pk_fma_f32 v[114:115], v[98:99], v[174:175], v[114:115] op_sel_hi:[0,1,1] neg_lo:[1,0,0] neg_hi:[1,0,0]
	s_waitcnt vmcnt(18)
	v_pk_fma_f32 v[96:97], v[98:99], v[176:177], v[96:97] op_sel_hi:[0,1,1] neg_lo:[1,0,0] neg_hi:[1,0,0]
	s_waitcnt vmcnt(16) lgkmcnt(1)
	v_pk_fma_f32 v[112:113], v[98:99], v[178:179], v[112:113] op_sel_hi:[0,1,1] neg_lo:[1,0,0] neg_hi:[1,0,0]
	s_waitcnt vmcnt(14)
	v_pk_fma_f32 v[94:95], v[98:99], v[180:181], v[94:95] op_sel_hi:[0,1,1] neg_lo:[1,0,0] neg_hi:[1,0,0]
	;; [unrolled: 4-line block ×3, first 2 shown]
	s_waitcnt vmcnt(8)
	v_pk_fma_f32 v[128:129], v[98:99], v[186:187], v[128:129] op_sel_hi:[0,1,1] neg_lo:[1,0,0] neg_hi:[1,0,0]
.LBB91_169:
	s_or_b64 exec, exec, s[2:3]
	v_cmp_ne_u32_e32 vcc, 31, v139
	s_waitcnt lgkmcnt(0)
	s_barrier
	s_and_saveexec_b64 s[2:3], vcc
	s_xor_b64 s[2:3], exec, s[2:3]
	s_andn2_saveexec_b64 s[2:3], s[2:3]
	s_cbranch_execz .LBB91_173
; %bb.170:
	s_waitcnt vmcnt(21)
	v_mov_b32_e32 v174, v114
	s_waitcnt vmcnt(20)
	v_mov_b32_e32 v175, v115
	;; [unrolled: 2-line block ×4, first 2 shown]
	ds_write_b32 v141, v99
	ds_write2_b64 v143, v[174:175], v[176:177] offset0:16 offset1:17
	s_waitcnt vmcnt(17)
	v_mov_b32_e32 v174, v112
	s_waitcnt vmcnt(16)
	v_mov_b32_e32 v175, v113
	;; [unrolled: 2-line block ×4, first 2 shown]
	ds_write2_b64 v143, v[174:175], v[176:177] offset0:18 offset1:19
	s_waitcnt vmcnt(13)
	v_mov_b32_e32 v174, v110
	s_waitcnt vmcnt(12)
	v_mov_b32_e32 v175, v111
	;; [unrolled: 2-line block ×4, first 2 shown]
	ds_write2_b64 v143, v[174:175], v[176:177] offset0:20 offset1:21
	s_waitcnt vmcnt(8)
	ds_write_b64 v143, v[128:129] offset:176
	ds_read_b32 v174, v141
	s_waitcnt lgkmcnt(0)
	v_cmp_neq_f32_e32 vcc, 0, v174
	s_and_saveexec_b64 s[4:5], vcc
	s_cbranch_execz .LBB91_172
; %bb.171:
	v_div_scale_f32 v175, s[10:11], v174, v174, 1.0
	v_rcp_f32_e32 v176, v175
	v_div_scale_f32 v177, vcc, 1.0, v174, 1.0
	v_fma_f32 v178, -v175, v176, 1.0
	v_fmac_f32_e32 v176, v178, v176
	v_mul_f32_e32 v178, v177, v176
	v_fma_f32 v179, -v175, v178, v177
	v_fmac_f32_e32 v178, v179, v176
	v_fma_f32 v175, -v175, v178, v177
	v_div_fmas_f32 v175, v175, v176, v178
	v_div_fixup_f32 v174, v175, v174, 1.0
	ds_write_b32 v141, v174
.LBB91_172:
	s_or_b64 exec, exec, s[4:5]
.LBB91_173:
	s_or_b64 exec, exec, s[2:3]
	s_waitcnt lgkmcnt(0)
	s_barrier
	ds_read_b32 v174, v141
	v_cmp_lt_u32_e32 vcc, 31, v139
	s_and_saveexec_b64 s[2:3], vcc
	s_cbranch_execz .LBB91_175
; %bb.174:
	ds_read2_b64 v[176:179], v143 offset0:16 offset1:17
	s_waitcnt vmcnt(22) lgkmcnt(1)
	v_mul_f32_e32 v188, v174, v99
	ds_read2_b64 v[180:183], v143 offset0:18 offset1:19
	ds_read2_b64 v[184:187], v143 offset0:20 offset1:21
	v_mov_b32_e32 v99, v188
	s_waitcnt vmcnt(20) lgkmcnt(2)
	v_pk_fma_f32 v[114:115], v[188:189], v[176:177], v[114:115] op_sel_hi:[0,1,1] neg_lo:[1,0,0] neg_hi:[1,0,0]
	ds_read_b64 v[176:177], v143 offset:176
	s_waitcnt vmcnt(18)
	v_pk_fma_f32 v[96:97], v[188:189], v[178:179], v[96:97] op_sel_hi:[0,1,1] neg_lo:[1,0,0] neg_hi:[1,0,0]
	s_waitcnt vmcnt(16) lgkmcnt(2)
	v_pk_fma_f32 v[112:113], v[188:189], v[180:181], v[112:113] op_sel_hi:[0,1,1] neg_lo:[1,0,0] neg_hi:[1,0,0]
	s_waitcnt vmcnt(14)
	v_pk_fma_f32 v[94:95], v[188:189], v[182:183], v[94:95] op_sel_hi:[0,1,1] neg_lo:[1,0,0] neg_hi:[1,0,0]
	s_waitcnt vmcnt(12) lgkmcnt(1)
	v_pk_fma_f32 v[110:111], v[188:189], v[184:185], v[110:111] op_sel_hi:[0,1,1] neg_lo:[1,0,0] neg_hi:[1,0,0]
	;; [unrolled: 4-line block ×3, first 2 shown]
.LBB91_175:
	s_or_b64 exec, exec, s[2:3]
	v_cmp_eq_u32_e32 vcc, 32, v139
	s_waitcnt lgkmcnt(0)
	s_barrier
	s_and_saveexec_b64 s[2:3], vcc
	s_cbranch_execz .LBB91_178
; %bb.176:
	s_waitcnt vmcnt(18)
	v_pk_mov_b32 v[176:177], v[114:115], v[96:97] op_sel:[1,0]
	ds_write_b32 v141, v114
	ds_write2_b32 v143, v176, v177 offset0:33 offset1:34
	s_waitcnt vmcnt(16)
	v_pk_mov_b32 v[176:177], v[96:97], v[112:113] op_sel:[1,0]
	ds_write2_b32 v143, v176, v177 offset0:35 offset1:36
	s_waitcnt vmcnt(14)
	v_pk_mov_b32 v[176:177], v[112:113], v[94:95] op_sel:[1,0]
	;; [unrolled: 3-line block ×5, first 2 shown]
	ds_write2_b32 v143, v176, v177 offset0:43 offset1:44
	ds_write_b32 v143, v129 offset:180
	ds_read_b32 v175, v141
	s_waitcnt lgkmcnt(0)
	v_cmp_neq_f32_e32 vcc, 0, v175
	s_and_b64 exec, exec, vcc
	s_cbranch_execz .LBB91_178
; %bb.177:
	v_div_scale_f32 v176, s[4:5], v175, v175, 1.0
	v_rcp_f32_e32 v177, v176
	v_div_scale_f32 v178, vcc, 1.0, v175, 1.0
	v_fma_f32 v179, -v176, v177, 1.0
	v_fmac_f32_e32 v177, v179, v177
	v_mul_f32_e32 v179, v178, v177
	v_fma_f32 v180, -v176, v179, v178
	v_fmac_f32_e32 v179, v180, v177
	v_fma_f32 v176, -v176, v179, v178
	v_div_fmas_f32 v176, v176, v177, v179
	v_div_fixup_f32 v175, v176, v175, 1.0
	ds_write_b32 v141, v175
.LBB91_178:
	s_or_b64 exec, exec, s[2:3]
	s_waitcnt lgkmcnt(0)
	s_barrier
	ds_read_b32 v175, v141
	v_cmp_lt_u32_e32 vcc, 32, v139
	s_and_saveexec_b64 s[2:3], vcc
	s_cbranch_execz .LBB91_180
; %bb.179:
	ds_read_b32 v188, v143 offset:132
	ds_read2_b64 v[176:179], v143 offset0:17 offset1:18
	ds_read2_b64 v[180:183], v143 offset0:19 offset1:20
	;; [unrolled: 1-line block ×3, first 2 shown]
	s_waitcnt vmcnt(21) lgkmcnt(4)
	v_mul_f32_e32 v114, v175, v114
	s_waitcnt vmcnt(20) lgkmcnt(3)
	v_fma_f32 v115, -v114, v188, v115
	s_waitcnt vmcnt(18) lgkmcnt(2)
	v_pk_fma_f32 v[96:97], v[114:115], v[176:177], v[96:97] op_sel_hi:[0,1,1] neg_lo:[1,0,0] neg_hi:[1,0,0]
	s_waitcnt vmcnt(16)
	v_pk_fma_f32 v[112:113], v[114:115], v[178:179], v[112:113] op_sel_hi:[0,1,1] neg_lo:[1,0,0] neg_hi:[1,0,0]
	s_waitcnt vmcnt(14) lgkmcnt(1)
	v_pk_fma_f32 v[94:95], v[114:115], v[180:181], v[94:95] op_sel_hi:[0,1,1] neg_lo:[1,0,0] neg_hi:[1,0,0]
	s_waitcnt vmcnt(12)
	v_pk_fma_f32 v[110:111], v[114:115], v[182:183], v[110:111] op_sel_hi:[0,1,1] neg_lo:[1,0,0] neg_hi:[1,0,0]
	;; [unrolled: 4-line block ×3, first 2 shown]
.LBB91_180:
	s_or_b64 exec, exec, s[2:3]
	v_cmp_ne_u32_e32 vcc, 33, v139
	s_waitcnt lgkmcnt(0)
	s_barrier
	s_and_saveexec_b64 s[2:3], vcc
	s_xor_b64 s[2:3], exec, s[2:3]
	s_andn2_saveexec_b64 s[2:3], s[2:3]
	s_cbranch_execz .LBB91_184
; %bb.181:
	s_waitcnt vmcnt(20)
	ds_write_b32 v141, v115
	s_waitcnt vmcnt(16)
	ds_write2_b64 v143, v[96:97], v[112:113] offset0:17 offset1:18
	s_waitcnt vmcnt(12)
	ds_write2_b64 v143, v[94:95], v[110:111] offset0:19 offset1:20
	;; [unrolled: 2-line block ×3, first 2 shown]
	ds_read_b32 v176, v141
	s_waitcnt lgkmcnt(0)
	v_cmp_neq_f32_e32 vcc, 0, v176
	s_and_saveexec_b64 s[4:5], vcc
	s_cbranch_execz .LBB91_183
; %bb.182:
	v_div_scale_f32 v177, s[10:11], v176, v176, 1.0
	v_rcp_f32_e32 v178, v177
	v_div_scale_f32 v179, vcc, 1.0, v176, 1.0
	v_fma_f32 v180, -v177, v178, 1.0
	v_fmac_f32_e32 v178, v180, v178
	v_mul_f32_e32 v180, v179, v178
	v_fma_f32 v181, -v177, v180, v179
	v_fmac_f32_e32 v180, v181, v178
	v_fma_f32 v177, -v177, v180, v179
	v_div_fmas_f32 v177, v177, v178, v180
	v_div_fixup_f32 v176, v177, v176, 1.0
	ds_write_b32 v141, v176
.LBB91_183:
	s_or_b64 exec, exec, s[4:5]
.LBB91_184:
	s_or_b64 exec, exec, s[2:3]
	s_waitcnt lgkmcnt(0)
	s_barrier
	ds_read_b32 v176, v141
	v_cmp_lt_u32_e32 vcc, 33, v139
	s_and_saveexec_b64 s[2:3], vcc
	s_cbranch_execz .LBB91_186
; %bb.185:
	ds_read2_b64 v[178:181], v143 offset0:17 offset1:18
	ds_read2_b64 v[182:185], v143 offset0:19 offset1:20
	;; [unrolled: 1-line block ×3, first 2 shown]
	s_waitcnt vmcnt(20) lgkmcnt(3)
	v_mul_f32_e32 v190, v176, v115
	v_mov_b32_e32 v115, v190
	s_waitcnt vmcnt(18) lgkmcnt(2)
	v_pk_fma_f32 v[96:97], v[190:191], v[178:179], v[96:97] op_sel_hi:[0,1,1] neg_lo:[1,0,0] neg_hi:[1,0,0]
	s_waitcnt vmcnt(16)
	v_pk_fma_f32 v[112:113], v[190:191], v[180:181], v[112:113] op_sel_hi:[0,1,1] neg_lo:[1,0,0] neg_hi:[1,0,0]
	s_waitcnt vmcnt(14) lgkmcnt(1)
	v_pk_fma_f32 v[94:95], v[190:191], v[182:183], v[94:95] op_sel_hi:[0,1,1] neg_lo:[1,0,0] neg_hi:[1,0,0]
	s_waitcnt vmcnt(12)
	v_pk_fma_f32 v[110:111], v[190:191], v[184:185], v[110:111] op_sel_hi:[0,1,1] neg_lo:[1,0,0] neg_hi:[1,0,0]
	;; [unrolled: 4-line block ×3, first 2 shown]
.LBB91_186:
	s_or_b64 exec, exec, s[2:3]
	v_cmp_eq_u32_e32 vcc, 34, v139
	s_waitcnt lgkmcnt(0)
	s_barrier
	s_and_saveexec_b64 s[2:3], vcc
	s_cbranch_execz .LBB91_189
; %bb.187:
	s_waitcnt vmcnt(16)
	v_pk_mov_b32 v[178:179], v[96:97], v[112:113] op_sel:[1,0]
	ds_write_b32 v141, v96
	ds_write2_b32 v143, v178, v179 offset0:35 offset1:36
	s_waitcnt vmcnt(14)
	v_pk_mov_b32 v[178:179], v[112:113], v[94:95] op_sel:[1,0]
	ds_write2_b32 v143, v178, v179 offset0:37 offset1:38
	s_waitcnt vmcnt(12)
	v_pk_mov_b32 v[178:179], v[94:95], v[110:111] op_sel:[1,0]
	;; [unrolled: 3-line block ×4, first 2 shown]
	ds_write2_b32 v143, v178, v179 offset0:43 offset1:44
	ds_write_b32 v143, v129 offset:180
	ds_read_b32 v177, v141
	s_waitcnt lgkmcnt(0)
	v_cmp_neq_f32_e32 vcc, 0, v177
	s_and_b64 exec, exec, vcc
	s_cbranch_execz .LBB91_189
; %bb.188:
	v_div_scale_f32 v178, s[4:5], v177, v177, 1.0
	v_rcp_f32_e32 v179, v178
	v_div_scale_f32 v180, vcc, 1.0, v177, 1.0
	v_fma_f32 v181, -v178, v179, 1.0
	v_fmac_f32_e32 v179, v181, v179
	v_mul_f32_e32 v181, v180, v179
	v_fma_f32 v182, -v178, v181, v180
	v_fmac_f32_e32 v181, v182, v179
	v_fma_f32 v178, -v178, v181, v180
	v_div_fmas_f32 v178, v178, v179, v181
	v_div_fixup_f32 v177, v178, v177, 1.0
	ds_write_b32 v141, v177
.LBB91_189:
	s_or_b64 exec, exec, s[2:3]
	s_waitcnt lgkmcnt(0)
	s_barrier
	ds_read_b32 v177, v141
	v_cmp_lt_u32_e32 vcc, 34, v139
	s_and_saveexec_b64 s[2:3], vcc
	s_cbranch_execz .LBB91_191
; %bb.190:
	ds_read_b32 v188, v143 offset:140
	ds_read2_b64 v[178:181], v143 offset0:18 offset1:19
	ds_read_b64 v[186:187], v143 offset:176
	ds_read2_b64 v[182:185], v143 offset0:20 offset1:21
	s_waitcnt vmcnt(19) lgkmcnt(4)
	v_mul_f32_e32 v96, v177, v96
	s_waitcnt vmcnt(18) lgkmcnt(3)
	v_fma_f32 v97, -v96, v188, v97
	s_waitcnt vmcnt(16) lgkmcnt(2)
	v_pk_fma_f32 v[112:113], v[96:97], v[178:179], v[112:113] op_sel_hi:[0,1,1] neg_lo:[1,0,0] neg_hi:[1,0,0]
	s_waitcnt vmcnt(14)
	v_pk_fma_f32 v[94:95], v[96:97], v[180:181], v[94:95] op_sel_hi:[0,1,1] neg_lo:[1,0,0] neg_hi:[1,0,0]
	s_waitcnt vmcnt(12) lgkmcnt(0)
	v_pk_fma_f32 v[110:111], v[96:97], v[182:183], v[110:111] op_sel_hi:[0,1,1] neg_lo:[1,0,0] neg_hi:[1,0,0]
	s_waitcnt vmcnt(10)
	v_pk_fma_f32 v[92:93], v[96:97], v[184:185], v[92:93] op_sel_hi:[0,1,1] neg_lo:[1,0,0] neg_hi:[1,0,0]
	s_waitcnt vmcnt(8)
	v_pk_fma_f32 v[128:129], v[96:97], v[186:187], v[128:129] op_sel_hi:[0,1,1] neg_lo:[1,0,0] neg_hi:[1,0,0]
.LBB91_191:
	s_or_b64 exec, exec, s[2:3]
	v_cmp_ne_u32_e32 vcc, 35, v139
	s_waitcnt lgkmcnt(0)
	s_barrier
	s_and_saveexec_b64 s[2:3], vcc
	s_xor_b64 s[2:3], exec, s[2:3]
	s_andn2_saveexec_b64 s[2:3], s[2:3]
	s_cbranch_execz .LBB91_195
; %bb.192:
	s_waitcnt vmcnt(17)
	v_mov_b32_e32 v178, v112
	s_waitcnt vmcnt(16)
	v_mov_b32_e32 v179, v113
	;; [unrolled: 2-line block ×4, first 2 shown]
	ds_write_b32 v141, v97
	ds_write2_b64 v143, v[178:179], v[180:181] offset0:18 offset1:19
	s_waitcnt vmcnt(13)
	v_mov_b32_e32 v178, v110
	s_waitcnt vmcnt(12)
	v_mov_b32_e32 v179, v111
	;; [unrolled: 2-line block ×4, first 2 shown]
	ds_write2_b64 v143, v[178:179], v[180:181] offset0:20 offset1:21
	s_waitcnt vmcnt(8)
	ds_write_b64 v143, v[128:129] offset:176
	ds_read_b32 v178, v141
	s_waitcnt lgkmcnt(0)
	v_cmp_neq_f32_e32 vcc, 0, v178
	s_and_saveexec_b64 s[4:5], vcc
	s_cbranch_execz .LBB91_194
; %bb.193:
	v_div_scale_f32 v179, s[10:11], v178, v178, 1.0
	v_rcp_f32_e32 v180, v179
	v_div_scale_f32 v181, vcc, 1.0, v178, 1.0
	v_fma_f32 v182, -v179, v180, 1.0
	v_fmac_f32_e32 v180, v182, v180
	v_mul_f32_e32 v182, v181, v180
	v_fma_f32 v183, -v179, v182, v181
	v_fmac_f32_e32 v182, v183, v180
	v_fma_f32 v179, -v179, v182, v181
	v_div_fmas_f32 v179, v179, v180, v182
	v_div_fixup_f32 v178, v179, v178, 1.0
	ds_write_b32 v141, v178
.LBB91_194:
	s_or_b64 exec, exec, s[4:5]
.LBB91_195:
	s_or_b64 exec, exec, s[2:3]
	s_waitcnt lgkmcnt(0)
	s_barrier
	ds_read_b32 v178, v141
	v_cmp_lt_u32_e32 vcc, 35, v139
	s_and_saveexec_b64 s[2:3], vcc
	s_cbranch_execz .LBB91_197
; %bb.196:
	ds_read2_b64 v[180:183], v143 offset0:18 offset1:19
	ds_read2_b64 v[184:187], v143 offset0:20 offset1:21
	ds_read_b64 v[190:191], v143 offset:176
	s_waitcnt vmcnt(18) lgkmcnt(3)
	v_mul_f32_e32 v188, v178, v97
	v_mov_b32_e32 v97, v188
	s_waitcnt vmcnt(16) lgkmcnt(2)
	v_pk_fma_f32 v[112:113], v[188:189], v[180:181], v[112:113] op_sel_hi:[0,1,1] neg_lo:[1,0,0] neg_hi:[1,0,0]
	s_waitcnt vmcnt(14)
	v_pk_fma_f32 v[94:95], v[188:189], v[182:183], v[94:95] op_sel_hi:[0,1,1] neg_lo:[1,0,0] neg_hi:[1,0,0]
	s_waitcnt vmcnt(12) lgkmcnt(1)
	v_pk_fma_f32 v[110:111], v[188:189], v[184:185], v[110:111] op_sel_hi:[0,1,1] neg_lo:[1,0,0] neg_hi:[1,0,0]
	s_waitcnt vmcnt(10)
	v_pk_fma_f32 v[92:93], v[188:189], v[186:187], v[92:93] op_sel_hi:[0,1,1] neg_lo:[1,0,0] neg_hi:[1,0,0]
	s_waitcnt vmcnt(8) lgkmcnt(0)
	v_pk_fma_f32 v[128:129], v[188:189], v[190:191], v[128:129] op_sel_hi:[0,1,1] neg_lo:[1,0,0] neg_hi:[1,0,0]
.LBB91_197:
	s_or_b64 exec, exec, s[2:3]
	v_cmp_eq_u32_e32 vcc, 36, v139
	s_waitcnt lgkmcnt(0)
	s_barrier
	s_and_saveexec_b64 s[2:3], vcc
	s_cbranch_execz .LBB91_200
; %bb.198:
	s_waitcnt vmcnt(14)
	v_pk_mov_b32 v[180:181], v[112:113], v[94:95] op_sel:[1,0]
	ds_write_b32 v141, v112
	ds_write2_b32 v143, v180, v181 offset0:37 offset1:38
	s_waitcnt vmcnt(12)
	v_pk_mov_b32 v[180:181], v[94:95], v[110:111] op_sel:[1,0]
	ds_write2_b32 v143, v180, v181 offset0:39 offset1:40
	s_waitcnt vmcnt(10)
	v_pk_mov_b32 v[180:181], v[110:111], v[92:93] op_sel:[1,0]
	;; [unrolled: 3-line block ×3, first 2 shown]
	ds_write2_b32 v143, v180, v181 offset0:43 offset1:44
	ds_write_b32 v143, v129 offset:180
	ds_read_b32 v179, v141
	s_waitcnt lgkmcnt(0)
	v_cmp_neq_f32_e32 vcc, 0, v179
	s_and_b64 exec, exec, vcc
	s_cbranch_execz .LBB91_200
; %bb.199:
	v_div_scale_f32 v180, s[4:5], v179, v179, 1.0
	v_rcp_f32_e32 v181, v180
	v_div_scale_f32 v182, vcc, 1.0, v179, 1.0
	v_fma_f32 v183, -v180, v181, 1.0
	v_fmac_f32_e32 v181, v183, v181
	v_mul_f32_e32 v183, v182, v181
	v_fma_f32 v184, -v180, v183, v182
	v_fmac_f32_e32 v183, v184, v181
	v_fma_f32 v180, -v180, v183, v182
	v_div_fmas_f32 v180, v180, v181, v183
	v_div_fixup_f32 v179, v180, v179, 1.0
	ds_write_b32 v141, v179
.LBB91_200:
	s_or_b64 exec, exec, s[2:3]
	s_waitcnt lgkmcnt(0)
	s_barrier
	ds_read_b32 v179, v141
	v_cmp_lt_u32_e32 vcc, 36, v139
	s_and_saveexec_b64 s[2:3], vcc
	s_cbranch_execz .LBB91_202
; %bb.201:
	ds_read_b32 v188, v143 offset:148
	ds_read2_b64 v[180:183], v143 offset0:19 offset1:20
	ds_read2_b64 v[184:187], v143 offset0:21 offset1:22
	s_waitcnt vmcnt(17) lgkmcnt(3)
	v_mul_f32_e32 v112, v179, v112
	s_waitcnt vmcnt(16) lgkmcnt(2)
	v_fma_f32 v113, -v112, v188, v113
	s_waitcnt vmcnt(14) lgkmcnt(1)
	v_pk_fma_f32 v[94:95], v[112:113], v[180:181], v[94:95] op_sel_hi:[0,1,1] neg_lo:[1,0,0] neg_hi:[1,0,0]
	s_waitcnt vmcnt(12)
	v_pk_fma_f32 v[110:111], v[112:113], v[182:183], v[110:111] op_sel_hi:[0,1,1] neg_lo:[1,0,0] neg_hi:[1,0,0]
	s_waitcnt vmcnt(10) lgkmcnt(0)
	v_pk_fma_f32 v[92:93], v[112:113], v[184:185], v[92:93] op_sel_hi:[0,1,1] neg_lo:[1,0,0] neg_hi:[1,0,0]
	s_waitcnt vmcnt(8)
	v_pk_fma_f32 v[128:129], v[112:113], v[186:187], v[128:129] op_sel_hi:[0,1,1] neg_lo:[1,0,0] neg_hi:[1,0,0]
.LBB91_202:
	s_or_b64 exec, exec, s[2:3]
	v_cmp_ne_u32_e32 vcc, 37, v139
	s_waitcnt lgkmcnt(0)
	s_barrier
	s_and_saveexec_b64 s[2:3], vcc
	s_xor_b64 s[2:3], exec, s[2:3]
	s_andn2_saveexec_b64 s[2:3], s[2:3]
	s_cbranch_execz .LBB91_206
; %bb.203:
	s_waitcnt vmcnt(16)
	ds_write_b32 v141, v113
	s_waitcnt vmcnt(12)
	ds_write2_b64 v143, v[94:95], v[110:111] offset0:19 offset1:20
	s_waitcnt vmcnt(8)
	ds_write2_b64 v143, v[92:93], v[128:129] offset0:21 offset1:22
	ds_read_b32 v180, v141
	s_waitcnt lgkmcnt(0)
	v_cmp_neq_f32_e32 vcc, 0, v180
	s_and_saveexec_b64 s[4:5], vcc
	s_cbranch_execz .LBB91_205
; %bb.204:
	v_div_scale_f32 v181, s[10:11], v180, v180, 1.0
	v_rcp_f32_e32 v182, v181
	v_div_scale_f32 v183, vcc, 1.0, v180, 1.0
	v_fma_f32 v184, -v181, v182, 1.0
	v_fmac_f32_e32 v182, v184, v182
	v_mul_f32_e32 v184, v183, v182
	v_fma_f32 v185, -v181, v184, v183
	v_fmac_f32_e32 v184, v185, v182
	v_fma_f32 v181, -v181, v184, v183
	v_div_fmas_f32 v181, v181, v182, v184
	v_div_fixup_f32 v180, v181, v180, 1.0
	ds_write_b32 v141, v180
.LBB91_205:
	s_or_b64 exec, exec, s[4:5]
.LBB91_206:
	s_or_b64 exec, exec, s[2:3]
	s_waitcnt lgkmcnt(0)
	s_barrier
	ds_read_b32 v180, v141
	v_cmp_lt_u32_e32 vcc, 37, v139
	s_and_saveexec_b64 s[2:3], vcc
	s_cbranch_execz .LBB91_208
; %bb.207:
	ds_read2_b64 v[182:185], v143 offset0:19 offset1:20
	ds_read2_b64 v[186:189], v143 offset0:21 offset1:22
	s_waitcnt vmcnt(16) lgkmcnt(2)
	v_mul_f32_e32 v190, v180, v113
	v_mov_b32_e32 v113, v190
	s_waitcnt vmcnt(14) lgkmcnt(1)
	v_pk_fma_f32 v[94:95], v[190:191], v[182:183], v[94:95] op_sel_hi:[0,1,1] neg_lo:[1,0,0] neg_hi:[1,0,0]
	s_waitcnt vmcnt(12)
	v_pk_fma_f32 v[110:111], v[190:191], v[184:185], v[110:111] op_sel_hi:[0,1,1] neg_lo:[1,0,0] neg_hi:[1,0,0]
	s_waitcnt vmcnt(10) lgkmcnt(0)
	v_pk_fma_f32 v[92:93], v[190:191], v[186:187], v[92:93] op_sel_hi:[0,1,1] neg_lo:[1,0,0] neg_hi:[1,0,0]
	s_waitcnt vmcnt(8)
	v_pk_fma_f32 v[128:129], v[190:191], v[188:189], v[128:129] op_sel_hi:[0,1,1] neg_lo:[1,0,0] neg_hi:[1,0,0]
.LBB91_208:
	s_or_b64 exec, exec, s[2:3]
	v_cmp_eq_u32_e32 vcc, 38, v139
	s_waitcnt lgkmcnt(0)
	s_barrier
	s_and_saveexec_b64 s[2:3], vcc
	s_cbranch_execz .LBB91_211
; %bb.209:
	s_waitcnt vmcnt(12)
	v_pk_mov_b32 v[182:183], v[94:95], v[110:111] op_sel:[1,0]
	ds_write_b32 v141, v94
	ds_write2_b32 v143, v182, v183 offset0:39 offset1:40
	s_waitcnt vmcnt(10)
	v_pk_mov_b32 v[182:183], v[110:111], v[92:93] op_sel:[1,0]
	ds_write2_b32 v143, v182, v183 offset0:41 offset1:42
	s_waitcnt vmcnt(8)
	v_pk_mov_b32 v[182:183], v[92:93], v[128:129] op_sel:[1,0]
	ds_write2_b32 v143, v182, v183 offset0:43 offset1:44
	ds_write_b32 v143, v129 offset:180
	ds_read_b32 v181, v141
	s_waitcnt lgkmcnt(0)
	v_cmp_neq_f32_e32 vcc, 0, v181
	s_and_b64 exec, exec, vcc
	s_cbranch_execz .LBB91_211
; %bb.210:
	v_div_scale_f32 v182, s[4:5], v181, v181, 1.0
	v_rcp_f32_e32 v183, v182
	v_div_scale_f32 v184, vcc, 1.0, v181, 1.0
	v_fma_f32 v185, -v182, v183, 1.0
	v_fmac_f32_e32 v183, v185, v183
	v_mul_f32_e32 v185, v184, v183
	v_fma_f32 v186, -v182, v185, v184
	v_fmac_f32_e32 v185, v186, v183
	v_fma_f32 v182, -v182, v185, v184
	v_div_fmas_f32 v182, v182, v183, v185
	v_div_fixup_f32 v181, v182, v181, 1.0
	ds_write_b32 v141, v181
.LBB91_211:
	s_or_b64 exec, exec, s[2:3]
	s_waitcnt lgkmcnt(0)
	s_barrier
	ds_read_b32 v181, v141
	v_cmp_lt_u32_e32 vcc, 38, v139
	s_and_saveexec_b64 s[2:3], vcc
	s_cbranch_execz .LBB91_213
; %bb.212:
	ds_read_b32 v188, v143 offset:156
	ds_read2_b64 v[182:185], v143 offset0:20 offset1:21
	ds_read_b64 v[186:187], v143 offset:176
	s_waitcnt vmcnt(15) lgkmcnt(3)
	v_mul_f32_e32 v94, v181, v94
	s_waitcnt vmcnt(14) lgkmcnt(2)
	v_fma_f32 v95, -v94, v188, v95
	s_waitcnt vmcnt(12) lgkmcnt(1)
	v_pk_fma_f32 v[110:111], v[94:95], v[182:183], v[110:111] op_sel_hi:[0,1,1] neg_lo:[1,0,0] neg_hi:[1,0,0]
	s_waitcnt vmcnt(10)
	v_pk_fma_f32 v[92:93], v[94:95], v[184:185], v[92:93] op_sel_hi:[0,1,1] neg_lo:[1,0,0] neg_hi:[1,0,0]
	s_waitcnt vmcnt(8) lgkmcnt(0)
	v_pk_fma_f32 v[128:129], v[94:95], v[186:187], v[128:129] op_sel_hi:[0,1,1] neg_lo:[1,0,0] neg_hi:[1,0,0]
.LBB91_213:
	s_or_b64 exec, exec, s[2:3]
	v_cmp_ne_u32_e32 vcc, 39, v139
	s_waitcnt lgkmcnt(0)
	s_barrier
	s_and_saveexec_b64 s[2:3], vcc
	s_xor_b64 s[2:3], exec, s[2:3]
	s_andn2_saveexec_b64 s[2:3], s[2:3]
	s_cbranch_execz .LBB91_217
; %bb.214:
	s_waitcnt vmcnt(13)
	v_mov_b32_e32 v182, v110
	s_waitcnt vmcnt(12)
	v_mov_b32_e32 v183, v111
	;; [unrolled: 2-line block ×4, first 2 shown]
	ds_write_b32 v141, v95
	ds_write2_b64 v143, v[182:183], v[184:185] offset0:20 offset1:21
	s_waitcnt vmcnt(8)
	ds_write_b64 v143, v[128:129] offset:176
	ds_read_b32 v182, v141
	s_waitcnt lgkmcnt(0)
	v_cmp_neq_f32_e32 vcc, 0, v182
	s_and_saveexec_b64 s[4:5], vcc
	s_cbranch_execz .LBB91_216
; %bb.215:
	v_div_scale_f32 v183, s[10:11], v182, v182, 1.0
	v_rcp_f32_e32 v184, v183
	v_div_scale_f32 v185, vcc, 1.0, v182, 1.0
	v_fma_f32 v186, -v183, v184, 1.0
	v_fmac_f32_e32 v184, v186, v184
	v_mul_f32_e32 v186, v185, v184
	v_fma_f32 v187, -v183, v186, v185
	v_fmac_f32_e32 v186, v187, v184
	v_fma_f32 v183, -v183, v186, v185
	v_div_fmas_f32 v183, v183, v184, v186
	v_div_fixup_f32 v182, v183, v182, 1.0
	ds_write_b32 v141, v182
.LBB91_216:
	s_or_b64 exec, exec, s[4:5]
.LBB91_217:
	s_or_b64 exec, exec, s[2:3]
	s_waitcnt lgkmcnt(0)
	s_barrier
	ds_read_b32 v182, v141
	v_cmp_lt_u32_e32 vcc, 39, v139
	s_and_saveexec_b64 s[2:3], vcc
	s_cbranch_execz .LBB91_219
; %bb.218:
	ds_read2_b64 v[184:187], v143 offset0:20 offset1:21
	ds_read_b64 v[188:189], v143 offset:176
	s_waitcnt vmcnt(14) lgkmcnt(2)
	v_mul_f32_e32 v190, v182, v95
	v_mov_b32_e32 v95, v190
	s_waitcnt vmcnt(12) lgkmcnt(1)
	v_pk_fma_f32 v[110:111], v[190:191], v[184:185], v[110:111] op_sel_hi:[0,1,1] neg_lo:[1,0,0] neg_hi:[1,0,0]
	s_waitcnt vmcnt(10)
	v_pk_fma_f32 v[92:93], v[190:191], v[186:187], v[92:93] op_sel_hi:[0,1,1] neg_lo:[1,0,0] neg_hi:[1,0,0]
	s_waitcnt vmcnt(8) lgkmcnt(0)
	v_pk_fma_f32 v[128:129], v[190:191], v[188:189], v[128:129] op_sel_hi:[0,1,1] neg_lo:[1,0,0] neg_hi:[1,0,0]
.LBB91_219:
	s_or_b64 exec, exec, s[2:3]
	v_cmp_eq_u32_e32 vcc, 40, v139
	s_waitcnt lgkmcnt(0)
	s_barrier
	s_and_saveexec_b64 s[2:3], vcc
	s_cbranch_execz .LBB91_222
; %bb.220:
	s_waitcnt vmcnt(10)
	v_pk_mov_b32 v[184:185], v[110:111], v[92:93] op_sel:[1,0]
	ds_write_b32 v141, v110
	ds_write2_b32 v143, v184, v185 offset0:41 offset1:42
	s_waitcnt vmcnt(8)
	v_pk_mov_b32 v[184:185], v[92:93], v[128:129] op_sel:[1,0]
	ds_write2_b32 v143, v184, v185 offset0:43 offset1:44
	ds_write_b32 v143, v129 offset:180
	ds_read_b32 v183, v141
	s_waitcnt lgkmcnt(0)
	v_cmp_neq_f32_e32 vcc, 0, v183
	s_and_b64 exec, exec, vcc
	s_cbranch_execz .LBB91_222
; %bb.221:
	v_div_scale_f32 v184, s[4:5], v183, v183, 1.0
	v_rcp_f32_e32 v185, v184
	v_div_scale_f32 v186, vcc, 1.0, v183, 1.0
	v_fma_f32 v187, -v184, v185, 1.0
	v_fmac_f32_e32 v185, v187, v185
	v_mul_f32_e32 v187, v186, v185
	v_fma_f32 v188, -v184, v187, v186
	v_fmac_f32_e32 v187, v188, v185
	v_fma_f32 v184, -v184, v187, v186
	v_div_fmas_f32 v184, v184, v185, v187
	v_div_fixup_f32 v183, v184, v183, 1.0
	ds_write_b32 v141, v183
.LBB91_222:
	s_or_b64 exec, exec, s[2:3]
	s_waitcnt lgkmcnt(0)
	s_barrier
	ds_read_b32 v183, v141
	v_cmp_lt_u32_e32 vcc, 40, v139
	s_and_saveexec_b64 s[2:3], vcc
	s_cbranch_execz .LBB91_224
; %bb.223:
	ds_read_b32 v188, v143 offset:164
	ds_read2_b64 v[184:187], v143 offset0:21 offset1:22
	s_waitcnt vmcnt(13) lgkmcnt(2)
	v_mul_f32_e32 v110, v183, v110
	s_waitcnt vmcnt(12) lgkmcnt(1)
	v_fma_f32 v111, -v110, v188, v111
	s_waitcnt vmcnt(10) lgkmcnt(0)
	v_pk_fma_f32 v[92:93], v[110:111], v[184:185], v[92:93] op_sel_hi:[0,1,1] neg_lo:[1,0,0] neg_hi:[1,0,0]
	s_waitcnt vmcnt(8)
	v_pk_fma_f32 v[128:129], v[110:111], v[186:187], v[128:129] op_sel_hi:[0,1,1] neg_lo:[1,0,0] neg_hi:[1,0,0]
.LBB91_224:
	s_or_b64 exec, exec, s[2:3]
	v_cmp_ne_u32_e32 vcc, 41, v139
	s_waitcnt lgkmcnt(0)
	s_barrier
	s_and_saveexec_b64 s[2:3], vcc
	s_xor_b64 s[2:3], exec, s[2:3]
	s_andn2_saveexec_b64 s[2:3], s[2:3]
	s_cbranch_execz .LBB91_228
; %bb.225:
	s_waitcnt vmcnt(12)
	ds_write_b32 v141, v111
	s_waitcnt vmcnt(8)
	ds_write2_b64 v143, v[92:93], v[128:129] offset0:21 offset1:22
	ds_read_b32 v184, v141
	s_waitcnt lgkmcnt(0)
	v_cmp_neq_f32_e32 vcc, 0, v184
	s_and_saveexec_b64 s[4:5], vcc
	s_cbranch_execz .LBB91_227
; %bb.226:
	v_div_scale_f32 v185, s[10:11], v184, v184, 1.0
	v_rcp_f32_e32 v186, v185
	v_div_scale_f32 v187, vcc, 1.0, v184, 1.0
	v_fma_f32 v188, -v185, v186, 1.0
	v_fmac_f32_e32 v186, v188, v186
	v_mul_f32_e32 v188, v187, v186
	v_fma_f32 v189, -v185, v188, v187
	v_fmac_f32_e32 v188, v189, v186
	v_fma_f32 v185, -v185, v188, v187
	v_div_fmas_f32 v185, v185, v186, v188
	v_div_fixup_f32 v184, v185, v184, 1.0
	ds_write_b32 v141, v184
.LBB91_227:
	s_or_b64 exec, exec, s[4:5]
.LBB91_228:
	s_or_b64 exec, exec, s[2:3]
	s_waitcnt lgkmcnt(0)
	s_barrier
	ds_read_b32 v184, v141
	v_cmp_lt_u32_e32 vcc, 41, v139
	s_and_saveexec_b64 s[2:3], vcc
	s_cbranch_execz .LBB91_230
; %bb.229:
	ds_read2_b64 v[186:189], v143 offset0:21 offset1:22
	s_waitcnt vmcnt(12) lgkmcnt(1)
	v_mul_f32_e32 v190, v184, v111
	v_mov_b32_e32 v111, v190
	s_waitcnt vmcnt(10) lgkmcnt(0)
	v_pk_fma_f32 v[92:93], v[190:191], v[186:187], v[92:93] op_sel_hi:[0,1,1] neg_lo:[1,0,0] neg_hi:[1,0,0]
	s_waitcnt vmcnt(8)
	v_pk_fma_f32 v[128:129], v[190:191], v[188:189], v[128:129] op_sel_hi:[0,1,1] neg_lo:[1,0,0] neg_hi:[1,0,0]
.LBB91_230:
	s_or_b64 exec, exec, s[2:3]
	v_cmp_eq_u32_e32 vcc, 42, v139
	s_waitcnt lgkmcnt(0)
	s_barrier
	s_and_saveexec_b64 s[2:3], vcc
	s_cbranch_execz .LBB91_233
; %bb.231:
	s_waitcnt vmcnt(8)
	v_pk_mov_b32 v[186:187], v[92:93], v[128:129] op_sel:[1,0]
	ds_write_b32 v141, v92
	ds_write2_b32 v143, v186, v187 offset0:43 offset1:44
	ds_write_b32 v143, v129 offset:180
	ds_read_b32 v185, v141
	s_waitcnt lgkmcnt(0)
	v_cmp_neq_f32_e32 vcc, 0, v185
	s_and_b64 exec, exec, vcc
	s_cbranch_execz .LBB91_233
; %bb.232:
	v_div_scale_f32 v186, s[4:5], v185, v185, 1.0
	v_rcp_f32_e32 v187, v186
	v_div_scale_f32 v188, vcc, 1.0, v185, 1.0
	v_fma_f32 v189, -v186, v187, 1.0
	v_fmac_f32_e32 v187, v189, v187
	v_mul_f32_e32 v189, v188, v187
	v_fma_f32 v190, -v186, v189, v188
	v_fmac_f32_e32 v189, v190, v187
	v_fma_f32 v186, -v186, v189, v188
	v_div_fmas_f32 v186, v186, v187, v189
	v_div_fixup_f32 v185, v186, v185, 1.0
	ds_write_b32 v141, v185
.LBB91_233:
	s_or_b64 exec, exec, s[2:3]
	s_waitcnt lgkmcnt(0)
	s_barrier
	ds_read_b32 v185, v141
	v_cmp_lt_u32_e32 vcc, 42, v139
	s_and_saveexec_b64 s[2:3], vcc
	s_cbranch_execz .LBB91_235
; %bb.234:
	ds_read_b32 v188, v143 offset:172
	ds_read_b64 v[186:187], v143 offset:176
	s_waitcnt vmcnt(11) lgkmcnt(2)
	v_mul_f32_e32 v92, v185, v92
	s_waitcnt vmcnt(10) lgkmcnt(1)
	v_fma_f32 v93, -v92, v188, v93
	s_waitcnt vmcnt(8) lgkmcnt(0)
	v_pk_fma_f32 v[128:129], v[92:93], v[186:187], v[128:129] op_sel_hi:[0,1,1] neg_lo:[1,0,0] neg_hi:[1,0,0]
.LBB91_235:
	s_or_b64 exec, exec, s[2:3]
	v_cmp_ne_u32_e32 vcc, 43, v139
	s_waitcnt lgkmcnt(0)
	s_barrier
	s_and_saveexec_b64 s[2:3], vcc
	s_xor_b64 s[2:3], exec, s[2:3]
	s_andn2_saveexec_b64 s[2:3], s[2:3]
	s_cbranch_execz .LBB91_239
; %bb.236:
	s_waitcnt vmcnt(10)
	ds_write_b32 v141, v93
	s_waitcnt vmcnt(8)
	ds_write_b64 v143, v[128:129] offset:176
	ds_read_b32 v186, v141
	s_waitcnt lgkmcnt(0)
	v_cmp_neq_f32_e32 vcc, 0, v186
	s_and_saveexec_b64 s[4:5], vcc
	s_cbranch_execz .LBB91_238
; %bb.237:
	v_div_scale_f32 v187, s[10:11], v186, v186, 1.0
	v_rcp_f32_e32 v188, v187
	v_div_scale_f32 v189, vcc, 1.0, v186, 1.0
	v_fma_f32 v190, -v187, v188, 1.0
	v_fmac_f32_e32 v188, v190, v188
	v_mul_f32_e32 v190, v189, v188
	v_fma_f32 v191, -v187, v190, v189
	v_fmac_f32_e32 v190, v191, v188
	v_fma_f32 v187, -v187, v190, v189
	v_div_fmas_f32 v187, v187, v188, v190
	v_div_fixup_f32 v186, v187, v186, 1.0
	ds_write_b32 v141, v186
.LBB91_238:
	s_or_b64 exec, exec, s[4:5]
.LBB91_239:
	s_or_b64 exec, exec, s[2:3]
	s_waitcnt lgkmcnt(0)
	s_barrier
	ds_read_b32 v186, v141
	v_cmp_lt_u32_e32 vcc, 43, v139
	s_and_saveexec_b64 s[2:3], vcc
	s_cbranch_execz .LBB91_241
; %bb.240:
	ds_read_b64 v[188:189], v143 offset:176
	s_waitcnt vmcnt(10) lgkmcnt(1)
	v_mul_f32_e32 v190, v186, v93
	v_mov_b32_e32 v93, v190
	s_waitcnt vmcnt(8) lgkmcnt(0)
	v_pk_fma_f32 v[128:129], v[190:191], v[188:189], v[128:129] op_sel_hi:[0,1,1] neg_lo:[1,0,0] neg_hi:[1,0,0]
.LBB91_241:
	s_or_b64 exec, exec, s[2:3]
	v_cmp_eq_u32_e32 vcc, 44, v139
	s_waitcnt lgkmcnt(0)
	s_barrier
	s_and_saveexec_b64 s[2:3], vcc
	s_cbranch_execz .LBB91_244
; %bb.242:
	s_waitcnt vmcnt(9)
	ds_write_b32 v141, v128
	s_waitcnt vmcnt(8)
	ds_write_b32 v143, v129 offset:180
	ds_read_b32 v187, v141
	s_waitcnt lgkmcnt(0)
	v_cmp_neq_f32_e32 vcc, 0, v187
	s_and_b64 exec, exec, vcc
	s_cbranch_execz .LBB91_244
; %bb.243:
	v_div_scale_f32 v188, s[4:5], v187, v187, 1.0
	v_rcp_f32_e32 v189, v188
	v_div_scale_f32 v190, vcc, 1.0, v187, 1.0
	v_fma_f32 v191, -v188, v189, 1.0
	v_fmac_f32_e32 v189, v191, v189
	v_mul_f32_e32 v191, v190, v189
	v_fma_f32 v192, -v188, v191, v190
	v_fmac_f32_e32 v191, v192, v189
	v_fma_f32 v188, -v188, v191, v190
	v_div_fmas_f32 v188, v188, v189, v191
	v_div_fixup_f32 v187, v188, v187, 1.0
	ds_write_b32 v141, v187
.LBB91_244:
	s_or_b64 exec, exec, s[2:3]
	s_waitcnt lgkmcnt(0)
	s_barrier
	ds_read_b32 v187, v141
	v_cmp_lt_u32_e32 vcc, 44, v139
	s_and_saveexec_b64 s[2:3], vcc
	s_cbranch_execz .LBB91_246
; %bb.245:
	ds_read_b32 v143, v143 offset:180
	s_waitcnt vmcnt(9) lgkmcnt(1)
	v_mul_f32_e32 v128, v187, v128
	s_waitcnt vmcnt(8) lgkmcnt(0)
	v_fma_f32 v129, -v128, v143, v129
.LBB91_246:
	s_or_b64 exec, exec, s[2:3]
	v_cmp_ne_u32_e32 vcc, 45, v139
	s_waitcnt lgkmcnt(0)
	s_barrier
	s_and_saveexec_b64 s[2:3], vcc
	s_xor_b64 s[2:3], exec, s[2:3]
	s_andn2_saveexec_b64 s[2:3], s[2:3]
	s_cbranch_execz .LBB91_250
; %bb.247:
	s_waitcnt vmcnt(8)
	v_cmp_neq_f32_e32 vcc, 0, v129
	ds_write_b32 v141, v129
	s_and_saveexec_b64 s[4:5], vcc
	s_cbranch_execz .LBB91_249
; %bb.248:
	v_div_scale_f32 v143, s[10:11], v129, v129, 1.0
	v_rcp_f32_e32 v188, v143
	v_div_scale_f32 v189, vcc, 1.0, v129, 1.0
	v_fma_f32 v190, -v143, v188, 1.0
	v_fmac_f32_e32 v188, v190, v188
	v_mul_f32_e32 v190, v189, v188
	v_fma_f32 v191, -v143, v190, v189
	v_fmac_f32_e32 v190, v191, v188
	v_fma_f32 v143, -v143, v190, v189
	v_div_fmas_f32 v143, v143, v188, v190
	v_div_fixup_f32 v143, v143, v129, 1.0
	ds_write_b32 v141, v143
.LBB91_249:
	s_or_b64 exec, exec, s[4:5]
.LBB91_250:
	s_or_b64 exec, exec, s[2:3]
	s_waitcnt lgkmcnt(0)
	s_barrier
	ds_read_b32 v141, v141
	s_waitcnt lgkmcnt(0)
	s_barrier
	s_and_saveexec_b64 s[2:3], s[0:1]
	s_cbranch_execz .LBB91_253
; %bb.251:
	v_cmp_eq_f32_e32 vcc, 0, v142
	v_cmp_neq_f32_e64 s[0:1], 0, v144
	v_mov_b32_e32 v143, s7
	v_cndmask_b32_e64 v142, 0, 1, vcc
	s_or_b64 vcc, s[0:1], vcc
	v_cndmask_b32_e32 v142, 2, v142, vcc
	v_cmp_eq_f32_e32 vcc, 0, v145
	v_cmp_eq_u32_e64 s[0:1], 0, v142
	s_and_b64 s[0:1], vcc, s[0:1]
	v_cmp_eq_f32_e32 vcc, 0, v146
	v_cndmask_b32_e64 v142, v142, 3, s[0:1]
	v_cmp_eq_u32_e64 s[0:1], 0, v142
	s_and_b64 s[0:1], vcc, s[0:1]
	v_cmp_eq_f32_e32 vcc, 0, v147
	v_cndmask_b32_e64 v142, v142, 4, s[0:1]
	;; [unrolled: 4-line block ×24, first 2 shown]
	v_mov_b32_e32 v142, s6
	v_lshl_add_u64 v[24:25], v[24:25], 2, v[142:143]
	global_load_dword v143, v[24:25], off
	v_cmp_eq_u32_e64 s[0:1], 0, v144
	s_and_b64 s[0:1], vcc, s[0:1]
	v_cmp_eq_f32_e32 vcc, 0, v170
	v_cndmask_b32_e64 v142, v144, 27, s[0:1]
	v_cmp_eq_u32_e64 s[0:1], 0, v142
	s_and_b64 s[0:1], vcc, s[0:1]
	v_cmp_eq_f32_e32 vcc, 0, v171
	v_cndmask_b32_e64 v142, v142, 28, s[0:1]
	v_cmp_eq_u32_e64 s[0:1], 0, v142
	s_and_b64 s[0:1], vcc, s[0:1]
	v_cmp_eq_f32_e32 vcc, 0, v172
	v_cndmask_b32_e64 v142, v142, 29, s[0:1]
	v_cmp_eq_u32_e64 s[0:1], 0, v142
	s_and_b64 s[0:1], vcc, s[0:1]
	v_cmp_eq_f32_e32 vcc, 0, v173
	v_cndmask_b32_e64 v142, v142, 30, s[0:1]
	v_cmp_eq_u32_e64 s[0:1], 0, v142
	s_and_b64 s[0:1], vcc, s[0:1]
	v_cmp_eq_f32_e32 vcc, 0, v174
	v_cndmask_b32_e64 v142, v142, 31, s[0:1]
	v_cmp_eq_u32_e64 s[0:1], 0, v142
	s_and_b64 s[0:1], vcc, s[0:1]
	v_cmp_eq_f32_e32 vcc, 0, v175
	v_cndmask_b32_e64 v142, v142, 32, s[0:1]
	v_cmp_eq_u32_e64 s[0:1], 0, v142
	s_and_b64 s[0:1], vcc, s[0:1]
	v_cmp_eq_f32_e32 vcc, 0, v176
	v_cndmask_b32_e64 v142, v142, 33, s[0:1]
	v_cmp_eq_u32_e64 s[0:1], 0, v142
	s_and_b64 s[0:1], vcc, s[0:1]
	v_cmp_eq_f32_e32 vcc, 0, v177
	v_cndmask_b32_e64 v142, v142, 34, s[0:1]
	v_cmp_eq_u32_e64 s[0:1], 0, v142
	s_and_b64 s[0:1], vcc, s[0:1]
	v_cmp_eq_f32_e32 vcc, 0, v178
	v_cndmask_b32_e64 v142, v142, 35, s[0:1]
	v_cmp_eq_u32_e64 s[0:1], 0, v142
	s_and_b64 s[0:1], vcc, s[0:1]
	v_cmp_eq_f32_e32 vcc, 0, v179
	v_cndmask_b32_e64 v142, v142, 36, s[0:1]
	v_cmp_eq_u32_e64 s[0:1], 0, v142
	s_and_b64 s[0:1], vcc, s[0:1]
	v_cmp_eq_f32_e32 vcc, 0, v180
	v_cndmask_b32_e64 v142, v142, 37, s[0:1]
	v_cmp_eq_u32_e64 s[0:1], 0, v142
	s_and_b64 s[0:1], vcc, s[0:1]
	v_cmp_eq_f32_e32 vcc, 0, v181
	v_cndmask_b32_e64 v142, v142, 38, s[0:1]
	v_cmp_eq_u32_e64 s[0:1], 0, v142
	s_and_b64 s[0:1], vcc, s[0:1]
	v_cmp_eq_f32_e32 vcc, 0, v182
	v_cndmask_b32_e64 v142, v142, 39, s[0:1]
	v_cmp_eq_u32_e64 s[0:1], 0, v142
	s_and_b64 s[0:1], vcc, s[0:1]
	v_cmp_eq_f32_e32 vcc, 0, v183
	v_cndmask_b32_e64 v142, v142, 40, s[0:1]
	v_cmp_eq_u32_e64 s[0:1], 0, v142
	s_and_b64 s[0:1], vcc, s[0:1]
	v_cmp_eq_f32_e32 vcc, 0, v184
	v_cndmask_b32_e64 v142, v142, 41, s[0:1]
	v_cmp_eq_u32_e64 s[0:1], 0, v142
	s_and_b64 s[0:1], vcc, s[0:1]
	v_cmp_eq_f32_e32 vcc, 0, v185
	v_cndmask_b32_e64 v142, v142, 42, s[0:1]
	v_cmp_eq_u32_e64 s[0:1], 0, v142
	s_and_b64 s[0:1], vcc, s[0:1]
	v_cmp_eq_f32_e32 vcc, 0, v186
	v_cndmask_b32_e64 v142, v142, 43, s[0:1]
	v_cmp_eq_u32_e64 s[0:1], 0, v142
	s_and_b64 s[0:1], vcc, s[0:1]
	v_cmp_eq_f32_e32 vcc, 0, v187
	v_cndmask_b32_e64 v142, v142, 44, s[0:1]
	v_cmp_eq_u32_e64 s[0:1], 0, v142
	s_and_b64 s[0:1], vcc, s[0:1]
	v_cmp_eq_f32_e32 vcc, 0, v141
	v_cndmask_b32_e64 v142, v142, 45, s[0:1]
	v_cmp_eq_u32_e64 s[0:1], 0, v142
	s_and_b64 s[0:1], vcc, s[0:1]
	s_waitcnt vmcnt(0)
	v_cmp_eq_u32_e32 vcc, 0, v143
	v_cndmask_b32_e64 v142, v142, 46, s[0:1]
	v_cmp_ne_u32_e64 s[0:1], 0, v142
	s_and_b64 s[0:1], vcc, s[0:1]
	s_and_b64 exec, exec, s[0:1]
	s_cbranch_execz .LBB91_253
; %bb.252:
	v_add_u32_e32 v142, s9, v142
	global_store_dword v[24:25], v142, off
.LBB91_253:
	s_or_b64 exec, exec, s[2:3]
	s_waitcnt vmcnt(8)
	v_mul_f32_e32 v24, v141, v129
	v_cmp_lt_u32_e32 vcc, 45, v139
	s_nop 1
	v_cndmask_b32_e32 v24, v129, v24, vcc
	s_waitcnt vmcnt(1)
	global_store_dword v[0:1], v138, off
	s_waitcnt vmcnt(1)
	global_store_dword v[136:137], v140, off
	global_store_dword v[2:3], v132, off
	;; [unrolled: 1-line block ×45, first 2 shown]
.LBB91_254:
	s_endpgm
	.section	.rodata,"a",@progbits
	.p2align	6, 0x0
	.amdhsa_kernel _ZN9rocsolver6v33100L23getf2_npvt_small_kernelILi46EfiiPfEEvT1_T3_lS3_lPT2_S3_S3_
		.amdhsa_group_segment_fixed_size 0
		.amdhsa_private_segment_fixed_size 0
		.amdhsa_kernarg_size 312
		.amdhsa_user_sgpr_count 2
		.amdhsa_user_sgpr_dispatch_ptr 0
		.amdhsa_user_sgpr_queue_ptr 0
		.amdhsa_user_sgpr_kernarg_segment_ptr 1
		.amdhsa_user_sgpr_dispatch_id 0
		.amdhsa_user_sgpr_kernarg_preload_length 0
		.amdhsa_user_sgpr_kernarg_preload_offset 0
		.amdhsa_user_sgpr_private_segment_size 0
		.amdhsa_uses_dynamic_stack 0
		.amdhsa_enable_private_segment 0
		.amdhsa_system_sgpr_workgroup_id_x 1
		.amdhsa_system_sgpr_workgroup_id_y 1
		.amdhsa_system_sgpr_workgroup_id_z 0
		.amdhsa_system_sgpr_workgroup_info 0
		.amdhsa_system_vgpr_workitem_id 1
		.amdhsa_next_free_vgpr 193
		.amdhsa_next_free_sgpr 16
		.amdhsa_accum_offset 196
		.amdhsa_reserve_vcc 1
		.amdhsa_float_round_mode_32 0
		.amdhsa_float_round_mode_16_64 0
		.amdhsa_float_denorm_mode_32 3
		.amdhsa_float_denorm_mode_16_64 3
		.amdhsa_dx10_clamp 1
		.amdhsa_ieee_mode 1
		.amdhsa_fp16_overflow 0
		.amdhsa_tg_split 0
		.amdhsa_exception_fp_ieee_invalid_op 0
		.amdhsa_exception_fp_denorm_src 0
		.amdhsa_exception_fp_ieee_div_zero 0
		.amdhsa_exception_fp_ieee_overflow 0
		.amdhsa_exception_fp_ieee_underflow 0
		.amdhsa_exception_fp_ieee_inexact 0
		.amdhsa_exception_int_div_zero 0
	.end_amdhsa_kernel
	.section	.text._ZN9rocsolver6v33100L23getf2_npvt_small_kernelILi46EfiiPfEEvT1_T3_lS3_lPT2_S3_S3_,"axG",@progbits,_ZN9rocsolver6v33100L23getf2_npvt_small_kernelILi46EfiiPfEEvT1_T3_lS3_lPT2_S3_S3_,comdat
.Lfunc_end91:
	.size	_ZN9rocsolver6v33100L23getf2_npvt_small_kernelILi46EfiiPfEEvT1_T3_lS3_lPT2_S3_S3_, .Lfunc_end91-_ZN9rocsolver6v33100L23getf2_npvt_small_kernelILi46EfiiPfEEvT1_T3_lS3_lPT2_S3_S3_
                                        ; -- End function
	.set _ZN9rocsolver6v33100L23getf2_npvt_small_kernelILi46EfiiPfEEvT1_T3_lS3_lPT2_S3_S3_.num_vgpr, 193
	.set _ZN9rocsolver6v33100L23getf2_npvt_small_kernelILi46EfiiPfEEvT1_T3_lS3_lPT2_S3_S3_.num_agpr, 0
	.set _ZN9rocsolver6v33100L23getf2_npvt_small_kernelILi46EfiiPfEEvT1_T3_lS3_lPT2_S3_S3_.numbered_sgpr, 16
	.set _ZN9rocsolver6v33100L23getf2_npvt_small_kernelILi46EfiiPfEEvT1_T3_lS3_lPT2_S3_S3_.num_named_barrier, 0
	.set _ZN9rocsolver6v33100L23getf2_npvt_small_kernelILi46EfiiPfEEvT1_T3_lS3_lPT2_S3_S3_.private_seg_size, 0
	.set _ZN9rocsolver6v33100L23getf2_npvt_small_kernelILi46EfiiPfEEvT1_T3_lS3_lPT2_S3_S3_.uses_vcc, 1
	.set _ZN9rocsolver6v33100L23getf2_npvt_small_kernelILi46EfiiPfEEvT1_T3_lS3_lPT2_S3_S3_.uses_flat_scratch, 0
	.set _ZN9rocsolver6v33100L23getf2_npvt_small_kernelILi46EfiiPfEEvT1_T3_lS3_lPT2_S3_S3_.has_dyn_sized_stack, 0
	.set _ZN9rocsolver6v33100L23getf2_npvt_small_kernelILi46EfiiPfEEvT1_T3_lS3_lPT2_S3_S3_.has_recursion, 0
	.set _ZN9rocsolver6v33100L23getf2_npvt_small_kernelILi46EfiiPfEEvT1_T3_lS3_lPT2_S3_S3_.has_indirect_call, 0
	.section	.AMDGPU.csdata,"",@progbits
; Kernel info:
; codeLenInByte = 27168
; TotalNumSgprs: 22
; NumVgprs: 193
; NumAgprs: 0
; TotalNumVgprs: 193
; ScratchSize: 0
; MemoryBound: 0
; FloatMode: 240
; IeeeMode: 1
; LDSByteSize: 0 bytes/workgroup (compile time only)
; SGPRBlocks: 2
; VGPRBlocks: 24
; NumSGPRsForWavesPerEU: 22
; NumVGPRsForWavesPerEU: 193
; AccumOffset: 196
; Occupancy: 2
; WaveLimiterHint : 0
; COMPUTE_PGM_RSRC2:SCRATCH_EN: 0
; COMPUTE_PGM_RSRC2:USER_SGPR: 2
; COMPUTE_PGM_RSRC2:TRAP_HANDLER: 0
; COMPUTE_PGM_RSRC2:TGID_X_EN: 1
; COMPUTE_PGM_RSRC2:TGID_Y_EN: 1
; COMPUTE_PGM_RSRC2:TGID_Z_EN: 0
; COMPUTE_PGM_RSRC2:TIDIG_COMP_CNT: 1
; COMPUTE_PGM_RSRC3_GFX90A:ACCUM_OFFSET: 48
; COMPUTE_PGM_RSRC3_GFX90A:TG_SPLIT: 0
	.section	.text._ZN9rocsolver6v33100L18getf2_small_kernelILi47EfiiPfEEvT1_T3_lS3_lPS3_llPT2_S3_S3_S5_l,"axG",@progbits,_ZN9rocsolver6v33100L18getf2_small_kernelILi47EfiiPfEEvT1_T3_lS3_lPS3_llPT2_S3_S3_S5_l,comdat
	.globl	_ZN9rocsolver6v33100L18getf2_small_kernelILi47EfiiPfEEvT1_T3_lS3_lPS3_llPT2_S3_S3_S5_l ; -- Begin function _ZN9rocsolver6v33100L18getf2_small_kernelILi47EfiiPfEEvT1_T3_lS3_lPS3_llPT2_S3_S3_S5_l
	.p2align	8
	.type	_ZN9rocsolver6v33100L18getf2_small_kernelILi47EfiiPfEEvT1_T3_lS3_lPS3_llPT2_S3_S3_S5_l,@function
_ZN9rocsolver6v33100L18getf2_small_kernelILi47EfiiPfEEvT1_T3_lS3_lPS3_llPT2_S3_S3_S5_l: ; @_ZN9rocsolver6v33100L18getf2_small_kernelILi47EfiiPfEEvT1_T3_lS3_lPS3_llPT2_S3_S3_S5_l
; %bb.0:
	s_load_dword s2, s[0:1], 0x6c
	s_load_dwordx2 s[18:19], s[0:1], 0x48
	v_bfe_u32 v53, v0, 10, 10
	s_waitcnt lgkmcnt(0)
	s_lshr_b32 s2, s2, 16
	s_mul_i32 s3, s3, s2
	v_add_u32_e32 v2, s3, v53
	v_cmp_gt_i32_e32 vcc, s18, v2
	s_and_saveexec_b64 s[2:3], vcc
	s_cbranch_execz .LBB92_796
; %bb.1:
	s_load_dwordx4 s[4:7], s[0:1], 0x50
	v_ashrrev_i32_e32 v3, 31, v2
	v_mov_b64_e32 v[4:5], 0
	s_waitcnt lgkmcnt(0)
	s_cmp_eq_u64 s[4:5], 0
	s_cselect_b64 s[20:21], -1, 0
	s_and_b64 vcc, exec, s[20:21]
	s_cbranch_vccnz .LBB92_3
; %bb.2:
	v_mul_lo_u32 v1, s7, v2
	v_mul_lo_u32 v6, s6, v3
	v_mad_u64_u32 v[4:5], s[2:3], s6, v2, 0
	v_add3_u32 v5, v5, v6, v1
	v_lshl_add_u64 v[4:5], v[4:5], 2, s[4:5]
.LBB92_3:
	s_load_dwordx4 s[12:15], s[0:1], 0x8
	s_load_dwordx8 s[4:11], s[0:1], 0x20
	s_load_dword s16, s[0:1], 0x18
	s_load_dword s22, s[0:1], 0x0
	v_and_b32_e32 v58, 0x3ff, v0
	s_waitcnt lgkmcnt(0)
	v_mov_b32_e32 v6, s12
	v_mul_lo_u32 v1, s5, v2
	v_mul_lo_u32 v10, s4, v3
	v_mad_u64_u32 v[8:9], s[2:3], s4, v2, 0
	v_mov_b32_e32 v7, s13
	v_add3_u32 v9, v9, v10, v1
	s_add_i32 s18, s16, s16
	v_lshl_add_u64 v[6:7], v[8:9], 2, v[6:7]
	v_add_u32_e32 v10, s18, v58
	v_lshl_add_u64 v[6:7], s[14:15], 2, v[6:7]
	v_ashrrev_i32_e32 v11, 31, v10
	v_lshl_add_u64 v[12:13], v[10:11], 2, v[6:7]
	v_add_u32_e32 v10, s16, v10
	v_ashrrev_i32_e32 v11, 31, v10
	v_lshl_add_u64 v[14:15], v[10:11], 2, v[6:7]
	v_add_u32_e32 v10, s16, v10
	;; [unrolled: 3-line block ×4, first 2 shown]
	v_ashrrev_i32_e32 v11, 31, v10
	v_lshlrev_b32_e32 v54, 2, v58
	v_mov_b32_e32 v55, 0
	v_lshl_add_u64 v[20:21], v[10:11], 2, v[6:7]
	v_add_u32_e32 v10, s16, v10
	v_lshl_add_u64 v[0:1], v[6:7], 0, v[54:55]
	s_ashr_i32 s17, s16, 31
	v_ashrrev_i32_e32 v11, 31, v10
	v_lshl_add_u64 v[8:9], s[16:17], 2, v[0:1]
	v_lshl_add_u64 v[22:23], v[10:11], 2, v[6:7]
	global_load_dword v52, v[0:1], off
	global_load_dword v50, v[8:9], off
	;; [unrolled: 1-line block ×8, first 2 shown]
	v_add_u32_e32 v0, s16, v10
	v_ashrrev_i32_e32 v1, 31, v0
	v_lshl_add_u64 v[8:9], v[0:1], 2, v[6:7]
	v_add_u32_e32 v0, s16, v0
	v_ashrrev_i32_e32 v1, 31, v0
	v_lshl_add_u64 v[10:11], v[0:1], 2, v[6:7]
	;; [unrolled: 3-line block ×8, first 2 shown]
	v_add_u32_e32 v0, s16, v0
	v_ashrrev_i32_e32 v1, 31, v0
	global_load_dword v33, v[8:9], off
	global_load_dword v48, v[10:11], off
	;; [unrolled: 1-line block ×8, first 2 shown]
	v_lshl_add_u64 v[8:9], v[0:1], 2, v[6:7]
	v_add_u32_e32 v0, s16, v0
	v_ashrrev_i32_e32 v1, 31, v0
	v_lshl_add_u64 v[10:11], v[0:1], 2, v[6:7]
	v_add_u32_e32 v0, s16, v0
	v_ashrrev_i32_e32 v1, 31, v0
	;; [unrolled: 3-line block ×8, first 2 shown]
	global_load_dword v25, v[8:9], off
	global_load_dword v44, v[10:11], off
	;; [unrolled: 1-line block ×8, first 2 shown]
	v_lshl_add_u64 v[8:9], v[0:1], 2, v[6:7]
	v_add_u32_e32 v0, s16, v0
	v_ashrrev_i32_e32 v1, 31, v0
	v_lshl_add_u64 v[12:13], v[0:1], 2, v[6:7]
	v_add_u32_e32 v0, s16, v0
	v_ashrrev_i32_e32 v1, 31, v0
	;; [unrolled: 3-line block ×8, first 2 shown]
	global_load_dword v17, v[8:9], off
	global_load_dword v38, v[12:13], off
	;; [unrolled: 1-line block ×8, first 2 shown]
	v_lshl_add_u64 v[8:9], v[0:1], 2, v[6:7]
	v_add_u32_e32 v0, s16, v0
	v_ashrrev_i32_e32 v1, 31, v0
	v_lshl_add_u64 v[12:13], v[0:1], 2, v[6:7]
	v_add_u32_e32 v0, s16, v0
	v_ashrrev_i32_e32 v1, 31, v0
	;; [unrolled: 3-line block ×5, first 2 shown]
	v_lshl_add_u64 v[62:63], v[0:1], 2, v[6:7]
	v_add_u32_e32 v0, s16, v0
	v_add_u32_e32 v66, s16, v0
	v_ashrrev_i32_e32 v1, 31, v0
	v_ashrrev_i32_e32 v67, 31, v66
	v_lshl_add_u64 v[64:65], v[0:1], 2, v[6:7]
	v_lshl_add_u64 v[68:69], v[66:67], 2, v[6:7]
	global_load_dword v11, v[8:9], off
	global_load_dword v30, v[12:13], off
	;; [unrolled: 1-line block ×8, first 2 shown]
	v_add_u32_e32 v8, s16, v66
	v_ashrrev_i32_e32 v9, 31, v8
	v_lshl_add_u64 v[56:57], v[8:9], 2, v[6:7]
	v_add_u32_e32 v8, s16, v8
	v_ashrrev_i32_e32 v9, 31, v8
	v_lshl_add_u64 v[60:61], v[8:9], 2, v[6:7]
	;; [unrolled: 3-line block ×7, first 2 shown]
	global_load_dword v1, v[56:57], off
	global_load_dword v20, v[60:61], off
	;; [unrolled: 1-line block ×7, first 2 shown]
	s_load_dwordx2 s[4:5], s[0:1], 0x40
	s_max_i32 s0, s22, 47
	v_mul_lo_u32 v56, s0, v53
	v_lshl_add_u32 v53, v56, 2, 0
	v_add_u32_e32 v54, v53, v54
	s_waitcnt vmcnt(46)
	ds_write_b32 v54, v52
	s_waitcnt lgkmcnt(0)
	s_barrier
	ds_read_b32 v54, v53
	s_cmp_lt_i32 s22, 2
	v_lshlrev_b32_e32 v56, 2, v56
	s_cbranch_scc1 .LBB92_6
; %bb.4:
	v_add3_u32 v57, v56, 0, 4
	v_mov_b32_e32 v55, 0
	s_mov_b32 s0, 1
.LBB92_5:                               ; =>This Inner Loop Header: Depth=1
	ds_read_b32 v59, v57
	v_mov_b32_e32 v60, s0
	s_add_i32 s0, s0, 1
	v_add_u32_e32 v57, 4, v57
	s_cmp_eq_u32 s22, s0
	s_waitcnt lgkmcnt(0)
	v_cmp_lt_f32_e64 vcc, |v54|, |v59|
	s_nop 1
	v_cndmask_b32_e32 v54, v54, v59, vcc
	v_cndmask_b32_e32 v55, v55, v60, vcc
	s_cbranch_scc0 .LBB92_5
.LBB92_6:
	v_cmp_ne_u32_e32 vcc, v58, v55
                                        ; implicit-def: $vgpr57
	s_and_saveexec_b64 s[0:1], vcc
	s_xor_b64 s[0:1], exec, s[0:1]
	s_cbranch_execz .LBB92_12
; %bb.7:
	v_cmp_eq_u32_e32 vcc, 0, v58
	s_and_saveexec_b64 s[2:3], vcc
	s_cbranch_execz .LBB92_11
; %bb.8:
	v_cmp_ne_u32_e32 vcc, 0, v55
	s_xor_b64 s[12:13], s[20:21], -1
	s_and_b64 s[14:15], s[12:13], vcc
	s_and_saveexec_b64 s[12:13], s[14:15]
	s_cbranch_execz .LBB92_10
; %bb.9:
	v_ashrrev_i32_e32 v59, 31, v55
	v_mov_b32_e32 v58, v55
	v_lshl_add_u64 v[58:59], v[58:59], 2, v[4:5]
	global_load_dword v57, v[58:59], off
	global_load_dword v60, v[4:5], off
	s_waitcnt vmcnt(1)
	global_store_dword v[4:5], v57, off
	s_waitcnt vmcnt(1)
	global_store_dword v[58:59], v60, off
.LBB92_10:
	s_or_b64 exec, exec, s[12:13]
	v_mov_b32_e32 v58, v55
.LBB92_11:
	s_or_b64 exec, exec, s[2:3]
	v_mov_b32_e32 v57, v58
                                        ; implicit-def: $vgpr58
.LBB92_12:
	s_or_saveexec_b64 s[0:1], s[0:1]
	v_mov_b32_e32 v55, v57
	s_xor_b64 exec, exec, s[0:1]
	s_cbranch_execz .LBB92_14
; %bb.13:
	v_mov_b32_e32 v57, 0
	v_mov_b32_e32 v55, v58
	s_waitcnt vmcnt(44)
	ds_write2_b32 v53, v50, v51 offset0:1 offset1:2
	s_waitcnt vmcnt(42)
	ds_write2_b32 v53, v46, v47 offset0:3 offset1:4
	;; [unrolled: 2-line block ×23, first 2 shown]
.LBB92_14:
	s_or_b64 exec, exec, s[0:1]
	s_waitcnt lgkmcnt(0)
	v_cmp_eq_f32_e64 s[0:1], 0, v54
	v_cmp_lt_i32_e32 vcc, 0, v57
	s_barrier
	s_and_saveexec_b64 s[2:3], vcc
	s_cbranch_execz .LBB92_16
; %bb.15:
	v_div_scale_f32 v58, s[12:13], v54, v54, 1.0
	v_rcp_f32_e32 v59, v58
	v_div_scale_f32 v60, vcc, 1.0, v54, 1.0
	v_fma_f32 v61, -v58, v59, 1.0
	v_fmac_f32_e32 v59, v61, v59
	v_mul_f32_e32 v61, v60, v59
	v_fma_f32 v62, -v58, v61, v60
	v_fmac_f32_e32 v61, v62, v59
	v_fma_f32 v58, -v58, v61, v60
	v_div_fmas_f32 v58, v58, v59, v61
	v_div_fixup_f32 v58, v58, v54, 1.0
	v_cndmask_b32_e64 v54, v58, v54, s[0:1]
	ds_read2_b32 v[58:59], v53 offset0:1 offset1:2
	ds_read2_b32 v[60:61], v53 offset0:3 offset1:4
	ds_read2_b32 v[62:63], v53 offset0:5 offset1:6
	v_mul_f32_e32 v52, v54, v52
	ds_read2_b32 v[64:65], v53 offset0:7 offset1:8
	s_waitcnt vmcnt(44) lgkmcnt(3)
	v_pk_fma_f32 v[50:51], v[52:53], v[58:59], v[50:51] op_sel_hi:[0,1,1] neg_lo:[1,0,0] neg_hi:[1,0,0]
	s_waitcnt vmcnt(42) lgkmcnt(2)
	v_pk_fma_f32 v[46:47], v[52:53], v[60:61], v[46:47] op_sel_hi:[0,1,1] neg_lo:[1,0,0] neg_hi:[1,0,0]
	s_waitcnt vmcnt(40) lgkmcnt(1)
	v_pk_fma_f32 v[40:41], v[52:53], v[62:63], v[40:41] op_sel_hi:[0,1,1] neg_lo:[1,0,0] neg_hi:[1,0,0]
	ds_read2_b32 v[58:59], v53 offset0:9 offset1:10
	ds_read2_b32 v[60:61], v53 offset0:11 offset1:12
	ds_read2_b32 v[62:63], v53 offset0:13 offset1:14
	s_waitcnt vmcnt(38) lgkmcnt(3)
	v_pk_fma_f32 v[32:33], v[52:53], v[64:65], v[32:33] op_sel_hi:[0,1,1] neg_lo:[1,0,0] neg_hi:[1,0,0]
	ds_read2_b32 v[64:65], v53 offset0:15 offset1:16
	s_waitcnt vmcnt(36) lgkmcnt(3)
	v_pk_fma_f32 v[48:49], v[52:53], v[58:59], v[48:49] op_sel_hi:[0,1,1] neg_lo:[1,0,0] neg_hi:[1,0,0]
	s_waitcnt vmcnt(34) lgkmcnt(2)
	v_pk_fma_f32 v[42:43], v[52:53], v[60:61], v[42:43] op_sel_hi:[0,1,1] neg_lo:[1,0,0] neg_hi:[1,0,0]
	s_waitcnt vmcnt(32) lgkmcnt(1)
	v_pk_fma_f32 v[34:35], v[52:53], v[62:63], v[34:35] op_sel_hi:[0,1,1] neg_lo:[1,0,0] neg_hi:[1,0,0]
	ds_read2_b32 v[58:59], v53 offset0:17 offset1:18
	ds_read2_b32 v[60:61], v53 offset0:19 offset1:20
	ds_read2_b32 v[62:63], v53 offset0:21 offset1:22
	s_waitcnt vmcnt(30) lgkmcnt(3)
	v_pk_fma_f32 v[24:25], v[52:53], v[64:65], v[24:25] op_sel_hi:[0,1,1] neg_lo:[1,0,0] neg_hi:[1,0,0]
	;; [unrolled: 12-line block ×3, first 2 shown]
	ds_read2_b32 v[64:65], v53 offset0:31 offset1:32
	s_waitcnt vmcnt(20) lgkmcnt(3)
	v_pk_fma_f32 v[38:39], v[52:53], v[58:59], v[38:39] op_sel_hi:[0,1,1] neg_lo:[1,0,0] neg_hi:[1,0,0]
	s_waitcnt vmcnt(18) lgkmcnt(2)
	v_pk_fma_f32 v[28:29], v[52:53], v[60:61], v[28:29] op_sel_hi:[0,1,1] neg_lo:[1,0,0] neg_hi:[1,0,0]
	ds_read2_b32 v[58:59], v53 offset0:33 offset1:34
	ds_read2_b32 v[60:61], v53 offset0:35 offset1:36
	s_waitcnt vmcnt(16) lgkmcnt(3)
	v_pk_fma_f32 v[18:19], v[52:53], v[62:63], v[18:19] op_sel_hi:[0,1,1] neg_lo:[1,0,0] neg_hi:[1,0,0]
	s_waitcnt vmcnt(14) lgkmcnt(2)
	v_pk_fma_f32 v[10:11], v[52:53], v[64:65], v[10:11] op_sel_hi:[0,1,1] neg_lo:[1,0,0] neg_hi:[1,0,0]
	ds_read2_b32 v[62:63], v53 offset0:37 offset1:38
	;; [unrolled: 6-line block ×3, first 2 shown]
	ds_read2_b32 v[60:61], v53 offset0:43 offset1:44
	ds_read2_b32 v[66:67], v53 offset0:45 offset1:46
	s_waitcnt vmcnt(8) lgkmcnt(4)
	v_pk_fma_f32 v[14:15], v[52:53], v[62:63], v[14:15] op_sel_hi:[0,1,1] neg_lo:[1,0,0] neg_hi:[1,0,0]
	s_waitcnt vmcnt(6) lgkmcnt(3)
	v_pk_fma_f32 v[0:1], v[52:53], v[64:65], v[0:1] op_sel_hi:[0,1,1] neg_lo:[1,0,0] neg_hi:[1,0,0]
	;; [unrolled: 2-line block ×5, first 2 shown]
.LBB92_16:
	s_or_b64 exec, exec, s[2:3]
	v_lshl_add_u32 v54, v57, 2, v53
	s_barrier
	s_waitcnt vmcnt(45)
	ds_write_b32 v54, v50
	s_waitcnt lgkmcnt(0)
	s_barrier
	ds_read_b32 v58, v53 offset:4
	s_mov_b32 s2, 2
	s_cmp_lt_i32 s22, 3
	v_mov_b32_e32 v54, 1
	s_cbranch_scc1 .LBB92_19
; %bb.17:
	v_add3_u32 v59, v56, 0, 8
	v_mov_b32_e32 v54, 1
.LBB92_18:                              ; =>This Inner Loop Header: Depth=1
	ds_read_b32 v60, v59
	v_mov_b32_e32 v61, s2
	s_add_i32 s2, s2, 1
	v_add_u32_e32 v59, 4, v59
	s_cmp_lg_u32 s22, s2
	s_waitcnt lgkmcnt(0)
	v_cmp_lt_f32_e64 vcc, |v58|, |v60|
	s_nop 1
	v_cndmask_b32_e32 v58, v58, v60, vcc
	v_cndmask_b32_e32 v54, v54, v61, vcc
	s_cbranch_scc1 .LBB92_18
.LBB92_19:
	v_cmp_ne_u32_e32 vcc, v57, v54
	s_and_saveexec_b64 s[2:3], vcc
	s_xor_b64 s[2:3], exec, s[2:3]
	s_cbranch_execz .LBB92_25
; %bb.20:
	v_cmp_eq_u32_e32 vcc, 1, v57
	s_and_saveexec_b64 s[12:13], vcc
	s_cbranch_execz .LBB92_24
; %bb.21:
	v_cmp_ne_u32_e32 vcc, 1, v54
	s_xor_b64 s[14:15], s[20:21], -1
	s_and_b64 s[24:25], s[14:15], vcc
	s_and_saveexec_b64 s[14:15], s[24:25]
	s_cbranch_execz .LBB92_23
; %bb.22:
	v_ashrrev_i32_e32 v55, 31, v54
	v_lshl_add_u64 v[60:61], v[54:55], 2, v[4:5]
	global_load_dword v55, v[60:61], off
	global_load_dword v57, v[4:5], off offset:4
	s_waitcnt vmcnt(1)
	global_store_dword v[4:5], v55, off offset:4
	s_waitcnt vmcnt(1)
	global_store_dword v[60:61], v57, off
.LBB92_23:
	s_or_b64 exec, exec, s[14:15]
	v_mov_b32_e32 v55, v54
	v_mov_b32_e32 v57, v54
.LBB92_24:
	s_or_b64 exec, exec, s[12:13]
.LBB92_25:
	s_andn2_saveexec_b64 s[2:3], s[2:3]
	s_cbranch_execz .LBB92_27
; %bb.26:
	s_waitcnt vmcnt(42)
	v_pk_mov_b32 v[60:61], v[50:51], v[46:47] op_sel:[1,0]
	ds_write2_b32 v53, v60, v61 offset0:2 offset1:3
	s_waitcnt vmcnt(40)
	v_pk_mov_b32 v[60:61], v[46:47], v[40:41] op_sel:[1,0]
	ds_write2_b32 v53, v60, v61 offset0:4 offset1:5
	;; [unrolled: 3-line block ×21, first 2 shown]
	s_waitcnt vmcnt(0)
	v_pk_mov_b32 v[60:61], v[12:13], v[8:9] op_sel:[1,0]
	v_mov_b32_e32 v57, 1
	ds_write2_b32 v53, v60, v61 offset0:44 offset1:45
	ds_write_b32 v53, v9 offset:184
.LBB92_27:
	s_or_b64 exec, exec, s[2:3]
	s_waitcnt lgkmcnt(0)
	v_cmp_neq_f32_e64 s[2:3], 0, v58
	v_cmp_lt_i32_e32 vcc, 1, v57
	s_barrier
	s_and_saveexec_b64 s[12:13], vcc
	s_cbranch_execz .LBB92_29
; %bb.28:
	v_div_scale_f32 v54, s[14:15], v58, v58, 1.0
	v_rcp_f32_e32 v59, v54
	s_nop 0
	v_fma_f32 v60, -v54, v59, 1.0
	v_fmac_f32_e32 v59, v60, v59
	v_div_scale_f32 v60, vcc, 1.0, v58, 1.0
	v_mul_f32_e32 v61, v60, v59
	v_fma_f32 v62, -v54, v61, v60
	v_fmac_f32_e32 v61, v62, v59
	v_fma_f32 v54, -v54, v61, v60
	v_div_fmas_f32 v54, v54, v59, v61
	v_div_fixup_f32 v54, v54, v58, 1.0
	v_cndmask_b32_e64 v54, v58, v54, s[2:3]
	v_mul_f32_e32 v50, v54, v50
	ds_read_b32 v54, v53 offset:8
	ds_read2_b32 v[58:59], v53 offset0:3 offset1:4
	s_waitcnt vmcnt(44) lgkmcnt(1)
	v_fma_f32 v51, -v50, v54, v51
	s_waitcnt vmcnt(42) lgkmcnt(0)
	v_pk_fma_f32 v[46:47], v[50:51], v[58:59], v[46:47] op_sel_hi:[0,1,1] neg_lo:[1,0,0] neg_hi:[1,0,0]
	ds_read2_b32 v[58:59], v53 offset0:5 offset1:6
	s_waitcnt vmcnt(40) lgkmcnt(0)
	v_pk_fma_f32 v[40:41], v[50:51], v[58:59], v[40:41] op_sel_hi:[0,1,1] neg_lo:[1,0,0] neg_hi:[1,0,0]
	ds_read2_b32 v[58:59], v53 offset0:7 offset1:8
	s_waitcnt vmcnt(38) lgkmcnt(0)
	v_pk_fma_f32 v[32:33], v[50:51], v[58:59], v[32:33] op_sel_hi:[0,1,1] neg_lo:[1,0,0] neg_hi:[1,0,0]
	ds_read2_b32 v[58:59], v53 offset0:9 offset1:10
	s_waitcnt vmcnt(36) lgkmcnt(0)
	v_pk_fma_f32 v[48:49], v[50:51], v[58:59], v[48:49] op_sel_hi:[0,1,1] neg_lo:[1,0,0] neg_hi:[1,0,0]
	ds_read2_b32 v[58:59], v53 offset0:11 offset1:12
	s_waitcnt vmcnt(34) lgkmcnt(0)
	v_pk_fma_f32 v[42:43], v[50:51], v[58:59], v[42:43] op_sel_hi:[0,1,1] neg_lo:[1,0,0] neg_hi:[1,0,0]
	ds_read2_b32 v[58:59], v53 offset0:13 offset1:14
	s_waitcnt vmcnt(32) lgkmcnt(0)
	v_pk_fma_f32 v[34:35], v[50:51], v[58:59], v[34:35] op_sel_hi:[0,1,1] neg_lo:[1,0,0] neg_hi:[1,0,0]
	ds_read2_b32 v[58:59], v53 offset0:15 offset1:16
	s_waitcnt vmcnt(30) lgkmcnt(0)
	v_pk_fma_f32 v[24:25], v[50:51], v[58:59], v[24:25] op_sel_hi:[0,1,1] neg_lo:[1,0,0] neg_hi:[1,0,0]
	ds_read2_b32 v[58:59], v53 offset0:17 offset1:18
	s_waitcnt vmcnt(28) lgkmcnt(0)
	v_pk_fma_f32 v[44:45], v[50:51], v[58:59], v[44:45] op_sel_hi:[0,1,1] neg_lo:[1,0,0] neg_hi:[1,0,0]
	ds_read2_b32 v[58:59], v53 offset0:19 offset1:20
	s_waitcnt vmcnt(26) lgkmcnt(0)
	v_pk_fma_f32 v[36:37], v[50:51], v[58:59], v[36:37] op_sel_hi:[0,1,1] neg_lo:[1,0,0] neg_hi:[1,0,0]
	ds_read2_b32 v[58:59], v53 offset0:21 offset1:22
	s_waitcnt vmcnt(24) lgkmcnt(0)
	v_pk_fma_f32 v[26:27], v[50:51], v[58:59], v[26:27] op_sel_hi:[0,1,1] neg_lo:[1,0,0] neg_hi:[1,0,0]
	ds_read2_b32 v[58:59], v53 offset0:23 offset1:24
	s_waitcnt vmcnt(22) lgkmcnt(0)
	v_pk_fma_f32 v[16:17], v[50:51], v[58:59], v[16:17] op_sel_hi:[0,1,1] neg_lo:[1,0,0] neg_hi:[1,0,0]
	ds_read2_b32 v[58:59], v53 offset0:25 offset1:26
	s_waitcnt vmcnt(20) lgkmcnt(0)
	v_pk_fma_f32 v[38:39], v[50:51], v[58:59], v[38:39] op_sel_hi:[0,1,1] neg_lo:[1,0,0] neg_hi:[1,0,0]
	ds_read2_b32 v[58:59], v53 offset0:27 offset1:28
	s_waitcnt vmcnt(18) lgkmcnt(0)
	v_pk_fma_f32 v[28:29], v[50:51], v[58:59], v[28:29] op_sel_hi:[0,1,1] neg_lo:[1,0,0] neg_hi:[1,0,0]
	ds_read2_b32 v[58:59], v53 offset0:29 offset1:30
	s_waitcnt vmcnt(16) lgkmcnt(0)
	v_pk_fma_f32 v[18:19], v[50:51], v[58:59], v[18:19] op_sel_hi:[0,1,1] neg_lo:[1,0,0] neg_hi:[1,0,0]
	ds_read2_b32 v[58:59], v53 offset0:31 offset1:32
	s_waitcnt vmcnt(14) lgkmcnt(0)
	v_pk_fma_f32 v[10:11], v[50:51], v[58:59], v[10:11] op_sel_hi:[0,1,1] neg_lo:[1,0,0] neg_hi:[1,0,0]
	ds_read2_b32 v[58:59], v53 offset0:33 offset1:34
	s_waitcnt vmcnt(12) lgkmcnt(0)
	v_pk_fma_f32 v[30:31], v[50:51], v[58:59], v[30:31] op_sel_hi:[0,1,1] neg_lo:[1,0,0] neg_hi:[1,0,0]
	ds_read2_b32 v[58:59], v53 offset0:35 offset1:36
	s_waitcnt vmcnt(10) lgkmcnt(0)
	v_pk_fma_f32 v[22:23], v[50:51], v[58:59], v[22:23] op_sel_hi:[0,1,1] neg_lo:[1,0,0] neg_hi:[1,0,0]
	ds_read2_b32 v[58:59], v53 offset0:37 offset1:38
	s_waitcnt vmcnt(8) lgkmcnt(0)
	v_pk_fma_f32 v[14:15], v[50:51], v[58:59], v[14:15] op_sel_hi:[0,1,1] neg_lo:[1,0,0] neg_hi:[1,0,0]
	ds_read2_b32 v[58:59], v53 offset0:39 offset1:40
	s_waitcnt vmcnt(6) lgkmcnt(0)
	v_pk_fma_f32 v[0:1], v[50:51], v[58:59], v[0:1] op_sel_hi:[0,1,1] neg_lo:[1,0,0] neg_hi:[1,0,0]
	ds_read2_b32 v[58:59], v53 offset0:41 offset1:42
	s_waitcnt vmcnt(4) lgkmcnt(0)
	v_pk_fma_f32 v[20:21], v[50:51], v[58:59], v[20:21] op_sel_hi:[0,1,1] neg_lo:[1,0,0] neg_hi:[1,0,0]
	ds_read2_b32 v[58:59], v53 offset0:43 offset1:44
	s_waitcnt vmcnt(2) lgkmcnt(0)
	v_pk_fma_f32 v[12:13], v[50:51], v[58:59], v[12:13] op_sel_hi:[0,1,1] neg_lo:[1,0,0] neg_hi:[1,0,0]
	ds_read2_b32 v[58:59], v53 offset0:45 offset1:46
	s_waitcnt vmcnt(0) lgkmcnt(0)
	v_pk_fma_f32 v[8:9], v[50:51], v[58:59], v[8:9] op_sel_hi:[0,1,1] neg_lo:[1,0,0] neg_hi:[1,0,0]
.LBB92_29:
	s_or_b64 exec, exec, s[12:13]
	v_lshl_add_u32 v54, v57, 2, v53
	s_barrier
	s_waitcnt vmcnt(44)
	ds_write_b32 v54, v51
	s_waitcnt lgkmcnt(0)
	s_barrier
	ds_read_b32 v59, v53 offset:8
	s_cmp_lt_i32 s22, 4
	v_mov_b32_e32 v54, 2
	s_cbranch_scc1 .LBB92_32
; %bb.30:
	v_mov_b32_e32 v54, 2
	v_add3_u32 v58, v56, 0, 12
	s_mov_b32 s12, 3
.LBB92_31:                              ; =>This Inner Loop Header: Depth=1
	ds_read_b32 v60, v58
	v_mov_b32_e32 v61, s12
	s_add_i32 s12, s12, 1
	v_add_u32_e32 v58, 4, v58
	s_cmp_lg_u32 s22, s12
	s_waitcnt lgkmcnt(0)
	v_cmp_lt_f32_e64 vcc, |v59|, |v60|
	s_nop 1
	v_cndmask_b32_e32 v59, v59, v60, vcc
	v_cndmask_b32_e32 v54, v54, v61, vcc
	s_cbranch_scc1 .LBB92_31
.LBB92_32:
	v_cndmask_b32_e64 v58, 2, 1, s[0:1]
	v_cndmask_b32_e64 v60, 0, 1, s[0:1]
	;; [unrolled: 1-line block ×3, first 2 shown]
	s_waitcnt lgkmcnt(0)
	v_cmp_eq_f32_e32 vcc, 0, v59
	s_and_saveexec_b64 s[0:1], vcc
	s_xor_b64 s[0:1], exec, s[0:1]
; %bb.33:
	v_cmp_ne_u32_e32 vcc, 0, v58
	s_nop 1
	v_cndmask_b32_e32 v58, 3, v58, vcc
; %bb.34:
	s_andn2_saveexec_b64 s[0:1], s[0:1]
	s_cbranch_execz .LBB92_36
; %bb.35:
	v_div_scale_f32 v60, s[2:3], v59, v59, 1.0
	v_rcp_f32_e32 v61, v60
	v_div_scale_f32 v62, vcc, 1.0, v59, 1.0
	v_fma_f32 v63, -v60, v61, 1.0
	v_fmac_f32_e32 v61, v63, v61
	v_mul_f32_e32 v63, v62, v61
	v_fma_f32 v64, -v60, v63, v62
	v_fmac_f32_e32 v63, v64, v61
	v_fma_f32 v60, -v60, v63, v62
	v_div_fmas_f32 v60, v60, v61, v63
	v_div_fixup_f32 v59, v60, v59, 1.0
.LBB92_36:
	s_or_b64 exec, exec, s[0:1]
	v_cmp_ne_u32_e32 vcc, v57, v54
	s_and_saveexec_b64 s[0:1], vcc
	s_xor_b64 s[0:1], exec, s[0:1]
	s_cbranch_execz .LBB92_42
; %bb.37:
	v_cmp_eq_u32_e32 vcc, 2, v57
	s_and_saveexec_b64 s[2:3], vcc
	s_cbranch_execz .LBB92_41
; %bb.38:
	v_cmp_ne_u32_e32 vcc, 2, v54
	s_xor_b64 s[12:13], s[20:21], -1
	s_and_b64 s[14:15], s[12:13], vcc
	s_and_saveexec_b64 s[12:13], s[14:15]
	s_cbranch_execz .LBB92_40
; %bb.39:
	v_ashrrev_i32_e32 v55, 31, v54
	v_lshl_add_u64 v[60:61], v[54:55], 2, v[4:5]
	global_load_dword v55, v[60:61], off
	global_load_dword v57, v[4:5], off offset:8
	s_waitcnt vmcnt(1)
	global_store_dword v[4:5], v55, off offset:8
	s_waitcnt vmcnt(1)
	global_store_dword v[60:61], v57, off
.LBB92_40:
	s_or_b64 exec, exec, s[12:13]
	v_mov_b32_e32 v55, v54
	v_mov_b32_e32 v57, v54
.LBB92_41:
	s_or_b64 exec, exec, s[2:3]
.LBB92_42:
	s_andn2_saveexec_b64 s[0:1], s[0:1]
	s_cbranch_execz .LBB92_44
; %bb.43:
	v_mov_b32_e32 v57, 2
	s_waitcnt vmcnt(42)
	ds_write2_b32 v53, v46, v47 offset0:3 offset1:4
	s_waitcnt vmcnt(40)
	ds_write2_b32 v53, v40, v41 offset0:5 offset1:6
	;; [unrolled: 2-line block ×22, first 2 shown]
.LBB92_44:
	s_or_b64 exec, exec, s[0:1]
	v_cmp_lt_i32_e32 vcc, 2, v57
	s_waitcnt lgkmcnt(0)
	s_barrier
	s_and_saveexec_b64 s[0:1], vcc
	s_cbranch_execz .LBB92_46
; %bb.45:
	ds_read2_b32 v[60:61], v53 offset0:3 offset1:4
	ds_read2_b32 v[62:63], v53 offset0:5 offset1:6
	;; [unrolled: 1-line block ×4, first 2 shown]
	v_mul_f32_e32 v54, v59, v51
	s_waitcnt vmcnt(42) lgkmcnt(3)
	v_pk_fma_f32 v[46:47], v[54:55], v[60:61], v[46:47] op_sel_hi:[0,1,1] neg_lo:[1,0,0] neg_hi:[1,0,0]
	s_waitcnt vmcnt(40) lgkmcnt(2)
	v_pk_fma_f32 v[40:41], v[54:55], v[62:63], v[40:41] op_sel_hi:[0,1,1] neg_lo:[1,0,0] neg_hi:[1,0,0]
	s_waitcnt vmcnt(38) lgkmcnt(1)
	v_pk_fma_f32 v[32:33], v[54:55], v[64:65], v[32:33] op_sel_hi:[0,1,1] neg_lo:[1,0,0] neg_hi:[1,0,0]
	ds_read2_b32 v[60:61], v53 offset0:11 offset1:12
	ds_read2_b32 v[62:63], v53 offset0:13 offset1:14
	ds_read2_b32 v[64:65], v53 offset0:15 offset1:16
	s_waitcnt vmcnt(36) lgkmcnt(3)
	v_pk_fma_f32 v[48:49], v[54:55], v[66:67], v[48:49] op_sel_hi:[0,1,1] neg_lo:[1,0,0] neg_hi:[1,0,0]
	ds_read2_b32 v[66:67], v53 offset0:17 offset1:18
	s_waitcnt vmcnt(34) lgkmcnt(3)
	v_pk_fma_f32 v[42:43], v[54:55], v[60:61], v[42:43] op_sel_hi:[0,1,1] neg_lo:[1,0,0] neg_hi:[1,0,0]
	s_waitcnt vmcnt(32) lgkmcnt(2)
	v_pk_fma_f32 v[34:35], v[54:55], v[62:63], v[34:35] op_sel_hi:[0,1,1] neg_lo:[1,0,0] neg_hi:[1,0,0]
	s_waitcnt vmcnt(30) lgkmcnt(1)
	v_pk_fma_f32 v[24:25], v[54:55], v[64:65], v[24:25] op_sel_hi:[0,1,1] neg_lo:[1,0,0] neg_hi:[1,0,0]
	ds_read2_b32 v[60:61], v53 offset0:19 offset1:20
	ds_read2_b32 v[62:63], v53 offset0:21 offset1:22
	ds_read2_b32 v[64:65], v53 offset0:23 offset1:24
	s_waitcnt vmcnt(28) lgkmcnt(3)
	v_pk_fma_f32 v[44:45], v[54:55], v[66:67], v[44:45] op_sel_hi:[0,1,1] neg_lo:[1,0,0] neg_hi:[1,0,0]
	ds_read2_b32 v[66:67], v53 offset0:25 offset1:26
	;; [unrolled: 12-line block ×3, first 2 shown]
	s_waitcnt vmcnt(18) lgkmcnt(3)
	v_pk_fma_f32 v[28:29], v[54:55], v[60:61], v[28:29] op_sel_hi:[0,1,1] neg_lo:[1,0,0] neg_hi:[1,0,0]
	ds_read2_b32 v[60:61], v53 offset0:35 offset1:36
	s_waitcnt vmcnt(16) lgkmcnt(3)
	v_pk_fma_f32 v[18:19], v[54:55], v[62:63], v[18:19] op_sel_hi:[0,1,1] neg_lo:[1,0,0] neg_hi:[1,0,0]
	s_waitcnt vmcnt(14) lgkmcnt(2)
	v_pk_fma_f32 v[10:11], v[54:55], v[64:65], v[10:11] op_sel_hi:[0,1,1] neg_lo:[1,0,0] neg_hi:[1,0,0]
	;; [unrolled: 2-line block ×3, first 2 shown]
	ds_read2_b32 v[62:63], v53 offset0:37 offset1:38
	ds_read2_b32 v[64:65], v53 offset0:39 offset1:40
	;; [unrolled: 1-line block ×3, first 2 shown]
	s_waitcnt vmcnt(10) lgkmcnt(3)
	v_pk_fma_f32 v[22:23], v[54:55], v[60:61], v[22:23] op_sel_hi:[0,1,1] neg_lo:[1,0,0] neg_hi:[1,0,0]
	ds_read2_b32 v[60:61], v53 offset0:43 offset1:44
	ds_read2_b32 v[68:69], v53 offset0:45 offset1:46
	s_waitcnt vmcnt(8) lgkmcnt(4)
	v_pk_fma_f32 v[14:15], v[54:55], v[62:63], v[14:15] op_sel_hi:[0,1,1] neg_lo:[1,0,0] neg_hi:[1,0,0]
	s_waitcnt vmcnt(6) lgkmcnt(3)
	v_pk_fma_f32 v[0:1], v[54:55], v[64:65], v[0:1] op_sel_hi:[0,1,1] neg_lo:[1,0,0] neg_hi:[1,0,0]
	;; [unrolled: 2-line block ×5, first 2 shown]
	v_mov_b32_e32 v51, v54
.LBB92_46:
	s_or_b64 exec, exec, s[0:1]
	v_lshl_add_u32 v54, v57, 2, v53
	s_barrier
	s_waitcnt vmcnt(43)
	ds_write_b32 v54, v46
	s_waitcnt lgkmcnt(0)
	s_barrier
	ds_read_b32 v59, v53 offset:12
	s_cmp_lt_i32 s22, 5
	v_mov_b32_e32 v54, 3
	s_cbranch_scc1 .LBB92_49
; %bb.47:
	v_add3_u32 v60, v56, 0, 16
	v_mov_b32_e32 v54, 3
	s_mov_b32 s0, 4
.LBB92_48:                              ; =>This Inner Loop Header: Depth=1
	ds_read_b32 v61, v60
	v_mov_b32_e32 v62, s0
	s_add_i32 s0, s0, 1
	v_add_u32_e32 v60, 4, v60
	s_cmp_lg_u32 s22, s0
	s_waitcnt lgkmcnt(0)
	v_cmp_lt_f32_e64 vcc, |v59|, |v61|
	s_nop 1
	v_cndmask_b32_e32 v59, v59, v61, vcc
	v_cndmask_b32_e32 v54, v54, v62, vcc
	s_cbranch_scc1 .LBB92_48
.LBB92_49:
	s_waitcnt lgkmcnt(0)
	v_cmp_eq_f32_e32 vcc, 0, v59
	s_and_saveexec_b64 s[0:1], vcc
	s_xor_b64 s[0:1], exec, s[0:1]
; %bb.50:
	v_cmp_ne_u32_e32 vcc, 0, v58
	s_nop 1
	v_cndmask_b32_e32 v58, 4, v58, vcc
; %bb.51:
	s_andn2_saveexec_b64 s[0:1], s[0:1]
	s_cbranch_execz .LBB92_53
; %bb.52:
	v_div_scale_f32 v60, s[2:3], v59, v59, 1.0
	v_rcp_f32_e32 v61, v60
	v_div_scale_f32 v62, vcc, 1.0, v59, 1.0
	v_fma_f32 v63, -v60, v61, 1.0
	v_fmac_f32_e32 v61, v63, v61
	v_mul_f32_e32 v63, v62, v61
	v_fma_f32 v64, -v60, v63, v62
	v_fmac_f32_e32 v63, v64, v61
	v_fma_f32 v60, -v60, v63, v62
	v_div_fmas_f32 v60, v60, v61, v63
	v_div_fixup_f32 v59, v60, v59, 1.0
.LBB92_53:
	s_or_b64 exec, exec, s[0:1]
	v_cmp_ne_u32_e32 vcc, v57, v54
	s_and_saveexec_b64 s[0:1], vcc
	s_xor_b64 s[0:1], exec, s[0:1]
	s_cbranch_execz .LBB92_59
; %bb.54:
	v_cmp_eq_u32_e32 vcc, 3, v57
	s_and_saveexec_b64 s[2:3], vcc
	s_cbranch_execz .LBB92_58
; %bb.55:
	v_cmp_ne_u32_e32 vcc, 3, v54
	s_xor_b64 s[12:13], s[20:21], -1
	s_and_b64 s[14:15], s[12:13], vcc
	s_and_saveexec_b64 s[12:13], s[14:15]
	s_cbranch_execz .LBB92_57
; %bb.56:
	v_ashrrev_i32_e32 v55, 31, v54
	v_lshl_add_u64 v[60:61], v[54:55], 2, v[4:5]
	global_load_dword v55, v[60:61], off
	global_load_dword v57, v[4:5], off offset:12
	s_waitcnt vmcnt(1)
	global_store_dword v[4:5], v55, off offset:12
	s_waitcnt vmcnt(1)
	global_store_dword v[60:61], v57, off
.LBB92_57:
	s_or_b64 exec, exec, s[12:13]
	v_mov_b32_e32 v55, v54
	v_mov_b32_e32 v57, v54
.LBB92_58:
	s_or_b64 exec, exec, s[2:3]
.LBB92_59:
	s_andn2_saveexec_b64 s[0:1], s[0:1]
	s_cbranch_execz .LBB92_61
; %bb.60:
	s_waitcnt vmcnt(40)
	v_pk_mov_b32 v[60:61], v[46:47], v[40:41] op_sel:[1,0]
	ds_write2_b32 v53, v60, v61 offset0:4 offset1:5
	s_waitcnt vmcnt(38)
	v_pk_mov_b32 v[60:61], v[40:41], v[32:33] op_sel:[1,0]
	ds_write2_b32 v53, v60, v61 offset0:6 offset1:7
	;; [unrolled: 3-line block ×20, first 2 shown]
	s_waitcnt vmcnt(0)
	v_pk_mov_b32 v[60:61], v[12:13], v[8:9] op_sel:[1,0]
	v_mov_b32_e32 v57, 3
	ds_write2_b32 v53, v60, v61 offset0:44 offset1:45
	ds_write_b32 v53, v9 offset:184
.LBB92_61:
	s_or_b64 exec, exec, s[0:1]
	v_cmp_lt_i32_e32 vcc, 3, v57
	s_waitcnt lgkmcnt(0)
	s_barrier
	s_and_saveexec_b64 s[0:1], vcc
	s_cbranch_execz .LBB92_63
; %bb.62:
	ds_read_b32 v54, v53 offset:16
	ds_read2_b32 v[60:61], v53 offset0:5 offset1:6
	ds_read2_b32 v[62:63], v53 offset0:7 offset1:8
	v_mul_f32_e32 v46, v59, v46
	ds_read2_b32 v[64:65], v53 offset0:9 offset1:10
	s_waitcnt vmcnt(42) lgkmcnt(3)
	v_fma_f32 v47, -v46, v54, v47
	s_waitcnt vmcnt(40) lgkmcnt(2)
	v_pk_fma_f32 v[40:41], v[46:47], v[60:61], v[40:41] op_sel_hi:[0,1,1] neg_lo:[1,0,0] neg_hi:[1,0,0]
	s_waitcnt vmcnt(38) lgkmcnt(1)
	v_pk_fma_f32 v[32:33], v[46:47], v[62:63], v[32:33] op_sel_hi:[0,1,1] neg_lo:[1,0,0] neg_hi:[1,0,0]
	ds_read2_b32 v[60:61], v53 offset0:11 offset1:12
	ds_read2_b32 v[62:63], v53 offset0:13 offset1:14
	ds_read2_b32 v[66:67], v53 offset0:15 offset1:16
	s_waitcnt vmcnt(36) lgkmcnt(3)
	v_pk_fma_f32 v[48:49], v[46:47], v[64:65], v[48:49] op_sel_hi:[0,1,1] neg_lo:[1,0,0] neg_hi:[1,0,0]
	ds_read2_b32 v[64:65], v53 offset0:17 offset1:18
	s_waitcnt vmcnt(34) lgkmcnt(3)
	v_pk_fma_f32 v[42:43], v[46:47], v[60:61], v[42:43] op_sel_hi:[0,1,1] neg_lo:[1,0,0] neg_hi:[1,0,0]
	s_waitcnt vmcnt(32) lgkmcnt(2)
	v_pk_fma_f32 v[34:35], v[46:47], v[62:63], v[34:35] op_sel_hi:[0,1,1] neg_lo:[1,0,0] neg_hi:[1,0,0]
	s_waitcnt vmcnt(30) lgkmcnt(1)
	v_pk_fma_f32 v[24:25], v[46:47], v[66:67], v[24:25] op_sel_hi:[0,1,1] neg_lo:[1,0,0] neg_hi:[1,0,0]
	ds_read2_b32 v[60:61], v53 offset0:19 offset1:20
	ds_read2_b32 v[62:63], v53 offset0:21 offset1:22
	ds_read2_b32 v[66:67], v53 offset0:23 offset1:24
	s_waitcnt vmcnt(28) lgkmcnt(3)
	v_pk_fma_f32 v[44:45], v[46:47], v[64:65], v[44:45] op_sel_hi:[0,1,1] neg_lo:[1,0,0] neg_hi:[1,0,0]
	ds_read2_b32 v[64:65], v53 offset0:25 offset1:26
	s_waitcnt vmcnt(26) lgkmcnt(3)
	v_pk_fma_f32 v[36:37], v[46:47], v[60:61], v[36:37] op_sel_hi:[0,1,1] neg_lo:[1,0,0] neg_hi:[1,0,0]
	;; [unrolled: 12-line block ×3, first 2 shown]
	ds_read2_b32 v[60:61], v53 offset0:35 offset1:36
	s_waitcnt vmcnt(16) lgkmcnt(3)
	v_pk_fma_f32 v[18:19], v[46:47], v[62:63], v[18:19] op_sel_hi:[0,1,1] neg_lo:[1,0,0] neg_hi:[1,0,0]
	s_waitcnt vmcnt(14) lgkmcnt(2)
	v_pk_fma_f32 v[10:11], v[46:47], v[66:67], v[10:11] op_sel_hi:[0,1,1] neg_lo:[1,0,0] neg_hi:[1,0,0]
	;; [unrolled: 2-line block ×3, first 2 shown]
	ds_read2_b32 v[62:63], v53 offset0:37 offset1:38
	ds_read2_b32 v[64:65], v53 offset0:39 offset1:40
	;; [unrolled: 1-line block ×3, first 2 shown]
	s_waitcnt vmcnt(10) lgkmcnt(3)
	v_pk_fma_f32 v[22:23], v[46:47], v[60:61], v[22:23] op_sel_hi:[0,1,1] neg_lo:[1,0,0] neg_hi:[1,0,0]
	ds_read2_b32 v[60:61], v53 offset0:43 offset1:44
	ds_read2_b32 v[68:69], v53 offset0:45 offset1:46
	s_waitcnt vmcnt(8) lgkmcnt(4)
	v_pk_fma_f32 v[14:15], v[46:47], v[62:63], v[14:15] op_sel_hi:[0,1,1] neg_lo:[1,0,0] neg_hi:[1,0,0]
	s_waitcnt vmcnt(6) lgkmcnt(3)
	v_pk_fma_f32 v[0:1], v[46:47], v[64:65], v[0:1] op_sel_hi:[0,1,1] neg_lo:[1,0,0] neg_hi:[1,0,0]
	;; [unrolled: 2-line block ×5, first 2 shown]
.LBB92_63:
	s_or_b64 exec, exec, s[0:1]
	v_lshl_add_u32 v54, v57, 2, v53
	s_barrier
	s_waitcnt vmcnt(42)
	ds_write_b32 v54, v47
	s_waitcnt lgkmcnt(0)
	s_barrier
	ds_read_b32 v59, v53 offset:16
	s_cmp_lt_i32 s22, 6
	v_mov_b32_e32 v54, 4
	s_cbranch_scc1 .LBB92_66
; %bb.64:
	v_add3_u32 v60, v56, 0, 20
	v_mov_b32_e32 v54, 4
	s_mov_b32 s0, 5
.LBB92_65:                              ; =>This Inner Loop Header: Depth=1
	ds_read_b32 v61, v60
	v_mov_b32_e32 v62, s0
	s_add_i32 s0, s0, 1
	v_add_u32_e32 v60, 4, v60
	s_cmp_lg_u32 s22, s0
	s_waitcnt lgkmcnt(0)
	v_cmp_lt_f32_e64 vcc, |v59|, |v61|
	s_nop 1
	v_cndmask_b32_e32 v59, v59, v61, vcc
	v_cndmask_b32_e32 v54, v54, v62, vcc
	s_cbranch_scc1 .LBB92_65
.LBB92_66:
	s_waitcnt lgkmcnt(0)
	v_cmp_eq_f32_e32 vcc, 0, v59
	s_and_saveexec_b64 s[0:1], vcc
	s_xor_b64 s[0:1], exec, s[0:1]
; %bb.67:
	v_cmp_ne_u32_e32 vcc, 0, v58
	s_nop 1
	v_cndmask_b32_e32 v58, 5, v58, vcc
; %bb.68:
	s_andn2_saveexec_b64 s[0:1], s[0:1]
	s_cbranch_execz .LBB92_70
; %bb.69:
	v_div_scale_f32 v60, s[2:3], v59, v59, 1.0
	v_rcp_f32_e32 v61, v60
	v_div_scale_f32 v62, vcc, 1.0, v59, 1.0
	v_fma_f32 v63, -v60, v61, 1.0
	v_fmac_f32_e32 v61, v63, v61
	v_mul_f32_e32 v63, v62, v61
	v_fma_f32 v64, -v60, v63, v62
	v_fmac_f32_e32 v63, v64, v61
	v_fma_f32 v60, -v60, v63, v62
	v_div_fmas_f32 v60, v60, v61, v63
	v_div_fixup_f32 v59, v60, v59, 1.0
.LBB92_70:
	s_or_b64 exec, exec, s[0:1]
	v_cmp_ne_u32_e32 vcc, v57, v54
	s_and_saveexec_b64 s[0:1], vcc
	s_xor_b64 s[0:1], exec, s[0:1]
	s_cbranch_execz .LBB92_76
; %bb.71:
	v_cmp_eq_u32_e32 vcc, 4, v57
	s_and_saveexec_b64 s[2:3], vcc
	s_cbranch_execz .LBB92_75
; %bb.72:
	v_cmp_ne_u32_e32 vcc, 4, v54
	s_xor_b64 s[12:13], s[20:21], -1
	s_and_b64 s[14:15], s[12:13], vcc
	s_and_saveexec_b64 s[12:13], s[14:15]
	s_cbranch_execz .LBB92_74
; %bb.73:
	v_ashrrev_i32_e32 v55, 31, v54
	v_lshl_add_u64 v[60:61], v[54:55], 2, v[4:5]
	global_load_dword v55, v[60:61], off
	global_load_dword v57, v[4:5], off offset:16
	s_waitcnt vmcnt(1)
	global_store_dword v[4:5], v55, off offset:16
	s_waitcnt vmcnt(1)
	global_store_dword v[60:61], v57, off
.LBB92_74:
	s_or_b64 exec, exec, s[12:13]
	v_mov_b32_e32 v55, v54
	v_mov_b32_e32 v57, v54
.LBB92_75:
	s_or_b64 exec, exec, s[2:3]
.LBB92_76:
	s_andn2_saveexec_b64 s[0:1], s[0:1]
	s_cbranch_execz .LBB92_78
; %bb.77:
	v_mov_b32_e32 v57, 4
	s_waitcnt vmcnt(40)
	ds_write2_b32 v53, v40, v41 offset0:5 offset1:6
	s_waitcnt vmcnt(38)
	ds_write2_b32 v53, v32, v33 offset0:7 offset1:8
	;; [unrolled: 2-line block ×21, first 2 shown]
.LBB92_78:
	s_or_b64 exec, exec, s[0:1]
	v_cmp_lt_i32_e32 vcc, 4, v57
	s_waitcnt lgkmcnt(0)
	s_barrier
	s_and_saveexec_b64 s[0:1], vcc
	s_cbranch_execz .LBB92_80
; %bb.79:
	ds_read2_b32 v[60:61], v53 offset0:5 offset1:6
	ds_read2_b32 v[62:63], v53 offset0:7 offset1:8
	;; [unrolled: 1-line block ×3, first 2 shown]
	v_mul_f32_e32 v54, v59, v47
	ds_read2_b32 v[66:67], v53 offset0:11 offset1:12
	s_waitcnt vmcnt(40) lgkmcnt(3)
	v_pk_fma_f32 v[40:41], v[54:55], v[60:61], v[40:41] op_sel_hi:[0,1,1] neg_lo:[1,0,0] neg_hi:[1,0,0]
	s_waitcnt vmcnt(38) lgkmcnt(2)
	v_pk_fma_f32 v[32:33], v[54:55], v[62:63], v[32:33] op_sel_hi:[0,1,1] neg_lo:[1,0,0] neg_hi:[1,0,0]
	s_waitcnt vmcnt(36) lgkmcnt(1)
	v_pk_fma_f32 v[48:49], v[54:55], v[64:65], v[48:49] op_sel_hi:[0,1,1] neg_lo:[1,0,0] neg_hi:[1,0,0]
	ds_read2_b32 v[60:61], v53 offset0:13 offset1:14
	ds_read2_b32 v[62:63], v53 offset0:15 offset1:16
	;; [unrolled: 1-line block ×3, first 2 shown]
	s_waitcnt vmcnt(34) lgkmcnt(3)
	v_pk_fma_f32 v[42:43], v[54:55], v[66:67], v[42:43] op_sel_hi:[0,1,1] neg_lo:[1,0,0] neg_hi:[1,0,0]
	ds_read2_b32 v[66:67], v53 offset0:19 offset1:20
	s_waitcnt vmcnt(32) lgkmcnt(3)
	v_pk_fma_f32 v[34:35], v[54:55], v[60:61], v[34:35] op_sel_hi:[0,1,1] neg_lo:[1,0,0] neg_hi:[1,0,0]
	s_waitcnt vmcnt(30) lgkmcnt(2)
	v_pk_fma_f32 v[24:25], v[54:55], v[62:63], v[24:25] op_sel_hi:[0,1,1] neg_lo:[1,0,0] neg_hi:[1,0,0]
	;; [unrolled: 2-line block ×3, first 2 shown]
	ds_read2_b32 v[60:61], v53 offset0:21 offset1:22
	ds_read2_b32 v[62:63], v53 offset0:23 offset1:24
	;; [unrolled: 1-line block ×3, first 2 shown]
	s_waitcnt vmcnt(26) lgkmcnt(3)
	v_pk_fma_f32 v[36:37], v[54:55], v[66:67], v[36:37] op_sel_hi:[0,1,1] neg_lo:[1,0,0] neg_hi:[1,0,0]
	ds_read2_b32 v[66:67], v53 offset0:27 offset1:28
	s_waitcnt vmcnt(24) lgkmcnt(3)
	v_pk_fma_f32 v[26:27], v[54:55], v[60:61], v[26:27] op_sel_hi:[0,1,1] neg_lo:[1,0,0] neg_hi:[1,0,0]
	s_waitcnt vmcnt(22) lgkmcnt(2)
	v_pk_fma_f32 v[16:17], v[54:55], v[62:63], v[16:17] op_sel_hi:[0,1,1] neg_lo:[1,0,0] neg_hi:[1,0,0]
	s_waitcnt vmcnt(20) lgkmcnt(1)
	v_pk_fma_f32 v[38:39], v[54:55], v[64:65], v[38:39] op_sel_hi:[0,1,1] neg_lo:[1,0,0] neg_hi:[1,0,0]
	ds_read2_b32 v[60:61], v53 offset0:29 offset1:30
	ds_read2_b32 v[62:63], v53 offset0:31 offset1:32
	;; [unrolled: 1-line block ×4, first 2 shown]
	s_waitcnt vmcnt(18) lgkmcnt(4)
	v_pk_fma_f32 v[28:29], v[54:55], v[66:67], v[28:29] op_sel_hi:[0,1,1] neg_lo:[1,0,0] neg_hi:[1,0,0]
	s_waitcnt vmcnt(16) lgkmcnt(3)
	v_pk_fma_f32 v[18:19], v[54:55], v[60:61], v[18:19] op_sel_hi:[0,1,1] neg_lo:[1,0,0] neg_hi:[1,0,0]
	;; [unrolled: 2-line block ×5, first 2 shown]
	ds_read2_b32 v[60:61], v53 offset0:37 offset1:38
	ds_read2_b32 v[62:63], v53 offset0:39 offset1:40
	;; [unrolled: 1-line block ×5, first 2 shown]
	s_waitcnt vmcnt(8) lgkmcnt(4)
	v_pk_fma_f32 v[14:15], v[54:55], v[60:61], v[14:15] op_sel_hi:[0,1,1] neg_lo:[1,0,0] neg_hi:[1,0,0]
	s_waitcnt vmcnt(6) lgkmcnt(3)
	v_pk_fma_f32 v[0:1], v[54:55], v[62:63], v[0:1] op_sel_hi:[0,1,1] neg_lo:[1,0,0] neg_hi:[1,0,0]
	;; [unrolled: 2-line block ×5, first 2 shown]
	v_mov_b32_e32 v47, v54
.LBB92_80:
	s_or_b64 exec, exec, s[0:1]
	v_lshl_add_u32 v54, v57, 2, v53
	s_barrier
	s_waitcnt vmcnt(41)
	ds_write_b32 v54, v40
	s_waitcnt lgkmcnt(0)
	s_barrier
	ds_read_b32 v59, v53 offset:20
	s_cmp_lt_i32 s22, 7
	v_mov_b32_e32 v54, 5
	s_cbranch_scc1 .LBB92_83
; %bb.81:
	v_add3_u32 v60, v56, 0, 24
	v_mov_b32_e32 v54, 5
	s_mov_b32 s0, 6
.LBB92_82:                              ; =>This Inner Loop Header: Depth=1
	ds_read_b32 v61, v60
	v_mov_b32_e32 v62, s0
	s_add_i32 s0, s0, 1
	v_add_u32_e32 v60, 4, v60
	s_cmp_lg_u32 s22, s0
	s_waitcnt lgkmcnt(0)
	v_cmp_lt_f32_e64 vcc, |v59|, |v61|
	s_nop 1
	v_cndmask_b32_e32 v59, v59, v61, vcc
	v_cndmask_b32_e32 v54, v54, v62, vcc
	s_cbranch_scc1 .LBB92_82
.LBB92_83:
	s_waitcnt lgkmcnt(0)
	v_cmp_eq_f32_e32 vcc, 0, v59
	s_and_saveexec_b64 s[0:1], vcc
	s_xor_b64 s[0:1], exec, s[0:1]
; %bb.84:
	v_cmp_ne_u32_e32 vcc, 0, v58
	s_nop 1
	v_cndmask_b32_e32 v58, 6, v58, vcc
; %bb.85:
	s_andn2_saveexec_b64 s[0:1], s[0:1]
	s_cbranch_execz .LBB92_87
; %bb.86:
	v_div_scale_f32 v60, s[2:3], v59, v59, 1.0
	v_rcp_f32_e32 v61, v60
	v_div_scale_f32 v62, vcc, 1.0, v59, 1.0
	v_fma_f32 v63, -v60, v61, 1.0
	v_fmac_f32_e32 v61, v63, v61
	v_mul_f32_e32 v63, v62, v61
	v_fma_f32 v64, -v60, v63, v62
	v_fmac_f32_e32 v63, v64, v61
	v_fma_f32 v60, -v60, v63, v62
	v_div_fmas_f32 v60, v60, v61, v63
	v_div_fixup_f32 v59, v60, v59, 1.0
.LBB92_87:
	s_or_b64 exec, exec, s[0:1]
	v_cmp_ne_u32_e32 vcc, v57, v54
	s_and_saveexec_b64 s[0:1], vcc
	s_xor_b64 s[0:1], exec, s[0:1]
	s_cbranch_execz .LBB92_93
; %bb.88:
	v_cmp_eq_u32_e32 vcc, 5, v57
	s_and_saveexec_b64 s[2:3], vcc
	s_cbranch_execz .LBB92_92
; %bb.89:
	v_cmp_ne_u32_e32 vcc, 5, v54
	s_xor_b64 s[12:13], s[20:21], -1
	s_and_b64 s[14:15], s[12:13], vcc
	s_and_saveexec_b64 s[12:13], s[14:15]
	s_cbranch_execz .LBB92_91
; %bb.90:
	v_ashrrev_i32_e32 v55, 31, v54
	v_lshl_add_u64 v[60:61], v[54:55], 2, v[4:5]
	global_load_dword v55, v[60:61], off
	global_load_dword v57, v[4:5], off offset:20
	s_waitcnt vmcnt(1)
	global_store_dword v[4:5], v55, off offset:20
	s_waitcnt vmcnt(1)
	global_store_dword v[60:61], v57, off
.LBB92_91:
	s_or_b64 exec, exec, s[12:13]
	v_mov_b32_e32 v55, v54
	v_mov_b32_e32 v57, v54
.LBB92_92:
	s_or_b64 exec, exec, s[2:3]
.LBB92_93:
	s_andn2_saveexec_b64 s[0:1], s[0:1]
	s_cbranch_execz .LBB92_95
; %bb.94:
	s_waitcnt vmcnt(38)
	v_pk_mov_b32 v[60:61], v[40:41], v[32:33] op_sel:[1,0]
	ds_write2_b32 v53, v60, v61 offset0:6 offset1:7
	s_waitcnt vmcnt(36)
	v_pk_mov_b32 v[60:61], v[32:33], v[48:49] op_sel:[1,0]
	ds_write2_b32 v53, v60, v61 offset0:8 offset1:9
	;; [unrolled: 3-line block ×19, first 2 shown]
	s_waitcnt vmcnt(0)
	v_pk_mov_b32 v[60:61], v[12:13], v[8:9] op_sel:[1,0]
	v_mov_b32_e32 v57, 5
	ds_write2_b32 v53, v60, v61 offset0:44 offset1:45
	ds_write_b32 v53, v9 offset:184
.LBB92_95:
	s_or_b64 exec, exec, s[0:1]
	v_cmp_lt_i32_e32 vcc, 5, v57
	s_waitcnt lgkmcnt(0)
	s_barrier
	s_and_saveexec_b64 s[0:1], vcc
	s_cbranch_execz .LBB92_97
; %bb.96:
	ds_read_b32 v54, v53 offset:24
	ds_read2_b32 v[60:61], v53 offset0:7 offset1:8
	ds_read2_b32 v[62:63], v53 offset0:9 offset1:10
	v_mul_f32_e32 v40, v59, v40
	ds_read2_b32 v[64:65], v53 offset0:11 offset1:12
	s_waitcnt vmcnt(40) lgkmcnt(3)
	v_fma_f32 v41, -v40, v54, v41
	s_waitcnt vmcnt(38) lgkmcnt(2)
	v_pk_fma_f32 v[32:33], v[40:41], v[60:61], v[32:33] op_sel_hi:[0,1,1] neg_lo:[1,0,0] neg_hi:[1,0,0]
	s_waitcnt vmcnt(36) lgkmcnt(1)
	v_pk_fma_f32 v[48:49], v[40:41], v[62:63], v[48:49] op_sel_hi:[0,1,1] neg_lo:[1,0,0] neg_hi:[1,0,0]
	ds_read2_b32 v[60:61], v53 offset0:13 offset1:14
	ds_read2_b32 v[62:63], v53 offset0:15 offset1:16
	;; [unrolled: 1-line block ×3, first 2 shown]
	s_waitcnt vmcnt(34) lgkmcnt(3)
	v_pk_fma_f32 v[42:43], v[40:41], v[64:65], v[42:43] op_sel_hi:[0,1,1] neg_lo:[1,0,0] neg_hi:[1,0,0]
	ds_read2_b32 v[64:65], v53 offset0:19 offset1:20
	s_waitcnt vmcnt(32) lgkmcnt(3)
	v_pk_fma_f32 v[34:35], v[40:41], v[60:61], v[34:35] op_sel_hi:[0,1,1] neg_lo:[1,0,0] neg_hi:[1,0,0]
	s_waitcnt vmcnt(30) lgkmcnt(2)
	v_pk_fma_f32 v[24:25], v[40:41], v[62:63], v[24:25] op_sel_hi:[0,1,1] neg_lo:[1,0,0] neg_hi:[1,0,0]
	;; [unrolled: 2-line block ×3, first 2 shown]
	ds_read2_b32 v[60:61], v53 offset0:21 offset1:22
	ds_read2_b32 v[62:63], v53 offset0:23 offset1:24
	;; [unrolled: 1-line block ×3, first 2 shown]
	s_waitcnt vmcnt(26) lgkmcnt(3)
	v_pk_fma_f32 v[36:37], v[40:41], v[64:65], v[36:37] op_sel_hi:[0,1,1] neg_lo:[1,0,0] neg_hi:[1,0,0]
	ds_read2_b32 v[64:65], v53 offset0:27 offset1:28
	s_waitcnt vmcnt(24) lgkmcnt(3)
	v_pk_fma_f32 v[26:27], v[40:41], v[60:61], v[26:27] op_sel_hi:[0,1,1] neg_lo:[1,0,0] neg_hi:[1,0,0]
	s_waitcnt vmcnt(22) lgkmcnt(2)
	v_pk_fma_f32 v[16:17], v[40:41], v[62:63], v[16:17] op_sel_hi:[0,1,1] neg_lo:[1,0,0] neg_hi:[1,0,0]
	;; [unrolled: 2-line block ×3, first 2 shown]
	ds_read2_b32 v[60:61], v53 offset0:29 offset1:30
	ds_read2_b32 v[62:63], v53 offset0:31 offset1:32
	;; [unrolled: 1-line block ×4, first 2 shown]
	s_waitcnt vmcnt(18) lgkmcnt(4)
	v_pk_fma_f32 v[28:29], v[40:41], v[64:65], v[28:29] op_sel_hi:[0,1,1] neg_lo:[1,0,0] neg_hi:[1,0,0]
	s_waitcnt vmcnt(16) lgkmcnt(3)
	v_pk_fma_f32 v[18:19], v[40:41], v[60:61], v[18:19] op_sel_hi:[0,1,1] neg_lo:[1,0,0] neg_hi:[1,0,0]
	;; [unrolled: 2-line block ×5, first 2 shown]
	ds_read2_b32 v[60:61], v53 offset0:37 offset1:38
	ds_read2_b32 v[62:63], v53 offset0:39 offset1:40
	ds_read2_b32 v[64:65], v53 offset0:41 offset1:42
	ds_read2_b32 v[66:67], v53 offset0:43 offset1:44
	ds_read2_b32 v[68:69], v53 offset0:45 offset1:46
	s_waitcnt vmcnt(8) lgkmcnt(4)
	v_pk_fma_f32 v[14:15], v[40:41], v[60:61], v[14:15] op_sel_hi:[0,1,1] neg_lo:[1,0,0] neg_hi:[1,0,0]
	s_waitcnt vmcnt(6) lgkmcnt(3)
	v_pk_fma_f32 v[0:1], v[40:41], v[62:63], v[0:1] op_sel_hi:[0,1,1] neg_lo:[1,0,0] neg_hi:[1,0,0]
	;; [unrolled: 2-line block ×5, first 2 shown]
.LBB92_97:
	s_or_b64 exec, exec, s[0:1]
	v_lshl_add_u32 v54, v57, 2, v53
	s_barrier
	s_waitcnt vmcnt(40)
	ds_write_b32 v54, v41
	s_waitcnt lgkmcnt(0)
	s_barrier
	ds_read_b32 v59, v53 offset:24
	s_cmp_lt_i32 s22, 8
	v_mov_b32_e32 v54, 6
	s_cbranch_scc1 .LBB92_100
; %bb.98:
	v_add3_u32 v60, v56, 0, 28
	v_mov_b32_e32 v54, 6
	s_mov_b32 s0, 7
.LBB92_99:                              ; =>This Inner Loop Header: Depth=1
	ds_read_b32 v61, v60
	v_mov_b32_e32 v62, s0
	s_add_i32 s0, s0, 1
	v_add_u32_e32 v60, 4, v60
	s_cmp_lg_u32 s22, s0
	s_waitcnt lgkmcnt(0)
	v_cmp_lt_f32_e64 vcc, |v59|, |v61|
	s_nop 1
	v_cndmask_b32_e32 v59, v59, v61, vcc
	v_cndmask_b32_e32 v54, v54, v62, vcc
	s_cbranch_scc1 .LBB92_99
.LBB92_100:
	s_waitcnt lgkmcnt(0)
	v_cmp_eq_f32_e32 vcc, 0, v59
	s_and_saveexec_b64 s[0:1], vcc
	s_xor_b64 s[0:1], exec, s[0:1]
; %bb.101:
	v_cmp_ne_u32_e32 vcc, 0, v58
	s_nop 1
	v_cndmask_b32_e32 v58, 7, v58, vcc
; %bb.102:
	s_andn2_saveexec_b64 s[0:1], s[0:1]
	s_cbranch_execz .LBB92_104
; %bb.103:
	v_div_scale_f32 v60, s[2:3], v59, v59, 1.0
	v_rcp_f32_e32 v61, v60
	v_div_scale_f32 v62, vcc, 1.0, v59, 1.0
	v_fma_f32 v63, -v60, v61, 1.0
	v_fmac_f32_e32 v61, v63, v61
	v_mul_f32_e32 v63, v62, v61
	v_fma_f32 v64, -v60, v63, v62
	v_fmac_f32_e32 v63, v64, v61
	v_fma_f32 v60, -v60, v63, v62
	v_div_fmas_f32 v60, v60, v61, v63
	v_div_fixup_f32 v59, v60, v59, 1.0
.LBB92_104:
	s_or_b64 exec, exec, s[0:1]
	v_cmp_ne_u32_e32 vcc, v57, v54
	s_and_saveexec_b64 s[0:1], vcc
	s_xor_b64 s[0:1], exec, s[0:1]
	s_cbranch_execz .LBB92_110
; %bb.105:
	v_cmp_eq_u32_e32 vcc, 6, v57
	s_and_saveexec_b64 s[2:3], vcc
	s_cbranch_execz .LBB92_109
; %bb.106:
	v_cmp_ne_u32_e32 vcc, 6, v54
	s_xor_b64 s[12:13], s[20:21], -1
	s_and_b64 s[14:15], s[12:13], vcc
	s_and_saveexec_b64 s[12:13], s[14:15]
	s_cbranch_execz .LBB92_108
; %bb.107:
	v_ashrrev_i32_e32 v55, 31, v54
	v_lshl_add_u64 v[60:61], v[54:55], 2, v[4:5]
	global_load_dword v55, v[60:61], off
	global_load_dword v57, v[4:5], off offset:24
	s_waitcnt vmcnt(1)
	global_store_dword v[4:5], v55, off offset:24
	s_waitcnt vmcnt(1)
	global_store_dword v[60:61], v57, off
.LBB92_108:
	s_or_b64 exec, exec, s[12:13]
	v_mov_b32_e32 v55, v54
	v_mov_b32_e32 v57, v54
.LBB92_109:
	s_or_b64 exec, exec, s[2:3]
.LBB92_110:
	s_andn2_saveexec_b64 s[0:1], s[0:1]
	s_cbranch_execz .LBB92_112
; %bb.111:
	v_mov_b32_e32 v57, 6
	s_waitcnt vmcnt(38)
	ds_write2_b32 v53, v32, v33 offset0:7 offset1:8
	s_waitcnt vmcnt(36)
	ds_write2_b32 v53, v48, v49 offset0:9 offset1:10
	;; [unrolled: 2-line block ×20, first 2 shown]
.LBB92_112:
	s_or_b64 exec, exec, s[0:1]
	v_cmp_lt_i32_e32 vcc, 6, v57
	s_waitcnt lgkmcnt(0)
	s_barrier
	s_and_saveexec_b64 s[0:1], vcc
	s_cbranch_execz .LBB92_114
; %bb.113:
	ds_read2_b32 v[60:61], v53 offset0:7 offset1:8
	ds_read2_b32 v[62:63], v53 offset0:9 offset1:10
	;; [unrolled: 1-line block ×3, first 2 shown]
	v_mul_f32_e32 v54, v59, v41
	ds_read2_b32 v[66:67], v53 offset0:13 offset1:14
	s_waitcnt vmcnt(38) lgkmcnt(3)
	v_pk_fma_f32 v[32:33], v[54:55], v[60:61], v[32:33] op_sel_hi:[0,1,1] neg_lo:[1,0,0] neg_hi:[1,0,0]
	s_waitcnt vmcnt(36) lgkmcnt(2)
	v_pk_fma_f32 v[48:49], v[54:55], v[62:63], v[48:49] op_sel_hi:[0,1,1] neg_lo:[1,0,0] neg_hi:[1,0,0]
	s_waitcnt vmcnt(34) lgkmcnt(1)
	v_pk_fma_f32 v[42:43], v[54:55], v[64:65], v[42:43] op_sel_hi:[0,1,1] neg_lo:[1,0,0] neg_hi:[1,0,0]
	ds_read2_b32 v[60:61], v53 offset0:15 offset1:16
	ds_read2_b32 v[62:63], v53 offset0:17 offset1:18
	ds_read2_b32 v[64:65], v53 offset0:19 offset1:20
	s_waitcnt vmcnt(32) lgkmcnt(3)
	v_pk_fma_f32 v[34:35], v[54:55], v[66:67], v[34:35] op_sel_hi:[0,1,1] neg_lo:[1,0,0] neg_hi:[1,0,0]
	ds_read2_b32 v[66:67], v53 offset0:21 offset1:22
	s_waitcnt vmcnt(30) lgkmcnt(3)
	v_pk_fma_f32 v[24:25], v[54:55], v[60:61], v[24:25] op_sel_hi:[0,1,1] neg_lo:[1,0,0] neg_hi:[1,0,0]
	s_waitcnt vmcnt(28) lgkmcnt(2)
	v_pk_fma_f32 v[44:45], v[54:55], v[62:63], v[44:45] op_sel_hi:[0,1,1] neg_lo:[1,0,0] neg_hi:[1,0,0]
	s_waitcnt vmcnt(26) lgkmcnt(1)
	v_pk_fma_f32 v[36:37], v[54:55], v[64:65], v[36:37] op_sel_hi:[0,1,1] neg_lo:[1,0,0] neg_hi:[1,0,0]
	ds_read2_b32 v[60:61], v53 offset0:23 offset1:24
	ds_read2_b32 v[62:63], v53 offset0:25 offset1:26
	ds_read2_b32 v[64:65], v53 offset0:27 offset1:28
	s_waitcnt vmcnt(24) lgkmcnt(3)
	v_pk_fma_f32 v[26:27], v[54:55], v[66:67], v[26:27] op_sel_hi:[0,1,1] neg_lo:[1,0,0] neg_hi:[1,0,0]
	;; [unrolled: 12-line block ×3, first 2 shown]
	ds_read2_b32 v[66:67], v53 offset0:37 offset1:38
	s_waitcnt vmcnt(14) lgkmcnt(3)
	v_pk_fma_f32 v[10:11], v[54:55], v[60:61], v[10:11] op_sel_hi:[0,1,1] neg_lo:[1,0,0] neg_hi:[1,0,0]
	s_waitcnt vmcnt(12) lgkmcnt(2)
	v_pk_fma_f32 v[30:31], v[54:55], v[62:63], v[30:31] op_sel_hi:[0,1,1] neg_lo:[1,0,0] neg_hi:[1,0,0]
	;; [unrolled: 2-line block ×3, first 2 shown]
	ds_read2_b32 v[60:61], v53 offset0:39 offset1:40
	ds_read2_b32 v[62:63], v53 offset0:41 offset1:42
	;; [unrolled: 1-line block ×4, first 2 shown]
	s_waitcnt vmcnt(8) lgkmcnt(4)
	v_pk_fma_f32 v[14:15], v[54:55], v[66:67], v[14:15] op_sel_hi:[0,1,1] neg_lo:[1,0,0] neg_hi:[1,0,0]
	s_waitcnt vmcnt(6) lgkmcnt(3)
	v_pk_fma_f32 v[0:1], v[54:55], v[60:61], v[0:1] op_sel_hi:[0,1,1] neg_lo:[1,0,0] neg_hi:[1,0,0]
	;; [unrolled: 2-line block ×5, first 2 shown]
	v_mov_b32_e32 v41, v54
.LBB92_114:
	s_or_b64 exec, exec, s[0:1]
	v_lshl_add_u32 v54, v57, 2, v53
	s_barrier
	s_waitcnt vmcnt(39)
	ds_write_b32 v54, v32
	s_waitcnt lgkmcnt(0)
	s_barrier
	ds_read_b32 v59, v53 offset:28
	s_cmp_lt_i32 s22, 9
	v_mov_b32_e32 v54, 7
	s_cbranch_scc1 .LBB92_117
; %bb.115:
	v_add3_u32 v60, v56, 0, 32
	v_mov_b32_e32 v54, 7
	s_mov_b32 s0, 8
.LBB92_116:                             ; =>This Inner Loop Header: Depth=1
	ds_read_b32 v61, v60
	v_mov_b32_e32 v62, s0
	s_add_i32 s0, s0, 1
	v_add_u32_e32 v60, 4, v60
	s_cmp_lg_u32 s22, s0
	s_waitcnt lgkmcnt(0)
	v_cmp_lt_f32_e64 vcc, |v59|, |v61|
	s_nop 1
	v_cndmask_b32_e32 v59, v59, v61, vcc
	v_cndmask_b32_e32 v54, v54, v62, vcc
	s_cbranch_scc1 .LBB92_116
.LBB92_117:
	s_waitcnt lgkmcnt(0)
	v_cmp_eq_f32_e32 vcc, 0, v59
	s_and_saveexec_b64 s[0:1], vcc
	s_xor_b64 s[0:1], exec, s[0:1]
; %bb.118:
	v_cmp_ne_u32_e32 vcc, 0, v58
	s_nop 1
	v_cndmask_b32_e32 v58, 8, v58, vcc
; %bb.119:
	s_andn2_saveexec_b64 s[0:1], s[0:1]
	s_cbranch_execz .LBB92_121
; %bb.120:
	v_div_scale_f32 v60, s[2:3], v59, v59, 1.0
	v_rcp_f32_e32 v61, v60
	v_div_scale_f32 v62, vcc, 1.0, v59, 1.0
	v_fma_f32 v63, -v60, v61, 1.0
	v_fmac_f32_e32 v61, v63, v61
	v_mul_f32_e32 v63, v62, v61
	v_fma_f32 v64, -v60, v63, v62
	v_fmac_f32_e32 v63, v64, v61
	v_fma_f32 v60, -v60, v63, v62
	v_div_fmas_f32 v60, v60, v61, v63
	v_div_fixup_f32 v59, v60, v59, 1.0
.LBB92_121:
	s_or_b64 exec, exec, s[0:1]
	v_cmp_ne_u32_e32 vcc, v57, v54
	s_and_saveexec_b64 s[0:1], vcc
	s_xor_b64 s[0:1], exec, s[0:1]
	s_cbranch_execz .LBB92_127
; %bb.122:
	v_cmp_eq_u32_e32 vcc, 7, v57
	s_and_saveexec_b64 s[2:3], vcc
	s_cbranch_execz .LBB92_126
; %bb.123:
	v_cmp_ne_u32_e32 vcc, 7, v54
	s_xor_b64 s[12:13], s[20:21], -1
	s_and_b64 s[14:15], s[12:13], vcc
	s_and_saveexec_b64 s[12:13], s[14:15]
	s_cbranch_execz .LBB92_125
; %bb.124:
	v_ashrrev_i32_e32 v55, 31, v54
	v_lshl_add_u64 v[60:61], v[54:55], 2, v[4:5]
	global_load_dword v55, v[60:61], off
	global_load_dword v57, v[4:5], off offset:28
	s_waitcnt vmcnt(1)
	global_store_dword v[4:5], v55, off offset:28
	s_waitcnt vmcnt(1)
	global_store_dword v[60:61], v57, off
.LBB92_125:
	s_or_b64 exec, exec, s[12:13]
	v_mov_b32_e32 v55, v54
	v_mov_b32_e32 v57, v54
.LBB92_126:
	s_or_b64 exec, exec, s[2:3]
.LBB92_127:
	s_andn2_saveexec_b64 s[0:1], s[0:1]
	s_cbranch_execz .LBB92_129
; %bb.128:
	s_waitcnt vmcnt(36)
	v_pk_mov_b32 v[60:61], v[32:33], v[48:49] op_sel:[1,0]
	ds_write2_b32 v53, v60, v61 offset0:8 offset1:9
	s_waitcnt vmcnt(34)
	v_pk_mov_b32 v[60:61], v[48:49], v[42:43] op_sel:[1,0]
	ds_write2_b32 v53, v60, v61 offset0:10 offset1:11
	;; [unrolled: 3-line block ×18, first 2 shown]
	s_waitcnt vmcnt(0)
	v_pk_mov_b32 v[60:61], v[12:13], v[8:9] op_sel:[1,0]
	v_mov_b32_e32 v57, 7
	ds_write2_b32 v53, v60, v61 offset0:44 offset1:45
	ds_write_b32 v53, v9 offset:184
.LBB92_129:
	s_or_b64 exec, exec, s[0:1]
	v_cmp_lt_i32_e32 vcc, 7, v57
	s_waitcnt lgkmcnt(0)
	s_barrier
	s_and_saveexec_b64 s[0:1], vcc
	s_cbranch_execz .LBB92_131
; %bb.130:
	ds_read_b32 v54, v53 offset:32
	ds_read2_b32 v[60:61], v53 offset0:9 offset1:10
	ds_read2_b32 v[62:63], v53 offset0:11 offset1:12
	v_mul_f32_e32 v32, v59, v32
	ds_read2_b32 v[64:65], v53 offset0:13 offset1:14
	s_waitcnt vmcnt(38) lgkmcnt(3)
	v_fma_f32 v33, -v32, v54, v33
	s_waitcnt vmcnt(36) lgkmcnt(2)
	v_pk_fma_f32 v[48:49], v[32:33], v[60:61], v[48:49] op_sel_hi:[0,1,1] neg_lo:[1,0,0] neg_hi:[1,0,0]
	s_waitcnt vmcnt(34) lgkmcnt(1)
	v_pk_fma_f32 v[42:43], v[32:33], v[62:63], v[42:43] op_sel_hi:[0,1,1] neg_lo:[1,0,0] neg_hi:[1,0,0]
	ds_read2_b32 v[60:61], v53 offset0:15 offset1:16
	ds_read2_b32 v[62:63], v53 offset0:17 offset1:18
	ds_read2_b32 v[66:67], v53 offset0:19 offset1:20
	s_waitcnt vmcnt(32) lgkmcnt(3)
	v_pk_fma_f32 v[34:35], v[32:33], v[64:65], v[34:35] op_sel_hi:[0,1,1] neg_lo:[1,0,0] neg_hi:[1,0,0]
	ds_read2_b32 v[64:65], v53 offset0:21 offset1:22
	s_waitcnt vmcnt(30) lgkmcnt(3)
	v_pk_fma_f32 v[24:25], v[32:33], v[60:61], v[24:25] op_sel_hi:[0,1,1] neg_lo:[1,0,0] neg_hi:[1,0,0]
	s_waitcnt vmcnt(28) lgkmcnt(2)
	v_pk_fma_f32 v[44:45], v[32:33], v[62:63], v[44:45] op_sel_hi:[0,1,1] neg_lo:[1,0,0] neg_hi:[1,0,0]
	s_waitcnt vmcnt(26) lgkmcnt(1)
	v_pk_fma_f32 v[36:37], v[32:33], v[66:67], v[36:37] op_sel_hi:[0,1,1] neg_lo:[1,0,0] neg_hi:[1,0,0]
	ds_read2_b32 v[60:61], v53 offset0:23 offset1:24
	ds_read2_b32 v[62:63], v53 offset0:25 offset1:26
	ds_read2_b32 v[66:67], v53 offset0:27 offset1:28
	s_waitcnt vmcnt(24) lgkmcnt(3)
	v_pk_fma_f32 v[26:27], v[32:33], v[64:65], v[26:27] op_sel_hi:[0,1,1] neg_lo:[1,0,0] neg_hi:[1,0,0]
	ds_read2_b32 v[64:65], v53 offset0:29 offset1:30
	s_waitcnt vmcnt(22) lgkmcnt(3)
	v_pk_fma_f32 v[16:17], v[32:33], v[60:61], v[16:17] op_sel_hi:[0,1,1] neg_lo:[1,0,0] neg_hi:[1,0,0]
	;; [unrolled: 12-line block ×3, first 2 shown]
	s_waitcnt vmcnt(12) lgkmcnt(2)
	v_pk_fma_f32 v[30:31], v[32:33], v[62:63], v[30:31] op_sel_hi:[0,1,1] neg_lo:[1,0,0] neg_hi:[1,0,0]
	s_waitcnt vmcnt(10) lgkmcnt(1)
	v_pk_fma_f32 v[22:23], v[32:33], v[66:67], v[22:23] op_sel_hi:[0,1,1] neg_lo:[1,0,0] neg_hi:[1,0,0]
	ds_read2_b32 v[60:61], v53 offset0:39 offset1:40
	ds_read2_b32 v[62:63], v53 offset0:41 offset1:42
	;; [unrolled: 1-line block ×4, first 2 shown]
	s_waitcnt vmcnt(8) lgkmcnt(4)
	v_pk_fma_f32 v[14:15], v[32:33], v[64:65], v[14:15] op_sel_hi:[0,1,1] neg_lo:[1,0,0] neg_hi:[1,0,0]
	s_waitcnt vmcnt(6) lgkmcnt(3)
	v_pk_fma_f32 v[0:1], v[32:33], v[60:61], v[0:1] op_sel_hi:[0,1,1] neg_lo:[1,0,0] neg_hi:[1,0,0]
	s_waitcnt vmcnt(4) lgkmcnt(2)
	v_pk_fma_f32 v[20:21], v[32:33], v[62:63], v[20:21] op_sel_hi:[0,1,1] neg_lo:[1,0,0] neg_hi:[1,0,0]
	s_waitcnt vmcnt(2) lgkmcnt(1)
	v_pk_fma_f32 v[12:13], v[32:33], v[66:67], v[12:13] op_sel_hi:[0,1,1] neg_lo:[1,0,0] neg_hi:[1,0,0]
	s_waitcnt vmcnt(0) lgkmcnt(0)
	v_pk_fma_f32 v[8:9], v[32:33], v[68:69], v[8:9] op_sel_hi:[0,1,1] neg_lo:[1,0,0] neg_hi:[1,0,0]
.LBB92_131:
	s_or_b64 exec, exec, s[0:1]
	v_lshl_add_u32 v54, v57, 2, v53
	s_barrier
	s_waitcnt vmcnt(38)
	ds_write_b32 v54, v33
	s_waitcnt lgkmcnt(0)
	s_barrier
	ds_read_b32 v59, v53 offset:32
	s_cmp_lt_i32 s22, 10
	v_mov_b32_e32 v54, 8
	s_cbranch_scc1 .LBB92_134
; %bb.132:
	v_add3_u32 v60, v56, 0, 36
	v_mov_b32_e32 v54, 8
	s_mov_b32 s0, 9
.LBB92_133:                             ; =>This Inner Loop Header: Depth=1
	ds_read_b32 v61, v60
	v_mov_b32_e32 v62, s0
	s_add_i32 s0, s0, 1
	v_add_u32_e32 v60, 4, v60
	s_cmp_lg_u32 s22, s0
	s_waitcnt lgkmcnt(0)
	v_cmp_lt_f32_e64 vcc, |v59|, |v61|
	s_nop 1
	v_cndmask_b32_e32 v59, v59, v61, vcc
	v_cndmask_b32_e32 v54, v54, v62, vcc
	s_cbranch_scc1 .LBB92_133
.LBB92_134:
	s_waitcnt lgkmcnt(0)
	v_cmp_eq_f32_e32 vcc, 0, v59
	s_and_saveexec_b64 s[0:1], vcc
	s_xor_b64 s[0:1], exec, s[0:1]
; %bb.135:
	v_cmp_ne_u32_e32 vcc, 0, v58
	s_nop 1
	v_cndmask_b32_e32 v58, 9, v58, vcc
; %bb.136:
	s_andn2_saveexec_b64 s[0:1], s[0:1]
	s_cbranch_execz .LBB92_138
; %bb.137:
	v_div_scale_f32 v60, s[2:3], v59, v59, 1.0
	v_rcp_f32_e32 v61, v60
	v_div_scale_f32 v62, vcc, 1.0, v59, 1.0
	v_fma_f32 v63, -v60, v61, 1.0
	v_fmac_f32_e32 v61, v63, v61
	v_mul_f32_e32 v63, v62, v61
	v_fma_f32 v64, -v60, v63, v62
	v_fmac_f32_e32 v63, v64, v61
	v_fma_f32 v60, -v60, v63, v62
	v_div_fmas_f32 v60, v60, v61, v63
	v_div_fixup_f32 v59, v60, v59, 1.0
.LBB92_138:
	s_or_b64 exec, exec, s[0:1]
	v_cmp_ne_u32_e32 vcc, v57, v54
	s_and_saveexec_b64 s[0:1], vcc
	s_xor_b64 s[0:1], exec, s[0:1]
	s_cbranch_execz .LBB92_144
; %bb.139:
	v_cmp_eq_u32_e32 vcc, 8, v57
	s_and_saveexec_b64 s[2:3], vcc
	s_cbranch_execz .LBB92_143
; %bb.140:
	v_cmp_ne_u32_e32 vcc, 8, v54
	s_xor_b64 s[12:13], s[20:21], -1
	s_and_b64 s[14:15], s[12:13], vcc
	s_and_saveexec_b64 s[12:13], s[14:15]
	s_cbranch_execz .LBB92_142
; %bb.141:
	v_ashrrev_i32_e32 v55, 31, v54
	v_lshl_add_u64 v[60:61], v[54:55], 2, v[4:5]
	global_load_dword v55, v[60:61], off
	global_load_dword v57, v[4:5], off offset:32
	s_waitcnt vmcnt(1)
	global_store_dword v[4:5], v55, off offset:32
	s_waitcnt vmcnt(1)
	global_store_dword v[60:61], v57, off
.LBB92_142:
	s_or_b64 exec, exec, s[12:13]
	v_mov_b32_e32 v55, v54
	v_mov_b32_e32 v57, v54
.LBB92_143:
	s_or_b64 exec, exec, s[2:3]
.LBB92_144:
	s_andn2_saveexec_b64 s[0:1], s[0:1]
	s_cbranch_execz .LBB92_146
; %bb.145:
	v_mov_b32_e32 v57, 8
	s_waitcnt vmcnt(36)
	ds_write2_b32 v53, v48, v49 offset0:9 offset1:10
	s_waitcnt vmcnt(34)
	ds_write2_b32 v53, v42, v43 offset0:11 offset1:12
	;; [unrolled: 2-line block ×19, first 2 shown]
.LBB92_146:
	s_or_b64 exec, exec, s[0:1]
	v_cmp_lt_i32_e32 vcc, 8, v57
	s_waitcnt lgkmcnt(0)
	s_barrier
	s_and_saveexec_b64 s[0:1], vcc
	s_cbranch_execz .LBB92_148
; %bb.147:
	ds_read2_b32 v[60:61], v53 offset0:9 offset1:10
	ds_read2_b32 v[62:63], v53 offset0:11 offset1:12
	;; [unrolled: 1-line block ×3, first 2 shown]
	v_mul_f32_e32 v54, v59, v33
	ds_read2_b32 v[66:67], v53 offset0:15 offset1:16
	s_waitcnt vmcnt(36) lgkmcnt(3)
	v_pk_fma_f32 v[48:49], v[54:55], v[60:61], v[48:49] op_sel_hi:[0,1,1] neg_lo:[1,0,0] neg_hi:[1,0,0]
	s_waitcnt vmcnt(34) lgkmcnt(2)
	v_pk_fma_f32 v[42:43], v[54:55], v[62:63], v[42:43] op_sel_hi:[0,1,1] neg_lo:[1,0,0] neg_hi:[1,0,0]
	;; [unrolled: 2-line block ×3, first 2 shown]
	ds_read2_b32 v[60:61], v53 offset0:17 offset1:18
	ds_read2_b32 v[62:63], v53 offset0:19 offset1:20
	;; [unrolled: 1-line block ×3, first 2 shown]
	s_waitcnt vmcnt(30) lgkmcnt(3)
	v_pk_fma_f32 v[24:25], v[54:55], v[66:67], v[24:25] op_sel_hi:[0,1,1] neg_lo:[1,0,0] neg_hi:[1,0,0]
	ds_read2_b32 v[66:67], v53 offset0:23 offset1:24
	s_waitcnt vmcnt(28) lgkmcnt(3)
	v_pk_fma_f32 v[44:45], v[54:55], v[60:61], v[44:45] op_sel_hi:[0,1,1] neg_lo:[1,0,0] neg_hi:[1,0,0]
	s_waitcnt vmcnt(26) lgkmcnt(2)
	v_pk_fma_f32 v[36:37], v[54:55], v[62:63], v[36:37] op_sel_hi:[0,1,1] neg_lo:[1,0,0] neg_hi:[1,0,0]
	;; [unrolled: 2-line block ×3, first 2 shown]
	ds_read2_b32 v[60:61], v53 offset0:25 offset1:26
	ds_read2_b32 v[62:63], v53 offset0:27 offset1:28
	;; [unrolled: 1-line block ×3, first 2 shown]
	s_waitcnt vmcnt(22) lgkmcnt(3)
	v_pk_fma_f32 v[16:17], v[54:55], v[66:67], v[16:17] op_sel_hi:[0,1,1] neg_lo:[1,0,0] neg_hi:[1,0,0]
	ds_read2_b32 v[66:67], v53 offset0:31 offset1:32
	s_waitcnt vmcnt(20) lgkmcnt(3)
	v_pk_fma_f32 v[38:39], v[54:55], v[60:61], v[38:39] op_sel_hi:[0,1,1] neg_lo:[1,0,0] neg_hi:[1,0,0]
	s_waitcnt vmcnt(18) lgkmcnt(2)
	v_pk_fma_f32 v[28:29], v[54:55], v[62:63], v[28:29] op_sel_hi:[0,1,1] neg_lo:[1,0,0] neg_hi:[1,0,0]
	ds_read2_b32 v[60:61], v53 offset0:33 offset1:34
	ds_read2_b32 v[62:63], v53 offset0:35 offset1:36
	s_waitcnt vmcnt(16) lgkmcnt(3)
	v_pk_fma_f32 v[18:19], v[54:55], v[64:65], v[18:19] op_sel_hi:[0,1,1] neg_lo:[1,0,0] neg_hi:[1,0,0]
	s_waitcnt vmcnt(14) lgkmcnt(2)
	v_pk_fma_f32 v[10:11], v[54:55], v[66:67], v[10:11] op_sel_hi:[0,1,1] neg_lo:[1,0,0] neg_hi:[1,0,0]
	ds_read2_b32 v[64:65], v53 offset0:37 offset1:38
	;; [unrolled: 6-line block ×3, first 2 shown]
	ds_read2_b32 v[62:63], v53 offset0:43 offset1:44
	ds_read2_b32 v[68:69], v53 offset0:45 offset1:46
	s_waitcnt vmcnt(8) lgkmcnt(4)
	v_pk_fma_f32 v[14:15], v[54:55], v[64:65], v[14:15] op_sel_hi:[0,1,1] neg_lo:[1,0,0] neg_hi:[1,0,0]
	s_waitcnt vmcnt(6) lgkmcnt(3)
	v_pk_fma_f32 v[0:1], v[54:55], v[66:67], v[0:1] op_sel_hi:[0,1,1] neg_lo:[1,0,0] neg_hi:[1,0,0]
	;; [unrolled: 2-line block ×5, first 2 shown]
	v_mov_b32_e32 v33, v54
.LBB92_148:
	s_or_b64 exec, exec, s[0:1]
	v_lshl_add_u32 v54, v57, 2, v53
	s_barrier
	s_waitcnt vmcnt(37)
	ds_write_b32 v54, v48
	s_waitcnt lgkmcnt(0)
	s_barrier
	ds_read_b32 v59, v53 offset:36
	s_cmp_lt_i32 s22, 11
	v_mov_b32_e32 v54, 9
	s_cbranch_scc1 .LBB92_151
; %bb.149:
	v_add3_u32 v60, v56, 0, 40
	v_mov_b32_e32 v54, 9
	s_mov_b32 s0, 10
.LBB92_150:                             ; =>This Inner Loop Header: Depth=1
	ds_read_b32 v61, v60
	v_mov_b32_e32 v62, s0
	s_add_i32 s0, s0, 1
	v_add_u32_e32 v60, 4, v60
	s_cmp_lg_u32 s22, s0
	s_waitcnt lgkmcnt(0)
	v_cmp_lt_f32_e64 vcc, |v59|, |v61|
	s_nop 1
	v_cndmask_b32_e32 v59, v59, v61, vcc
	v_cndmask_b32_e32 v54, v54, v62, vcc
	s_cbranch_scc1 .LBB92_150
.LBB92_151:
	s_waitcnt lgkmcnt(0)
	v_cmp_eq_f32_e32 vcc, 0, v59
	s_and_saveexec_b64 s[0:1], vcc
	s_xor_b64 s[0:1], exec, s[0:1]
; %bb.152:
	v_cmp_ne_u32_e32 vcc, 0, v58
	s_nop 1
	v_cndmask_b32_e32 v58, 10, v58, vcc
; %bb.153:
	s_andn2_saveexec_b64 s[0:1], s[0:1]
	s_cbranch_execz .LBB92_155
; %bb.154:
	v_div_scale_f32 v60, s[2:3], v59, v59, 1.0
	v_rcp_f32_e32 v61, v60
	v_div_scale_f32 v62, vcc, 1.0, v59, 1.0
	v_fma_f32 v63, -v60, v61, 1.0
	v_fmac_f32_e32 v61, v63, v61
	v_mul_f32_e32 v63, v62, v61
	v_fma_f32 v64, -v60, v63, v62
	v_fmac_f32_e32 v63, v64, v61
	v_fma_f32 v60, -v60, v63, v62
	v_div_fmas_f32 v60, v60, v61, v63
	v_div_fixup_f32 v59, v60, v59, 1.0
.LBB92_155:
	s_or_b64 exec, exec, s[0:1]
	v_cmp_ne_u32_e32 vcc, v57, v54
	s_and_saveexec_b64 s[0:1], vcc
	s_xor_b64 s[0:1], exec, s[0:1]
	s_cbranch_execz .LBB92_161
; %bb.156:
	v_cmp_eq_u32_e32 vcc, 9, v57
	s_and_saveexec_b64 s[2:3], vcc
	s_cbranch_execz .LBB92_160
; %bb.157:
	v_cmp_ne_u32_e32 vcc, 9, v54
	s_xor_b64 s[12:13], s[20:21], -1
	s_and_b64 s[14:15], s[12:13], vcc
	s_and_saveexec_b64 s[12:13], s[14:15]
	s_cbranch_execz .LBB92_159
; %bb.158:
	v_ashrrev_i32_e32 v55, 31, v54
	v_lshl_add_u64 v[60:61], v[54:55], 2, v[4:5]
	global_load_dword v55, v[60:61], off
	global_load_dword v57, v[4:5], off offset:36
	s_waitcnt vmcnt(1)
	global_store_dword v[4:5], v55, off offset:36
	s_waitcnt vmcnt(1)
	global_store_dword v[60:61], v57, off
.LBB92_159:
	s_or_b64 exec, exec, s[12:13]
	v_mov_b32_e32 v55, v54
	v_mov_b32_e32 v57, v54
.LBB92_160:
	s_or_b64 exec, exec, s[2:3]
.LBB92_161:
	s_andn2_saveexec_b64 s[0:1], s[0:1]
	s_cbranch_execz .LBB92_163
; %bb.162:
	s_waitcnt vmcnt(34)
	v_pk_mov_b32 v[60:61], v[48:49], v[42:43] op_sel:[1,0]
	ds_write2_b32 v53, v60, v61 offset0:10 offset1:11
	s_waitcnt vmcnt(32)
	v_pk_mov_b32 v[60:61], v[42:43], v[34:35] op_sel:[1,0]
	ds_write2_b32 v53, v60, v61 offset0:12 offset1:13
	;; [unrolled: 3-line block ×17, first 2 shown]
	s_waitcnt vmcnt(0)
	v_pk_mov_b32 v[60:61], v[12:13], v[8:9] op_sel:[1,0]
	v_mov_b32_e32 v57, 9
	ds_write2_b32 v53, v60, v61 offset0:44 offset1:45
	ds_write_b32 v53, v9 offset:184
.LBB92_163:
	s_or_b64 exec, exec, s[0:1]
	v_cmp_lt_i32_e32 vcc, 9, v57
	s_waitcnt lgkmcnt(0)
	s_barrier
	s_and_saveexec_b64 s[0:1], vcc
	s_cbranch_execz .LBB92_165
; %bb.164:
	ds_read_b32 v54, v53 offset:40
	ds_read2_b32 v[60:61], v53 offset0:11 offset1:12
	ds_read2_b32 v[62:63], v53 offset0:13 offset1:14
	v_mul_f32_e32 v48, v59, v48
	ds_read2_b32 v[64:65], v53 offset0:15 offset1:16
	s_waitcnt vmcnt(36) lgkmcnt(3)
	v_fma_f32 v49, -v48, v54, v49
	s_waitcnt vmcnt(34) lgkmcnt(2)
	v_pk_fma_f32 v[42:43], v[48:49], v[60:61], v[42:43] op_sel_hi:[0,1,1] neg_lo:[1,0,0] neg_hi:[1,0,0]
	s_waitcnt vmcnt(32) lgkmcnt(1)
	v_pk_fma_f32 v[34:35], v[48:49], v[62:63], v[34:35] op_sel_hi:[0,1,1] neg_lo:[1,0,0] neg_hi:[1,0,0]
	ds_read2_b32 v[60:61], v53 offset0:17 offset1:18
	ds_read2_b32 v[62:63], v53 offset0:19 offset1:20
	;; [unrolled: 1-line block ×3, first 2 shown]
	s_waitcnt vmcnt(30) lgkmcnt(3)
	v_pk_fma_f32 v[24:25], v[48:49], v[64:65], v[24:25] op_sel_hi:[0,1,1] neg_lo:[1,0,0] neg_hi:[1,0,0]
	ds_read2_b32 v[64:65], v53 offset0:23 offset1:24
	s_waitcnt vmcnt(28) lgkmcnt(3)
	v_pk_fma_f32 v[44:45], v[48:49], v[60:61], v[44:45] op_sel_hi:[0,1,1] neg_lo:[1,0,0] neg_hi:[1,0,0]
	s_waitcnt vmcnt(26) lgkmcnt(2)
	v_pk_fma_f32 v[36:37], v[48:49], v[62:63], v[36:37] op_sel_hi:[0,1,1] neg_lo:[1,0,0] neg_hi:[1,0,0]
	;; [unrolled: 2-line block ×3, first 2 shown]
	ds_read2_b32 v[60:61], v53 offset0:25 offset1:26
	ds_read2_b32 v[62:63], v53 offset0:27 offset1:28
	;; [unrolled: 1-line block ×3, first 2 shown]
	s_waitcnt vmcnt(22) lgkmcnt(3)
	v_pk_fma_f32 v[16:17], v[48:49], v[64:65], v[16:17] op_sel_hi:[0,1,1] neg_lo:[1,0,0] neg_hi:[1,0,0]
	ds_read2_b32 v[64:65], v53 offset0:31 offset1:32
	s_waitcnt vmcnt(20) lgkmcnt(3)
	v_pk_fma_f32 v[38:39], v[48:49], v[60:61], v[38:39] op_sel_hi:[0,1,1] neg_lo:[1,0,0] neg_hi:[1,0,0]
	s_waitcnt vmcnt(18) lgkmcnt(2)
	v_pk_fma_f32 v[28:29], v[48:49], v[62:63], v[28:29] op_sel_hi:[0,1,1] neg_lo:[1,0,0] neg_hi:[1,0,0]
	ds_read2_b32 v[60:61], v53 offset0:33 offset1:34
	ds_read2_b32 v[62:63], v53 offset0:35 offset1:36
	s_waitcnt vmcnt(16) lgkmcnt(3)
	v_pk_fma_f32 v[18:19], v[48:49], v[66:67], v[18:19] op_sel_hi:[0,1,1] neg_lo:[1,0,0] neg_hi:[1,0,0]
	s_waitcnt vmcnt(14) lgkmcnt(2)
	v_pk_fma_f32 v[10:11], v[48:49], v[64:65], v[10:11] op_sel_hi:[0,1,1] neg_lo:[1,0,0] neg_hi:[1,0,0]
	ds_read2_b32 v[64:65], v53 offset0:37 offset1:38
	;; [unrolled: 6-line block ×3, first 2 shown]
	ds_read2_b32 v[62:63], v53 offset0:43 offset1:44
	ds_read2_b32 v[68:69], v53 offset0:45 offset1:46
	s_waitcnt vmcnt(8) lgkmcnt(4)
	v_pk_fma_f32 v[14:15], v[48:49], v[64:65], v[14:15] op_sel_hi:[0,1,1] neg_lo:[1,0,0] neg_hi:[1,0,0]
	s_waitcnt vmcnt(6) lgkmcnt(3)
	v_pk_fma_f32 v[0:1], v[48:49], v[66:67], v[0:1] op_sel_hi:[0,1,1] neg_lo:[1,0,0] neg_hi:[1,0,0]
	;; [unrolled: 2-line block ×5, first 2 shown]
.LBB92_165:
	s_or_b64 exec, exec, s[0:1]
	v_lshl_add_u32 v54, v57, 2, v53
	s_barrier
	s_waitcnt vmcnt(36)
	ds_write_b32 v54, v49
	s_waitcnt lgkmcnt(0)
	s_barrier
	ds_read_b32 v59, v53 offset:40
	s_cmp_lt_i32 s22, 12
	v_mov_b32_e32 v54, 10
	s_cbranch_scc1 .LBB92_168
; %bb.166:
	v_add3_u32 v60, v56, 0, 44
	v_mov_b32_e32 v54, 10
	s_mov_b32 s0, 11
.LBB92_167:                             ; =>This Inner Loop Header: Depth=1
	ds_read_b32 v61, v60
	v_mov_b32_e32 v62, s0
	s_add_i32 s0, s0, 1
	v_add_u32_e32 v60, 4, v60
	s_cmp_lg_u32 s22, s0
	s_waitcnt lgkmcnt(0)
	v_cmp_lt_f32_e64 vcc, |v59|, |v61|
	s_nop 1
	v_cndmask_b32_e32 v59, v59, v61, vcc
	v_cndmask_b32_e32 v54, v54, v62, vcc
	s_cbranch_scc1 .LBB92_167
.LBB92_168:
	s_waitcnt lgkmcnt(0)
	v_cmp_eq_f32_e32 vcc, 0, v59
	s_and_saveexec_b64 s[0:1], vcc
	s_xor_b64 s[0:1], exec, s[0:1]
; %bb.169:
	v_cmp_ne_u32_e32 vcc, 0, v58
	s_nop 1
	v_cndmask_b32_e32 v58, 11, v58, vcc
; %bb.170:
	s_andn2_saveexec_b64 s[0:1], s[0:1]
	s_cbranch_execz .LBB92_172
; %bb.171:
	v_div_scale_f32 v60, s[2:3], v59, v59, 1.0
	v_rcp_f32_e32 v61, v60
	v_div_scale_f32 v62, vcc, 1.0, v59, 1.0
	v_fma_f32 v63, -v60, v61, 1.0
	v_fmac_f32_e32 v61, v63, v61
	v_mul_f32_e32 v63, v62, v61
	v_fma_f32 v64, -v60, v63, v62
	v_fmac_f32_e32 v63, v64, v61
	v_fma_f32 v60, -v60, v63, v62
	v_div_fmas_f32 v60, v60, v61, v63
	v_div_fixup_f32 v59, v60, v59, 1.0
.LBB92_172:
	s_or_b64 exec, exec, s[0:1]
	v_cmp_ne_u32_e32 vcc, v57, v54
	s_and_saveexec_b64 s[0:1], vcc
	s_xor_b64 s[0:1], exec, s[0:1]
	s_cbranch_execz .LBB92_178
; %bb.173:
	v_cmp_eq_u32_e32 vcc, 10, v57
	s_and_saveexec_b64 s[2:3], vcc
	s_cbranch_execz .LBB92_177
; %bb.174:
	v_cmp_ne_u32_e32 vcc, 10, v54
	s_xor_b64 s[12:13], s[20:21], -1
	s_and_b64 s[14:15], s[12:13], vcc
	s_and_saveexec_b64 s[12:13], s[14:15]
	s_cbranch_execz .LBB92_176
; %bb.175:
	v_ashrrev_i32_e32 v55, 31, v54
	v_lshl_add_u64 v[60:61], v[54:55], 2, v[4:5]
	global_load_dword v55, v[60:61], off
	global_load_dword v57, v[4:5], off offset:40
	s_waitcnt vmcnt(1)
	global_store_dword v[4:5], v55, off offset:40
	s_waitcnt vmcnt(1)
	global_store_dword v[60:61], v57, off
.LBB92_176:
	s_or_b64 exec, exec, s[12:13]
	v_mov_b32_e32 v55, v54
	v_mov_b32_e32 v57, v54
.LBB92_177:
	s_or_b64 exec, exec, s[2:3]
.LBB92_178:
	s_andn2_saveexec_b64 s[0:1], s[0:1]
	s_cbranch_execz .LBB92_180
; %bb.179:
	v_mov_b32_e32 v57, 10
	s_waitcnt vmcnt(34)
	ds_write2_b32 v53, v42, v43 offset0:11 offset1:12
	s_waitcnt vmcnt(32)
	ds_write2_b32 v53, v34, v35 offset0:13 offset1:14
	;; [unrolled: 2-line block ×18, first 2 shown]
.LBB92_180:
	s_or_b64 exec, exec, s[0:1]
	v_cmp_lt_i32_e32 vcc, 10, v57
	s_waitcnt lgkmcnt(0)
	s_barrier
	s_and_saveexec_b64 s[0:1], vcc
	s_cbranch_execz .LBB92_182
; %bb.181:
	ds_read2_b32 v[60:61], v53 offset0:11 offset1:12
	ds_read2_b32 v[62:63], v53 offset0:13 offset1:14
	;; [unrolled: 1-line block ×4, first 2 shown]
	v_mul_f32_e32 v54, v59, v49
	s_waitcnt vmcnt(34) lgkmcnt(3)
	v_pk_fma_f32 v[42:43], v[54:55], v[60:61], v[42:43] op_sel_hi:[0,1,1] neg_lo:[1,0,0] neg_hi:[1,0,0]
	s_waitcnt vmcnt(32) lgkmcnt(2)
	v_pk_fma_f32 v[34:35], v[54:55], v[62:63], v[34:35] op_sel_hi:[0,1,1] neg_lo:[1,0,0] neg_hi:[1,0,0]
	;; [unrolled: 2-line block ×3, first 2 shown]
	ds_read2_b32 v[60:61], v53 offset0:19 offset1:20
	ds_read2_b32 v[62:63], v53 offset0:21 offset1:22
	;; [unrolled: 1-line block ×3, first 2 shown]
	s_waitcnt vmcnt(28) lgkmcnt(3)
	v_pk_fma_f32 v[44:45], v[54:55], v[66:67], v[44:45] op_sel_hi:[0,1,1] neg_lo:[1,0,0] neg_hi:[1,0,0]
	ds_read2_b32 v[66:67], v53 offset0:25 offset1:26
	s_waitcnt vmcnt(26) lgkmcnt(3)
	v_pk_fma_f32 v[36:37], v[54:55], v[60:61], v[36:37] op_sel_hi:[0,1,1] neg_lo:[1,0,0] neg_hi:[1,0,0]
	s_waitcnt vmcnt(24) lgkmcnt(2)
	v_pk_fma_f32 v[26:27], v[54:55], v[62:63], v[26:27] op_sel_hi:[0,1,1] neg_lo:[1,0,0] neg_hi:[1,0,0]
	;; [unrolled: 2-line block ×3, first 2 shown]
	ds_read2_b32 v[60:61], v53 offset0:27 offset1:28
	ds_read2_b32 v[62:63], v53 offset0:29 offset1:30
	;; [unrolled: 1-line block ×3, first 2 shown]
	s_waitcnt vmcnt(20) lgkmcnt(3)
	v_pk_fma_f32 v[38:39], v[54:55], v[66:67], v[38:39] op_sel_hi:[0,1,1] neg_lo:[1,0,0] neg_hi:[1,0,0]
	ds_read2_b32 v[66:67], v53 offset0:33 offset1:34
	s_waitcnt vmcnt(18) lgkmcnt(3)
	v_pk_fma_f32 v[28:29], v[54:55], v[60:61], v[28:29] op_sel_hi:[0,1,1] neg_lo:[1,0,0] neg_hi:[1,0,0]
	ds_read2_b32 v[60:61], v53 offset0:35 offset1:36
	s_waitcnt vmcnt(16) lgkmcnt(3)
	v_pk_fma_f32 v[18:19], v[54:55], v[62:63], v[18:19] op_sel_hi:[0,1,1] neg_lo:[1,0,0] neg_hi:[1,0,0]
	s_waitcnt vmcnt(14) lgkmcnt(2)
	v_pk_fma_f32 v[10:11], v[54:55], v[64:65], v[10:11] op_sel_hi:[0,1,1] neg_lo:[1,0,0] neg_hi:[1,0,0]
	;; [unrolled: 2-line block ×3, first 2 shown]
	ds_read2_b32 v[62:63], v53 offset0:37 offset1:38
	ds_read2_b32 v[64:65], v53 offset0:39 offset1:40
	;; [unrolled: 1-line block ×3, first 2 shown]
	s_waitcnt vmcnt(10) lgkmcnt(3)
	v_pk_fma_f32 v[22:23], v[54:55], v[60:61], v[22:23] op_sel_hi:[0,1,1] neg_lo:[1,0,0] neg_hi:[1,0,0]
	ds_read2_b32 v[60:61], v53 offset0:43 offset1:44
	ds_read2_b32 v[68:69], v53 offset0:45 offset1:46
	s_waitcnt vmcnt(8) lgkmcnt(4)
	v_pk_fma_f32 v[14:15], v[54:55], v[62:63], v[14:15] op_sel_hi:[0,1,1] neg_lo:[1,0,0] neg_hi:[1,0,0]
	s_waitcnt vmcnt(6) lgkmcnt(3)
	v_pk_fma_f32 v[0:1], v[54:55], v[64:65], v[0:1] op_sel_hi:[0,1,1] neg_lo:[1,0,0] neg_hi:[1,0,0]
	;; [unrolled: 2-line block ×5, first 2 shown]
	v_mov_b32_e32 v49, v54
.LBB92_182:
	s_or_b64 exec, exec, s[0:1]
	v_lshl_add_u32 v54, v57, 2, v53
	s_barrier
	s_waitcnt vmcnt(35)
	ds_write_b32 v54, v42
	s_waitcnt lgkmcnt(0)
	s_barrier
	ds_read_b32 v59, v53 offset:44
	s_cmp_lt_i32 s22, 13
	v_mov_b32_e32 v54, 11
	s_cbranch_scc1 .LBB92_185
; %bb.183:
	v_add3_u32 v60, v56, 0, 48
	v_mov_b32_e32 v54, 11
	s_mov_b32 s0, 12
.LBB92_184:                             ; =>This Inner Loop Header: Depth=1
	ds_read_b32 v61, v60
	v_mov_b32_e32 v62, s0
	s_add_i32 s0, s0, 1
	v_add_u32_e32 v60, 4, v60
	s_cmp_lg_u32 s22, s0
	s_waitcnt lgkmcnt(0)
	v_cmp_lt_f32_e64 vcc, |v59|, |v61|
	s_nop 1
	v_cndmask_b32_e32 v59, v59, v61, vcc
	v_cndmask_b32_e32 v54, v54, v62, vcc
	s_cbranch_scc1 .LBB92_184
.LBB92_185:
	s_waitcnt lgkmcnt(0)
	v_cmp_eq_f32_e32 vcc, 0, v59
	s_and_saveexec_b64 s[0:1], vcc
	s_xor_b64 s[0:1], exec, s[0:1]
; %bb.186:
	v_cmp_ne_u32_e32 vcc, 0, v58
	s_nop 1
	v_cndmask_b32_e32 v58, 12, v58, vcc
; %bb.187:
	s_andn2_saveexec_b64 s[0:1], s[0:1]
	s_cbranch_execz .LBB92_189
; %bb.188:
	v_div_scale_f32 v60, s[2:3], v59, v59, 1.0
	v_rcp_f32_e32 v61, v60
	v_div_scale_f32 v62, vcc, 1.0, v59, 1.0
	v_fma_f32 v63, -v60, v61, 1.0
	v_fmac_f32_e32 v61, v63, v61
	v_mul_f32_e32 v63, v62, v61
	v_fma_f32 v64, -v60, v63, v62
	v_fmac_f32_e32 v63, v64, v61
	v_fma_f32 v60, -v60, v63, v62
	v_div_fmas_f32 v60, v60, v61, v63
	v_div_fixup_f32 v59, v60, v59, 1.0
.LBB92_189:
	s_or_b64 exec, exec, s[0:1]
	v_cmp_ne_u32_e32 vcc, v57, v54
	s_and_saveexec_b64 s[0:1], vcc
	s_xor_b64 s[0:1], exec, s[0:1]
	s_cbranch_execz .LBB92_195
; %bb.190:
	v_cmp_eq_u32_e32 vcc, 11, v57
	s_and_saveexec_b64 s[2:3], vcc
	s_cbranch_execz .LBB92_194
; %bb.191:
	v_cmp_ne_u32_e32 vcc, 11, v54
	s_xor_b64 s[12:13], s[20:21], -1
	s_and_b64 s[14:15], s[12:13], vcc
	s_and_saveexec_b64 s[12:13], s[14:15]
	s_cbranch_execz .LBB92_193
; %bb.192:
	v_ashrrev_i32_e32 v55, 31, v54
	v_lshl_add_u64 v[60:61], v[54:55], 2, v[4:5]
	global_load_dword v55, v[60:61], off
	global_load_dword v57, v[4:5], off offset:44
	s_waitcnt vmcnt(1)
	global_store_dword v[4:5], v55, off offset:44
	s_waitcnt vmcnt(1)
	global_store_dword v[60:61], v57, off
.LBB92_193:
	s_or_b64 exec, exec, s[12:13]
	v_mov_b32_e32 v55, v54
	v_mov_b32_e32 v57, v54
.LBB92_194:
	s_or_b64 exec, exec, s[2:3]
.LBB92_195:
	s_andn2_saveexec_b64 s[0:1], s[0:1]
	s_cbranch_execz .LBB92_197
; %bb.196:
	s_waitcnt vmcnt(32)
	v_pk_mov_b32 v[60:61], v[42:43], v[34:35] op_sel:[1,0]
	ds_write2_b32 v53, v60, v61 offset0:12 offset1:13
	s_waitcnt vmcnt(30)
	v_pk_mov_b32 v[60:61], v[34:35], v[24:25] op_sel:[1,0]
	ds_write2_b32 v53, v60, v61 offset0:14 offset1:15
	;; [unrolled: 3-line block ×16, first 2 shown]
	s_waitcnt vmcnt(0)
	v_pk_mov_b32 v[60:61], v[12:13], v[8:9] op_sel:[1,0]
	v_mov_b32_e32 v57, 11
	ds_write2_b32 v53, v60, v61 offset0:44 offset1:45
	ds_write_b32 v53, v9 offset:184
.LBB92_197:
	s_or_b64 exec, exec, s[0:1]
	v_cmp_lt_i32_e32 vcc, 11, v57
	s_waitcnt lgkmcnt(0)
	s_barrier
	s_and_saveexec_b64 s[0:1], vcc
	s_cbranch_execz .LBB92_199
; %bb.198:
	ds_read_b32 v54, v53 offset:48
	ds_read2_b32 v[60:61], v53 offset0:13 offset1:14
	ds_read2_b32 v[62:63], v53 offset0:15 offset1:16
	v_mul_f32_e32 v42, v59, v42
	ds_read2_b32 v[64:65], v53 offset0:17 offset1:18
	s_waitcnt vmcnt(34) lgkmcnt(3)
	v_fma_f32 v43, -v42, v54, v43
	s_waitcnt vmcnt(32) lgkmcnt(2)
	v_pk_fma_f32 v[34:35], v[42:43], v[60:61], v[34:35] op_sel_hi:[0,1,1] neg_lo:[1,0,0] neg_hi:[1,0,0]
	s_waitcnt vmcnt(30) lgkmcnt(1)
	v_pk_fma_f32 v[24:25], v[42:43], v[62:63], v[24:25] op_sel_hi:[0,1,1] neg_lo:[1,0,0] neg_hi:[1,0,0]
	ds_read2_b32 v[60:61], v53 offset0:19 offset1:20
	ds_read2_b32 v[62:63], v53 offset0:21 offset1:22
	;; [unrolled: 1-line block ×3, first 2 shown]
	s_waitcnt vmcnt(28) lgkmcnt(3)
	v_pk_fma_f32 v[44:45], v[42:43], v[64:65], v[44:45] op_sel_hi:[0,1,1] neg_lo:[1,0,0] neg_hi:[1,0,0]
	ds_read2_b32 v[64:65], v53 offset0:25 offset1:26
	s_waitcnt vmcnt(26) lgkmcnt(3)
	v_pk_fma_f32 v[36:37], v[42:43], v[60:61], v[36:37] op_sel_hi:[0,1,1] neg_lo:[1,0,0] neg_hi:[1,0,0]
	s_waitcnt vmcnt(24) lgkmcnt(2)
	v_pk_fma_f32 v[26:27], v[42:43], v[62:63], v[26:27] op_sel_hi:[0,1,1] neg_lo:[1,0,0] neg_hi:[1,0,0]
	;; [unrolled: 2-line block ×3, first 2 shown]
	ds_read2_b32 v[60:61], v53 offset0:27 offset1:28
	ds_read2_b32 v[62:63], v53 offset0:29 offset1:30
	;; [unrolled: 1-line block ×3, first 2 shown]
	s_waitcnt vmcnt(20) lgkmcnt(3)
	v_pk_fma_f32 v[38:39], v[42:43], v[64:65], v[38:39] op_sel_hi:[0,1,1] neg_lo:[1,0,0] neg_hi:[1,0,0]
	ds_read2_b32 v[64:65], v53 offset0:33 offset1:34
	s_waitcnt vmcnt(18) lgkmcnt(3)
	v_pk_fma_f32 v[28:29], v[42:43], v[60:61], v[28:29] op_sel_hi:[0,1,1] neg_lo:[1,0,0] neg_hi:[1,0,0]
	ds_read2_b32 v[60:61], v53 offset0:35 offset1:36
	s_waitcnt vmcnt(16) lgkmcnt(3)
	v_pk_fma_f32 v[18:19], v[42:43], v[62:63], v[18:19] op_sel_hi:[0,1,1] neg_lo:[1,0,0] neg_hi:[1,0,0]
	s_waitcnt vmcnt(14) lgkmcnt(2)
	v_pk_fma_f32 v[10:11], v[42:43], v[66:67], v[10:11] op_sel_hi:[0,1,1] neg_lo:[1,0,0] neg_hi:[1,0,0]
	;; [unrolled: 2-line block ×3, first 2 shown]
	ds_read2_b32 v[62:63], v53 offset0:37 offset1:38
	ds_read2_b32 v[64:65], v53 offset0:39 offset1:40
	;; [unrolled: 1-line block ×3, first 2 shown]
	s_waitcnt vmcnt(10) lgkmcnt(3)
	v_pk_fma_f32 v[22:23], v[42:43], v[60:61], v[22:23] op_sel_hi:[0,1,1] neg_lo:[1,0,0] neg_hi:[1,0,0]
	ds_read2_b32 v[60:61], v53 offset0:43 offset1:44
	ds_read2_b32 v[68:69], v53 offset0:45 offset1:46
	s_waitcnt vmcnt(8) lgkmcnt(4)
	v_pk_fma_f32 v[14:15], v[42:43], v[62:63], v[14:15] op_sel_hi:[0,1,1] neg_lo:[1,0,0] neg_hi:[1,0,0]
	s_waitcnt vmcnt(6) lgkmcnt(3)
	v_pk_fma_f32 v[0:1], v[42:43], v[64:65], v[0:1] op_sel_hi:[0,1,1] neg_lo:[1,0,0] neg_hi:[1,0,0]
	;; [unrolled: 2-line block ×5, first 2 shown]
.LBB92_199:
	s_or_b64 exec, exec, s[0:1]
	v_lshl_add_u32 v54, v57, 2, v53
	s_barrier
	s_waitcnt vmcnt(34)
	ds_write_b32 v54, v43
	s_waitcnt lgkmcnt(0)
	s_barrier
	ds_read_b32 v59, v53 offset:48
	s_cmp_lt_i32 s22, 14
	v_mov_b32_e32 v54, 12
	s_cbranch_scc1 .LBB92_202
; %bb.200:
	v_add3_u32 v60, v56, 0, 52
	v_mov_b32_e32 v54, 12
	s_mov_b32 s0, 13
.LBB92_201:                             ; =>This Inner Loop Header: Depth=1
	ds_read_b32 v61, v60
	v_mov_b32_e32 v62, s0
	s_add_i32 s0, s0, 1
	v_add_u32_e32 v60, 4, v60
	s_cmp_lg_u32 s22, s0
	s_waitcnt lgkmcnt(0)
	v_cmp_lt_f32_e64 vcc, |v59|, |v61|
	s_nop 1
	v_cndmask_b32_e32 v59, v59, v61, vcc
	v_cndmask_b32_e32 v54, v54, v62, vcc
	s_cbranch_scc1 .LBB92_201
.LBB92_202:
	s_waitcnt lgkmcnt(0)
	v_cmp_eq_f32_e32 vcc, 0, v59
	s_and_saveexec_b64 s[0:1], vcc
	s_xor_b64 s[0:1], exec, s[0:1]
; %bb.203:
	v_cmp_ne_u32_e32 vcc, 0, v58
	s_nop 1
	v_cndmask_b32_e32 v58, 13, v58, vcc
; %bb.204:
	s_andn2_saveexec_b64 s[0:1], s[0:1]
	s_cbranch_execz .LBB92_206
; %bb.205:
	v_div_scale_f32 v60, s[2:3], v59, v59, 1.0
	v_rcp_f32_e32 v61, v60
	v_div_scale_f32 v62, vcc, 1.0, v59, 1.0
	v_fma_f32 v63, -v60, v61, 1.0
	v_fmac_f32_e32 v61, v63, v61
	v_mul_f32_e32 v63, v62, v61
	v_fma_f32 v64, -v60, v63, v62
	v_fmac_f32_e32 v63, v64, v61
	v_fma_f32 v60, -v60, v63, v62
	v_div_fmas_f32 v60, v60, v61, v63
	v_div_fixup_f32 v59, v60, v59, 1.0
.LBB92_206:
	s_or_b64 exec, exec, s[0:1]
	v_cmp_ne_u32_e32 vcc, v57, v54
	s_and_saveexec_b64 s[0:1], vcc
	s_xor_b64 s[0:1], exec, s[0:1]
	s_cbranch_execz .LBB92_212
; %bb.207:
	v_cmp_eq_u32_e32 vcc, 12, v57
	s_and_saveexec_b64 s[2:3], vcc
	s_cbranch_execz .LBB92_211
; %bb.208:
	v_cmp_ne_u32_e32 vcc, 12, v54
	s_xor_b64 s[12:13], s[20:21], -1
	s_and_b64 s[14:15], s[12:13], vcc
	s_and_saveexec_b64 s[12:13], s[14:15]
	s_cbranch_execz .LBB92_210
; %bb.209:
	v_ashrrev_i32_e32 v55, 31, v54
	v_lshl_add_u64 v[60:61], v[54:55], 2, v[4:5]
	global_load_dword v55, v[60:61], off
	global_load_dword v57, v[4:5], off offset:48
	s_waitcnt vmcnt(1)
	global_store_dword v[4:5], v55, off offset:48
	s_waitcnt vmcnt(1)
	global_store_dword v[60:61], v57, off
.LBB92_210:
	s_or_b64 exec, exec, s[12:13]
	v_mov_b32_e32 v55, v54
	v_mov_b32_e32 v57, v54
.LBB92_211:
	s_or_b64 exec, exec, s[2:3]
.LBB92_212:
	s_andn2_saveexec_b64 s[0:1], s[0:1]
	s_cbranch_execz .LBB92_214
; %bb.213:
	v_mov_b32_e32 v57, 12
	s_waitcnt vmcnt(32)
	ds_write2_b32 v53, v34, v35 offset0:13 offset1:14
	s_waitcnt vmcnt(30)
	ds_write2_b32 v53, v24, v25 offset0:15 offset1:16
	;; [unrolled: 2-line block ×17, first 2 shown]
.LBB92_214:
	s_or_b64 exec, exec, s[0:1]
	v_cmp_lt_i32_e32 vcc, 12, v57
	s_waitcnt lgkmcnt(0)
	s_barrier
	s_and_saveexec_b64 s[0:1], vcc
	s_cbranch_execz .LBB92_216
; %bb.215:
	ds_read2_b32 v[60:61], v53 offset0:13 offset1:14
	ds_read2_b32 v[62:63], v53 offset0:15 offset1:16
	;; [unrolled: 1-line block ×3, first 2 shown]
	v_mul_f32_e32 v54, v59, v43
	ds_read2_b32 v[66:67], v53 offset0:19 offset1:20
	s_waitcnt vmcnt(32) lgkmcnt(3)
	v_pk_fma_f32 v[34:35], v[54:55], v[60:61], v[34:35] op_sel_hi:[0,1,1] neg_lo:[1,0,0] neg_hi:[1,0,0]
	s_waitcnt vmcnt(30) lgkmcnt(2)
	v_pk_fma_f32 v[24:25], v[54:55], v[62:63], v[24:25] op_sel_hi:[0,1,1] neg_lo:[1,0,0] neg_hi:[1,0,0]
	;; [unrolled: 2-line block ×3, first 2 shown]
	ds_read2_b32 v[60:61], v53 offset0:21 offset1:22
	ds_read2_b32 v[62:63], v53 offset0:23 offset1:24
	ds_read2_b32 v[64:65], v53 offset0:25 offset1:26
	s_waitcnt vmcnt(26) lgkmcnt(3)
	v_pk_fma_f32 v[36:37], v[54:55], v[66:67], v[36:37] op_sel_hi:[0,1,1] neg_lo:[1,0,0] neg_hi:[1,0,0]
	ds_read2_b32 v[66:67], v53 offset0:27 offset1:28
	s_waitcnt vmcnt(24) lgkmcnt(3)
	v_pk_fma_f32 v[26:27], v[54:55], v[60:61], v[26:27] op_sel_hi:[0,1,1] neg_lo:[1,0,0] neg_hi:[1,0,0]
	s_waitcnt vmcnt(22) lgkmcnt(2)
	v_pk_fma_f32 v[16:17], v[54:55], v[62:63], v[16:17] op_sel_hi:[0,1,1] neg_lo:[1,0,0] neg_hi:[1,0,0]
	;; [unrolled: 2-line block ×3, first 2 shown]
	ds_read2_b32 v[60:61], v53 offset0:29 offset1:30
	ds_read2_b32 v[62:63], v53 offset0:31 offset1:32
	;; [unrolled: 1-line block ×4, first 2 shown]
	s_waitcnt vmcnt(18) lgkmcnt(4)
	v_pk_fma_f32 v[28:29], v[54:55], v[66:67], v[28:29] op_sel_hi:[0,1,1] neg_lo:[1,0,0] neg_hi:[1,0,0]
	s_waitcnt vmcnt(16) lgkmcnt(3)
	v_pk_fma_f32 v[18:19], v[54:55], v[60:61], v[18:19] op_sel_hi:[0,1,1] neg_lo:[1,0,0] neg_hi:[1,0,0]
	;; [unrolled: 2-line block ×5, first 2 shown]
	ds_read2_b32 v[60:61], v53 offset0:37 offset1:38
	ds_read2_b32 v[62:63], v53 offset0:39 offset1:40
	;; [unrolled: 1-line block ×5, first 2 shown]
	s_waitcnt vmcnt(8) lgkmcnt(4)
	v_pk_fma_f32 v[14:15], v[54:55], v[60:61], v[14:15] op_sel_hi:[0,1,1] neg_lo:[1,0,0] neg_hi:[1,0,0]
	s_waitcnt vmcnt(6) lgkmcnt(3)
	v_pk_fma_f32 v[0:1], v[54:55], v[62:63], v[0:1] op_sel_hi:[0,1,1] neg_lo:[1,0,0] neg_hi:[1,0,0]
	;; [unrolled: 2-line block ×5, first 2 shown]
	v_mov_b32_e32 v43, v54
.LBB92_216:
	s_or_b64 exec, exec, s[0:1]
	v_lshl_add_u32 v54, v57, 2, v53
	s_barrier
	s_waitcnt vmcnt(33)
	ds_write_b32 v54, v34
	s_waitcnt lgkmcnt(0)
	s_barrier
	ds_read_b32 v59, v53 offset:52
	s_cmp_lt_i32 s22, 15
	v_mov_b32_e32 v54, 13
	s_cbranch_scc1 .LBB92_219
; %bb.217:
	v_add3_u32 v60, v56, 0, 56
	v_mov_b32_e32 v54, 13
	s_mov_b32 s0, 14
.LBB92_218:                             ; =>This Inner Loop Header: Depth=1
	ds_read_b32 v61, v60
	v_mov_b32_e32 v62, s0
	s_add_i32 s0, s0, 1
	v_add_u32_e32 v60, 4, v60
	s_cmp_lg_u32 s22, s0
	s_waitcnt lgkmcnt(0)
	v_cmp_lt_f32_e64 vcc, |v59|, |v61|
	s_nop 1
	v_cndmask_b32_e32 v59, v59, v61, vcc
	v_cndmask_b32_e32 v54, v54, v62, vcc
	s_cbranch_scc1 .LBB92_218
.LBB92_219:
	s_waitcnt lgkmcnt(0)
	v_cmp_eq_f32_e32 vcc, 0, v59
	s_and_saveexec_b64 s[0:1], vcc
	s_xor_b64 s[0:1], exec, s[0:1]
; %bb.220:
	v_cmp_ne_u32_e32 vcc, 0, v58
	s_nop 1
	v_cndmask_b32_e32 v58, 14, v58, vcc
; %bb.221:
	s_andn2_saveexec_b64 s[0:1], s[0:1]
	s_cbranch_execz .LBB92_223
; %bb.222:
	v_div_scale_f32 v60, s[2:3], v59, v59, 1.0
	v_rcp_f32_e32 v61, v60
	v_div_scale_f32 v62, vcc, 1.0, v59, 1.0
	v_fma_f32 v63, -v60, v61, 1.0
	v_fmac_f32_e32 v61, v63, v61
	v_mul_f32_e32 v63, v62, v61
	v_fma_f32 v64, -v60, v63, v62
	v_fmac_f32_e32 v63, v64, v61
	v_fma_f32 v60, -v60, v63, v62
	v_div_fmas_f32 v60, v60, v61, v63
	v_div_fixup_f32 v59, v60, v59, 1.0
.LBB92_223:
	s_or_b64 exec, exec, s[0:1]
	v_cmp_ne_u32_e32 vcc, v57, v54
	s_and_saveexec_b64 s[0:1], vcc
	s_xor_b64 s[0:1], exec, s[0:1]
	s_cbranch_execz .LBB92_229
; %bb.224:
	v_cmp_eq_u32_e32 vcc, 13, v57
	s_and_saveexec_b64 s[2:3], vcc
	s_cbranch_execz .LBB92_228
; %bb.225:
	v_cmp_ne_u32_e32 vcc, 13, v54
	s_xor_b64 s[12:13], s[20:21], -1
	s_and_b64 s[14:15], s[12:13], vcc
	s_and_saveexec_b64 s[12:13], s[14:15]
	s_cbranch_execz .LBB92_227
; %bb.226:
	v_ashrrev_i32_e32 v55, 31, v54
	v_lshl_add_u64 v[60:61], v[54:55], 2, v[4:5]
	global_load_dword v55, v[60:61], off
	global_load_dword v57, v[4:5], off offset:52
	s_waitcnt vmcnt(1)
	global_store_dword v[4:5], v55, off offset:52
	s_waitcnt vmcnt(1)
	global_store_dword v[60:61], v57, off
.LBB92_227:
	s_or_b64 exec, exec, s[12:13]
	v_mov_b32_e32 v55, v54
	v_mov_b32_e32 v57, v54
.LBB92_228:
	s_or_b64 exec, exec, s[2:3]
.LBB92_229:
	s_andn2_saveexec_b64 s[0:1], s[0:1]
	s_cbranch_execz .LBB92_231
; %bb.230:
	s_waitcnt vmcnt(30)
	v_pk_mov_b32 v[60:61], v[34:35], v[24:25] op_sel:[1,0]
	ds_write2_b32 v53, v60, v61 offset0:14 offset1:15
	s_waitcnt vmcnt(28)
	v_pk_mov_b32 v[60:61], v[24:25], v[44:45] op_sel:[1,0]
	ds_write2_b32 v53, v60, v61 offset0:16 offset1:17
	;; [unrolled: 3-line block ×15, first 2 shown]
	s_waitcnt vmcnt(0)
	v_pk_mov_b32 v[60:61], v[12:13], v[8:9] op_sel:[1,0]
	v_mov_b32_e32 v57, 13
	ds_write2_b32 v53, v60, v61 offset0:44 offset1:45
	ds_write_b32 v53, v9 offset:184
.LBB92_231:
	s_or_b64 exec, exec, s[0:1]
	v_cmp_lt_i32_e32 vcc, 13, v57
	s_waitcnt lgkmcnt(0)
	s_barrier
	s_and_saveexec_b64 s[0:1], vcc
	s_cbranch_execz .LBB92_233
; %bb.232:
	ds_read_b32 v54, v53 offset:56
	ds_read2_b32 v[60:61], v53 offset0:15 offset1:16
	ds_read2_b32 v[62:63], v53 offset0:17 offset1:18
	v_mul_f32_e32 v34, v59, v34
	ds_read2_b32 v[64:65], v53 offset0:19 offset1:20
	s_waitcnt vmcnt(32) lgkmcnt(3)
	v_fma_f32 v35, -v34, v54, v35
	s_waitcnt vmcnt(30) lgkmcnt(2)
	v_pk_fma_f32 v[24:25], v[34:35], v[60:61], v[24:25] op_sel_hi:[0,1,1] neg_lo:[1,0,0] neg_hi:[1,0,0]
	s_waitcnt vmcnt(28) lgkmcnt(1)
	v_pk_fma_f32 v[44:45], v[34:35], v[62:63], v[44:45] op_sel_hi:[0,1,1] neg_lo:[1,0,0] neg_hi:[1,0,0]
	ds_read2_b32 v[60:61], v53 offset0:21 offset1:22
	ds_read2_b32 v[62:63], v53 offset0:23 offset1:24
	;; [unrolled: 1-line block ×3, first 2 shown]
	s_waitcnt vmcnt(26) lgkmcnt(3)
	v_pk_fma_f32 v[36:37], v[34:35], v[64:65], v[36:37] op_sel_hi:[0,1,1] neg_lo:[1,0,0] neg_hi:[1,0,0]
	ds_read2_b32 v[64:65], v53 offset0:27 offset1:28
	s_waitcnt vmcnt(24) lgkmcnt(3)
	v_pk_fma_f32 v[26:27], v[34:35], v[60:61], v[26:27] op_sel_hi:[0,1,1] neg_lo:[1,0,0] neg_hi:[1,0,0]
	s_waitcnt vmcnt(22) lgkmcnt(2)
	v_pk_fma_f32 v[16:17], v[34:35], v[62:63], v[16:17] op_sel_hi:[0,1,1] neg_lo:[1,0,0] neg_hi:[1,0,0]
	;; [unrolled: 2-line block ×3, first 2 shown]
	ds_read2_b32 v[60:61], v53 offset0:29 offset1:30
	ds_read2_b32 v[62:63], v53 offset0:31 offset1:32
	;; [unrolled: 1-line block ×4, first 2 shown]
	s_waitcnt vmcnt(18) lgkmcnt(4)
	v_pk_fma_f32 v[28:29], v[34:35], v[64:65], v[28:29] op_sel_hi:[0,1,1] neg_lo:[1,0,0] neg_hi:[1,0,0]
	s_waitcnt vmcnt(16) lgkmcnt(3)
	v_pk_fma_f32 v[18:19], v[34:35], v[60:61], v[18:19] op_sel_hi:[0,1,1] neg_lo:[1,0,0] neg_hi:[1,0,0]
	;; [unrolled: 2-line block ×5, first 2 shown]
	ds_read2_b32 v[60:61], v53 offset0:37 offset1:38
	ds_read2_b32 v[62:63], v53 offset0:39 offset1:40
	;; [unrolled: 1-line block ×5, first 2 shown]
	s_waitcnt vmcnt(8) lgkmcnt(4)
	v_pk_fma_f32 v[14:15], v[34:35], v[60:61], v[14:15] op_sel_hi:[0,1,1] neg_lo:[1,0,0] neg_hi:[1,0,0]
	s_waitcnt vmcnt(6) lgkmcnt(3)
	v_pk_fma_f32 v[0:1], v[34:35], v[62:63], v[0:1] op_sel_hi:[0,1,1] neg_lo:[1,0,0] neg_hi:[1,0,0]
	s_waitcnt vmcnt(4) lgkmcnt(2)
	v_pk_fma_f32 v[20:21], v[34:35], v[64:65], v[20:21] op_sel_hi:[0,1,1] neg_lo:[1,0,0] neg_hi:[1,0,0]
	s_waitcnt vmcnt(2) lgkmcnt(1)
	v_pk_fma_f32 v[12:13], v[34:35], v[66:67], v[12:13] op_sel_hi:[0,1,1] neg_lo:[1,0,0] neg_hi:[1,0,0]
	s_waitcnt vmcnt(0) lgkmcnt(0)
	v_pk_fma_f32 v[8:9], v[34:35], v[68:69], v[8:9] op_sel_hi:[0,1,1] neg_lo:[1,0,0] neg_hi:[1,0,0]
.LBB92_233:
	s_or_b64 exec, exec, s[0:1]
	v_lshl_add_u32 v54, v57, 2, v53
	s_barrier
	s_waitcnt vmcnt(32)
	ds_write_b32 v54, v35
	s_waitcnt lgkmcnt(0)
	s_barrier
	ds_read_b32 v59, v53 offset:56
	s_cmp_lt_i32 s22, 16
	v_mov_b32_e32 v54, 14
	s_cbranch_scc1 .LBB92_236
; %bb.234:
	v_add3_u32 v60, v56, 0, 60
	v_mov_b32_e32 v54, 14
	s_mov_b32 s0, 15
.LBB92_235:                             ; =>This Inner Loop Header: Depth=1
	ds_read_b32 v61, v60
	v_mov_b32_e32 v62, s0
	s_add_i32 s0, s0, 1
	v_add_u32_e32 v60, 4, v60
	s_cmp_lg_u32 s22, s0
	s_waitcnt lgkmcnt(0)
	v_cmp_lt_f32_e64 vcc, |v59|, |v61|
	s_nop 1
	v_cndmask_b32_e32 v59, v59, v61, vcc
	v_cndmask_b32_e32 v54, v54, v62, vcc
	s_cbranch_scc1 .LBB92_235
.LBB92_236:
	s_waitcnt lgkmcnt(0)
	v_cmp_eq_f32_e32 vcc, 0, v59
	s_and_saveexec_b64 s[0:1], vcc
	s_xor_b64 s[0:1], exec, s[0:1]
; %bb.237:
	v_cmp_ne_u32_e32 vcc, 0, v58
	s_nop 1
	v_cndmask_b32_e32 v58, 15, v58, vcc
; %bb.238:
	s_andn2_saveexec_b64 s[0:1], s[0:1]
	s_cbranch_execz .LBB92_240
; %bb.239:
	v_div_scale_f32 v60, s[2:3], v59, v59, 1.0
	v_rcp_f32_e32 v61, v60
	v_div_scale_f32 v62, vcc, 1.0, v59, 1.0
	v_fma_f32 v63, -v60, v61, 1.0
	v_fmac_f32_e32 v61, v63, v61
	v_mul_f32_e32 v63, v62, v61
	v_fma_f32 v64, -v60, v63, v62
	v_fmac_f32_e32 v63, v64, v61
	v_fma_f32 v60, -v60, v63, v62
	v_div_fmas_f32 v60, v60, v61, v63
	v_div_fixup_f32 v59, v60, v59, 1.0
.LBB92_240:
	s_or_b64 exec, exec, s[0:1]
	v_cmp_ne_u32_e32 vcc, v57, v54
	s_and_saveexec_b64 s[0:1], vcc
	s_xor_b64 s[0:1], exec, s[0:1]
	s_cbranch_execz .LBB92_246
; %bb.241:
	v_cmp_eq_u32_e32 vcc, 14, v57
	s_and_saveexec_b64 s[2:3], vcc
	s_cbranch_execz .LBB92_245
; %bb.242:
	v_cmp_ne_u32_e32 vcc, 14, v54
	s_xor_b64 s[12:13], s[20:21], -1
	s_and_b64 s[14:15], s[12:13], vcc
	s_and_saveexec_b64 s[12:13], s[14:15]
	s_cbranch_execz .LBB92_244
; %bb.243:
	v_ashrrev_i32_e32 v55, 31, v54
	v_lshl_add_u64 v[60:61], v[54:55], 2, v[4:5]
	global_load_dword v55, v[60:61], off
	global_load_dword v57, v[4:5], off offset:56
	s_waitcnt vmcnt(1)
	global_store_dword v[4:5], v55, off offset:56
	s_waitcnt vmcnt(1)
	global_store_dword v[60:61], v57, off
.LBB92_244:
	s_or_b64 exec, exec, s[12:13]
	v_mov_b32_e32 v55, v54
	v_mov_b32_e32 v57, v54
.LBB92_245:
	s_or_b64 exec, exec, s[2:3]
.LBB92_246:
	s_andn2_saveexec_b64 s[0:1], s[0:1]
	s_cbranch_execz .LBB92_248
; %bb.247:
	v_mov_b32_e32 v57, 14
	s_waitcnt vmcnt(30)
	ds_write2_b32 v53, v24, v25 offset0:15 offset1:16
	s_waitcnt vmcnt(28)
	ds_write2_b32 v53, v44, v45 offset0:17 offset1:18
	;; [unrolled: 2-line block ×16, first 2 shown]
.LBB92_248:
	s_or_b64 exec, exec, s[0:1]
	v_cmp_lt_i32_e32 vcc, 14, v57
	s_waitcnt lgkmcnt(0)
	s_barrier
	s_and_saveexec_b64 s[0:1], vcc
	s_cbranch_execz .LBB92_250
; %bb.249:
	ds_read2_b32 v[60:61], v53 offset0:15 offset1:16
	ds_read2_b32 v[62:63], v53 offset0:17 offset1:18
	;; [unrolled: 1-line block ×3, first 2 shown]
	v_mul_f32_e32 v54, v59, v35
	ds_read2_b32 v[66:67], v53 offset0:21 offset1:22
	s_waitcnt vmcnt(30) lgkmcnt(3)
	v_pk_fma_f32 v[24:25], v[54:55], v[60:61], v[24:25] op_sel_hi:[0,1,1] neg_lo:[1,0,0] neg_hi:[1,0,0]
	s_waitcnt vmcnt(28) lgkmcnt(2)
	v_pk_fma_f32 v[44:45], v[54:55], v[62:63], v[44:45] op_sel_hi:[0,1,1] neg_lo:[1,0,0] neg_hi:[1,0,0]
	;; [unrolled: 2-line block ×3, first 2 shown]
	ds_read2_b32 v[60:61], v53 offset0:23 offset1:24
	ds_read2_b32 v[62:63], v53 offset0:25 offset1:26
	;; [unrolled: 1-line block ×3, first 2 shown]
	s_waitcnt vmcnt(24) lgkmcnt(3)
	v_pk_fma_f32 v[26:27], v[54:55], v[66:67], v[26:27] op_sel_hi:[0,1,1] neg_lo:[1,0,0] neg_hi:[1,0,0]
	ds_read2_b32 v[66:67], v53 offset0:29 offset1:30
	s_waitcnt vmcnt(22) lgkmcnt(3)
	v_pk_fma_f32 v[16:17], v[54:55], v[60:61], v[16:17] op_sel_hi:[0,1,1] neg_lo:[1,0,0] neg_hi:[1,0,0]
	s_waitcnt vmcnt(20) lgkmcnt(2)
	v_pk_fma_f32 v[38:39], v[54:55], v[62:63], v[38:39] op_sel_hi:[0,1,1] neg_lo:[1,0,0] neg_hi:[1,0,0]
	s_waitcnt vmcnt(18) lgkmcnt(1)
	v_pk_fma_f32 v[28:29], v[54:55], v[64:65], v[28:29] op_sel_hi:[0,1,1] neg_lo:[1,0,0] neg_hi:[1,0,0]
	ds_read2_b32 v[60:61], v53 offset0:31 offset1:32
	ds_read2_b32 v[62:63], v53 offset0:33 offset1:34
	;; [unrolled: 1-line block ×3, first 2 shown]
	s_waitcnt vmcnt(16) lgkmcnt(3)
	v_pk_fma_f32 v[18:19], v[54:55], v[66:67], v[18:19] op_sel_hi:[0,1,1] neg_lo:[1,0,0] neg_hi:[1,0,0]
	ds_read2_b32 v[66:67], v53 offset0:37 offset1:38
	s_waitcnt vmcnt(14) lgkmcnt(3)
	v_pk_fma_f32 v[10:11], v[54:55], v[60:61], v[10:11] op_sel_hi:[0,1,1] neg_lo:[1,0,0] neg_hi:[1,0,0]
	s_waitcnt vmcnt(12) lgkmcnt(2)
	v_pk_fma_f32 v[30:31], v[54:55], v[62:63], v[30:31] op_sel_hi:[0,1,1] neg_lo:[1,0,0] neg_hi:[1,0,0]
	s_waitcnt vmcnt(10) lgkmcnt(1)
	v_pk_fma_f32 v[22:23], v[54:55], v[64:65], v[22:23] op_sel_hi:[0,1,1] neg_lo:[1,0,0] neg_hi:[1,0,0]
	ds_read2_b32 v[60:61], v53 offset0:39 offset1:40
	ds_read2_b32 v[62:63], v53 offset0:41 offset1:42
	;; [unrolled: 1-line block ×4, first 2 shown]
	s_waitcnt vmcnt(8) lgkmcnt(4)
	v_pk_fma_f32 v[14:15], v[54:55], v[66:67], v[14:15] op_sel_hi:[0,1,1] neg_lo:[1,0,0] neg_hi:[1,0,0]
	s_waitcnt vmcnt(6) lgkmcnt(3)
	v_pk_fma_f32 v[0:1], v[54:55], v[60:61], v[0:1] op_sel_hi:[0,1,1] neg_lo:[1,0,0] neg_hi:[1,0,0]
	s_waitcnt vmcnt(4) lgkmcnt(2)
	v_pk_fma_f32 v[20:21], v[54:55], v[62:63], v[20:21] op_sel_hi:[0,1,1] neg_lo:[1,0,0] neg_hi:[1,0,0]
	s_waitcnt vmcnt(2) lgkmcnt(1)
	v_pk_fma_f32 v[12:13], v[54:55], v[64:65], v[12:13] op_sel_hi:[0,1,1] neg_lo:[1,0,0] neg_hi:[1,0,0]
	s_waitcnt vmcnt(0) lgkmcnt(0)
	v_pk_fma_f32 v[8:9], v[54:55], v[68:69], v[8:9] op_sel_hi:[0,1,1] neg_lo:[1,0,0] neg_hi:[1,0,0]
	v_mov_b32_e32 v35, v54
.LBB92_250:
	s_or_b64 exec, exec, s[0:1]
	v_lshl_add_u32 v54, v57, 2, v53
	s_barrier
	s_waitcnt vmcnt(31)
	ds_write_b32 v54, v24
	s_waitcnt lgkmcnt(0)
	s_barrier
	ds_read_b32 v59, v53 offset:60
	s_cmp_lt_i32 s22, 17
	v_mov_b32_e32 v54, 15
	s_cbranch_scc1 .LBB92_253
; %bb.251:
	v_add3_u32 v56, v56, 0, 64
	v_mov_b32_e32 v54, 15
	s_mov_b32 s0, 16
.LBB92_252:                             ; =>This Inner Loop Header: Depth=1
	ds_read_b32 v60, v56
	v_mov_b32_e32 v61, s0
	s_add_i32 s0, s0, 1
	v_add_u32_e32 v56, 4, v56
	s_cmp_lg_u32 s22, s0
	s_waitcnt lgkmcnt(0)
	v_cmp_lt_f32_e64 vcc, |v59|, |v60|
	s_nop 1
	v_cndmask_b32_e32 v59, v59, v60, vcc
	v_cndmask_b32_e32 v54, v54, v61, vcc
	s_cbranch_scc1 .LBB92_252
.LBB92_253:
	s_waitcnt lgkmcnt(0)
	v_cmp_eq_f32_e32 vcc, 0, v59
	s_and_saveexec_b64 s[0:1], vcc
	s_xor_b64 s[0:1], exec, s[0:1]
; %bb.254:
	v_cmp_ne_u32_e32 vcc, 0, v58
	s_nop 1
	v_cndmask_b32_e32 v58, 16, v58, vcc
; %bb.255:
	s_andn2_saveexec_b64 s[0:1], s[0:1]
	s_cbranch_execz .LBB92_257
; %bb.256:
	v_div_scale_f32 v56, s[2:3], v59, v59, 1.0
	v_rcp_f32_e32 v60, v56
	v_div_scale_f32 v61, vcc, 1.0, v59, 1.0
	v_fma_f32 v62, -v56, v60, 1.0
	v_fmac_f32_e32 v60, v62, v60
	v_mul_f32_e32 v62, v61, v60
	v_fma_f32 v63, -v56, v62, v61
	v_fmac_f32_e32 v62, v63, v60
	v_fma_f32 v56, -v56, v62, v61
	v_div_fmas_f32 v56, v56, v60, v62
	v_div_fixup_f32 v59, v56, v59, 1.0
.LBB92_257:
	s_or_b64 exec, exec, s[0:1]
	v_cmp_ne_u32_e32 vcc, v57, v54
	s_and_saveexec_b64 s[0:1], vcc
	s_xor_b64 s[0:1], exec, s[0:1]
	s_cbranch_execz .LBB92_263
; %bb.258:
	v_cmp_eq_u32_e32 vcc, 15, v57
	s_and_saveexec_b64 s[2:3], vcc
	s_cbranch_execz .LBB92_262
; %bb.259:
	v_cmp_ne_u32_e32 vcc, 15, v54
	s_xor_b64 s[12:13], s[20:21], -1
	s_and_b64 s[14:15], s[12:13], vcc
	s_and_saveexec_b64 s[12:13], s[14:15]
	s_cbranch_execz .LBB92_261
; %bb.260:
	v_ashrrev_i32_e32 v55, 31, v54
	v_lshl_add_u64 v[56:57], v[54:55], 2, v[4:5]
	global_load_dword v55, v[56:57], off
	global_load_dword v60, v[4:5], off offset:60
	s_waitcnt vmcnt(1)
	global_store_dword v[4:5], v55, off offset:60
	s_waitcnt vmcnt(1)
	global_store_dword v[56:57], v60, off
.LBB92_261:
	s_or_b64 exec, exec, s[12:13]
	v_mov_b32_e32 v55, v54
	v_mov_b32_e32 v57, v54
.LBB92_262:
	s_or_b64 exec, exec, s[2:3]
.LBB92_263:
	s_andn2_saveexec_b64 s[0:1], s[0:1]
	s_cbranch_execz .LBB92_265
; %bb.264:
	s_waitcnt vmcnt(28)
	v_pk_mov_b32 v[56:57], v[24:25], v[44:45] op_sel:[1,0]
	ds_write2_b32 v53, v56, v57 offset0:16 offset1:17
	s_waitcnt vmcnt(26)
	v_pk_mov_b32 v[56:57], v[44:45], v[36:37] op_sel:[1,0]
	ds_write2_b32 v53, v56, v57 offset0:18 offset1:19
	;; [unrolled: 3-line block ×15, first 2 shown]
	ds_write_b32 v53, v9 offset:184
	v_mov_b32_e32 v57, 15
.LBB92_265:
	s_or_b64 exec, exec, s[0:1]
	v_cmp_lt_i32_e32 vcc, 15, v57
	s_waitcnt lgkmcnt(0)
	s_barrier
	s_and_saveexec_b64 s[0:1], vcc
	s_cbranch_execz .LBB92_267
; %bb.266:
	ds_read_b32 v54, v53 offset:64
	ds_read2_b32 v[60:61], v53 offset0:17 offset1:18
	ds_read2_b32 v[62:63], v53 offset0:19 offset1:20
	v_mul_f32_e32 v24, v59, v24
	ds_read2_b32 v[64:65], v53 offset0:21 offset1:22
	s_waitcnt vmcnt(30) lgkmcnt(3)
	v_fma_f32 v25, -v24, v54, v25
	s_waitcnt vmcnt(28) lgkmcnt(2)
	v_pk_fma_f32 v[44:45], v[24:25], v[60:61], v[44:45] op_sel_hi:[0,1,1] neg_lo:[1,0,0] neg_hi:[1,0,0]
	s_waitcnt vmcnt(26) lgkmcnt(1)
	v_pk_fma_f32 v[36:37], v[24:25], v[62:63], v[36:37] op_sel_hi:[0,1,1] neg_lo:[1,0,0] neg_hi:[1,0,0]
	ds_read2_b32 v[60:61], v53 offset0:23 offset1:24
	ds_read2_b32 v[62:63], v53 offset0:25 offset1:26
	;; [unrolled: 1-line block ×3, first 2 shown]
	s_waitcnt vmcnt(24) lgkmcnt(3)
	v_pk_fma_f32 v[26:27], v[24:25], v[64:65], v[26:27] op_sel_hi:[0,1,1] neg_lo:[1,0,0] neg_hi:[1,0,0]
	ds_read2_b32 v[64:65], v53 offset0:29 offset1:30
	s_waitcnt vmcnt(22) lgkmcnt(3)
	v_pk_fma_f32 v[16:17], v[24:25], v[60:61], v[16:17] op_sel_hi:[0,1,1] neg_lo:[1,0,0] neg_hi:[1,0,0]
	s_waitcnt vmcnt(20) lgkmcnt(2)
	v_pk_fma_f32 v[38:39], v[24:25], v[62:63], v[38:39] op_sel_hi:[0,1,1] neg_lo:[1,0,0] neg_hi:[1,0,0]
	;; [unrolled: 2-line block ×3, first 2 shown]
	ds_read2_b32 v[60:61], v53 offset0:31 offset1:32
	ds_read2_b32 v[62:63], v53 offset0:33 offset1:34
	;; [unrolled: 1-line block ×3, first 2 shown]
	s_waitcnt vmcnt(16) lgkmcnt(3)
	v_pk_fma_f32 v[18:19], v[24:25], v[64:65], v[18:19] op_sel_hi:[0,1,1] neg_lo:[1,0,0] neg_hi:[1,0,0]
	ds_read2_b32 v[64:65], v53 offset0:37 offset1:38
	s_waitcnt vmcnt(14) lgkmcnt(3)
	v_pk_fma_f32 v[10:11], v[24:25], v[60:61], v[10:11] op_sel_hi:[0,1,1] neg_lo:[1,0,0] neg_hi:[1,0,0]
	s_waitcnt vmcnt(12) lgkmcnt(2)
	v_pk_fma_f32 v[30:31], v[24:25], v[62:63], v[30:31] op_sel_hi:[0,1,1] neg_lo:[1,0,0] neg_hi:[1,0,0]
	;; [unrolled: 2-line block ×3, first 2 shown]
	ds_read2_b32 v[60:61], v53 offset0:39 offset1:40
	ds_read2_b32 v[62:63], v53 offset0:41 offset1:42
	;; [unrolled: 1-line block ×4, first 2 shown]
	s_waitcnt vmcnt(8) lgkmcnt(4)
	v_pk_fma_f32 v[14:15], v[24:25], v[64:65], v[14:15] op_sel_hi:[0,1,1] neg_lo:[1,0,0] neg_hi:[1,0,0]
	s_waitcnt vmcnt(6) lgkmcnt(3)
	v_pk_fma_f32 v[0:1], v[24:25], v[60:61], v[0:1] op_sel_hi:[0,1,1] neg_lo:[1,0,0] neg_hi:[1,0,0]
	;; [unrolled: 2-line block ×5, first 2 shown]
.LBB92_267:
	s_or_b64 exec, exec, s[0:1]
	v_lshl_add_u32 v54, v57, 2, v53
	s_barrier
	s_waitcnt vmcnt(30)
	ds_write_b32 v54, v25
	s_waitcnt lgkmcnt(0)
	s_barrier
	ds_read_b32 v56, v53 offset:64
	s_cmp_lt_i32 s22, 18
	v_mov_b32_e32 v54, 16
	s_cbranch_scc1 .LBB92_270
; %bb.268:
	v_add_u32_e32 v59, 0x44, v53
	v_mov_b32_e32 v54, 16
	s_mov_b32 s0, 17
.LBB92_269:                             ; =>This Inner Loop Header: Depth=1
	ds_read_b32 v60, v59
	v_mov_b32_e32 v61, s0
	s_add_i32 s0, s0, 1
	v_add_u32_e32 v59, 4, v59
	s_cmp_lg_u32 s22, s0
	s_waitcnt lgkmcnt(0)
	v_cmp_lt_f32_e64 vcc, |v56|, |v60|
	s_nop 1
	v_cndmask_b32_e32 v56, v56, v60, vcc
	v_cndmask_b32_e32 v54, v54, v61, vcc
	s_cbranch_scc1 .LBB92_269
.LBB92_270:
	s_waitcnt lgkmcnt(0)
	v_cmp_eq_f32_e32 vcc, 0, v56
	s_and_saveexec_b64 s[0:1], vcc
	s_xor_b64 s[0:1], exec, s[0:1]
; %bb.271:
	v_cmp_ne_u32_e32 vcc, 0, v58
	s_nop 1
	v_cndmask_b32_e32 v58, 17, v58, vcc
; %bb.272:
	s_andn2_saveexec_b64 s[0:1], s[0:1]
	s_cbranch_execz .LBB92_274
; %bb.273:
	v_div_scale_f32 v59, s[2:3], v56, v56, 1.0
	v_rcp_f32_e32 v60, v59
	v_div_scale_f32 v61, vcc, 1.0, v56, 1.0
	v_fma_f32 v62, -v59, v60, 1.0
	v_fmac_f32_e32 v60, v62, v60
	v_mul_f32_e32 v62, v61, v60
	v_fma_f32 v63, -v59, v62, v61
	v_fmac_f32_e32 v62, v63, v60
	v_fma_f32 v59, -v59, v62, v61
	v_div_fmas_f32 v59, v59, v60, v62
	v_div_fixup_f32 v56, v59, v56, 1.0
.LBB92_274:
	s_or_b64 exec, exec, s[0:1]
	v_cmp_ne_u32_e32 vcc, v57, v54
	s_and_saveexec_b64 s[0:1], vcc
	s_xor_b64 s[0:1], exec, s[0:1]
	s_cbranch_execz .LBB92_280
; %bb.275:
	v_cmp_eq_u32_e32 vcc, 16, v57
	s_and_saveexec_b64 s[2:3], vcc
	s_cbranch_execz .LBB92_279
; %bb.276:
	v_cmp_ne_u32_e32 vcc, 16, v54
	s_xor_b64 s[12:13], s[20:21], -1
	s_and_b64 s[14:15], s[12:13], vcc
	s_and_saveexec_b64 s[12:13], s[14:15]
	s_cbranch_execz .LBB92_278
; %bb.277:
	v_ashrrev_i32_e32 v55, 31, v54
	v_lshl_add_u64 v[60:61], v[54:55], 2, v[4:5]
	global_load_dword v55, v[60:61], off
	global_load_dword v57, v[4:5], off offset:64
	s_waitcnt vmcnt(1)
	global_store_dword v[4:5], v55, off offset:64
	s_waitcnt vmcnt(1)
	global_store_dword v[60:61], v57, off
.LBB92_278:
	s_or_b64 exec, exec, s[12:13]
	v_mov_b32_e32 v55, v54
	v_mov_b32_e32 v57, v54
.LBB92_279:
	s_or_b64 exec, exec, s[2:3]
.LBB92_280:
	s_andn2_saveexec_b64 s[0:1], s[0:1]
	s_cbranch_execz .LBB92_282
; %bb.281:
	v_mov_b32_e32 v57, 16
	s_waitcnt vmcnt(28)
	ds_write2_b32 v53, v44, v45 offset0:17 offset1:18
	s_waitcnt vmcnt(26)
	ds_write2_b32 v53, v36, v37 offset0:19 offset1:20
	;; [unrolled: 2-line block ×15, first 2 shown]
.LBB92_282:
	s_or_b64 exec, exec, s[0:1]
	v_cmp_lt_i32_e32 vcc, 16, v57
	s_waitcnt lgkmcnt(0)
	s_barrier
	s_and_saveexec_b64 s[0:1], vcc
	s_cbranch_execz .LBB92_284
; %bb.283:
	ds_read2_b32 v[60:61], v53 offset0:17 offset1:18
	ds_read2_b32 v[62:63], v53 offset0:19 offset1:20
	;; [unrolled: 1-line block ×3, first 2 shown]
	v_mul_f32_e32 v54, v56, v25
	ds_read2_b32 v[66:67], v53 offset0:23 offset1:24
	s_waitcnt vmcnt(28) lgkmcnt(3)
	v_pk_fma_f32 v[44:45], v[54:55], v[60:61], v[44:45] op_sel_hi:[0,1,1] neg_lo:[1,0,0] neg_hi:[1,0,0]
	s_waitcnt vmcnt(26) lgkmcnt(2)
	v_pk_fma_f32 v[36:37], v[54:55], v[62:63], v[36:37] op_sel_hi:[0,1,1] neg_lo:[1,0,0] neg_hi:[1,0,0]
	;; [unrolled: 2-line block ×3, first 2 shown]
	ds_read2_b32 v[60:61], v53 offset0:25 offset1:26
	ds_read2_b32 v[62:63], v53 offset0:27 offset1:28
	;; [unrolled: 1-line block ×3, first 2 shown]
	s_waitcnt vmcnt(22) lgkmcnt(3)
	v_pk_fma_f32 v[16:17], v[54:55], v[66:67], v[16:17] op_sel_hi:[0,1,1] neg_lo:[1,0,0] neg_hi:[1,0,0]
	ds_read2_b32 v[66:67], v53 offset0:31 offset1:32
	s_waitcnt vmcnt(20) lgkmcnt(3)
	v_pk_fma_f32 v[38:39], v[54:55], v[60:61], v[38:39] op_sel_hi:[0,1,1] neg_lo:[1,0,0] neg_hi:[1,0,0]
	s_waitcnt vmcnt(18) lgkmcnt(2)
	v_pk_fma_f32 v[28:29], v[54:55], v[62:63], v[28:29] op_sel_hi:[0,1,1] neg_lo:[1,0,0] neg_hi:[1,0,0]
	ds_read2_b32 v[60:61], v53 offset0:33 offset1:34
	ds_read2_b32 v[62:63], v53 offset0:35 offset1:36
	s_waitcnt vmcnt(16) lgkmcnt(3)
	v_pk_fma_f32 v[18:19], v[54:55], v[64:65], v[18:19] op_sel_hi:[0,1,1] neg_lo:[1,0,0] neg_hi:[1,0,0]
	s_waitcnt vmcnt(14) lgkmcnt(2)
	v_pk_fma_f32 v[10:11], v[54:55], v[66:67], v[10:11] op_sel_hi:[0,1,1] neg_lo:[1,0,0] neg_hi:[1,0,0]
	ds_read2_b32 v[64:65], v53 offset0:37 offset1:38
	;; [unrolled: 6-line block ×3, first 2 shown]
	ds_read2_b32 v[62:63], v53 offset0:43 offset1:44
	ds_read2_b32 v[68:69], v53 offset0:45 offset1:46
	s_waitcnt vmcnt(8) lgkmcnt(4)
	v_pk_fma_f32 v[14:15], v[54:55], v[64:65], v[14:15] op_sel_hi:[0,1,1] neg_lo:[1,0,0] neg_hi:[1,0,0]
	s_waitcnt vmcnt(6) lgkmcnt(3)
	v_pk_fma_f32 v[0:1], v[54:55], v[66:67], v[0:1] op_sel_hi:[0,1,1] neg_lo:[1,0,0] neg_hi:[1,0,0]
	;; [unrolled: 2-line block ×5, first 2 shown]
	v_mov_b32_e32 v25, v54
.LBB92_284:
	s_or_b64 exec, exec, s[0:1]
	v_lshl_add_u32 v54, v57, 2, v53
	s_barrier
	s_waitcnt vmcnt(29)
	ds_write_b32 v54, v44
	s_waitcnt lgkmcnt(0)
	s_barrier
	ds_read_b32 v56, v53 offset:68
	s_cmp_lt_i32 s22, 19
	v_mov_b32_e32 v54, 17
	s_cbranch_scc1 .LBB92_287
; %bb.285:
	v_add_u32_e32 v59, 0x48, v53
	v_mov_b32_e32 v54, 17
	s_mov_b32 s0, 18
.LBB92_286:                             ; =>This Inner Loop Header: Depth=1
	ds_read_b32 v60, v59
	v_mov_b32_e32 v61, s0
	s_add_i32 s0, s0, 1
	v_add_u32_e32 v59, 4, v59
	s_cmp_lg_u32 s22, s0
	s_waitcnt lgkmcnt(0)
	v_cmp_lt_f32_e64 vcc, |v56|, |v60|
	s_nop 1
	v_cndmask_b32_e32 v56, v56, v60, vcc
	v_cndmask_b32_e32 v54, v54, v61, vcc
	s_cbranch_scc1 .LBB92_286
.LBB92_287:
	s_waitcnt lgkmcnt(0)
	v_cmp_eq_f32_e32 vcc, 0, v56
	s_and_saveexec_b64 s[0:1], vcc
	s_xor_b64 s[0:1], exec, s[0:1]
; %bb.288:
	v_cmp_ne_u32_e32 vcc, 0, v58
	s_nop 1
	v_cndmask_b32_e32 v58, 18, v58, vcc
; %bb.289:
	s_andn2_saveexec_b64 s[0:1], s[0:1]
	s_cbranch_execz .LBB92_291
; %bb.290:
	v_div_scale_f32 v59, s[2:3], v56, v56, 1.0
	v_rcp_f32_e32 v60, v59
	v_div_scale_f32 v61, vcc, 1.0, v56, 1.0
	v_fma_f32 v62, -v59, v60, 1.0
	v_fmac_f32_e32 v60, v62, v60
	v_mul_f32_e32 v62, v61, v60
	v_fma_f32 v63, -v59, v62, v61
	v_fmac_f32_e32 v62, v63, v60
	v_fma_f32 v59, -v59, v62, v61
	v_div_fmas_f32 v59, v59, v60, v62
	v_div_fixup_f32 v56, v59, v56, 1.0
.LBB92_291:
	s_or_b64 exec, exec, s[0:1]
	v_cmp_ne_u32_e32 vcc, v57, v54
	s_and_saveexec_b64 s[0:1], vcc
	s_xor_b64 s[0:1], exec, s[0:1]
	s_cbranch_execz .LBB92_297
; %bb.292:
	v_cmp_eq_u32_e32 vcc, 17, v57
	s_and_saveexec_b64 s[2:3], vcc
	s_cbranch_execz .LBB92_296
; %bb.293:
	v_cmp_ne_u32_e32 vcc, 17, v54
	s_xor_b64 s[12:13], s[20:21], -1
	s_and_b64 s[14:15], s[12:13], vcc
	s_and_saveexec_b64 s[12:13], s[14:15]
	s_cbranch_execz .LBB92_295
; %bb.294:
	v_ashrrev_i32_e32 v55, 31, v54
	v_lshl_add_u64 v[60:61], v[54:55], 2, v[4:5]
	global_load_dword v55, v[60:61], off
	global_load_dword v57, v[4:5], off offset:68
	s_waitcnt vmcnt(1)
	global_store_dword v[4:5], v55, off offset:68
	s_waitcnt vmcnt(1)
	global_store_dword v[60:61], v57, off
.LBB92_295:
	s_or_b64 exec, exec, s[12:13]
	v_mov_b32_e32 v55, v54
	v_mov_b32_e32 v57, v54
.LBB92_296:
	s_or_b64 exec, exec, s[2:3]
.LBB92_297:
	s_andn2_saveexec_b64 s[0:1], s[0:1]
	s_cbranch_execz .LBB92_299
; %bb.298:
	s_waitcnt vmcnt(26)
	v_pk_mov_b32 v[60:61], v[44:45], v[36:37] op_sel:[1,0]
	ds_write2_b32 v53, v60, v61 offset0:18 offset1:19
	s_waitcnt vmcnt(24)
	v_pk_mov_b32 v[60:61], v[36:37], v[26:27] op_sel:[1,0]
	ds_write2_b32 v53, v60, v61 offset0:20 offset1:21
	;; [unrolled: 3-line block ×13, first 2 shown]
	s_waitcnt vmcnt(0)
	v_pk_mov_b32 v[60:61], v[12:13], v[8:9] op_sel:[1,0]
	v_mov_b32_e32 v57, 17
	ds_write2_b32 v53, v60, v61 offset0:44 offset1:45
	ds_write_b32 v53, v9 offset:184
.LBB92_299:
	s_or_b64 exec, exec, s[0:1]
	v_cmp_lt_i32_e32 vcc, 17, v57
	s_waitcnt lgkmcnt(0)
	s_barrier
	s_and_saveexec_b64 s[0:1], vcc
	s_cbranch_execz .LBB92_301
; %bb.300:
	ds_read_b32 v54, v53 offset:72
	ds_read2_b32 v[60:61], v53 offset0:19 offset1:20
	ds_read2_b32 v[62:63], v53 offset0:21 offset1:22
	v_mul_f32_e32 v44, v56, v44
	ds_read2_b32 v[64:65], v53 offset0:23 offset1:24
	s_waitcnt vmcnt(28) lgkmcnt(3)
	v_fma_f32 v45, -v44, v54, v45
	s_waitcnt vmcnt(26) lgkmcnt(2)
	v_pk_fma_f32 v[36:37], v[44:45], v[60:61], v[36:37] op_sel_hi:[0,1,1] neg_lo:[1,0,0] neg_hi:[1,0,0]
	s_waitcnt vmcnt(24) lgkmcnt(1)
	v_pk_fma_f32 v[26:27], v[44:45], v[62:63], v[26:27] op_sel_hi:[0,1,1] neg_lo:[1,0,0] neg_hi:[1,0,0]
	ds_read2_b32 v[60:61], v53 offset0:25 offset1:26
	ds_read2_b32 v[62:63], v53 offset0:27 offset1:28
	ds_read2_b32 v[66:67], v53 offset0:29 offset1:30
	s_waitcnt vmcnt(22) lgkmcnt(3)
	v_pk_fma_f32 v[16:17], v[44:45], v[64:65], v[16:17] op_sel_hi:[0,1,1] neg_lo:[1,0,0] neg_hi:[1,0,0]
	ds_read2_b32 v[64:65], v53 offset0:31 offset1:32
	s_waitcnt vmcnt(20) lgkmcnt(3)
	v_pk_fma_f32 v[38:39], v[44:45], v[60:61], v[38:39] op_sel_hi:[0,1,1] neg_lo:[1,0,0] neg_hi:[1,0,0]
	s_waitcnt vmcnt(18) lgkmcnt(2)
	v_pk_fma_f32 v[28:29], v[44:45], v[62:63], v[28:29] op_sel_hi:[0,1,1] neg_lo:[1,0,0] neg_hi:[1,0,0]
	ds_read2_b32 v[60:61], v53 offset0:33 offset1:34
	ds_read2_b32 v[62:63], v53 offset0:35 offset1:36
	s_waitcnt vmcnt(16) lgkmcnt(3)
	v_pk_fma_f32 v[18:19], v[44:45], v[66:67], v[18:19] op_sel_hi:[0,1,1] neg_lo:[1,0,0] neg_hi:[1,0,0]
	s_waitcnt vmcnt(14) lgkmcnt(2)
	v_pk_fma_f32 v[10:11], v[44:45], v[64:65], v[10:11] op_sel_hi:[0,1,1] neg_lo:[1,0,0] neg_hi:[1,0,0]
	ds_read2_b32 v[64:65], v53 offset0:37 offset1:38
	;; [unrolled: 6-line block ×3, first 2 shown]
	ds_read2_b32 v[62:63], v53 offset0:43 offset1:44
	ds_read2_b32 v[68:69], v53 offset0:45 offset1:46
	s_waitcnt vmcnt(8) lgkmcnt(4)
	v_pk_fma_f32 v[14:15], v[44:45], v[64:65], v[14:15] op_sel_hi:[0,1,1] neg_lo:[1,0,0] neg_hi:[1,0,0]
	s_waitcnt vmcnt(6) lgkmcnt(3)
	v_pk_fma_f32 v[0:1], v[44:45], v[66:67], v[0:1] op_sel_hi:[0,1,1] neg_lo:[1,0,0] neg_hi:[1,0,0]
	;; [unrolled: 2-line block ×5, first 2 shown]
.LBB92_301:
	s_or_b64 exec, exec, s[0:1]
	v_lshl_add_u32 v54, v57, 2, v53
	s_barrier
	s_waitcnt vmcnt(28)
	ds_write_b32 v54, v45
	s_waitcnt lgkmcnt(0)
	s_barrier
	ds_read_b32 v56, v53 offset:72
	s_cmp_lt_i32 s22, 20
	v_mov_b32_e32 v54, 18
	s_cbranch_scc1 .LBB92_304
; %bb.302:
	v_add_u32_e32 v59, 0x4c, v53
	v_mov_b32_e32 v54, 18
	s_mov_b32 s0, 19
.LBB92_303:                             ; =>This Inner Loop Header: Depth=1
	ds_read_b32 v60, v59
	v_mov_b32_e32 v61, s0
	s_add_i32 s0, s0, 1
	v_add_u32_e32 v59, 4, v59
	s_cmp_lg_u32 s22, s0
	s_waitcnt lgkmcnt(0)
	v_cmp_lt_f32_e64 vcc, |v56|, |v60|
	s_nop 1
	v_cndmask_b32_e32 v56, v56, v60, vcc
	v_cndmask_b32_e32 v54, v54, v61, vcc
	s_cbranch_scc1 .LBB92_303
.LBB92_304:
	s_waitcnt lgkmcnt(0)
	v_cmp_eq_f32_e32 vcc, 0, v56
	s_and_saveexec_b64 s[0:1], vcc
	s_xor_b64 s[0:1], exec, s[0:1]
; %bb.305:
	v_cmp_ne_u32_e32 vcc, 0, v58
	s_nop 1
	v_cndmask_b32_e32 v58, 19, v58, vcc
; %bb.306:
	s_andn2_saveexec_b64 s[0:1], s[0:1]
	s_cbranch_execz .LBB92_308
; %bb.307:
	v_div_scale_f32 v59, s[2:3], v56, v56, 1.0
	v_rcp_f32_e32 v60, v59
	v_div_scale_f32 v61, vcc, 1.0, v56, 1.0
	v_fma_f32 v62, -v59, v60, 1.0
	v_fmac_f32_e32 v60, v62, v60
	v_mul_f32_e32 v62, v61, v60
	v_fma_f32 v63, -v59, v62, v61
	v_fmac_f32_e32 v62, v63, v60
	v_fma_f32 v59, -v59, v62, v61
	v_div_fmas_f32 v59, v59, v60, v62
	v_div_fixup_f32 v56, v59, v56, 1.0
.LBB92_308:
	s_or_b64 exec, exec, s[0:1]
	v_cmp_ne_u32_e32 vcc, v57, v54
	s_and_saveexec_b64 s[0:1], vcc
	s_xor_b64 s[0:1], exec, s[0:1]
	s_cbranch_execz .LBB92_314
; %bb.309:
	v_cmp_eq_u32_e32 vcc, 18, v57
	s_and_saveexec_b64 s[2:3], vcc
	s_cbranch_execz .LBB92_313
; %bb.310:
	v_cmp_ne_u32_e32 vcc, 18, v54
	s_xor_b64 s[12:13], s[20:21], -1
	s_and_b64 s[14:15], s[12:13], vcc
	s_and_saveexec_b64 s[12:13], s[14:15]
	s_cbranch_execz .LBB92_312
; %bb.311:
	v_ashrrev_i32_e32 v55, 31, v54
	v_lshl_add_u64 v[60:61], v[54:55], 2, v[4:5]
	global_load_dword v55, v[60:61], off
	global_load_dword v57, v[4:5], off offset:72
	s_waitcnt vmcnt(1)
	global_store_dword v[4:5], v55, off offset:72
	s_waitcnt vmcnt(1)
	global_store_dword v[60:61], v57, off
.LBB92_312:
	s_or_b64 exec, exec, s[12:13]
	v_mov_b32_e32 v55, v54
	v_mov_b32_e32 v57, v54
.LBB92_313:
	s_or_b64 exec, exec, s[2:3]
.LBB92_314:
	s_andn2_saveexec_b64 s[0:1], s[0:1]
	s_cbranch_execz .LBB92_316
; %bb.315:
	v_mov_b32_e32 v57, 18
	s_waitcnt vmcnt(26)
	ds_write2_b32 v53, v36, v37 offset0:19 offset1:20
	s_waitcnt vmcnt(24)
	ds_write2_b32 v53, v26, v27 offset0:21 offset1:22
	;; [unrolled: 2-line block ×14, first 2 shown]
.LBB92_316:
	s_or_b64 exec, exec, s[0:1]
	v_cmp_lt_i32_e32 vcc, 18, v57
	s_waitcnt lgkmcnt(0)
	s_barrier
	s_and_saveexec_b64 s[0:1], vcc
	s_cbranch_execz .LBB92_318
; %bb.317:
	ds_read2_b32 v[60:61], v53 offset0:19 offset1:20
	ds_read2_b32 v[62:63], v53 offset0:21 offset1:22
	;; [unrolled: 1-line block ×4, first 2 shown]
	v_mul_f32_e32 v54, v56, v45
	s_waitcnt vmcnt(26) lgkmcnt(3)
	v_pk_fma_f32 v[36:37], v[54:55], v[60:61], v[36:37] op_sel_hi:[0,1,1] neg_lo:[1,0,0] neg_hi:[1,0,0]
	s_waitcnt vmcnt(24) lgkmcnt(2)
	v_pk_fma_f32 v[26:27], v[54:55], v[62:63], v[26:27] op_sel_hi:[0,1,1] neg_lo:[1,0,0] neg_hi:[1,0,0]
	;; [unrolled: 2-line block ×3, first 2 shown]
	ds_read2_b32 v[60:61], v53 offset0:27 offset1:28
	ds_read2_b32 v[62:63], v53 offset0:29 offset1:30
	;; [unrolled: 1-line block ×3, first 2 shown]
	s_waitcnt vmcnt(20) lgkmcnt(3)
	v_pk_fma_f32 v[38:39], v[54:55], v[66:67], v[38:39] op_sel_hi:[0,1,1] neg_lo:[1,0,0] neg_hi:[1,0,0]
	ds_read2_b32 v[66:67], v53 offset0:33 offset1:34
	s_waitcnt vmcnt(18) lgkmcnt(3)
	v_pk_fma_f32 v[28:29], v[54:55], v[60:61], v[28:29] op_sel_hi:[0,1,1] neg_lo:[1,0,0] neg_hi:[1,0,0]
	ds_read2_b32 v[60:61], v53 offset0:35 offset1:36
	s_waitcnt vmcnt(16) lgkmcnt(3)
	v_pk_fma_f32 v[18:19], v[54:55], v[62:63], v[18:19] op_sel_hi:[0,1,1] neg_lo:[1,0,0] neg_hi:[1,0,0]
	s_waitcnt vmcnt(14) lgkmcnt(2)
	v_pk_fma_f32 v[10:11], v[54:55], v[64:65], v[10:11] op_sel_hi:[0,1,1] neg_lo:[1,0,0] neg_hi:[1,0,0]
	;; [unrolled: 2-line block ×3, first 2 shown]
	ds_read2_b32 v[62:63], v53 offset0:37 offset1:38
	ds_read2_b32 v[64:65], v53 offset0:39 offset1:40
	;; [unrolled: 1-line block ×3, first 2 shown]
	s_waitcnt vmcnt(10) lgkmcnt(3)
	v_pk_fma_f32 v[22:23], v[54:55], v[60:61], v[22:23] op_sel_hi:[0,1,1] neg_lo:[1,0,0] neg_hi:[1,0,0]
	ds_read2_b32 v[60:61], v53 offset0:43 offset1:44
	ds_read2_b32 v[68:69], v53 offset0:45 offset1:46
	s_waitcnt vmcnt(8) lgkmcnt(4)
	v_pk_fma_f32 v[14:15], v[54:55], v[62:63], v[14:15] op_sel_hi:[0,1,1] neg_lo:[1,0,0] neg_hi:[1,0,0]
	s_waitcnt vmcnt(6) lgkmcnt(3)
	v_pk_fma_f32 v[0:1], v[54:55], v[64:65], v[0:1] op_sel_hi:[0,1,1] neg_lo:[1,0,0] neg_hi:[1,0,0]
	s_waitcnt vmcnt(4) lgkmcnt(2)
	v_pk_fma_f32 v[20:21], v[54:55], v[66:67], v[20:21] op_sel_hi:[0,1,1] neg_lo:[1,0,0] neg_hi:[1,0,0]
	s_waitcnt vmcnt(2) lgkmcnt(1)
	v_pk_fma_f32 v[12:13], v[54:55], v[60:61], v[12:13] op_sel_hi:[0,1,1] neg_lo:[1,0,0] neg_hi:[1,0,0]
	s_waitcnt vmcnt(0) lgkmcnt(0)
	v_pk_fma_f32 v[8:9], v[54:55], v[68:69], v[8:9] op_sel_hi:[0,1,1] neg_lo:[1,0,0] neg_hi:[1,0,0]
	v_mov_b32_e32 v45, v54
.LBB92_318:
	s_or_b64 exec, exec, s[0:1]
	v_lshl_add_u32 v54, v57, 2, v53
	s_barrier
	s_waitcnt vmcnt(27)
	ds_write_b32 v54, v36
	s_waitcnt lgkmcnt(0)
	s_barrier
	ds_read_b32 v56, v53 offset:76
	s_cmp_lt_i32 s22, 21
	v_mov_b32_e32 v54, 19
	s_cbranch_scc1 .LBB92_321
; %bb.319:
	v_add_u32_e32 v59, 0x50, v53
	v_mov_b32_e32 v54, 19
	s_mov_b32 s0, 20
.LBB92_320:                             ; =>This Inner Loop Header: Depth=1
	ds_read_b32 v60, v59
	v_mov_b32_e32 v61, s0
	s_add_i32 s0, s0, 1
	v_add_u32_e32 v59, 4, v59
	s_cmp_lg_u32 s22, s0
	s_waitcnt lgkmcnt(0)
	v_cmp_lt_f32_e64 vcc, |v56|, |v60|
	s_nop 1
	v_cndmask_b32_e32 v56, v56, v60, vcc
	v_cndmask_b32_e32 v54, v54, v61, vcc
	s_cbranch_scc1 .LBB92_320
.LBB92_321:
	s_waitcnt lgkmcnt(0)
	v_cmp_eq_f32_e32 vcc, 0, v56
	s_and_saveexec_b64 s[0:1], vcc
	s_xor_b64 s[0:1], exec, s[0:1]
; %bb.322:
	v_cmp_ne_u32_e32 vcc, 0, v58
	s_nop 1
	v_cndmask_b32_e32 v58, 20, v58, vcc
; %bb.323:
	s_andn2_saveexec_b64 s[0:1], s[0:1]
	s_cbranch_execz .LBB92_325
; %bb.324:
	v_div_scale_f32 v59, s[2:3], v56, v56, 1.0
	v_rcp_f32_e32 v60, v59
	v_div_scale_f32 v61, vcc, 1.0, v56, 1.0
	v_fma_f32 v62, -v59, v60, 1.0
	v_fmac_f32_e32 v60, v62, v60
	v_mul_f32_e32 v62, v61, v60
	v_fma_f32 v63, -v59, v62, v61
	v_fmac_f32_e32 v62, v63, v60
	v_fma_f32 v59, -v59, v62, v61
	v_div_fmas_f32 v59, v59, v60, v62
	v_div_fixup_f32 v56, v59, v56, 1.0
.LBB92_325:
	s_or_b64 exec, exec, s[0:1]
	v_cmp_ne_u32_e32 vcc, v57, v54
	s_and_saveexec_b64 s[0:1], vcc
	s_xor_b64 s[0:1], exec, s[0:1]
	s_cbranch_execz .LBB92_331
; %bb.326:
	v_cmp_eq_u32_e32 vcc, 19, v57
	s_and_saveexec_b64 s[2:3], vcc
	s_cbranch_execz .LBB92_330
; %bb.327:
	v_cmp_ne_u32_e32 vcc, 19, v54
	s_xor_b64 s[12:13], s[20:21], -1
	s_and_b64 s[14:15], s[12:13], vcc
	s_and_saveexec_b64 s[12:13], s[14:15]
	s_cbranch_execz .LBB92_329
; %bb.328:
	v_ashrrev_i32_e32 v55, 31, v54
	v_lshl_add_u64 v[60:61], v[54:55], 2, v[4:5]
	global_load_dword v55, v[60:61], off
	global_load_dword v57, v[4:5], off offset:76
	s_waitcnt vmcnt(1)
	global_store_dword v[4:5], v55, off offset:76
	s_waitcnt vmcnt(1)
	global_store_dword v[60:61], v57, off
.LBB92_329:
	s_or_b64 exec, exec, s[12:13]
	v_mov_b32_e32 v55, v54
	v_mov_b32_e32 v57, v54
.LBB92_330:
	s_or_b64 exec, exec, s[2:3]
.LBB92_331:
	s_andn2_saveexec_b64 s[0:1], s[0:1]
	s_cbranch_execz .LBB92_333
; %bb.332:
	s_waitcnt vmcnt(24)
	v_pk_mov_b32 v[60:61], v[36:37], v[26:27] op_sel:[1,0]
	ds_write2_b32 v53, v60, v61 offset0:20 offset1:21
	s_waitcnt vmcnt(22)
	v_pk_mov_b32 v[60:61], v[26:27], v[16:17] op_sel:[1,0]
	ds_write2_b32 v53, v60, v61 offset0:22 offset1:23
	;; [unrolled: 3-line block ×12, first 2 shown]
	s_waitcnt vmcnt(0)
	v_pk_mov_b32 v[60:61], v[12:13], v[8:9] op_sel:[1,0]
	v_mov_b32_e32 v57, 19
	ds_write2_b32 v53, v60, v61 offset0:44 offset1:45
	ds_write_b32 v53, v9 offset:184
.LBB92_333:
	s_or_b64 exec, exec, s[0:1]
	v_cmp_lt_i32_e32 vcc, 19, v57
	s_waitcnt lgkmcnt(0)
	s_barrier
	s_and_saveexec_b64 s[0:1], vcc
	s_cbranch_execz .LBB92_335
; %bb.334:
	ds_read_b32 v54, v53 offset:80
	ds_read2_b32 v[60:61], v53 offset0:21 offset1:22
	ds_read2_b32 v[62:63], v53 offset0:23 offset1:24
	v_mul_f32_e32 v36, v56, v36
	ds_read2_b32 v[64:65], v53 offset0:25 offset1:26
	s_waitcnt vmcnt(26) lgkmcnt(3)
	v_fma_f32 v37, -v36, v54, v37
	s_waitcnt vmcnt(24) lgkmcnt(2)
	v_pk_fma_f32 v[26:27], v[36:37], v[60:61], v[26:27] op_sel_hi:[0,1,1] neg_lo:[1,0,0] neg_hi:[1,0,0]
	s_waitcnt vmcnt(22) lgkmcnt(1)
	v_pk_fma_f32 v[16:17], v[36:37], v[62:63], v[16:17] op_sel_hi:[0,1,1] neg_lo:[1,0,0] neg_hi:[1,0,0]
	ds_read2_b32 v[60:61], v53 offset0:27 offset1:28
	ds_read2_b32 v[62:63], v53 offset0:29 offset1:30
	ds_read2_b32 v[66:67], v53 offset0:31 offset1:32
	s_waitcnt vmcnt(20) lgkmcnt(3)
	v_pk_fma_f32 v[38:39], v[36:37], v[64:65], v[38:39] op_sel_hi:[0,1,1] neg_lo:[1,0,0] neg_hi:[1,0,0]
	ds_read2_b32 v[64:65], v53 offset0:33 offset1:34
	s_waitcnt vmcnt(18) lgkmcnt(3)
	v_pk_fma_f32 v[28:29], v[36:37], v[60:61], v[28:29] op_sel_hi:[0,1,1] neg_lo:[1,0,0] neg_hi:[1,0,0]
	ds_read2_b32 v[60:61], v53 offset0:35 offset1:36
	s_waitcnt vmcnt(16) lgkmcnt(3)
	v_pk_fma_f32 v[18:19], v[36:37], v[62:63], v[18:19] op_sel_hi:[0,1,1] neg_lo:[1,0,0] neg_hi:[1,0,0]
	s_waitcnt vmcnt(14) lgkmcnt(2)
	v_pk_fma_f32 v[10:11], v[36:37], v[66:67], v[10:11] op_sel_hi:[0,1,1] neg_lo:[1,0,0] neg_hi:[1,0,0]
	;; [unrolled: 2-line block ×3, first 2 shown]
	ds_read2_b32 v[62:63], v53 offset0:37 offset1:38
	ds_read2_b32 v[64:65], v53 offset0:39 offset1:40
	ds_read2_b32 v[66:67], v53 offset0:41 offset1:42
	s_waitcnt vmcnt(10) lgkmcnt(3)
	v_pk_fma_f32 v[22:23], v[36:37], v[60:61], v[22:23] op_sel_hi:[0,1,1] neg_lo:[1,0,0] neg_hi:[1,0,0]
	ds_read2_b32 v[60:61], v53 offset0:43 offset1:44
	ds_read2_b32 v[68:69], v53 offset0:45 offset1:46
	s_waitcnt vmcnt(8) lgkmcnt(4)
	v_pk_fma_f32 v[14:15], v[36:37], v[62:63], v[14:15] op_sel_hi:[0,1,1] neg_lo:[1,0,0] neg_hi:[1,0,0]
	s_waitcnt vmcnt(6) lgkmcnt(3)
	v_pk_fma_f32 v[0:1], v[36:37], v[64:65], v[0:1] op_sel_hi:[0,1,1] neg_lo:[1,0,0] neg_hi:[1,0,0]
	;; [unrolled: 2-line block ×5, first 2 shown]
.LBB92_335:
	s_or_b64 exec, exec, s[0:1]
	v_lshl_add_u32 v54, v57, 2, v53
	s_barrier
	s_waitcnt vmcnt(26)
	ds_write_b32 v54, v37
	s_waitcnt lgkmcnt(0)
	s_barrier
	ds_read_b32 v56, v53 offset:80
	s_cmp_lt_i32 s22, 22
	v_mov_b32_e32 v54, 20
	s_cbranch_scc1 .LBB92_338
; %bb.336:
	v_add_u32_e32 v59, 0x54, v53
	v_mov_b32_e32 v54, 20
	s_mov_b32 s0, 21
.LBB92_337:                             ; =>This Inner Loop Header: Depth=1
	ds_read_b32 v60, v59
	v_mov_b32_e32 v61, s0
	s_add_i32 s0, s0, 1
	v_add_u32_e32 v59, 4, v59
	s_cmp_lg_u32 s22, s0
	s_waitcnt lgkmcnt(0)
	v_cmp_lt_f32_e64 vcc, |v56|, |v60|
	s_nop 1
	v_cndmask_b32_e32 v56, v56, v60, vcc
	v_cndmask_b32_e32 v54, v54, v61, vcc
	s_cbranch_scc1 .LBB92_337
.LBB92_338:
	s_waitcnt lgkmcnt(0)
	v_cmp_eq_f32_e32 vcc, 0, v56
	s_and_saveexec_b64 s[0:1], vcc
	s_xor_b64 s[0:1], exec, s[0:1]
; %bb.339:
	v_cmp_ne_u32_e32 vcc, 0, v58
	s_nop 1
	v_cndmask_b32_e32 v58, 21, v58, vcc
; %bb.340:
	s_andn2_saveexec_b64 s[0:1], s[0:1]
	s_cbranch_execz .LBB92_342
; %bb.341:
	v_div_scale_f32 v59, s[2:3], v56, v56, 1.0
	v_rcp_f32_e32 v60, v59
	v_div_scale_f32 v61, vcc, 1.0, v56, 1.0
	v_fma_f32 v62, -v59, v60, 1.0
	v_fmac_f32_e32 v60, v62, v60
	v_mul_f32_e32 v62, v61, v60
	v_fma_f32 v63, -v59, v62, v61
	v_fmac_f32_e32 v62, v63, v60
	v_fma_f32 v59, -v59, v62, v61
	v_div_fmas_f32 v59, v59, v60, v62
	v_div_fixup_f32 v56, v59, v56, 1.0
.LBB92_342:
	s_or_b64 exec, exec, s[0:1]
	v_cmp_ne_u32_e32 vcc, v57, v54
	s_and_saveexec_b64 s[0:1], vcc
	s_xor_b64 s[0:1], exec, s[0:1]
	s_cbranch_execz .LBB92_348
; %bb.343:
	v_cmp_eq_u32_e32 vcc, 20, v57
	s_and_saveexec_b64 s[2:3], vcc
	s_cbranch_execz .LBB92_347
; %bb.344:
	v_cmp_ne_u32_e32 vcc, 20, v54
	s_xor_b64 s[12:13], s[20:21], -1
	s_and_b64 s[14:15], s[12:13], vcc
	s_and_saveexec_b64 s[12:13], s[14:15]
	s_cbranch_execz .LBB92_346
; %bb.345:
	v_ashrrev_i32_e32 v55, 31, v54
	v_lshl_add_u64 v[60:61], v[54:55], 2, v[4:5]
	global_load_dword v55, v[60:61], off
	global_load_dword v57, v[4:5], off offset:80
	s_waitcnt vmcnt(1)
	global_store_dword v[4:5], v55, off offset:80
	s_waitcnt vmcnt(1)
	global_store_dword v[60:61], v57, off
.LBB92_346:
	s_or_b64 exec, exec, s[12:13]
	v_mov_b32_e32 v55, v54
	v_mov_b32_e32 v57, v54
.LBB92_347:
	s_or_b64 exec, exec, s[2:3]
.LBB92_348:
	s_andn2_saveexec_b64 s[0:1], s[0:1]
	s_cbranch_execz .LBB92_350
; %bb.349:
	v_mov_b32_e32 v57, 20
	s_waitcnt vmcnt(24)
	ds_write2_b32 v53, v26, v27 offset0:21 offset1:22
	s_waitcnt vmcnt(22)
	ds_write2_b32 v53, v16, v17 offset0:23 offset1:24
	;; [unrolled: 2-line block ×13, first 2 shown]
.LBB92_350:
	s_or_b64 exec, exec, s[0:1]
	v_cmp_lt_i32_e32 vcc, 20, v57
	s_waitcnt lgkmcnt(0)
	s_barrier
	s_and_saveexec_b64 s[0:1], vcc
	s_cbranch_execz .LBB92_352
; %bb.351:
	ds_read2_b32 v[60:61], v53 offset0:21 offset1:22
	ds_read2_b32 v[62:63], v53 offset0:23 offset1:24
	;; [unrolled: 1-line block ×3, first 2 shown]
	v_mul_f32_e32 v54, v56, v37
	ds_read2_b32 v[66:67], v53 offset0:27 offset1:28
	s_waitcnt vmcnt(24) lgkmcnt(3)
	v_pk_fma_f32 v[26:27], v[54:55], v[60:61], v[26:27] op_sel_hi:[0,1,1] neg_lo:[1,0,0] neg_hi:[1,0,0]
	s_waitcnt vmcnt(22) lgkmcnt(2)
	v_pk_fma_f32 v[16:17], v[54:55], v[62:63], v[16:17] op_sel_hi:[0,1,1] neg_lo:[1,0,0] neg_hi:[1,0,0]
	;; [unrolled: 2-line block ×3, first 2 shown]
	ds_read2_b32 v[60:61], v53 offset0:29 offset1:30
	ds_read2_b32 v[62:63], v53 offset0:31 offset1:32
	;; [unrolled: 1-line block ×4, first 2 shown]
	s_waitcnt vmcnt(18) lgkmcnt(4)
	v_pk_fma_f32 v[28:29], v[54:55], v[66:67], v[28:29] op_sel_hi:[0,1,1] neg_lo:[1,0,0] neg_hi:[1,0,0]
	s_waitcnt vmcnt(16) lgkmcnt(3)
	v_pk_fma_f32 v[18:19], v[54:55], v[60:61], v[18:19] op_sel_hi:[0,1,1] neg_lo:[1,0,0] neg_hi:[1,0,0]
	;; [unrolled: 2-line block ×5, first 2 shown]
	ds_read2_b32 v[60:61], v53 offset0:37 offset1:38
	ds_read2_b32 v[62:63], v53 offset0:39 offset1:40
	;; [unrolled: 1-line block ×5, first 2 shown]
	s_waitcnt vmcnt(8) lgkmcnt(4)
	v_pk_fma_f32 v[14:15], v[54:55], v[60:61], v[14:15] op_sel_hi:[0,1,1] neg_lo:[1,0,0] neg_hi:[1,0,0]
	s_waitcnt vmcnt(6) lgkmcnt(3)
	v_pk_fma_f32 v[0:1], v[54:55], v[62:63], v[0:1] op_sel_hi:[0,1,1] neg_lo:[1,0,0] neg_hi:[1,0,0]
	;; [unrolled: 2-line block ×5, first 2 shown]
	v_mov_b32_e32 v37, v54
.LBB92_352:
	s_or_b64 exec, exec, s[0:1]
	v_lshl_add_u32 v54, v57, 2, v53
	s_barrier
	s_waitcnt vmcnt(25)
	ds_write_b32 v54, v26
	s_waitcnt lgkmcnt(0)
	s_barrier
	ds_read_b32 v56, v53 offset:84
	s_cmp_lt_i32 s22, 23
	v_mov_b32_e32 v54, 21
	s_cbranch_scc1 .LBB92_355
; %bb.353:
	v_add_u32_e32 v59, 0x58, v53
	v_mov_b32_e32 v54, 21
	s_mov_b32 s0, 22
.LBB92_354:                             ; =>This Inner Loop Header: Depth=1
	ds_read_b32 v60, v59
	v_mov_b32_e32 v61, s0
	s_add_i32 s0, s0, 1
	v_add_u32_e32 v59, 4, v59
	s_cmp_lg_u32 s22, s0
	s_waitcnt lgkmcnt(0)
	v_cmp_lt_f32_e64 vcc, |v56|, |v60|
	s_nop 1
	v_cndmask_b32_e32 v56, v56, v60, vcc
	v_cndmask_b32_e32 v54, v54, v61, vcc
	s_cbranch_scc1 .LBB92_354
.LBB92_355:
	s_waitcnt lgkmcnt(0)
	v_cmp_eq_f32_e32 vcc, 0, v56
	s_and_saveexec_b64 s[0:1], vcc
	s_xor_b64 s[0:1], exec, s[0:1]
; %bb.356:
	v_cmp_ne_u32_e32 vcc, 0, v58
	s_nop 1
	v_cndmask_b32_e32 v58, 22, v58, vcc
; %bb.357:
	s_andn2_saveexec_b64 s[0:1], s[0:1]
	s_cbranch_execz .LBB92_359
; %bb.358:
	v_div_scale_f32 v59, s[2:3], v56, v56, 1.0
	v_rcp_f32_e32 v60, v59
	v_div_scale_f32 v61, vcc, 1.0, v56, 1.0
	v_fma_f32 v62, -v59, v60, 1.0
	v_fmac_f32_e32 v60, v62, v60
	v_mul_f32_e32 v62, v61, v60
	v_fma_f32 v63, -v59, v62, v61
	v_fmac_f32_e32 v62, v63, v60
	v_fma_f32 v59, -v59, v62, v61
	v_div_fmas_f32 v59, v59, v60, v62
	v_div_fixup_f32 v56, v59, v56, 1.0
.LBB92_359:
	s_or_b64 exec, exec, s[0:1]
	v_cmp_ne_u32_e32 vcc, v57, v54
	s_and_saveexec_b64 s[0:1], vcc
	s_xor_b64 s[0:1], exec, s[0:1]
	s_cbranch_execz .LBB92_365
; %bb.360:
	v_cmp_eq_u32_e32 vcc, 21, v57
	s_and_saveexec_b64 s[2:3], vcc
	s_cbranch_execz .LBB92_364
; %bb.361:
	v_cmp_ne_u32_e32 vcc, 21, v54
	s_xor_b64 s[12:13], s[20:21], -1
	s_and_b64 s[14:15], s[12:13], vcc
	s_and_saveexec_b64 s[12:13], s[14:15]
	s_cbranch_execz .LBB92_363
; %bb.362:
	v_ashrrev_i32_e32 v55, 31, v54
	v_lshl_add_u64 v[60:61], v[54:55], 2, v[4:5]
	global_load_dword v55, v[60:61], off
	global_load_dword v57, v[4:5], off offset:84
	s_waitcnt vmcnt(1)
	global_store_dword v[4:5], v55, off offset:84
	s_waitcnt vmcnt(1)
	global_store_dword v[60:61], v57, off
.LBB92_363:
	s_or_b64 exec, exec, s[12:13]
	v_mov_b32_e32 v55, v54
	v_mov_b32_e32 v57, v54
.LBB92_364:
	s_or_b64 exec, exec, s[2:3]
.LBB92_365:
	s_andn2_saveexec_b64 s[0:1], s[0:1]
	s_cbranch_execz .LBB92_367
; %bb.366:
	s_waitcnt vmcnt(22)
	v_pk_mov_b32 v[60:61], v[26:27], v[16:17] op_sel:[1,0]
	ds_write2_b32 v53, v60, v61 offset0:22 offset1:23
	s_waitcnt vmcnt(20)
	v_pk_mov_b32 v[60:61], v[16:17], v[38:39] op_sel:[1,0]
	ds_write2_b32 v53, v60, v61 offset0:24 offset1:25
	;; [unrolled: 3-line block ×11, first 2 shown]
	s_waitcnt vmcnt(0)
	v_pk_mov_b32 v[60:61], v[12:13], v[8:9] op_sel:[1,0]
	v_mov_b32_e32 v57, 21
	ds_write2_b32 v53, v60, v61 offset0:44 offset1:45
	ds_write_b32 v53, v9 offset:184
.LBB92_367:
	s_or_b64 exec, exec, s[0:1]
	v_cmp_lt_i32_e32 vcc, 21, v57
	s_waitcnt lgkmcnt(0)
	s_barrier
	s_and_saveexec_b64 s[0:1], vcc
	s_cbranch_execz .LBB92_369
; %bb.368:
	ds_read_b32 v54, v53 offset:88
	ds_read2_b32 v[60:61], v53 offset0:23 offset1:24
	ds_read2_b32 v[62:63], v53 offset0:25 offset1:26
	v_mul_f32_e32 v26, v56, v26
	ds_read2_b32 v[64:65], v53 offset0:27 offset1:28
	s_waitcnt vmcnt(24) lgkmcnt(3)
	v_fma_f32 v27, -v26, v54, v27
	s_waitcnt vmcnt(22) lgkmcnt(2)
	v_pk_fma_f32 v[16:17], v[26:27], v[60:61], v[16:17] op_sel_hi:[0,1,1] neg_lo:[1,0,0] neg_hi:[1,0,0]
	s_waitcnt vmcnt(20) lgkmcnt(1)
	v_pk_fma_f32 v[38:39], v[26:27], v[62:63], v[38:39] op_sel_hi:[0,1,1] neg_lo:[1,0,0] neg_hi:[1,0,0]
	ds_read2_b32 v[60:61], v53 offset0:29 offset1:30
	ds_read2_b32 v[62:63], v53 offset0:31 offset1:32
	;; [unrolled: 1-line block ×4, first 2 shown]
	s_waitcnt vmcnt(18) lgkmcnt(4)
	v_pk_fma_f32 v[28:29], v[26:27], v[64:65], v[28:29] op_sel_hi:[0,1,1] neg_lo:[1,0,0] neg_hi:[1,0,0]
	s_waitcnt vmcnt(16) lgkmcnt(3)
	v_pk_fma_f32 v[18:19], v[26:27], v[60:61], v[18:19] op_sel_hi:[0,1,1] neg_lo:[1,0,0] neg_hi:[1,0,0]
	;; [unrolled: 2-line block ×5, first 2 shown]
	ds_read2_b32 v[60:61], v53 offset0:37 offset1:38
	ds_read2_b32 v[62:63], v53 offset0:39 offset1:40
	;; [unrolled: 1-line block ×5, first 2 shown]
	s_waitcnt vmcnt(8) lgkmcnt(4)
	v_pk_fma_f32 v[14:15], v[26:27], v[60:61], v[14:15] op_sel_hi:[0,1,1] neg_lo:[1,0,0] neg_hi:[1,0,0]
	s_waitcnt vmcnt(6) lgkmcnt(3)
	v_pk_fma_f32 v[0:1], v[26:27], v[62:63], v[0:1] op_sel_hi:[0,1,1] neg_lo:[1,0,0] neg_hi:[1,0,0]
	;; [unrolled: 2-line block ×5, first 2 shown]
.LBB92_369:
	s_or_b64 exec, exec, s[0:1]
	v_lshl_add_u32 v54, v57, 2, v53
	s_barrier
	s_waitcnt vmcnt(24)
	ds_write_b32 v54, v27
	s_waitcnt lgkmcnt(0)
	s_barrier
	ds_read_b32 v56, v53 offset:88
	s_cmp_lt_i32 s22, 24
	v_mov_b32_e32 v54, 22
	s_cbranch_scc1 .LBB92_372
; %bb.370:
	v_add_u32_e32 v59, 0x5c, v53
	v_mov_b32_e32 v54, 22
	s_mov_b32 s0, 23
.LBB92_371:                             ; =>This Inner Loop Header: Depth=1
	ds_read_b32 v60, v59
	v_mov_b32_e32 v61, s0
	s_add_i32 s0, s0, 1
	v_add_u32_e32 v59, 4, v59
	s_cmp_lg_u32 s22, s0
	s_waitcnt lgkmcnt(0)
	v_cmp_lt_f32_e64 vcc, |v56|, |v60|
	s_nop 1
	v_cndmask_b32_e32 v56, v56, v60, vcc
	v_cndmask_b32_e32 v54, v54, v61, vcc
	s_cbranch_scc1 .LBB92_371
.LBB92_372:
	s_waitcnt lgkmcnt(0)
	v_cmp_eq_f32_e32 vcc, 0, v56
	s_and_saveexec_b64 s[0:1], vcc
	s_xor_b64 s[0:1], exec, s[0:1]
; %bb.373:
	v_cmp_ne_u32_e32 vcc, 0, v58
	s_nop 1
	v_cndmask_b32_e32 v58, 23, v58, vcc
; %bb.374:
	s_andn2_saveexec_b64 s[0:1], s[0:1]
	s_cbranch_execz .LBB92_376
; %bb.375:
	v_div_scale_f32 v59, s[2:3], v56, v56, 1.0
	v_rcp_f32_e32 v60, v59
	v_div_scale_f32 v61, vcc, 1.0, v56, 1.0
	v_fma_f32 v62, -v59, v60, 1.0
	v_fmac_f32_e32 v60, v62, v60
	v_mul_f32_e32 v62, v61, v60
	v_fma_f32 v63, -v59, v62, v61
	v_fmac_f32_e32 v62, v63, v60
	v_fma_f32 v59, -v59, v62, v61
	v_div_fmas_f32 v59, v59, v60, v62
	v_div_fixup_f32 v56, v59, v56, 1.0
.LBB92_376:
	s_or_b64 exec, exec, s[0:1]
	v_cmp_ne_u32_e32 vcc, v57, v54
	s_and_saveexec_b64 s[0:1], vcc
	s_xor_b64 s[0:1], exec, s[0:1]
	s_cbranch_execz .LBB92_382
; %bb.377:
	v_cmp_eq_u32_e32 vcc, 22, v57
	s_and_saveexec_b64 s[2:3], vcc
	s_cbranch_execz .LBB92_381
; %bb.378:
	v_cmp_ne_u32_e32 vcc, 22, v54
	s_xor_b64 s[12:13], s[20:21], -1
	s_and_b64 s[14:15], s[12:13], vcc
	s_and_saveexec_b64 s[12:13], s[14:15]
	s_cbranch_execz .LBB92_380
; %bb.379:
	v_ashrrev_i32_e32 v55, 31, v54
	v_lshl_add_u64 v[60:61], v[54:55], 2, v[4:5]
	global_load_dword v55, v[60:61], off
	global_load_dword v57, v[4:5], off offset:88
	s_waitcnt vmcnt(1)
	global_store_dword v[4:5], v55, off offset:88
	s_waitcnt vmcnt(1)
	global_store_dword v[60:61], v57, off
.LBB92_380:
	s_or_b64 exec, exec, s[12:13]
	v_mov_b32_e32 v55, v54
	v_mov_b32_e32 v57, v54
.LBB92_381:
	s_or_b64 exec, exec, s[2:3]
.LBB92_382:
	s_andn2_saveexec_b64 s[0:1], s[0:1]
	s_cbranch_execz .LBB92_384
; %bb.383:
	v_mov_b32_e32 v57, 22
	s_waitcnt vmcnt(22)
	ds_write2_b32 v53, v16, v17 offset0:23 offset1:24
	s_waitcnt vmcnt(20)
	ds_write2_b32 v53, v38, v39 offset0:25 offset1:26
	s_waitcnt vmcnt(18)
	ds_write2_b32 v53, v28, v29 offset0:27 offset1:28
	s_waitcnt vmcnt(16)
	ds_write2_b32 v53, v18, v19 offset0:29 offset1:30
	s_waitcnt vmcnt(14)
	ds_write2_b32 v53, v10, v11 offset0:31 offset1:32
	s_waitcnt vmcnt(12)
	ds_write2_b32 v53, v30, v31 offset0:33 offset1:34
	s_waitcnt vmcnt(10)
	ds_write2_b32 v53, v22, v23 offset0:35 offset1:36
	s_waitcnt vmcnt(8)
	ds_write2_b32 v53, v14, v15 offset0:37 offset1:38
	s_waitcnt vmcnt(6)
	ds_write2_b32 v53, v0, v1 offset0:39 offset1:40
	s_waitcnt vmcnt(4)
	ds_write2_b32 v53, v20, v21 offset0:41 offset1:42
	s_waitcnt vmcnt(2)
	ds_write2_b32 v53, v12, v13 offset0:43 offset1:44
	s_waitcnt vmcnt(0)
	ds_write2_b32 v53, v8, v9 offset0:45 offset1:46
.LBB92_384:
	s_or_b64 exec, exec, s[0:1]
	v_cmp_lt_i32_e32 vcc, 22, v57
	s_waitcnt lgkmcnt(0)
	s_barrier
	s_and_saveexec_b64 s[0:1], vcc
	s_cbranch_execz .LBB92_386
; %bb.385:
	ds_read2_b32 v[60:61], v53 offset0:23 offset1:24
	ds_read2_b32 v[62:63], v53 offset0:25 offset1:26
	;; [unrolled: 1-line block ×3, first 2 shown]
	v_mul_f32_e32 v54, v56, v27
	ds_read2_b32 v[66:67], v53 offset0:29 offset1:30
	s_waitcnt vmcnt(22) lgkmcnt(3)
	v_pk_fma_f32 v[16:17], v[54:55], v[60:61], v[16:17] op_sel_hi:[0,1,1] neg_lo:[1,0,0] neg_hi:[1,0,0]
	s_waitcnt vmcnt(20) lgkmcnt(2)
	v_pk_fma_f32 v[38:39], v[54:55], v[62:63], v[38:39] op_sel_hi:[0,1,1] neg_lo:[1,0,0] neg_hi:[1,0,0]
	;; [unrolled: 2-line block ×3, first 2 shown]
	ds_read2_b32 v[60:61], v53 offset0:31 offset1:32
	ds_read2_b32 v[62:63], v53 offset0:33 offset1:34
	;; [unrolled: 1-line block ×3, first 2 shown]
	s_waitcnt vmcnt(16) lgkmcnt(3)
	v_pk_fma_f32 v[18:19], v[54:55], v[66:67], v[18:19] op_sel_hi:[0,1,1] neg_lo:[1,0,0] neg_hi:[1,0,0]
	ds_read2_b32 v[66:67], v53 offset0:37 offset1:38
	s_waitcnt vmcnt(14) lgkmcnt(3)
	v_pk_fma_f32 v[10:11], v[54:55], v[60:61], v[10:11] op_sel_hi:[0,1,1] neg_lo:[1,0,0] neg_hi:[1,0,0]
	s_waitcnt vmcnt(12) lgkmcnt(2)
	v_pk_fma_f32 v[30:31], v[54:55], v[62:63], v[30:31] op_sel_hi:[0,1,1] neg_lo:[1,0,0] neg_hi:[1,0,0]
	;; [unrolled: 2-line block ×3, first 2 shown]
	ds_read2_b32 v[60:61], v53 offset0:39 offset1:40
	ds_read2_b32 v[62:63], v53 offset0:41 offset1:42
	;; [unrolled: 1-line block ×4, first 2 shown]
	s_waitcnt vmcnt(8) lgkmcnt(4)
	v_pk_fma_f32 v[14:15], v[54:55], v[66:67], v[14:15] op_sel_hi:[0,1,1] neg_lo:[1,0,0] neg_hi:[1,0,0]
	s_waitcnt vmcnt(6) lgkmcnt(3)
	v_pk_fma_f32 v[0:1], v[54:55], v[60:61], v[0:1] op_sel_hi:[0,1,1] neg_lo:[1,0,0] neg_hi:[1,0,0]
	;; [unrolled: 2-line block ×5, first 2 shown]
	v_mov_b32_e32 v27, v54
.LBB92_386:
	s_or_b64 exec, exec, s[0:1]
	v_lshl_add_u32 v54, v57, 2, v53
	s_barrier
	s_waitcnt vmcnt(23)
	ds_write_b32 v54, v16
	s_waitcnt lgkmcnt(0)
	s_barrier
	ds_read_b32 v56, v53 offset:92
	s_cmp_lt_i32 s22, 25
	v_mov_b32_e32 v54, 23
	s_cbranch_scc1 .LBB92_389
; %bb.387:
	v_add_u32_e32 v59, 0x60, v53
	v_mov_b32_e32 v54, 23
	s_mov_b32 s0, 24
.LBB92_388:                             ; =>This Inner Loop Header: Depth=1
	ds_read_b32 v60, v59
	v_mov_b32_e32 v61, s0
	s_add_i32 s0, s0, 1
	v_add_u32_e32 v59, 4, v59
	s_cmp_lg_u32 s22, s0
	s_waitcnt lgkmcnt(0)
	v_cmp_lt_f32_e64 vcc, |v56|, |v60|
	s_nop 1
	v_cndmask_b32_e32 v56, v56, v60, vcc
	v_cndmask_b32_e32 v54, v54, v61, vcc
	s_cbranch_scc1 .LBB92_388
.LBB92_389:
	s_waitcnt lgkmcnt(0)
	v_cmp_eq_f32_e32 vcc, 0, v56
	s_and_saveexec_b64 s[0:1], vcc
	s_xor_b64 s[0:1], exec, s[0:1]
; %bb.390:
	v_cmp_ne_u32_e32 vcc, 0, v58
	s_nop 1
	v_cndmask_b32_e32 v58, 24, v58, vcc
; %bb.391:
	s_andn2_saveexec_b64 s[0:1], s[0:1]
	s_cbranch_execz .LBB92_393
; %bb.392:
	v_div_scale_f32 v59, s[2:3], v56, v56, 1.0
	v_rcp_f32_e32 v60, v59
	v_div_scale_f32 v61, vcc, 1.0, v56, 1.0
	v_fma_f32 v62, -v59, v60, 1.0
	v_fmac_f32_e32 v60, v62, v60
	v_mul_f32_e32 v62, v61, v60
	v_fma_f32 v63, -v59, v62, v61
	v_fmac_f32_e32 v62, v63, v60
	v_fma_f32 v59, -v59, v62, v61
	v_div_fmas_f32 v59, v59, v60, v62
	v_div_fixup_f32 v56, v59, v56, 1.0
.LBB92_393:
	s_or_b64 exec, exec, s[0:1]
	v_cmp_ne_u32_e32 vcc, v57, v54
	s_and_saveexec_b64 s[0:1], vcc
	s_xor_b64 s[0:1], exec, s[0:1]
	s_cbranch_execz .LBB92_399
; %bb.394:
	v_cmp_eq_u32_e32 vcc, 23, v57
	s_and_saveexec_b64 s[2:3], vcc
	s_cbranch_execz .LBB92_398
; %bb.395:
	v_cmp_ne_u32_e32 vcc, 23, v54
	s_xor_b64 s[12:13], s[20:21], -1
	s_and_b64 s[14:15], s[12:13], vcc
	s_and_saveexec_b64 s[12:13], s[14:15]
	s_cbranch_execz .LBB92_397
; %bb.396:
	v_ashrrev_i32_e32 v55, 31, v54
	v_lshl_add_u64 v[60:61], v[54:55], 2, v[4:5]
	global_load_dword v55, v[60:61], off
	global_load_dword v57, v[4:5], off offset:92
	s_waitcnt vmcnt(1)
	global_store_dword v[4:5], v55, off offset:92
	s_waitcnt vmcnt(1)
	global_store_dword v[60:61], v57, off
.LBB92_397:
	s_or_b64 exec, exec, s[12:13]
	v_mov_b32_e32 v55, v54
	v_mov_b32_e32 v57, v54
.LBB92_398:
	s_or_b64 exec, exec, s[2:3]
.LBB92_399:
	s_andn2_saveexec_b64 s[0:1], s[0:1]
	s_cbranch_execz .LBB92_401
; %bb.400:
	s_waitcnt vmcnt(20)
	v_pk_mov_b32 v[60:61], v[16:17], v[38:39] op_sel:[1,0]
	ds_write2_b32 v53, v60, v61 offset0:24 offset1:25
	s_waitcnt vmcnt(18)
	v_pk_mov_b32 v[60:61], v[38:39], v[28:29] op_sel:[1,0]
	ds_write2_b32 v53, v60, v61 offset0:26 offset1:27
	;; [unrolled: 3-line block ×10, first 2 shown]
	s_waitcnt vmcnt(0)
	v_pk_mov_b32 v[60:61], v[12:13], v[8:9] op_sel:[1,0]
	v_mov_b32_e32 v57, 23
	ds_write2_b32 v53, v60, v61 offset0:44 offset1:45
	ds_write_b32 v53, v9 offset:184
.LBB92_401:
	s_or_b64 exec, exec, s[0:1]
	v_cmp_lt_i32_e32 vcc, 23, v57
	s_waitcnt lgkmcnt(0)
	s_barrier
	s_and_saveexec_b64 s[0:1], vcc
	s_cbranch_execz .LBB92_403
; %bb.402:
	ds_read_b32 v54, v53 offset:96
	ds_read2_b32 v[60:61], v53 offset0:25 offset1:26
	ds_read2_b32 v[62:63], v53 offset0:27 offset1:28
	v_mul_f32_e32 v16, v56, v16
	ds_read2_b32 v[64:65], v53 offset0:29 offset1:30
	s_waitcnt vmcnt(22) lgkmcnt(3)
	v_fma_f32 v17, -v16, v54, v17
	s_waitcnt vmcnt(20) lgkmcnt(2)
	v_pk_fma_f32 v[38:39], v[16:17], v[60:61], v[38:39] op_sel_hi:[0,1,1] neg_lo:[1,0,0] neg_hi:[1,0,0]
	s_waitcnt vmcnt(18) lgkmcnt(1)
	v_pk_fma_f32 v[28:29], v[16:17], v[62:63], v[28:29] op_sel_hi:[0,1,1] neg_lo:[1,0,0] neg_hi:[1,0,0]
	ds_read2_b32 v[60:61], v53 offset0:31 offset1:32
	ds_read2_b32 v[62:63], v53 offset0:33 offset1:34
	;; [unrolled: 1-line block ×3, first 2 shown]
	s_waitcnt vmcnt(16) lgkmcnt(3)
	v_pk_fma_f32 v[18:19], v[16:17], v[64:65], v[18:19] op_sel_hi:[0,1,1] neg_lo:[1,0,0] neg_hi:[1,0,0]
	ds_read2_b32 v[64:65], v53 offset0:37 offset1:38
	s_waitcnt vmcnt(14) lgkmcnt(3)
	v_pk_fma_f32 v[10:11], v[16:17], v[60:61], v[10:11] op_sel_hi:[0,1,1] neg_lo:[1,0,0] neg_hi:[1,0,0]
	s_waitcnt vmcnt(12) lgkmcnt(2)
	v_pk_fma_f32 v[30:31], v[16:17], v[62:63], v[30:31] op_sel_hi:[0,1,1] neg_lo:[1,0,0] neg_hi:[1,0,0]
	;; [unrolled: 2-line block ×3, first 2 shown]
	ds_read2_b32 v[60:61], v53 offset0:39 offset1:40
	ds_read2_b32 v[62:63], v53 offset0:41 offset1:42
	;; [unrolled: 1-line block ×4, first 2 shown]
	s_waitcnt vmcnt(8) lgkmcnt(4)
	v_pk_fma_f32 v[14:15], v[16:17], v[64:65], v[14:15] op_sel_hi:[0,1,1] neg_lo:[1,0,0] neg_hi:[1,0,0]
	s_waitcnt vmcnt(6) lgkmcnt(3)
	v_pk_fma_f32 v[0:1], v[16:17], v[60:61], v[0:1] op_sel_hi:[0,1,1] neg_lo:[1,0,0] neg_hi:[1,0,0]
	;; [unrolled: 2-line block ×5, first 2 shown]
.LBB92_403:
	s_or_b64 exec, exec, s[0:1]
	v_lshl_add_u32 v54, v57, 2, v53
	s_barrier
	s_waitcnt vmcnt(22)
	ds_write_b32 v54, v17
	s_waitcnt lgkmcnt(0)
	s_barrier
	ds_read_b32 v56, v53 offset:96
	s_cmp_lt_i32 s22, 26
	v_mov_b32_e32 v54, 24
	s_cbranch_scc1 .LBB92_406
; %bb.404:
	v_add_u32_e32 v59, 0x64, v53
	v_mov_b32_e32 v54, 24
	s_mov_b32 s0, 25
.LBB92_405:                             ; =>This Inner Loop Header: Depth=1
	ds_read_b32 v60, v59
	v_mov_b32_e32 v61, s0
	s_add_i32 s0, s0, 1
	v_add_u32_e32 v59, 4, v59
	s_cmp_lg_u32 s22, s0
	s_waitcnt lgkmcnt(0)
	v_cmp_lt_f32_e64 vcc, |v56|, |v60|
	s_nop 1
	v_cndmask_b32_e32 v56, v56, v60, vcc
	v_cndmask_b32_e32 v54, v54, v61, vcc
	s_cbranch_scc1 .LBB92_405
.LBB92_406:
	s_waitcnt lgkmcnt(0)
	v_cmp_eq_f32_e32 vcc, 0, v56
	s_and_saveexec_b64 s[0:1], vcc
	s_xor_b64 s[0:1], exec, s[0:1]
; %bb.407:
	v_cmp_ne_u32_e32 vcc, 0, v58
	s_nop 1
	v_cndmask_b32_e32 v58, 25, v58, vcc
; %bb.408:
	s_andn2_saveexec_b64 s[0:1], s[0:1]
	s_cbranch_execz .LBB92_410
; %bb.409:
	v_div_scale_f32 v59, s[2:3], v56, v56, 1.0
	v_rcp_f32_e32 v60, v59
	v_div_scale_f32 v61, vcc, 1.0, v56, 1.0
	v_fma_f32 v62, -v59, v60, 1.0
	v_fmac_f32_e32 v60, v62, v60
	v_mul_f32_e32 v62, v61, v60
	v_fma_f32 v63, -v59, v62, v61
	v_fmac_f32_e32 v62, v63, v60
	v_fma_f32 v59, -v59, v62, v61
	v_div_fmas_f32 v59, v59, v60, v62
	v_div_fixup_f32 v56, v59, v56, 1.0
.LBB92_410:
	s_or_b64 exec, exec, s[0:1]
	v_cmp_ne_u32_e32 vcc, v57, v54
	s_and_saveexec_b64 s[0:1], vcc
	s_xor_b64 s[0:1], exec, s[0:1]
	s_cbranch_execz .LBB92_416
; %bb.411:
	v_cmp_eq_u32_e32 vcc, 24, v57
	s_and_saveexec_b64 s[2:3], vcc
	s_cbranch_execz .LBB92_415
; %bb.412:
	v_cmp_ne_u32_e32 vcc, 24, v54
	s_xor_b64 s[12:13], s[20:21], -1
	s_and_b64 s[14:15], s[12:13], vcc
	s_and_saveexec_b64 s[12:13], s[14:15]
	s_cbranch_execz .LBB92_414
; %bb.413:
	v_ashrrev_i32_e32 v55, 31, v54
	v_lshl_add_u64 v[60:61], v[54:55], 2, v[4:5]
	global_load_dword v55, v[60:61], off
	global_load_dword v57, v[4:5], off offset:96
	s_waitcnt vmcnt(1)
	global_store_dword v[4:5], v55, off offset:96
	s_waitcnt vmcnt(1)
	global_store_dword v[60:61], v57, off
.LBB92_414:
	s_or_b64 exec, exec, s[12:13]
	v_mov_b32_e32 v55, v54
	v_mov_b32_e32 v57, v54
.LBB92_415:
	s_or_b64 exec, exec, s[2:3]
.LBB92_416:
	s_andn2_saveexec_b64 s[0:1], s[0:1]
	s_cbranch_execz .LBB92_418
; %bb.417:
	v_mov_b32_e32 v57, 24
	s_waitcnt vmcnt(20)
	ds_write2_b32 v53, v38, v39 offset0:25 offset1:26
	s_waitcnt vmcnt(18)
	ds_write2_b32 v53, v28, v29 offset0:27 offset1:28
	;; [unrolled: 2-line block ×11, first 2 shown]
.LBB92_418:
	s_or_b64 exec, exec, s[0:1]
	v_cmp_lt_i32_e32 vcc, 24, v57
	s_waitcnt lgkmcnt(0)
	s_barrier
	s_and_saveexec_b64 s[0:1], vcc
	s_cbranch_execz .LBB92_420
; %bb.419:
	ds_read2_b32 v[60:61], v53 offset0:25 offset1:26
	ds_read2_b32 v[62:63], v53 offset0:27 offset1:28
	;; [unrolled: 1-line block ×3, first 2 shown]
	v_mul_f32_e32 v54, v56, v17
	ds_read2_b32 v[66:67], v53 offset0:31 offset1:32
	s_waitcnt vmcnt(20) lgkmcnt(3)
	v_pk_fma_f32 v[38:39], v[54:55], v[60:61], v[38:39] op_sel_hi:[0,1,1] neg_lo:[1,0,0] neg_hi:[1,0,0]
	s_waitcnt vmcnt(18) lgkmcnt(2)
	v_pk_fma_f32 v[28:29], v[54:55], v[62:63], v[28:29] op_sel_hi:[0,1,1] neg_lo:[1,0,0] neg_hi:[1,0,0]
	ds_read2_b32 v[60:61], v53 offset0:33 offset1:34
	ds_read2_b32 v[62:63], v53 offset0:35 offset1:36
	s_waitcnt vmcnt(16) lgkmcnt(3)
	v_pk_fma_f32 v[18:19], v[54:55], v[64:65], v[18:19] op_sel_hi:[0,1,1] neg_lo:[1,0,0] neg_hi:[1,0,0]
	s_waitcnt vmcnt(14) lgkmcnt(2)
	v_pk_fma_f32 v[10:11], v[54:55], v[66:67], v[10:11] op_sel_hi:[0,1,1] neg_lo:[1,0,0] neg_hi:[1,0,0]
	ds_read2_b32 v[64:65], v53 offset0:37 offset1:38
	;; [unrolled: 6-line block ×3, first 2 shown]
	ds_read2_b32 v[62:63], v53 offset0:43 offset1:44
	ds_read2_b32 v[68:69], v53 offset0:45 offset1:46
	s_waitcnt vmcnt(8) lgkmcnt(4)
	v_pk_fma_f32 v[14:15], v[54:55], v[64:65], v[14:15] op_sel_hi:[0,1,1] neg_lo:[1,0,0] neg_hi:[1,0,0]
	s_waitcnt vmcnt(6) lgkmcnt(3)
	v_pk_fma_f32 v[0:1], v[54:55], v[66:67], v[0:1] op_sel_hi:[0,1,1] neg_lo:[1,0,0] neg_hi:[1,0,0]
	;; [unrolled: 2-line block ×5, first 2 shown]
	v_mov_b32_e32 v17, v54
.LBB92_420:
	s_or_b64 exec, exec, s[0:1]
	v_lshl_add_u32 v54, v57, 2, v53
	s_barrier
	s_waitcnt vmcnt(21)
	ds_write_b32 v54, v38
	s_waitcnt lgkmcnt(0)
	s_barrier
	ds_read_b32 v56, v53 offset:100
	s_cmp_lt_i32 s22, 27
	v_mov_b32_e32 v54, 25
	s_cbranch_scc1 .LBB92_423
; %bb.421:
	v_add_u32_e32 v59, 0x68, v53
	v_mov_b32_e32 v54, 25
	s_mov_b32 s0, 26
.LBB92_422:                             ; =>This Inner Loop Header: Depth=1
	ds_read_b32 v60, v59
	v_mov_b32_e32 v61, s0
	s_add_i32 s0, s0, 1
	v_add_u32_e32 v59, 4, v59
	s_cmp_lg_u32 s22, s0
	s_waitcnt lgkmcnt(0)
	v_cmp_lt_f32_e64 vcc, |v56|, |v60|
	s_nop 1
	v_cndmask_b32_e32 v56, v56, v60, vcc
	v_cndmask_b32_e32 v54, v54, v61, vcc
	s_cbranch_scc1 .LBB92_422
.LBB92_423:
	s_waitcnt lgkmcnt(0)
	v_cmp_eq_f32_e32 vcc, 0, v56
	s_and_saveexec_b64 s[0:1], vcc
	s_xor_b64 s[0:1], exec, s[0:1]
; %bb.424:
	v_cmp_ne_u32_e32 vcc, 0, v58
	s_nop 1
	v_cndmask_b32_e32 v58, 26, v58, vcc
; %bb.425:
	s_andn2_saveexec_b64 s[0:1], s[0:1]
	s_cbranch_execz .LBB92_427
; %bb.426:
	v_div_scale_f32 v59, s[2:3], v56, v56, 1.0
	v_rcp_f32_e32 v60, v59
	v_div_scale_f32 v61, vcc, 1.0, v56, 1.0
	v_fma_f32 v62, -v59, v60, 1.0
	v_fmac_f32_e32 v60, v62, v60
	v_mul_f32_e32 v62, v61, v60
	v_fma_f32 v63, -v59, v62, v61
	v_fmac_f32_e32 v62, v63, v60
	v_fma_f32 v59, -v59, v62, v61
	v_div_fmas_f32 v59, v59, v60, v62
	v_div_fixup_f32 v56, v59, v56, 1.0
.LBB92_427:
	s_or_b64 exec, exec, s[0:1]
	v_cmp_ne_u32_e32 vcc, v57, v54
	s_and_saveexec_b64 s[0:1], vcc
	s_xor_b64 s[0:1], exec, s[0:1]
	s_cbranch_execz .LBB92_433
; %bb.428:
	v_cmp_eq_u32_e32 vcc, 25, v57
	s_and_saveexec_b64 s[2:3], vcc
	s_cbranch_execz .LBB92_432
; %bb.429:
	v_cmp_ne_u32_e32 vcc, 25, v54
	s_xor_b64 s[12:13], s[20:21], -1
	s_and_b64 s[14:15], s[12:13], vcc
	s_and_saveexec_b64 s[12:13], s[14:15]
	s_cbranch_execz .LBB92_431
; %bb.430:
	v_ashrrev_i32_e32 v55, 31, v54
	v_lshl_add_u64 v[60:61], v[54:55], 2, v[4:5]
	global_load_dword v55, v[60:61], off
	global_load_dword v57, v[4:5], off offset:100
	s_waitcnt vmcnt(1)
	global_store_dword v[4:5], v55, off offset:100
	s_waitcnt vmcnt(1)
	global_store_dword v[60:61], v57, off
.LBB92_431:
	s_or_b64 exec, exec, s[12:13]
	v_mov_b32_e32 v55, v54
	v_mov_b32_e32 v57, v54
.LBB92_432:
	s_or_b64 exec, exec, s[2:3]
.LBB92_433:
	s_andn2_saveexec_b64 s[0:1], s[0:1]
	s_cbranch_execz .LBB92_435
; %bb.434:
	s_waitcnt vmcnt(18)
	v_pk_mov_b32 v[60:61], v[38:39], v[28:29] op_sel:[1,0]
	ds_write2_b32 v53, v60, v61 offset0:26 offset1:27
	s_waitcnt vmcnt(16)
	v_pk_mov_b32 v[60:61], v[28:29], v[18:19] op_sel:[1,0]
	ds_write2_b32 v53, v60, v61 offset0:28 offset1:29
	;; [unrolled: 3-line block ×9, first 2 shown]
	s_waitcnt vmcnt(0)
	v_pk_mov_b32 v[60:61], v[12:13], v[8:9] op_sel:[1,0]
	v_mov_b32_e32 v57, 25
	ds_write2_b32 v53, v60, v61 offset0:44 offset1:45
	ds_write_b32 v53, v9 offset:184
.LBB92_435:
	s_or_b64 exec, exec, s[0:1]
	v_cmp_lt_i32_e32 vcc, 25, v57
	s_waitcnt lgkmcnt(0)
	s_barrier
	s_and_saveexec_b64 s[0:1], vcc
	s_cbranch_execz .LBB92_437
; %bb.436:
	ds_read_b32 v54, v53 offset:104
	ds_read2_b32 v[60:61], v53 offset0:27 offset1:28
	ds_read2_b32 v[62:63], v53 offset0:29 offset1:30
	v_mul_f32_e32 v38, v56, v38
	ds_read2_b32 v[64:65], v53 offset0:31 offset1:32
	s_waitcnt vmcnt(20) lgkmcnt(3)
	v_fma_f32 v39, -v38, v54, v39
	s_waitcnt vmcnt(18) lgkmcnt(2)
	v_pk_fma_f32 v[28:29], v[38:39], v[60:61], v[28:29] op_sel_hi:[0,1,1] neg_lo:[1,0,0] neg_hi:[1,0,0]
	s_waitcnt vmcnt(16) lgkmcnt(1)
	v_pk_fma_f32 v[18:19], v[38:39], v[62:63], v[18:19] op_sel_hi:[0,1,1] neg_lo:[1,0,0] neg_hi:[1,0,0]
	ds_read2_b32 v[60:61], v53 offset0:33 offset1:34
	ds_read2_b32 v[62:63], v53 offset0:35 offset1:36
	s_waitcnt vmcnt(14) lgkmcnt(2)
	v_pk_fma_f32 v[10:11], v[38:39], v[64:65], v[10:11] op_sel_hi:[0,1,1] neg_lo:[1,0,0] neg_hi:[1,0,0]
	ds_read2_b32 v[64:65], v53 offset0:37 offset1:38
	ds_read2_b32 v[66:67], v53 offset0:39 offset1:40
	s_waitcnt vmcnt(12) lgkmcnt(3)
	v_pk_fma_f32 v[30:31], v[38:39], v[60:61], v[30:31] op_sel_hi:[0,1,1] neg_lo:[1,0,0] neg_hi:[1,0,0]
	s_waitcnt vmcnt(10) lgkmcnt(2)
	v_pk_fma_f32 v[22:23], v[38:39], v[62:63], v[22:23] op_sel_hi:[0,1,1] neg_lo:[1,0,0] neg_hi:[1,0,0]
	ds_read2_b32 v[60:61], v53 offset0:41 offset1:42
	ds_read2_b32 v[62:63], v53 offset0:43 offset1:44
	;; [unrolled: 1-line block ×3, first 2 shown]
	s_waitcnt vmcnt(8) lgkmcnt(4)
	v_pk_fma_f32 v[14:15], v[38:39], v[64:65], v[14:15] op_sel_hi:[0,1,1] neg_lo:[1,0,0] neg_hi:[1,0,0]
	s_waitcnt vmcnt(6) lgkmcnt(3)
	v_pk_fma_f32 v[0:1], v[38:39], v[66:67], v[0:1] op_sel_hi:[0,1,1] neg_lo:[1,0,0] neg_hi:[1,0,0]
	;; [unrolled: 2-line block ×5, first 2 shown]
.LBB92_437:
	s_or_b64 exec, exec, s[0:1]
	v_lshl_add_u32 v54, v57, 2, v53
	s_barrier
	s_waitcnt vmcnt(20)
	ds_write_b32 v54, v39
	s_waitcnt lgkmcnt(0)
	s_barrier
	ds_read_b32 v56, v53 offset:104
	s_cmp_lt_i32 s22, 28
	v_mov_b32_e32 v54, 26
	s_cbranch_scc1 .LBB92_440
; %bb.438:
	v_add_u32_e32 v59, 0x6c, v53
	v_mov_b32_e32 v54, 26
	s_mov_b32 s0, 27
.LBB92_439:                             ; =>This Inner Loop Header: Depth=1
	ds_read_b32 v60, v59
	v_mov_b32_e32 v61, s0
	s_add_i32 s0, s0, 1
	v_add_u32_e32 v59, 4, v59
	s_cmp_lg_u32 s22, s0
	s_waitcnt lgkmcnt(0)
	v_cmp_lt_f32_e64 vcc, |v56|, |v60|
	s_nop 1
	v_cndmask_b32_e32 v56, v56, v60, vcc
	v_cndmask_b32_e32 v54, v54, v61, vcc
	s_cbranch_scc1 .LBB92_439
.LBB92_440:
	s_waitcnt lgkmcnt(0)
	v_cmp_eq_f32_e32 vcc, 0, v56
	s_and_saveexec_b64 s[0:1], vcc
	s_xor_b64 s[0:1], exec, s[0:1]
; %bb.441:
	v_cmp_ne_u32_e32 vcc, 0, v58
	s_nop 1
	v_cndmask_b32_e32 v58, 27, v58, vcc
; %bb.442:
	s_andn2_saveexec_b64 s[0:1], s[0:1]
	s_cbranch_execz .LBB92_444
; %bb.443:
	v_div_scale_f32 v59, s[2:3], v56, v56, 1.0
	v_rcp_f32_e32 v60, v59
	v_div_scale_f32 v61, vcc, 1.0, v56, 1.0
	v_fma_f32 v62, -v59, v60, 1.0
	v_fmac_f32_e32 v60, v62, v60
	v_mul_f32_e32 v62, v61, v60
	v_fma_f32 v63, -v59, v62, v61
	v_fmac_f32_e32 v62, v63, v60
	v_fma_f32 v59, -v59, v62, v61
	v_div_fmas_f32 v59, v59, v60, v62
	v_div_fixup_f32 v56, v59, v56, 1.0
.LBB92_444:
	s_or_b64 exec, exec, s[0:1]
	v_cmp_ne_u32_e32 vcc, v57, v54
	s_and_saveexec_b64 s[0:1], vcc
	s_xor_b64 s[0:1], exec, s[0:1]
	s_cbranch_execz .LBB92_450
; %bb.445:
	v_cmp_eq_u32_e32 vcc, 26, v57
	s_and_saveexec_b64 s[2:3], vcc
	s_cbranch_execz .LBB92_449
; %bb.446:
	v_cmp_ne_u32_e32 vcc, 26, v54
	s_xor_b64 s[12:13], s[20:21], -1
	s_and_b64 s[14:15], s[12:13], vcc
	s_and_saveexec_b64 s[12:13], s[14:15]
	s_cbranch_execz .LBB92_448
; %bb.447:
	v_ashrrev_i32_e32 v55, 31, v54
	v_lshl_add_u64 v[60:61], v[54:55], 2, v[4:5]
	global_load_dword v55, v[60:61], off
	global_load_dword v57, v[4:5], off offset:104
	s_waitcnt vmcnt(1)
	global_store_dword v[4:5], v55, off offset:104
	s_waitcnt vmcnt(1)
	global_store_dword v[60:61], v57, off
.LBB92_448:
	s_or_b64 exec, exec, s[12:13]
	v_mov_b32_e32 v55, v54
	v_mov_b32_e32 v57, v54
.LBB92_449:
	s_or_b64 exec, exec, s[2:3]
.LBB92_450:
	s_andn2_saveexec_b64 s[0:1], s[0:1]
	s_cbranch_execz .LBB92_452
; %bb.451:
	v_mov_b32_e32 v57, 26
	s_waitcnt vmcnt(18)
	ds_write2_b32 v53, v28, v29 offset0:27 offset1:28
	s_waitcnt vmcnt(16)
	ds_write2_b32 v53, v18, v19 offset0:29 offset1:30
	;; [unrolled: 2-line block ×10, first 2 shown]
.LBB92_452:
	s_or_b64 exec, exec, s[0:1]
	v_cmp_lt_i32_e32 vcc, 26, v57
	s_waitcnt lgkmcnt(0)
	s_barrier
	s_and_saveexec_b64 s[0:1], vcc
	s_cbranch_execz .LBB92_454
; %bb.453:
	ds_read2_b32 v[60:61], v53 offset0:27 offset1:28
	ds_read2_b32 v[62:63], v53 offset0:29 offset1:30
	;; [unrolled: 1-line block ×3, first 2 shown]
	v_mul_f32_e32 v54, v56, v39
	ds_read2_b32 v[66:67], v53 offset0:33 offset1:34
	s_waitcnt vmcnt(18) lgkmcnt(3)
	v_pk_fma_f32 v[28:29], v[54:55], v[60:61], v[28:29] op_sel_hi:[0,1,1] neg_lo:[1,0,0] neg_hi:[1,0,0]
	ds_read2_b32 v[60:61], v53 offset0:35 offset1:36
	s_waitcnt vmcnt(16) lgkmcnt(3)
	v_pk_fma_f32 v[18:19], v[54:55], v[62:63], v[18:19] op_sel_hi:[0,1,1] neg_lo:[1,0,0] neg_hi:[1,0,0]
	s_waitcnt vmcnt(14) lgkmcnt(2)
	v_pk_fma_f32 v[10:11], v[54:55], v[64:65], v[10:11] op_sel_hi:[0,1,1] neg_lo:[1,0,0] neg_hi:[1,0,0]
	;; [unrolled: 2-line block ×3, first 2 shown]
	ds_read2_b32 v[62:63], v53 offset0:37 offset1:38
	ds_read2_b32 v[64:65], v53 offset0:39 offset1:40
	;; [unrolled: 1-line block ×3, first 2 shown]
	s_waitcnt vmcnt(10) lgkmcnt(3)
	v_pk_fma_f32 v[22:23], v[54:55], v[60:61], v[22:23] op_sel_hi:[0,1,1] neg_lo:[1,0,0] neg_hi:[1,0,0]
	ds_read2_b32 v[60:61], v53 offset0:43 offset1:44
	ds_read2_b32 v[68:69], v53 offset0:45 offset1:46
	s_waitcnt vmcnt(8) lgkmcnt(4)
	v_pk_fma_f32 v[14:15], v[54:55], v[62:63], v[14:15] op_sel_hi:[0,1,1] neg_lo:[1,0,0] neg_hi:[1,0,0]
	s_waitcnt vmcnt(6) lgkmcnt(3)
	v_pk_fma_f32 v[0:1], v[54:55], v[64:65], v[0:1] op_sel_hi:[0,1,1] neg_lo:[1,0,0] neg_hi:[1,0,0]
	;; [unrolled: 2-line block ×5, first 2 shown]
	v_mov_b32_e32 v39, v54
.LBB92_454:
	s_or_b64 exec, exec, s[0:1]
	v_lshl_add_u32 v54, v57, 2, v53
	s_barrier
	s_waitcnt vmcnt(19)
	ds_write_b32 v54, v28
	s_waitcnt lgkmcnt(0)
	s_barrier
	ds_read_b32 v56, v53 offset:108
	s_cmp_lt_i32 s22, 29
	v_mov_b32_e32 v54, 27
	s_cbranch_scc1 .LBB92_457
; %bb.455:
	v_add_u32_e32 v59, 0x70, v53
	v_mov_b32_e32 v54, 27
	s_mov_b32 s0, 28
.LBB92_456:                             ; =>This Inner Loop Header: Depth=1
	ds_read_b32 v60, v59
	v_mov_b32_e32 v61, s0
	s_add_i32 s0, s0, 1
	v_add_u32_e32 v59, 4, v59
	s_cmp_lg_u32 s22, s0
	s_waitcnt lgkmcnt(0)
	v_cmp_lt_f32_e64 vcc, |v56|, |v60|
	s_nop 1
	v_cndmask_b32_e32 v56, v56, v60, vcc
	v_cndmask_b32_e32 v54, v54, v61, vcc
	s_cbranch_scc1 .LBB92_456
.LBB92_457:
	s_waitcnt lgkmcnt(0)
	v_cmp_eq_f32_e32 vcc, 0, v56
	s_and_saveexec_b64 s[0:1], vcc
	s_xor_b64 s[0:1], exec, s[0:1]
; %bb.458:
	v_cmp_ne_u32_e32 vcc, 0, v58
	s_nop 1
	v_cndmask_b32_e32 v58, 28, v58, vcc
; %bb.459:
	s_andn2_saveexec_b64 s[0:1], s[0:1]
	s_cbranch_execz .LBB92_461
; %bb.460:
	v_div_scale_f32 v59, s[2:3], v56, v56, 1.0
	v_rcp_f32_e32 v60, v59
	v_div_scale_f32 v61, vcc, 1.0, v56, 1.0
	v_fma_f32 v62, -v59, v60, 1.0
	v_fmac_f32_e32 v60, v62, v60
	v_mul_f32_e32 v62, v61, v60
	v_fma_f32 v63, -v59, v62, v61
	v_fmac_f32_e32 v62, v63, v60
	v_fma_f32 v59, -v59, v62, v61
	v_div_fmas_f32 v59, v59, v60, v62
	v_div_fixup_f32 v56, v59, v56, 1.0
.LBB92_461:
	s_or_b64 exec, exec, s[0:1]
	v_cmp_ne_u32_e32 vcc, v57, v54
	s_and_saveexec_b64 s[0:1], vcc
	s_xor_b64 s[0:1], exec, s[0:1]
	s_cbranch_execz .LBB92_467
; %bb.462:
	v_cmp_eq_u32_e32 vcc, 27, v57
	s_and_saveexec_b64 s[2:3], vcc
	s_cbranch_execz .LBB92_466
; %bb.463:
	v_cmp_ne_u32_e32 vcc, 27, v54
	s_xor_b64 s[12:13], s[20:21], -1
	s_and_b64 s[14:15], s[12:13], vcc
	s_and_saveexec_b64 s[12:13], s[14:15]
	s_cbranch_execz .LBB92_465
; %bb.464:
	v_ashrrev_i32_e32 v55, 31, v54
	v_lshl_add_u64 v[60:61], v[54:55], 2, v[4:5]
	global_load_dword v55, v[60:61], off
	global_load_dword v57, v[4:5], off offset:108
	s_waitcnt vmcnt(1)
	global_store_dword v[4:5], v55, off offset:108
	s_waitcnt vmcnt(1)
	global_store_dword v[60:61], v57, off
.LBB92_465:
	s_or_b64 exec, exec, s[12:13]
	v_mov_b32_e32 v55, v54
	v_mov_b32_e32 v57, v54
.LBB92_466:
	s_or_b64 exec, exec, s[2:3]
.LBB92_467:
	s_andn2_saveexec_b64 s[0:1], s[0:1]
	s_cbranch_execz .LBB92_469
; %bb.468:
	s_waitcnt vmcnt(16)
	v_pk_mov_b32 v[60:61], v[28:29], v[18:19] op_sel:[1,0]
	ds_write2_b32 v53, v60, v61 offset0:28 offset1:29
	s_waitcnt vmcnt(14)
	v_pk_mov_b32 v[60:61], v[18:19], v[10:11] op_sel:[1,0]
	ds_write2_b32 v53, v60, v61 offset0:30 offset1:31
	;; [unrolled: 3-line block ×8, first 2 shown]
	s_waitcnt vmcnt(0)
	v_pk_mov_b32 v[60:61], v[12:13], v[8:9] op_sel:[1,0]
	v_mov_b32_e32 v57, 27
	ds_write2_b32 v53, v60, v61 offset0:44 offset1:45
	ds_write_b32 v53, v9 offset:184
.LBB92_469:
	s_or_b64 exec, exec, s[0:1]
	v_cmp_lt_i32_e32 vcc, 27, v57
	s_waitcnt lgkmcnt(0)
	s_barrier
	s_and_saveexec_b64 s[0:1], vcc
	s_cbranch_execz .LBB92_471
; %bb.470:
	ds_read_b32 v54, v53 offset:112
	ds_read2_b32 v[60:61], v53 offset0:29 offset1:30
	ds_read2_b32 v[62:63], v53 offset0:31 offset1:32
	v_mul_f32_e32 v28, v56, v28
	ds_read2_b32 v[64:65], v53 offset0:33 offset1:34
	s_waitcnt vmcnt(18) lgkmcnt(3)
	v_fma_f32 v29, -v28, v54, v29
	s_waitcnt vmcnt(16) lgkmcnt(2)
	v_pk_fma_f32 v[18:19], v[28:29], v[60:61], v[18:19] op_sel_hi:[0,1,1] neg_lo:[1,0,0] neg_hi:[1,0,0]
	ds_read2_b32 v[60:61], v53 offset0:35 offset1:36
	s_waitcnt vmcnt(14) lgkmcnt(2)
	v_pk_fma_f32 v[10:11], v[28:29], v[62:63], v[10:11] op_sel_hi:[0,1,1] neg_lo:[1,0,0] neg_hi:[1,0,0]
	s_waitcnt vmcnt(12) lgkmcnt(1)
	v_pk_fma_f32 v[30:31], v[28:29], v[64:65], v[30:31] op_sel_hi:[0,1,1] neg_lo:[1,0,0] neg_hi:[1,0,0]
	ds_read2_b32 v[62:63], v53 offset0:37 offset1:38
	ds_read2_b32 v[64:65], v53 offset0:39 offset1:40
	;; [unrolled: 1-line block ×3, first 2 shown]
	s_waitcnt vmcnt(10) lgkmcnt(3)
	v_pk_fma_f32 v[22:23], v[28:29], v[60:61], v[22:23] op_sel_hi:[0,1,1] neg_lo:[1,0,0] neg_hi:[1,0,0]
	ds_read2_b32 v[60:61], v53 offset0:43 offset1:44
	ds_read2_b32 v[68:69], v53 offset0:45 offset1:46
	s_waitcnt vmcnt(8) lgkmcnt(4)
	v_pk_fma_f32 v[14:15], v[28:29], v[62:63], v[14:15] op_sel_hi:[0,1,1] neg_lo:[1,0,0] neg_hi:[1,0,0]
	s_waitcnt vmcnt(6) lgkmcnt(3)
	v_pk_fma_f32 v[0:1], v[28:29], v[64:65], v[0:1] op_sel_hi:[0,1,1] neg_lo:[1,0,0] neg_hi:[1,0,0]
	;; [unrolled: 2-line block ×5, first 2 shown]
.LBB92_471:
	s_or_b64 exec, exec, s[0:1]
	v_lshl_add_u32 v54, v57, 2, v53
	s_barrier
	s_waitcnt vmcnt(18)
	ds_write_b32 v54, v29
	s_waitcnt lgkmcnt(0)
	s_barrier
	ds_read_b32 v56, v53 offset:112
	s_cmp_lt_i32 s22, 30
	v_mov_b32_e32 v54, 28
	s_cbranch_scc1 .LBB92_474
; %bb.472:
	v_add_u32_e32 v59, 0x74, v53
	v_mov_b32_e32 v54, 28
	s_mov_b32 s0, 29
.LBB92_473:                             ; =>This Inner Loop Header: Depth=1
	ds_read_b32 v60, v59
	v_mov_b32_e32 v61, s0
	s_add_i32 s0, s0, 1
	v_add_u32_e32 v59, 4, v59
	s_cmp_lg_u32 s22, s0
	s_waitcnt lgkmcnt(0)
	v_cmp_lt_f32_e64 vcc, |v56|, |v60|
	s_nop 1
	v_cndmask_b32_e32 v56, v56, v60, vcc
	v_cndmask_b32_e32 v54, v54, v61, vcc
	s_cbranch_scc1 .LBB92_473
.LBB92_474:
	s_waitcnt lgkmcnt(0)
	v_cmp_eq_f32_e32 vcc, 0, v56
	s_and_saveexec_b64 s[0:1], vcc
	s_xor_b64 s[0:1], exec, s[0:1]
; %bb.475:
	v_cmp_ne_u32_e32 vcc, 0, v58
	s_nop 1
	v_cndmask_b32_e32 v58, 29, v58, vcc
; %bb.476:
	s_andn2_saveexec_b64 s[0:1], s[0:1]
	s_cbranch_execz .LBB92_478
; %bb.477:
	v_div_scale_f32 v59, s[2:3], v56, v56, 1.0
	v_rcp_f32_e32 v60, v59
	v_div_scale_f32 v61, vcc, 1.0, v56, 1.0
	v_fma_f32 v62, -v59, v60, 1.0
	v_fmac_f32_e32 v60, v62, v60
	v_mul_f32_e32 v62, v61, v60
	v_fma_f32 v63, -v59, v62, v61
	v_fmac_f32_e32 v62, v63, v60
	v_fma_f32 v59, -v59, v62, v61
	v_div_fmas_f32 v59, v59, v60, v62
	v_div_fixup_f32 v56, v59, v56, 1.0
.LBB92_478:
	s_or_b64 exec, exec, s[0:1]
	v_cmp_ne_u32_e32 vcc, v57, v54
	s_and_saveexec_b64 s[0:1], vcc
	s_xor_b64 s[0:1], exec, s[0:1]
	s_cbranch_execz .LBB92_484
; %bb.479:
	v_cmp_eq_u32_e32 vcc, 28, v57
	s_and_saveexec_b64 s[2:3], vcc
	s_cbranch_execz .LBB92_483
; %bb.480:
	v_cmp_ne_u32_e32 vcc, 28, v54
	s_xor_b64 s[12:13], s[20:21], -1
	s_and_b64 s[14:15], s[12:13], vcc
	s_and_saveexec_b64 s[12:13], s[14:15]
	s_cbranch_execz .LBB92_482
; %bb.481:
	v_ashrrev_i32_e32 v55, 31, v54
	v_lshl_add_u64 v[60:61], v[54:55], 2, v[4:5]
	global_load_dword v55, v[60:61], off
	global_load_dword v57, v[4:5], off offset:112
	s_waitcnt vmcnt(1)
	global_store_dword v[4:5], v55, off offset:112
	s_waitcnt vmcnt(1)
	global_store_dword v[60:61], v57, off
.LBB92_482:
	s_or_b64 exec, exec, s[12:13]
	v_mov_b32_e32 v55, v54
	v_mov_b32_e32 v57, v54
.LBB92_483:
	s_or_b64 exec, exec, s[2:3]
.LBB92_484:
	s_andn2_saveexec_b64 s[0:1], s[0:1]
	s_cbranch_execz .LBB92_486
; %bb.485:
	v_mov_b32_e32 v57, 28
	s_waitcnt vmcnt(16)
	ds_write2_b32 v53, v18, v19 offset0:29 offset1:30
	s_waitcnt vmcnt(14)
	ds_write2_b32 v53, v10, v11 offset0:31 offset1:32
	;; [unrolled: 2-line block ×9, first 2 shown]
.LBB92_486:
	s_or_b64 exec, exec, s[0:1]
	v_cmp_lt_i32_e32 vcc, 28, v57
	s_waitcnt lgkmcnt(0)
	s_barrier
	s_and_saveexec_b64 s[0:1], vcc
	s_cbranch_execz .LBB92_488
; %bb.487:
	ds_read2_b32 v[60:61], v53 offset0:29 offset1:30
	ds_read2_b32 v[62:63], v53 offset0:31 offset1:32
	;; [unrolled: 1-line block ×4, first 2 shown]
	v_mul_f32_e32 v54, v56, v29
	s_waitcnt vmcnt(16) lgkmcnt(3)
	v_pk_fma_f32 v[18:19], v[54:55], v[60:61], v[18:19] op_sel_hi:[0,1,1] neg_lo:[1,0,0] neg_hi:[1,0,0]
	s_waitcnt vmcnt(14) lgkmcnt(2)
	v_pk_fma_f32 v[10:11], v[54:55], v[62:63], v[10:11] op_sel_hi:[0,1,1] neg_lo:[1,0,0] neg_hi:[1,0,0]
	;; [unrolled: 2-line block ×4, first 2 shown]
	ds_read2_b32 v[60:61], v53 offset0:37 offset1:38
	ds_read2_b32 v[62:63], v53 offset0:39 offset1:40
	;; [unrolled: 1-line block ×5, first 2 shown]
	s_waitcnt vmcnt(8) lgkmcnt(4)
	v_pk_fma_f32 v[14:15], v[54:55], v[60:61], v[14:15] op_sel_hi:[0,1,1] neg_lo:[1,0,0] neg_hi:[1,0,0]
	s_waitcnt vmcnt(6) lgkmcnt(3)
	v_pk_fma_f32 v[0:1], v[54:55], v[62:63], v[0:1] op_sel_hi:[0,1,1] neg_lo:[1,0,0] neg_hi:[1,0,0]
	;; [unrolled: 2-line block ×5, first 2 shown]
	v_mov_b32_e32 v29, v54
.LBB92_488:
	s_or_b64 exec, exec, s[0:1]
	v_lshl_add_u32 v54, v57, 2, v53
	s_barrier
	s_waitcnt vmcnt(17)
	ds_write_b32 v54, v18
	s_waitcnt lgkmcnt(0)
	s_barrier
	ds_read_b32 v56, v53 offset:116
	s_cmp_lt_i32 s22, 31
	v_mov_b32_e32 v54, 29
	s_cbranch_scc1 .LBB92_491
; %bb.489:
	v_add_u32_e32 v59, 0x78, v53
	v_mov_b32_e32 v54, 29
	s_mov_b32 s0, 30
.LBB92_490:                             ; =>This Inner Loop Header: Depth=1
	ds_read_b32 v60, v59
	v_mov_b32_e32 v61, s0
	s_add_i32 s0, s0, 1
	v_add_u32_e32 v59, 4, v59
	s_cmp_lg_u32 s22, s0
	s_waitcnt lgkmcnt(0)
	v_cmp_lt_f32_e64 vcc, |v56|, |v60|
	s_nop 1
	v_cndmask_b32_e32 v56, v56, v60, vcc
	v_cndmask_b32_e32 v54, v54, v61, vcc
	s_cbranch_scc1 .LBB92_490
.LBB92_491:
	s_waitcnt lgkmcnt(0)
	v_cmp_eq_f32_e32 vcc, 0, v56
	s_and_saveexec_b64 s[0:1], vcc
	s_xor_b64 s[0:1], exec, s[0:1]
; %bb.492:
	v_cmp_ne_u32_e32 vcc, 0, v58
	s_nop 1
	v_cndmask_b32_e32 v58, 30, v58, vcc
; %bb.493:
	s_andn2_saveexec_b64 s[0:1], s[0:1]
	s_cbranch_execz .LBB92_495
; %bb.494:
	v_div_scale_f32 v59, s[2:3], v56, v56, 1.0
	v_rcp_f32_e32 v60, v59
	v_div_scale_f32 v61, vcc, 1.0, v56, 1.0
	v_fma_f32 v62, -v59, v60, 1.0
	v_fmac_f32_e32 v60, v62, v60
	v_mul_f32_e32 v62, v61, v60
	v_fma_f32 v63, -v59, v62, v61
	v_fmac_f32_e32 v62, v63, v60
	v_fma_f32 v59, -v59, v62, v61
	v_div_fmas_f32 v59, v59, v60, v62
	v_div_fixup_f32 v56, v59, v56, 1.0
.LBB92_495:
	s_or_b64 exec, exec, s[0:1]
	v_cmp_ne_u32_e32 vcc, v57, v54
	s_and_saveexec_b64 s[0:1], vcc
	s_xor_b64 s[0:1], exec, s[0:1]
	s_cbranch_execz .LBB92_501
; %bb.496:
	v_cmp_eq_u32_e32 vcc, 29, v57
	s_and_saveexec_b64 s[2:3], vcc
	s_cbranch_execz .LBB92_500
; %bb.497:
	v_cmp_ne_u32_e32 vcc, 29, v54
	s_xor_b64 s[12:13], s[20:21], -1
	s_and_b64 s[14:15], s[12:13], vcc
	s_and_saveexec_b64 s[12:13], s[14:15]
	s_cbranch_execz .LBB92_499
; %bb.498:
	v_ashrrev_i32_e32 v55, 31, v54
	v_lshl_add_u64 v[60:61], v[54:55], 2, v[4:5]
	global_load_dword v55, v[60:61], off
	global_load_dword v57, v[4:5], off offset:116
	s_waitcnt vmcnt(1)
	global_store_dword v[4:5], v55, off offset:116
	s_waitcnt vmcnt(1)
	global_store_dword v[60:61], v57, off
.LBB92_499:
	s_or_b64 exec, exec, s[12:13]
	v_mov_b32_e32 v55, v54
	v_mov_b32_e32 v57, v54
.LBB92_500:
	s_or_b64 exec, exec, s[2:3]
.LBB92_501:
	s_andn2_saveexec_b64 s[0:1], s[0:1]
	s_cbranch_execz .LBB92_503
; %bb.502:
	s_waitcnt vmcnt(14)
	v_pk_mov_b32 v[60:61], v[18:19], v[10:11] op_sel:[1,0]
	ds_write2_b32 v53, v60, v61 offset0:30 offset1:31
	s_waitcnt vmcnt(12)
	v_pk_mov_b32 v[60:61], v[10:11], v[30:31] op_sel:[1,0]
	ds_write2_b32 v53, v60, v61 offset0:32 offset1:33
	;; [unrolled: 3-line block ×7, first 2 shown]
	s_waitcnt vmcnt(0)
	v_pk_mov_b32 v[60:61], v[12:13], v[8:9] op_sel:[1,0]
	v_mov_b32_e32 v57, 29
	ds_write2_b32 v53, v60, v61 offset0:44 offset1:45
	ds_write_b32 v53, v9 offset:184
.LBB92_503:
	s_or_b64 exec, exec, s[0:1]
	v_cmp_lt_i32_e32 vcc, 29, v57
	s_waitcnt lgkmcnt(0)
	s_barrier
	s_and_saveexec_b64 s[0:1], vcc
	s_cbranch_execz .LBB92_505
; %bb.504:
	ds_read_b32 v54, v53 offset:120
	ds_read2_b32 v[60:61], v53 offset0:31 offset1:32
	ds_read2_b32 v[62:63], v53 offset0:33 offset1:34
	;; [unrolled: 1-line block ×3, first 2 shown]
	v_mul_f32_e32 v18, v56, v18
	s_waitcnt vmcnt(16) lgkmcnt(3)
	v_fma_f32 v19, -v18, v54, v19
	s_waitcnt vmcnt(14) lgkmcnt(2)
	v_pk_fma_f32 v[10:11], v[18:19], v[60:61], v[10:11] op_sel_hi:[0,1,1] neg_lo:[1,0,0] neg_hi:[1,0,0]
	s_waitcnt vmcnt(12) lgkmcnt(1)
	v_pk_fma_f32 v[30:31], v[18:19], v[62:63], v[30:31] op_sel_hi:[0,1,1] neg_lo:[1,0,0] neg_hi:[1,0,0]
	s_waitcnt vmcnt(10) lgkmcnt(0)
	v_pk_fma_f32 v[22:23], v[18:19], v[64:65], v[22:23] op_sel_hi:[0,1,1] neg_lo:[1,0,0] neg_hi:[1,0,0]
	ds_read2_b32 v[60:61], v53 offset0:37 offset1:38
	ds_read2_b32 v[62:63], v53 offset0:39 offset1:40
	ds_read2_b32 v[64:65], v53 offset0:41 offset1:42
	ds_read2_b32 v[66:67], v53 offset0:43 offset1:44
	ds_read2_b32 v[68:69], v53 offset0:45 offset1:46
	s_waitcnt vmcnt(8) lgkmcnt(4)
	v_pk_fma_f32 v[14:15], v[18:19], v[60:61], v[14:15] op_sel_hi:[0,1,1] neg_lo:[1,0,0] neg_hi:[1,0,0]
	s_waitcnt vmcnt(6) lgkmcnt(3)
	v_pk_fma_f32 v[0:1], v[18:19], v[62:63], v[0:1] op_sel_hi:[0,1,1] neg_lo:[1,0,0] neg_hi:[1,0,0]
	;; [unrolled: 2-line block ×5, first 2 shown]
.LBB92_505:
	s_or_b64 exec, exec, s[0:1]
	v_lshl_add_u32 v54, v57, 2, v53
	s_barrier
	s_waitcnt vmcnt(16)
	ds_write_b32 v54, v19
	s_waitcnt lgkmcnt(0)
	s_barrier
	ds_read_b32 v56, v53 offset:120
	s_cmp_lt_i32 s22, 32
	v_mov_b32_e32 v54, 30
	s_cbranch_scc1 .LBB92_508
; %bb.506:
	v_add_u32_e32 v59, 0x7c, v53
	v_mov_b32_e32 v54, 30
	s_mov_b32 s0, 31
.LBB92_507:                             ; =>This Inner Loop Header: Depth=1
	ds_read_b32 v60, v59
	v_mov_b32_e32 v61, s0
	s_add_i32 s0, s0, 1
	v_add_u32_e32 v59, 4, v59
	s_cmp_lg_u32 s22, s0
	s_waitcnt lgkmcnt(0)
	v_cmp_lt_f32_e64 vcc, |v56|, |v60|
	s_nop 1
	v_cndmask_b32_e32 v56, v56, v60, vcc
	v_cndmask_b32_e32 v54, v54, v61, vcc
	s_cbranch_scc1 .LBB92_507
.LBB92_508:
	s_waitcnt lgkmcnt(0)
	v_cmp_eq_f32_e32 vcc, 0, v56
	s_and_saveexec_b64 s[0:1], vcc
	s_xor_b64 s[0:1], exec, s[0:1]
; %bb.509:
	v_cmp_ne_u32_e32 vcc, 0, v58
	s_nop 1
	v_cndmask_b32_e32 v58, 31, v58, vcc
; %bb.510:
	s_andn2_saveexec_b64 s[0:1], s[0:1]
	s_cbranch_execz .LBB92_512
; %bb.511:
	v_div_scale_f32 v59, s[2:3], v56, v56, 1.0
	v_rcp_f32_e32 v60, v59
	v_div_scale_f32 v61, vcc, 1.0, v56, 1.0
	v_fma_f32 v62, -v59, v60, 1.0
	v_fmac_f32_e32 v60, v62, v60
	v_mul_f32_e32 v62, v61, v60
	v_fma_f32 v63, -v59, v62, v61
	v_fmac_f32_e32 v62, v63, v60
	v_fma_f32 v59, -v59, v62, v61
	v_div_fmas_f32 v59, v59, v60, v62
	v_div_fixup_f32 v56, v59, v56, 1.0
.LBB92_512:
	s_or_b64 exec, exec, s[0:1]
	v_cmp_ne_u32_e32 vcc, v57, v54
	s_and_saveexec_b64 s[0:1], vcc
	s_xor_b64 s[0:1], exec, s[0:1]
	s_cbranch_execz .LBB92_518
; %bb.513:
	v_cmp_eq_u32_e32 vcc, 30, v57
	s_and_saveexec_b64 s[2:3], vcc
	s_cbranch_execz .LBB92_517
; %bb.514:
	v_cmp_ne_u32_e32 vcc, 30, v54
	s_xor_b64 s[12:13], s[20:21], -1
	s_and_b64 s[14:15], s[12:13], vcc
	s_and_saveexec_b64 s[12:13], s[14:15]
	s_cbranch_execz .LBB92_516
; %bb.515:
	v_ashrrev_i32_e32 v55, 31, v54
	v_lshl_add_u64 v[60:61], v[54:55], 2, v[4:5]
	global_load_dword v55, v[60:61], off
	global_load_dword v57, v[4:5], off offset:120
	s_waitcnt vmcnt(1)
	global_store_dword v[4:5], v55, off offset:120
	s_waitcnt vmcnt(1)
	global_store_dword v[60:61], v57, off
.LBB92_516:
	s_or_b64 exec, exec, s[12:13]
	v_mov_b32_e32 v55, v54
	v_mov_b32_e32 v57, v54
.LBB92_517:
	s_or_b64 exec, exec, s[2:3]
.LBB92_518:
	s_andn2_saveexec_b64 s[0:1], s[0:1]
	s_cbranch_execz .LBB92_520
; %bb.519:
	v_mov_b32_e32 v57, 30
	s_waitcnt vmcnt(14)
	ds_write2_b32 v53, v10, v11 offset0:31 offset1:32
	s_waitcnt vmcnt(12)
	ds_write2_b32 v53, v30, v31 offset0:33 offset1:34
	;; [unrolled: 2-line block ×8, first 2 shown]
.LBB92_520:
	s_or_b64 exec, exec, s[0:1]
	v_cmp_lt_i32_e32 vcc, 30, v57
	s_waitcnt lgkmcnt(0)
	s_barrier
	s_and_saveexec_b64 s[0:1], vcc
	s_cbranch_execz .LBB92_522
; %bb.521:
	ds_read2_b32 v[60:61], v53 offset0:31 offset1:32
	ds_read2_b32 v[62:63], v53 offset0:33 offset1:34
	;; [unrolled: 1-line block ×3, first 2 shown]
	v_mul_f32_e32 v54, v56, v19
	ds_read2_b32 v[66:67], v53 offset0:37 offset1:38
	s_waitcnt vmcnt(14) lgkmcnt(3)
	v_pk_fma_f32 v[10:11], v[54:55], v[60:61], v[10:11] op_sel_hi:[0,1,1] neg_lo:[1,0,0] neg_hi:[1,0,0]
	s_waitcnt vmcnt(12) lgkmcnt(2)
	v_pk_fma_f32 v[30:31], v[54:55], v[62:63], v[30:31] op_sel_hi:[0,1,1] neg_lo:[1,0,0] neg_hi:[1,0,0]
	;; [unrolled: 2-line block ×3, first 2 shown]
	ds_read2_b32 v[60:61], v53 offset0:39 offset1:40
	ds_read2_b32 v[62:63], v53 offset0:41 offset1:42
	;; [unrolled: 1-line block ×4, first 2 shown]
	s_waitcnt vmcnt(8) lgkmcnt(4)
	v_pk_fma_f32 v[14:15], v[54:55], v[66:67], v[14:15] op_sel_hi:[0,1,1] neg_lo:[1,0,0] neg_hi:[1,0,0]
	s_waitcnt vmcnt(6) lgkmcnt(3)
	v_pk_fma_f32 v[0:1], v[54:55], v[60:61], v[0:1] op_sel_hi:[0,1,1] neg_lo:[1,0,0] neg_hi:[1,0,0]
	;; [unrolled: 2-line block ×5, first 2 shown]
	v_mov_b32_e32 v19, v54
.LBB92_522:
	s_or_b64 exec, exec, s[0:1]
	v_lshl_add_u32 v54, v57, 2, v53
	s_barrier
	s_waitcnt vmcnt(15)
	ds_write_b32 v54, v10
	s_waitcnt lgkmcnt(0)
	s_barrier
	ds_read_b32 v56, v53 offset:124
	s_cmp_lt_i32 s22, 33
	v_mov_b32_e32 v54, 31
	s_cbranch_scc1 .LBB92_525
; %bb.523:
	v_add_u32_e32 v59, 0x80, v53
	v_mov_b32_e32 v54, 31
	s_mov_b32 s0, 32
.LBB92_524:                             ; =>This Inner Loop Header: Depth=1
	ds_read_b32 v60, v59
	v_mov_b32_e32 v61, s0
	s_add_i32 s0, s0, 1
	v_add_u32_e32 v59, 4, v59
	s_cmp_lg_u32 s22, s0
	s_waitcnt lgkmcnt(0)
	v_cmp_lt_f32_e64 vcc, |v56|, |v60|
	s_nop 1
	v_cndmask_b32_e32 v56, v56, v60, vcc
	v_cndmask_b32_e32 v54, v54, v61, vcc
	s_cbranch_scc1 .LBB92_524
.LBB92_525:
	s_waitcnt lgkmcnt(0)
	v_cmp_eq_f32_e32 vcc, 0, v56
	s_and_saveexec_b64 s[0:1], vcc
	s_xor_b64 s[0:1], exec, s[0:1]
; %bb.526:
	v_cmp_ne_u32_e32 vcc, 0, v58
	s_nop 1
	v_cndmask_b32_e32 v58, 32, v58, vcc
; %bb.527:
	s_andn2_saveexec_b64 s[0:1], s[0:1]
	s_cbranch_execz .LBB92_529
; %bb.528:
	v_div_scale_f32 v59, s[2:3], v56, v56, 1.0
	v_rcp_f32_e32 v60, v59
	v_div_scale_f32 v61, vcc, 1.0, v56, 1.0
	v_fma_f32 v62, -v59, v60, 1.0
	v_fmac_f32_e32 v60, v62, v60
	v_mul_f32_e32 v62, v61, v60
	v_fma_f32 v63, -v59, v62, v61
	v_fmac_f32_e32 v62, v63, v60
	v_fma_f32 v59, -v59, v62, v61
	v_div_fmas_f32 v59, v59, v60, v62
	v_div_fixup_f32 v56, v59, v56, 1.0
.LBB92_529:
	s_or_b64 exec, exec, s[0:1]
	v_cmp_ne_u32_e32 vcc, v57, v54
	s_and_saveexec_b64 s[0:1], vcc
	s_xor_b64 s[0:1], exec, s[0:1]
	s_cbranch_execz .LBB92_535
; %bb.530:
	v_cmp_eq_u32_e32 vcc, 31, v57
	s_and_saveexec_b64 s[2:3], vcc
	s_cbranch_execz .LBB92_534
; %bb.531:
	v_cmp_ne_u32_e32 vcc, 31, v54
	s_xor_b64 s[12:13], s[20:21], -1
	s_and_b64 s[14:15], s[12:13], vcc
	s_and_saveexec_b64 s[12:13], s[14:15]
	s_cbranch_execz .LBB92_533
; %bb.532:
	v_ashrrev_i32_e32 v55, 31, v54
	v_lshl_add_u64 v[60:61], v[54:55], 2, v[4:5]
	global_load_dword v55, v[60:61], off
	global_load_dword v57, v[4:5], off offset:124
	s_waitcnt vmcnt(1)
	global_store_dword v[4:5], v55, off offset:124
	s_waitcnt vmcnt(1)
	global_store_dword v[60:61], v57, off
.LBB92_533:
	s_or_b64 exec, exec, s[12:13]
	v_mov_b32_e32 v55, v54
	v_mov_b32_e32 v57, v54
.LBB92_534:
	s_or_b64 exec, exec, s[2:3]
.LBB92_535:
	s_andn2_saveexec_b64 s[0:1], s[0:1]
	s_cbranch_execz .LBB92_537
; %bb.536:
	s_waitcnt vmcnt(12)
	v_pk_mov_b32 v[60:61], v[10:11], v[30:31] op_sel:[1,0]
	ds_write2_b32 v53, v60, v61 offset0:32 offset1:33
	s_waitcnt vmcnt(10)
	v_pk_mov_b32 v[60:61], v[30:31], v[22:23] op_sel:[1,0]
	ds_write2_b32 v53, v60, v61 offset0:34 offset1:35
	;; [unrolled: 3-line block ×6, first 2 shown]
	s_waitcnt vmcnt(0)
	v_pk_mov_b32 v[60:61], v[12:13], v[8:9] op_sel:[1,0]
	v_mov_b32_e32 v57, 31
	ds_write2_b32 v53, v60, v61 offset0:44 offset1:45
	ds_write_b32 v53, v9 offset:184
.LBB92_537:
	s_or_b64 exec, exec, s[0:1]
	v_cmp_lt_i32_e32 vcc, 31, v57
	s_waitcnt lgkmcnt(0)
	s_barrier
	s_and_saveexec_b64 s[0:1], vcc
	s_cbranch_execz .LBB92_539
; %bb.538:
	ds_read_b32 v54, v53 offset:128
	ds_read2_b32 v[60:61], v53 offset0:33 offset1:34
	ds_read2_b32 v[62:63], v53 offset0:35 offset1:36
	v_mul_f32_e32 v10, v56, v10
	ds_read2_b32 v[64:65], v53 offset0:37 offset1:38
	s_waitcnt vmcnt(14) lgkmcnt(3)
	v_fma_f32 v11, -v10, v54, v11
	s_waitcnt vmcnt(12) lgkmcnt(2)
	v_pk_fma_f32 v[30:31], v[10:11], v[60:61], v[30:31] op_sel_hi:[0,1,1] neg_lo:[1,0,0] neg_hi:[1,0,0]
	s_waitcnt vmcnt(10) lgkmcnt(1)
	v_pk_fma_f32 v[22:23], v[10:11], v[62:63], v[22:23] op_sel_hi:[0,1,1] neg_lo:[1,0,0] neg_hi:[1,0,0]
	ds_read2_b32 v[60:61], v53 offset0:39 offset1:40
	ds_read2_b32 v[62:63], v53 offset0:41 offset1:42
	;; [unrolled: 1-line block ×4, first 2 shown]
	s_waitcnt vmcnt(8) lgkmcnt(4)
	v_pk_fma_f32 v[14:15], v[10:11], v[64:65], v[14:15] op_sel_hi:[0,1,1] neg_lo:[1,0,0] neg_hi:[1,0,0]
	s_waitcnt vmcnt(6) lgkmcnt(3)
	v_pk_fma_f32 v[0:1], v[10:11], v[60:61], v[0:1] op_sel_hi:[0,1,1] neg_lo:[1,0,0] neg_hi:[1,0,0]
	;; [unrolled: 2-line block ×5, first 2 shown]
.LBB92_539:
	s_or_b64 exec, exec, s[0:1]
	v_lshl_add_u32 v54, v57, 2, v53
	s_barrier
	s_waitcnt vmcnt(14)
	ds_write_b32 v54, v11
	s_waitcnt lgkmcnt(0)
	s_barrier
	ds_read_b32 v56, v53 offset:128
	s_cmp_lt_i32 s22, 34
	v_mov_b32_e32 v54, 32
	s_cbranch_scc1 .LBB92_542
; %bb.540:
	v_add_u32_e32 v59, 0x84, v53
	v_mov_b32_e32 v54, 32
	s_mov_b32 s0, 33
.LBB92_541:                             ; =>This Inner Loop Header: Depth=1
	ds_read_b32 v60, v59
	v_mov_b32_e32 v61, s0
	s_add_i32 s0, s0, 1
	v_add_u32_e32 v59, 4, v59
	s_cmp_lg_u32 s22, s0
	s_waitcnt lgkmcnt(0)
	v_cmp_lt_f32_e64 vcc, |v56|, |v60|
	s_nop 1
	v_cndmask_b32_e32 v56, v56, v60, vcc
	v_cndmask_b32_e32 v54, v54, v61, vcc
	s_cbranch_scc1 .LBB92_541
.LBB92_542:
	s_waitcnt lgkmcnt(0)
	v_cmp_eq_f32_e32 vcc, 0, v56
	s_and_saveexec_b64 s[0:1], vcc
	s_xor_b64 s[0:1], exec, s[0:1]
; %bb.543:
	v_cmp_ne_u32_e32 vcc, 0, v58
	s_nop 1
	v_cndmask_b32_e32 v58, 33, v58, vcc
; %bb.544:
	s_andn2_saveexec_b64 s[0:1], s[0:1]
	s_cbranch_execz .LBB92_546
; %bb.545:
	v_div_scale_f32 v59, s[2:3], v56, v56, 1.0
	v_rcp_f32_e32 v60, v59
	v_div_scale_f32 v61, vcc, 1.0, v56, 1.0
	v_fma_f32 v62, -v59, v60, 1.0
	v_fmac_f32_e32 v60, v62, v60
	v_mul_f32_e32 v62, v61, v60
	v_fma_f32 v63, -v59, v62, v61
	v_fmac_f32_e32 v62, v63, v60
	v_fma_f32 v59, -v59, v62, v61
	v_div_fmas_f32 v59, v59, v60, v62
	v_div_fixup_f32 v56, v59, v56, 1.0
.LBB92_546:
	s_or_b64 exec, exec, s[0:1]
	v_cmp_ne_u32_e32 vcc, v57, v54
	s_and_saveexec_b64 s[0:1], vcc
	s_xor_b64 s[0:1], exec, s[0:1]
	s_cbranch_execz .LBB92_552
; %bb.547:
	v_cmp_eq_u32_e32 vcc, 32, v57
	s_and_saveexec_b64 s[2:3], vcc
	s_cbranch_execz .LBB92_551
; %bb.548:
	v_cmp_ne_u32_e32 vcc, 32, v54
	s_xor_b64 s[12:13], s[20:21], -1
	s_and_b64 s[14:15], s[12:13], vcc
	s_and_saveexec_b64 s[12:13], s[14:15]
	s_cbranch_execz .LBB92_550
; %bb.549:
	v_ashrrev_i32_e32 v55, 31, v54
	v_lshl_add_u64 v[60:61], v[54:55], 2, v[4:5]
	global_load_dword v55, v[60:61], off
	global_load_dword v57, v[4:5], off offset:128
	s_waitcnt vmcnt(1)
	global_store_dword v[4:5], v55, off offset:128
	s_waitcnt vmcnt(1)
	global_store_dword v[60:61], v57, off
.LBB92_550:
	s_or_b64 exec, exec, s[12:13]
	v_mov_b32_e32 v55, v54
	v_mov_b32_e32 v57, v54
.LBB92_551:
	s_or_b64 exec, exec, s[2:3]
.LBB92_552:
	s_andn2_saveexec_b64 s[0:1], s[0:1]
	s_cbranch_execz .LBB92_554
; %bb.553:
	v_mov_b32_e32 v57, 32
	s_waitcnt vmcnt(12)
	ds_write2_b32 v53, v30, v31 offset0:33 offset1:34
	s_waitcnt vmcnt(10)
	ds_write2_b32 v53, v22, v23 offset0:35 offset1:36
	;; [unrolled: 2-line block ×7, first 2 shown]
.LBB92_554:
	s_or_b64 exec, exec, s[0:1]
	v_cmp_lt_i32_e32 vcc, 32, v57
	s_waitcnt lgkmcnt(0)
	s_barrier
	s_and_saveexec_b64 s[0:1], vcc
	s_cbranch_execz .LBB92_556
; %bb.555:
	ds_read2_b32 v[60:61], v53 offset0:33 offset1:34
	ds_read2_b32 v[62:63], v53 offset0:35 offset1:36
	v_mul_f32_e32 v54, v56, v11
	ds_read2_b32 v[64:65], v53 offset0:37 offset1:38
	ds_read2_b32 v[66:67], v53 offset0:39 offset1:40
	v_mov_b32_e32 v11, v54
	s_waitcnt vmcnt(12) lgkmcnt(3)
	v_pk_fma_f32 v[30:31], v[54:55], v[60:61], v[30:31] op_sel_hi:[0,1,1] neg_lo:[1,0,0] neg_hi:[1,0,0]
	s_waitcnt vmcnt(10) lgkmcnt(2)
	v_pk_fma_f32 v[22:23], v[54:55], v[62:63], v[22:23] op_sel_hi:[0,1,1] neg_lo:[1,0,0] neg_hi:[1,0,0]
	ds_read2_b32 v[60:61], v53 offset0:41 offset1:42
	ds_read2_b32 v[62:63], v53 offset0:43 offset1:44
	;; [unrolled: 1-line block ×3, first 2 shown]
	s_waitcnt vmcnt(8) lgkmcnt(4)
	v_pk_fma_f32 v[14:15], v[54:55], v[64:65], v[14:15] op_sel_hi:[0,1,1] neg_lo:[1,0,0] neg_hi:[1,0,0]
	s_waitcnt vmcnt(6) lgkmcnt(3)
	v_pk_fma_f32 v[0:1], v[54:55], v[66:67], v[0:1] op_sel_hi:[0,1,1] neg_lo:[1,0,0] neg_hi:[1,0,0]
	;; [unrolled: 2-line block ×5, first 2 shown]
.LBB92_556:
	s_or_b64 exec, exec, s[0:1]
	v_lshl_add_u32 v54, v57, 2, v53
	s_barrier
	s_waitcnt vmcnt(13)
	ds_write_b32 v54, v30
	s_waitcnt lgkmcnt(0)
	s_barrier
	ds_read_b32 v56, v53 offset:132
	s_cmp_lt_i32 s22, 35
	v_mov_b32_e32 v54, 33
	s_cbranch_scc1 .LBB92_559
; %bb.557:
	v_add_u32_e32 v59, 0x88, v53
	v_mov_b32_e32 v54, 33
	s_mov_b32 s0, 34
.LBB92_558:                             ; =>This Inner Loop Header: Depth=1
	ds_read_b32 v60, v59
	v_mov_b32_e32 v61, s0
	s_add_i32 s0, s0, 1
	v_add_u32_e32 v59, 4, v59
	s_cmp_lg_u32 s22, s0
	s_waitcnt lgkmcnt(0)
	v_cmp_lt_f32_e64 vcc, |v56|, |v60|
	s_nop 1
	v_cndmask_b32_e32 v56, v56, v60, vcc
	v_cndmask_b32_e32 v54, v54, v61, vcc
	s_cbranch_scc1 .LBB92_558
.LBB92_559:
	s_waitcnt lgkmcnt(0)
	v_cmp_eq_f32_e32 vcc, 0, v56
	s_and_saveexec_b64 s[0:1], vcc
	s_xor_b64 s[0:1], exec, s[0:1]
; %bb.560:
	v_cmp_ne_u32_e32 vcc, 0, v58
	s_nop 1
	v_cndmask_b32_e32 v58, 34, v58, vcc
; %bb.561:
	s_andn2_saveexec_b64 s[0:1], s[0:1]
	s_cbranch_execz .LBB92_563
; %bb.562:
	v_div_scale_f32 v59, s[2:3], v56, v56, 1.0
	v_rcp_f32_e32 v60, v59
	v_div_scale_f32 v61, vcc, 1.0, v56, 1.0
	v_fma_f32 v62, -v59, v60, 1.0
	v_fmac_f32_e32 v60, v62, v60
	v_mul_f32_e32 v62, v61, v60
	v_fma_f32 v63, -v59, v62, v61
	v_fmac_f32_e32 v62, v63, v60
	v_fma_f32 v59, -v59, v62, v61
	v_div_fmas_f32 v59, v59, v60, v62
	v_div_fixup_f32 v56, v59, v56, 1.0
.LBB92_563:
	s_or_b64 exec, exec, s[0:1]
	v_cmp_ne_u32_e32 vcc, v57, v54
	s_and_saveexec_b64 s[0:1], vcc
	s_xor_b64 s[0:1], exec, s[0:1]
	s_cbranch_execz .LBB92_569
; %bb.564:
	v_cmp_eq_u32_e32 vcc, 33, v57
	s_and_saveexec_b64 s[2:3], vcc
	s_cbranch_execz .LBB92_568
; %bb.565:
	v_cmp_ne_u32_e32 vcc, 33, v54
	s_xor_b64 s[12:13], s[20:21], -1
	s_and_b64 s[14:15], s[12:13], vcc
	s_and_saveexec_b64 s[12:13], s[14:15]
	s_cbranch_execz .LBB92_567
; %bb.566:
	v_ashrrev_i32_e32 v55, 31, v54
	v_lshl_add_u64 v[60:61], v[54:55], 2, v[4:5]
	global_load_dword v55, v[60:61], off
	global_load_dword v57, v[4:5], off offset:132
	s_waitcnt vmcnt(1)
	global_store_dword v[4:5], v55, off offset:132
	s_waitcnt vmcnt(1)
	global_store_dword v[60:61], v57, off
.LBB92_567:
	s_or_b64 exec, exec, s[12:13]
	v_mov_b32_e32 v55, v54
	v_mov_b32_e32 v57, v54
.LBB92_568:
	s_or_b64 exec, exec, s[2:3]
.LBB92_569:
	s_andn2_saveexec_b64 s[0:1], s[0:1]
	s_cbranch_execz .LBB92_571
; %bb.570:
	s_waitcnt vmcnt(10)
	v_pk_mov_b32 v[60:61], v[30:31], v[22:23] op_sel:[1,0]
	ds_write2_b32 v53, v60, v61 offset0:34 offset1:35
	s_waitcnt vmcnt(8)
	v_pk_mov_b32 v[60:61], v[22:23], v[14:15] op_sel:[1,0]
	ds_write2_b32 v53, v60, v61 offset0:36 offset1:37
	;; [unrolled: 3-line block ×5, first 2 shown]
	s_waitcnt vmcnt(0)
	v_pk_mov_b32 v[60:61], v[12:13], v[8:9] op_sel:[1,0]
	v_mov_b32_e32 v57, 33
	ds_write2_b32 v53, v60, v61 offset0:44 offset1:45
	ds_write_b32 v53, v9 offset:184
.LBB92_571:
	s_or_b64 exec, exec, s[0:1]
	v_cmp_lt_i32_e32 vcc, 33, v57
	s_waitcnt lgkmcnt(0)
	s_barrier
	s_and_saveexec_b64 s[0:1], vcc
	s_cbranch_execz .LBB92_573
; %bb.572:
	ds_read_b32 v54, v53 offset:136
	ds_read2_b32 v[60:61], v53 offset0:35 offset1:36
	v_mul_f32_e32 v30, v56, v30
	ds_read2_b32 v[62:63], v53 offset0:37 offset1:38
	ds_read2_b32 v[64:65], v53 offset0:39 offset1:40
	s_waitcnt vmcnt(12) lgkmcnt(3)
	v_fma_f32 v31, -v30, v54, v31
	s_waitcnt vmcnt(10) lgkmcnt(2)
	v_pk_fma_f32 v[22:23], v[30:31], v[60:61], v[22:23] op_sel_hi:[0,1,1] neg_lo:[1,0,0] neg_hi:[1,0,0]
	ds_read2_b32 v[60:61], v53 offset0:41 offset1:42
	ds_read2_b32 v[66:67], v53 offset0:43 offset1:44
	;; [unrolled: 1-line block ×3, first 2 shown]
	s_waitcnt vmcnt(8) lgkmcnt(4)
	v_pk_fma_f32 v[14:15], v[30:31], v[62:63], v[14:15] op_sel_hi:[0,1,1] neg_lo:[1,0,0] neg_hi:[1,0,0]
	s_waitcnt vmcnt(6) lgkmcnt(3)
	v_pk_fma_f32 v[0:1], v[30:31], v[64:65], v[0:1] op_sel_hi:[0,1,1] neg_lo:[1,0,0] neg_hi:[1,0,0]
	;; [unrolled: 2-line block ×5, first 2 shown]
.LBB92_573:
	s_or_b64 exec, exec, s[0:1]
	v_lshl_add_u32 v54, v57, 2, v53
	s_barrier
	s_waitcnt vmcnt(12)
	ds_write_b32 v54, v31
	s_waitcnt lgkmcnt(0)
	s_barrier
	ds_read_b32 v56, v53 offset:136
	s_cmp_lt_i32 s22, 36
	v_mov_b32_e32 v54, 34
	s_cbranch_scc1 .LBB92_576
; %bb.574:
	v_add_u32_e32 v59, 0x8c, v53
	v_mov_b32_e32 v54, 34
	s_mov_b32 s0, 35
.LBB92_575:                             ; =>This Inner Loop Header: Depth=1
	ds_read_b32 v60, v59
	v_mov_b32_e32 v61, s0
	s_add_i32 s0, s0, 1
	v_add_u32_e32 v59, 4, v59
	s_cmp_lg_u32 s22, s0
	s_waitcnt lgkmcnt(0)
	v_cmp_lt_f32_e64 vcc, |v56|, |v60|
	s_nop 1
	v_cndmask_b32_e32 v56, v56, v60, vcc
	v_cndmask_b32_e32 v54, v54, v61, vcc
	s_cbranch_scc1 .LBB92_575
.LBB92_576:
	s_waitcnt lgkmcnt(0)
	v_cmp_eq_f32_e32 vcc, 0, v56
	s_and_saveexec_b64 s[0:1], vcc
	s_xor_b64 s[0:1], exec, s[0:1]
; %bb.577:
	v_cmp_ne_u32_e32 vcc, 0, v58
	s_nop 1
	v_cndmask_b32_e32 v58, 35, v58, vcc
; %bb.578:
	s_andn2_saveexec_b64 s[0:1], s[0:1]
	s_cbranch_execz .LBB92_580
; %bb.579:
	v_div_scale_f32 v59, s[2:3], v56, v56, 1.0
	v_rcp_f32_e32 v60, v59
	v_div_scale_f32 v61, vcc, 1.0, v56, 1.0
	v_fma_f32 v62, -v59, v60, 1.0
	v_fmac_f32_e32 v60, v62, v60
	v_mul_f32_e32 v62, v61, v60
	v_fma_f32 v63, -v59, v62, v61
	v_fmac_f32_e32 v62, v63, v60
	v_fma_f32 v59, -v59, v62, v61
	v_div_fmas_f32 v59, v59, v60, v62
	v_div_fixup_f32 v56, v59, v56, 1.0
.LBB92_580:
	s_or_b64 exec, exec, s[0:1]
	v_cmp_ne_u32_e32 vcc, v57, v54
	s_and_saveexec_b64 s[0:1], vcc
	s_xor_b64 s[0:1], exec, s[0:1]
	s_cbranch_execz .LBB92_586
; %bb.581:
	v_cmp_eq_u32_e32 vcc, 34, v57
	s_and_saveexec_b64 s[2:3], vcc
	s_cbranch_execz .LBB92_585
; %bb.582:
	v_cmp_ne_u32_e32 vcc, 34, v54
	s_xor_b64 s[12:13], s[20:21], -1
	s_and_b64 s[14:15], s[12:13], vcc
	s_and_saveexec_b64 s[12:13], s[14:15]
	s_cbranch_execz .LBB92_584
; %bb.583:
	v_ashrrev_i32_e32 v55, 31, v54
	v_lshl_add_u64 v[60:61], v[54:55], 2, v[4:5]
	global_load_dword v55, v[60:61], off
	global_load_dword v57, v[4:5], off offset:136
	s_waitcnt vmcnt(1)
	global_store_dword v[4:5], v55, off offset:136
	s_waitcnt vmcnt(1)
	global_store_dword v[60:61], v57, off
.LBB92_584:
	s_or_b64 exec, exec, s[12:13]
	v_mov_b32_e32 v55, v54
	v_mov_b32_e32 v57, v54
.LBB92_585:
	s_or_b64 exec, exec, s[2:3]
.LBB92_586:
	s_andn2_saveexec_b64 s[0:1], s[0:1]
	s_cbranch_execz .LBB92_588
; %bb.587:
	v_mov_b32_e32 v57, 34
	s_waitcnt vmcnt(10)
	ds_write2_b32 v53, v22, v23 offset0:35 offset1:36
	s_waitcnt vmcnt(8)
	ds_write2_b32 v53, v14, v15 offset0:37 offset1:38
	;; [unrolled: 2-line block ×6, first 2 shown]
.LBB92_588:
	s_or_b64 exec, exec, s[0:1]
	v_cmp_lt_i32_e32 vcc, 34, v57
	s_waitcnt lgkmcnt(0)
	s_barrier
	s_and_saveexec_b64 s[0:1], vcc
	s_cbranch_execz .LBB92_590
; %bb.589:
	ds_read2_b32 v[60:61], v53 offset0:35 offset1:36
	v_mul_f32_e32 v54, v56, v31
	ds_read2_b32 v[62:63], v53 offset0:37 offset1:38
	ds_read2_b32 v[64:65], v53 offset0:39 offset1:40
	;; [unrolled: 1-line block ×3, first 2 shown]
	v_mov_b32_e32 v31, v54
	s_waitcnt vmcnt(8) lgkmcnt(2)
	v_pk_fma_f32 v[14:15], v[54:55], v[62:63], v[14:15] op_sel_hi:[0,1,1] neg_lo:[1,0,0] neg_hi:[1,0,0]
	v_pk_fma_f32 v[22:23], v[54:55], v[60:61], v[22:23] op_sel_hi:[0,1,1] neg_lo:[1,0,0] neg_hi:[1,0,0]
	ds_read2_b32 v[60:61], v53 offset0:43 offset1:44
	ds_read2_b32 v[68:69], v53 offset0:45 offset1:46
	s_waitcnt vmcnt(6) lgkmcnt(3)
	v_pk_fma_f32 v[0:1], v[54:55], v[64:65], v[0:1] op_sel_hi:[0,1,1] neg_lo:[1,0,0] neg_hi:[1,0,0]
	s_waitcnt vmcnt(4) lgkmcnt(2)
	v_pk_fma_f32 v[20:21], v[54:55], v[66:67], v[20:21] op_sel_hi:[0,1,1] neg_lo:[1,0,0] neg_hi:[1,0,0]
	s_waitcnt vmcnt(2) lgkmcnt(1)
	v_pk_fma_f32 v[12:13], v[54:55], v[60:61], v[12:13] op_sel_hi:[0,1,1] neg_lo:[1,0,0] neg_hi:[1,0,0]
	s_waitcnt vmcnt(0) lgkmcnt(0)
	v_pk_fma_f32 v[8:9], v[54:55], v[68:69], v[8:9] op_sel_hi:[0,1,1] neg_lo:[1,0,0] neg_hi:[1,0,0]
.LBB92_590:
	s_or_b64 exec, exec, s[0:1]
	v_lshl_add_u32 v54, v57, 2, v53
	s_barrier
	s_waitcnt vmcnt(11)
	ds_write_b32 v54, v22
	s_waitcnt lgkmcnt(0)
	s_barrier
	ds_read_b32 v56, v53 offset:140
	s_cmp_lt_i32 s22, 37
	v_mov_b32_e32 v54, 35
	s_cbranch_scc1 .LBB92_593
; %bb.591:
	v_add_u32_e32 v59, 0x90, v53
	v_mov_b32_e32 v54, 35
	s_mov_b32 s0, 36
.LBB92_592:                             ; =>This Inner Loop Header: Depth=1
	ds_read_b32 v60, v59
	v_mov_b32_e32 v61, s0
	s_add_i32 s0, s0, 1
	v_add_u32_e32 v59, 4, v59
	s_cmp_lg_u32 s22, s0
	s_waitcnt lgkmcnt(0)
	v_cmp_lt_f32_e64 vcc, |v56|, |v60|
	s_nop 1
	v_cndmask_b32_e32 v56, v56, v60, vcc
	v_cndmask_b32_e32 v54, v54, v61, vcc
	s_cbranch_scc1 .LBB92_592
.LBB92_593:
	s_waitcnt lgkmcnt(0)
	v_cmp_eq_f32_e32 vcc, 0, v56
	s_and_saveexec_b64 s[0:1], vcc
	s_xor_b64 s[0:1], exec, s[0:1]
; %bb.594:
	v_cmp_ne_u32_e32 vcc, 0, v58
	s_nop 1
	v_cndmask_b32_e32 v58, 36, v58, vcc
; %bb.595:
	s_andn2_saveexec_b64 s[0:1], s[0:1]
	s_cbranch_execz .LBB92_597
; %bb.596:
	v_div_scale_f32 v59, s[2:3], v56, v56, 1.0
	v_rcp_f32_e32 v60, v59
	v_div_scale_f32 v61, vcc, 1.0, v56, 1.0
	v_fma_f32 v62, -v59, v60, 1.0
	v_fmac_f32_e32 v60, v62, v60
	v_mul_f32_e32 v62, v61, v60
	v_fma_f32 v63, -v59, v62, v61
	v_fmac_f32_e32 v62, v63, v60
	v_fma_f32 v59, -v59, v62, v61
	v_div_fmas_f32 v59, v59, v60, v62
	v_div_fixup_f32 v56, v59, v56, 1.0
.LBB92_597:
	s_or_b64 exec, exec, s[0:1]
	v_cmp_ne_u32_e32 vcc, v57, v54
	s_and_saveexec_b64 s[0:1], vcc
	s_xor_b64 s[0:1], exec, s[0:1]
	s_cbranch_execz .LBB92_603
; %bb.598:
	v_cmp_eq_u32_e32 vcc, 35, v57
	s_and_saveexec_b64 s[2:3], vcc
	s_cbranch_execz .LBB92_602
; %bb.599:
	v_cmp_ne_u32_e32 vcc, 35, v54
	s_xor_b64 s[12:13], s[20:21], -1
	s_and_b64 s[14:15], s[12:13], vcc
	s_and_saveexec_b64 s[12:13], s[14:15]
	s_cbranch_execz .LBB92_601
; %bb.600:
	v_ashrrev_i32_e32 v55, 31, v54
	v_lshl_add_u64 v[60:61], v[54:55], 2, v[4:5]
	global_load_dword v55, v[60:61], off
	global_load_dword v57, v[4:5], off offset:140
	s_waitcnt vmcnt(1)
	global_store_dword v[4:5], v55, off offset:140
	s_waitcnt vmcnt(1)
	global_store_dword v[60:61], v57, off
.LBB92_601:
	s_or_b64 exec, exec, s[12:13]
	v_mov_b32_e32 v55, v54
	v_mov_b32_e32 v57, v54
.LBB92_602:
	s_or_b64 exec, exec, s[2:3]
.LBB92_603:
	s_andn2_saveexec_b64 s[0:1], s[0:1]
	s_cbranch_execz .LBB92_605
; %bb.604:
	s_waitcnt vmcnt(8)
	v_pk_mov_b32 v[60:61], v[22:23], v[14:15] op_sel:[1,0]
	ds_write2_b32 v53, v60, v61 offset0:36 offset1:37
	s_waitcnt vmcnt(6)
	v_pk_mov_b32 v[60:61], v[14:15], v[0:1] op_sel:[1,0]
	ds_write2_b32 v53, v60, v61 offset0:38 offset1:39
	;; [unrolled: 3-line block ×4, first 2 shown]
	s_waitcnt vmcnt(0)
	v_pk_mov_b32 v[60:61], v[12:13], v[8:9] op_sel:[1,0]
	v_mov_b32_e32 v57, 35
	ds_write2_b32 v53, v60, v61 offset0:44 offset1:45
	ds_write_b32 v53, v9 offset:184
.LBB92_605:
	s_or_b64 exec, exec, s[0:1]
	v_cmp_lt_i32_e32 vcc, 35, v57
	s_waitcnt lgkmcnt(0)
	s_barrier
	s_and_saveexec_b64 s[0:1], vcc
	s_cbranch_execz .LBB92_607
; %bb.606:
	ds_read_b32 v54, v53 offset:144
	ds_read2_b32 v[60:61], v53 offset0:37 offset1:38
	ds_read2_b32 v[62:63], v53 offset0:39 offset1:40
	;; [unrolled: 1-line block ×5, first 2 shown]
	v_mul_f32_e32 v22, v56, v22
	s_waitcnt vmcnt(10) lgkmcnt(5)
	v_fma_f32 v23, -v22, v54, v23
	s_waitcnt vmcnt(8) lgkmcnt(4)
	v_pk_fma_f32 v[14:15], v[22:23], v[60:61], v[14:15] op_sel_hi:[0,1,1] neg_lo:[1,0,0] neg_hi:[1,0,0]
	s_waitcnt vmcnt(6) lgkmcnt(3)
	v_pk_fma_f32 v[0:1], v[22:23], v[62:63], v[0:1] op_sel_hi:[0,1,1] neg_lo:[1,0,0] neg_hi:[1,0,0]
	;; [unrolled: 2-line block ×5, first 2 shown]
.LBB92_607:
	s_or_b64 exec, exec, s[0:1]
	v_lshl_add_u32 v54, v57, 2, v53
	s_barrier
	s_waitcnt vmcnt(10)
	ds_write_b32 v54, v23
	s_waitcnt lgkmcnt(0)
	s_barrier
	ds_read_b32 v56, v53 offset:144
	s_cmp_lt_i32 s22, 38
	v_mov_b32_e32 v54, 36
	s_cbranch_scc1 .LBB92_610
; %bb.608:
	v_add_u32_e32 v59, 0x94, v53
	v_mov_b32_e32 v54, 36
	s_mov_b32 s0, 37
.LBB92_609:                             ; =>This Inner Loop Header: Depth=1
	ds_read_b32 v60, v59
	v_mov_b32_e32 v61, s0
	s_add_i32 s0, s0, 1
	v_add_u32_e32 v59, 4, v59
	s_cmp_lg_u32 s22, s0
	s_waitcnt lgkmcnt(0)
	v_cmp_lt_f32_e64 vcc, |v56|, |v60|
	s_nop 1
	v_cndmask_b32_e32 v56, v56, v60, vcc
	v_cndmask_b32_e32 v54, v54, v61, vcc
	s_cbranch_scc1 .LBB92_609
.LBB92_610:
	s_waitcnt lgkmcnt(0)
	v_cmp_eq_f32_e32 vcc, 0, v56
	s_and_saveexec_b64 s[0:1], vcc
	s_xor_b64 s[0:1], exec, s[0:1]
; %bb.611:
	v_cmp_ne_u32_e32 vcc, 0, v58
	s_nop 1
	v_cndmask_b32_e32 v58, 37, v58, vcc
; %bb.612:
	s_andn2_saveexec_b64 s[0:1], s[0:1]
	s_cbranch_execz .LBB92_614
; %bb.613:
	v_div_scale_f32 v59, s[2:3], v56, v56, 1.0
	v_rcp_f32_e32 v60, v59
	v_div_scale_f32 v61, vcc, 1.0, v56, 1.0
	v_fma_f32 v62, -v59, v60, 1.0
	v_fmac_f32_e32 v60, v62, v60
	v_mul_f32_e32 v62, v61, v60
	v_fma_f32 v63, -v59, v62, v61
	v_fmac_f32_e32 v62, v63, v60
	v_fma_f32 v59, -v59, v62, v61
	v_div_fmas_f32 v59, v59, v60, v62
	v_div_fixup_f32 v56, v59, v56, 1.0
.LBB92_614:
	s_or_b64 exec, exec, s[0:1]
	v_cmp_ne_u32_e32 vcc, v57, v54
	s_and_saveexec_b64 s[0:1], vcc
	s_xor_b64 s[0:1], exec, s[0:1]
	s_cbranch_execz .LBB92_620
; %bb.615:
	v_cmp_eq_u32_e32 vcc, 36, v57
	s_and_saveexec_b64 s[2:3], vcc
	s_cbranch_execz .LBB92_619
; %bb.616:
	v_cmp_ne_u32_e32 vcc, 36, v54
	s_xor_b64 s[12:13], s[20:21], -1
	s_and_b64 s[14:15], s[12:13], vcc
	s_and_saveexec_b64 s[12:13], s[14:15]
	s_cbranch_execz .LBB92_618
; %bb.617:
	v_ashrrev_i32_e32 v55, 31, v54
	v_lshl_add_u64 v[60:61], v[54:55], 2, v[4:5]
	global_load_dword v55, v[60:61], off
	global_load_dword v57, v[4:5], off offset:144
	s_waitcnt vmcnt(1)
	global_store_dword v[4:5], v55, off offset:144
	s_waitcnt vmcnt(1)
	global_store_dword v[60:61], v57, off
.LBB92_618:
	s_or_b64 exec, exec, s[12:13]
	v_mov_b32_e32 v55, v54
	v_mov_b32_e32 v57, v54
.LBB92_619:
	s_or_b64 exec, exec, s[2:3]
.LBB92_620:
	s_andn2_saveexec_b64 s[0:1], s[0:1]
	s_cbranch_execz .LBB92_622
; %bb.621:
	v_mov_b32_e32 v57, 36
	s_waitcnt vmcnt(8)
	ds_write2_b32 v53, v14, v15 offset0:37 offset1:38
	s_waitcnt vmcnt(6)
	ds_write2_b32 v53, v0, v1 offset0:39 offset1:40
	;; [unrolled: 2-line block ×5, first 2 shown]
.LBB92_622:
	s_or_b64 exec, exec, s[0:1]
	v_cmp_lt_i32_e32 vcc, 36, v57
	s_waitcnt lgkmcnt(0)
	s_barrier
	s_and_saveexec_b64 s[0:1], vcc
	s_cbranch_execz .LBB92_624
; %bb.623:
	ds_read2_b32 v[60:61], v53 offset0:37 offset1:38
	ds_read2_b32 v[62:63], v53 offset0:39 offset1:40
	;; [unrolled: 1-line block ×5, first 2 shown]
	v_mul_f32_e32 v54, v56, v23
	s_waitcnt vmcnt(8) lgkmcnt(4)
	v_pk_fma_f32 v[14:15], v[54:55], v[60:61], v[14:15] op_sel_hi:[0,1,1] neg_lo:[1,0,0] neg_hi:[1,0,0]
	s_waitcnt vmcnt(6) lgkmcnt(3)
	v_pk_fma_f32 v[0:1], v[54:55], v[62:63], v[0:1] op_sel_hi:[0,1,1] neg_lo:[1,0,0] neg_hi:[1,0,0]
	s_waitcnt vmcnt(4) lgkmcnt(2)
	v_pk_fma_f32 v[20:21], v[54:55], v[64:65], v[20:21] op_sel_hi:[0,1,1] neg_lo:[1,0,0] neg_hi:[1,0,0]
	s_waitcnt vmcnt(2) lgkmcnt(1)
	v_pk_fma_f32 v[12:13], v[54:55], v[66:67], v[12:13] op_sel_hi:[0,1,1] neg_lo:[1,0,0] neg_hi:[1,0,0]
	s_waitcnt vmcnt(0) lgkmcnt(0)
	v_pk_fma_f32 v[8:9], v[54:55], v[68:69], v[8:9] op_sel_hi:[0,1,1] neg_lo:[1,0,0] neg_hi:[1,0,0]
	v_mov_b32_e32 v23, v54
.LBB92_624:
	s_or_b64 exec, exec, s[0:1]
	v_lshl_add_u32 v54, v57, 2, v53
	s_barrier
	s_waitcnt vmcnt(9)
	ds_write_b32 v54, v14
	s_waitcnt lgkmcnt(0)
	s_barrier
	ds_read_b32 v56, v53 offset:148
	s_cmp_lt_i32 s22, 39
	v_mov_b32_e32 v54, 37
	s_cbranch_scc1 .LBB92_627
; %bb.625:
	v_add_u32_e32 v59, 0x98, v53
	v_mov_b32_e32 v54, 37
	s_mov_b32 s0, 38
.LBB92_626:                             ; =>This Inner Loop Header: Depth=1
	ds_read_b32 v60, v59
	v_mov_b32_e32 v61, s0
	s_add_i32 s0, s0, 1
	v_add_u32_e32 v59, 4, v59
	s_cmp_lg_u32 s22, s0
	s_waitcnt lgkmcnt(0)
	v_cmp_lt_f32_e64 vcc, |v56|, |v60|
	s_nop 1
	v_cndmask_b32_e32 v56, v56, v60, vcc
	v_cndmask_b32_e32 v54, v54, v61, vcc
	s_cbranch_scc1 .LBB92_626
.LBB92_627:
	s_waitcnt lgkmcnt(0)
	v_cmp_eq_f32_e32 vcc, 0, v56
	s_and_saveexec_b64 s[0:1], vcc
	s_xor_b64 s[0:1], exec, s[0:1]
; %bb.628:
	v_cmp_ne_u32_e32 vcc, 0, v58
	s_nop 1
	v_cndmask_b32_e32 v58, 38, v58, vcc
; %bb.629:
	s_andn2_saveexec_b64 s[0:1], s[0:1]
	s_cbranch_execz .LBB92_631
; %bb.630:
	v_div_scale_f32 v59, s[2:3], v56, v56, 1.0
	v_rcp_f32_e32 v60, v59
	v_div_scale_f32 v61, vcc, 1.0, v56, 1.0
	v_fma_f32 v62, -v59, v60, 1.0
	v_fmac_f32_e32 v60, v62, v60
	v_mul_f32_e32 v62, v61, v60
	v_fma_f32 v63, -v59, v62, v61
	v_fmac_f32_e32 v62, v63, v60
	v_fma_f32 v59, -v59, v62, v61
	v_div_fmas_f32 v59, v59, v60, v62
	v_div_fixup_f32 v56, v59, v56, 1.0
.LBB92_631:
	s_or_b64 exec, exec, s[0:1]
	v_cmp_ne_u32_e32 vcc, v57, v54
	s_and_saveexec_b64 s[0:1], vcc
	s_xor_b64 s[0:1], exec, s[0:1]
	s_cbranch_execz .LBB92_637
; %bb.632:
	v_cmp_eq_u32_e32 vcc, 37, v57
	s_and_saveexec_b64 s[2:3], vcc
	s_cbranch_execz .LBB92_636
; %bb.633:
	v_cmp_ne_u32_e32 vcc, 37, v54
	s_xor_b64 s[12:13], s[20:21], -1
	s_and_b64 s[14:15], s[12:13], vcc
	s_and_saveexec_b64 s[12:13], s[14:15]
	s_cbranch_execz .LBB92_635
; %bb.634:
	v_ashrrev_i32_e32 v55, 31, v54
	v_lshl_add_u64 v[60:61], v[54:55], 2, v[4:5]
	global_load_dword v55, v[60:61], off
	global_load_dword v57, v[4:5], off offset:148
	s_waitcnt vmcnt(1)
	global_store_dword v[4:5], v55, off offset:148
	s_waitcnt vmcnt(1)
	global_store_dword v[60:61], v57, off
.LBB92_635:
	s_or_b64 exec, exec, s[12:13]
	v_mov_b32_e32 v55, v54
	v_mov_b32_e32 v57, v54
.LBB92_636:
	s_or_b64 exec, exec, s[2:3]
.LBB92_637:
	s_andn2_saveexec_b64 s[0:1], s[0:1]
	s_cbranch_execz .LBB92_639
; %bb.638:
	s_waitcnt vmcnt(6)
	v_pk_mov_b32 v[60:61], v[14:15], v[0:1] op_sel:[1,0]
	ds_write2_b32 v53, v60, v61 offset0:38 offset1:39
	s_waitcnt vmcnt(4)
	v_pk_mov_b32 v[60:61], v[0:1], v[20:21] op_sel:[1,0]
	ds_write2_b32 v53, v60, v61 offset0:40 offset1:41
	;; [unrolled: 3-line block ×3, first 2 shown]
	s_waitcnt vmcnt(0)
	v_pk_mov_b32 v[60:61], v[12:13], v[8:9] op_sel:[1,0]
	v_mov_b32_e32 v57, 37
	ds_write2_b32 v53, v60, v61 offset0:44 offset1:45
	ds_write_b32 v53, v9 offset:184
.LBB92_639:
	s_or_b64 exec, exec, s[0:1]
	v_cmp_lt_i32_e32 vcc, 37, v57
	s_waitcnt lgkmcnt(0)
	s_barrier
	s_and_saveexec_b64 s[0:1], vcc
	s_cbranch_execz .LBB92_641
; %bb.640:
	ds_read_b32 v54, v53 offset:152
	ds_read2_b32 v[60:61], v53 offset0:39 offset1:40
	ds_read2_b32 v[62:63], v53 offset0:41 offset1:42
	;; [unrolled: 1-line block ×4, first 2 shown]
	v_mul_f32_e32 v14, v56, v14
	s_waitcnt vmcnt(8) lgkmcnt(4)
	v_fma_f32 v15, -v14, v54, v15
	s_waitcnt vmcnt(6) lgkmcnt(3)
	v_pk_fma_f32 v[0:1], v[14:15], v[60:61], v[0:1] op_sel_hi:[0,1,1] neg_lo:[1,0,0] neg_hi:[1,0,0]
	s_waitcnt vmcnt(4) lgkmcnt(2)
	v_pk_fma_f32 v[20:21], v[14:15], v[62:63], v[20:21] op_sel_hi:[0,1,1] neg_lo:[1,0,0] neg_hi:[1,0,0]
	;; [unrolled: 2-line block ×4, first 2 shown]
.LBB92_641:
	s_or_b64 exec, exec, s[0:1]
	v_lshl_add_u32 v54, v57, 2, v53
	s_barrier
	s_waitcnt vmcnt(8)
	ds_write_b32 v54, v15
	s_waitcnt lgkmcnt(0)
	s_barrier
	ds_read_b32 v56, v53 offset:152
	s_cmp_lt_i32 s22, 40
	v_mov_b32_e32 v54, 38
	s_cbranch_scc1 .LBB92_644
; %bb.642:
	v_add_u32_e32 v59, 0x9c, v53
	v_mov_b32_e32 v54, 38
	s_mov_b32 s0, 39
.LBB92_643:                             ; =>This Inner Loop Header: Depth=1
	ds_read_b32 v60, v59
	v_mov_b32_e32 v61, s0
	s_add_i32 s0, s0, 1
	v_add_u32_e32 v59, 4, v59
	s_cmp_lg_u32 s22, s0
	s_waitcnt lgkmcnt(0)
	v_cmp_lt_f32_e64 vcc, |v56|, |v60|
	s_nop 1
	v_cndmask_b32_e32 v56, v56, v60, vcc
	v_cndmask_b32_e32 v54, v54, v61, vcc
	s_cbranch_scc1 .LBB92_643
.LBB92_644:
	s_waitcnt lgkmcnt(0)
	v_cmp_eq_f32_e32 vcc, 0, v56
	s_and_saveexec_b64 s[0:1], vcc
	s_xor_b64 s[0:1], exec, s[0:1]
; %bb.645:
	v_cmp_ne_u32_e32 vcc, 0, v58
	s_nop 1
	v_cndmask_b32_e32 v58, 39, v58, vcc
; %bb.646:
	s_andn2_saveexec_b64 s[0:1], s[0:1]
	s_cbranch_execz .LBB92_648
; %bb.647:
	v_div_scale_f32 v59, s[2:3], v56, v56, 1.0
	v_rcp_f32_e32 v60, v59
	v_div_scale_f32 v61, vcc, 1.0, v56, 1.0
	v_fma_f32 v62, -v59, v60, 1.0
	v_fmac_f32_e32 v60, v62, v60
	v_mul_f32_e32 v62, v61, v60
	v_fma_f32 v63, -v59, v62, v61
	v_fmac_f32_e32 v62, v63, v60
	v_fma_f32 v59, -v59, v62, v61
	v_div_fmas_f32 v59, v59, v60, v62
	v_div_fixup_f32 v56, v59, v56, 1.0
.LBB92_648:
	s_or_b64 exec, exec, s[0:1]
	v_cmp_ne_u32_e32 vcc, v57, v54
	s_and_saveexec_b64 s[0:1], vcc
	s_xor_b64 s[0:1], exec, s[0:1]
	s_cbranch_execz .LBB92_654
; %bb.649:
	v_cmp_eq_u32_e32 vcc, 38, v57
	s_and_saveexec_b64 s[2:3], vcc
	s_cbranch_execz .LBB92_653
; %bb.650:
	v_cmp_ne_u32_e32 vcc, 38, v54
	s_xor_b64 s[12:13], s[20:21], -1
	s_and_b64 s[14:15], s[12:13], vcc
	s_and_saveexec_b64 s[12:13], s[14:15]
	s_cbranch_execz .LBB92_652
; %bb.651:
	v_ashrrev_i32_e32 v55, 31, v54
	v_lshl_add_u64 v[60:61], v[54:55], 2, v[4:5]
	global_load_dword v55, v[60:61], off
	global_load_dword v57, v[4:5], off offset:152
	s_waitcnt vmcnt(1)
	global_store_dword v[4:5], v55, off offset:152
	s_waitcnt vmcnt(1)
	global_store_dword v[60:61], v57, off
.LBB92_652:
	s_or_b64 exec, exec, s[12:13]
	v_mov_b32_e32 v55, v54
	v_mov_b32_e32 v57, v54
.LBB92_653:
	s_or_b64 exec, exec, s[2:3]
.LBB92_654:
	s_andn2_saveexec_b64 s[0:1], s[0:1]
	s_cbranch_execz .LBB92_656
; %bb.655:
	v_mov_b32_e32 v57, 38
	s_waitcnt vmcnt(6)
	ds_write2_b32 v53, v0, v1 offset0:39 offset1:40
	s_waitcnt vmcnt(4)
	ds_write2_b32 v53, v20, v21 offset0:41 offset1:42
	;; [unrolled: 2-line block ×4, first 2 shown]
.LBB92_656:
	s_or_b64 exec, exec, s[0:1]
	v_cmp_lt_i32_e32 vcc, 38, v57
	s_waitcnt lgkmcnt(0)
	s_barrier
	s_and_saveexec_b64 s[0:1], vcc
	s_cbranch_execz .LBB92_658
; %bb.657:
	ds_read2_b32 v[60:61], v53 offset0:39 offset1:40
	ds_read2_b32 v[62:63], v53 offset0:41 offset1:42
	;; [unrolled: 1-line block ×4, first 2 shown]
	v_mul_f32_e32 v54, v56, v15
	s_waitcnt vmcnt(6) lgkmcnt(3)
	v_pk_fma_f32 v[0:1], v[54:55], v[60:61], v[0:1] op_sel_hi:[0,1,1] neg_lo:[1,0,0] neg_hi:[1,0,0]
	s_waitcnt vmcnt(4) lgkmcnt(2)
	v_pk_fma_f32 v[20:21], v[54:55], v[62:63], v[20:21] op_sel_hi:[0,1,1] neg_lo:[1,0,0] neg_hi:[1,0,0]
	;; [unrolled: 2-line block ×4, first 2 shown]
	v_mov_b32_e32 v15, v54
.LBB92_658:
	s_or_b64 exec, exec, s[0:1]
	v_lshl_add_u32 v54, v57, 2, v53
	s_barrier
	s_waitcnt vmcnt(7)
	ds_write_b32 v54, v0
	s_waitcnt lgkmcnt(0)
	s_barrier
	ds_read_b32 v56, v53 offset:156
	s_cmp_lt_i32 s22, 41
	v_mov_b32_e32 v54, 39
	s_cbranch_scc1 .LBB92_661
; %bb.659:
	v_add_u32_e32 v59, 0xa0, v53
	v_mov_b32_e32 v54, 39
	s_mov_b32 s0, 40
.LBB92_660:                             ; =>This Inner Loop Header: Depth=1
	ds_read_b32 v60, v59
	v_mov_b32_e32 v61, s0
	s_add_i32 s0, s0, 1
	v_add_u32_e32 v59, 4, v59
	s_cmp_lg_u32 s22, s0
	s_waitcnt lgkmcnt(0)
	v_cmp_lt_f32_e64 vcc, |v56|, |v60|
	s_nop 1
	v_cndmask_b32_e32 v56, v56, v60, vcc
	v_cndmask_b32_e32 v54, v54, v61, vcc
	s_cbranch_scc1 .LBB92_660
.LBB92_661:
	s_waitcnt lgkmcnt(0)
	v_cmp_eq_f32_e32 vcc, 0, v56
	s_and_saveexec_b64 s[0:1], vcc
	s_xor_b64 s[0:1], exec, s[0:1]
; %bb.662:
	v_cmp_ne_u32_e32 vcc, 0, v58
	s_nop 1
	v_cndmask_b32_e32 v58, 40, v58, vcc
; %bb.663:
	s_andn2_saveexec_b64 s[0:1], s[0:1]
	s_cbranch_execz .LBB92_665
; %bb.664:
	v_div_scale_f32 v59, s[2:3], v56, v56, 1.0
	v_rcp_f32_e32 v60, v59
	v_div_scale_f32 v61, vcc, 1.0, v56, 1.0
	v_fma_f32 v62, -v59, v60, 1.0
	v_fmac_f32_e32 v60, v62, v60
	v_mul_f32_e32 v62, v61, v60
	v_fma_f32 v63, -v59, v62, v61
	v_fmac_f32_e32 v62, v63, v60
	v_fma_f32 v59, -v59, v62, v61
	v_div_fmas_f32 v59, v59, v60, v62
	v_div_fixup_f32 v56, v59, v56, 1.0
.LBB92_665:
	s_or_b64 exec, exec, s[0:1]
	v_cmp_ne_u32_e32 vcc, v57, v54
	s_and_saveexec_b64 s[0:1], vcc
	s_xor_b64 s[0:1], exec, s[0:1]
	s_cbranch_execz .LBB92_671
; %bb.666:
	v_cmp_eq_u32_e32 vcc, 39, v57
	s_and_saveexec_b64 s[2:3], vcc
	s_cbranch_execz .LBB92_670
; %bb.667:
	v_cmp_ne_u32_e32 vcc, 39, v54
	s_xor_b64 s[12:13], s[20:21], -1
	s_and_b64 s[14:15], s[12:13], vcc
	s_and_saveexec_b64 s[12:13], s[14:15]
	s_cbranch_execz .LBB92_669
; %bb.668:
	v_ashrrev_i32_e32 v55, 31, v54
	v_lshl_add_u64 v[60:61], v[54:55], 2, v[4:5]
	global_load_dword v55, v[60:61], off
	global_load_dword v57, v[4:5], off offset:156
	s_waitcnt vmcnt(1)
	global_store_dword v[4:5], v55, off offset:156
	s_waitcnt vmcnt(1)
	global_store_dword v[60:61], v57, off
.LBB92_669:
	s_or_b64 exec, exec, s[12:13]
	v_mov_b32_e32 v55, v54
	v_mov_b32_e32 v57, v54
.LBB92_670:
	s_or_b64 exec, exec, s[2:3]
.LBB92_671:
	s_andn2_saveexec_b64 s[0:1], s[0:1]
	s_cbranch_execz .LBB92_673
; %bb.672:
	s_waitcnt vmcnt(4)
	v_pk_mov_b32 v[60:61], v[0:1], v[20:21] op_sel:[1,0]
	ds_write2_b32 v53, v60, v61 offset0:40 offset1:41
	s_waitcnt vmcnt(2)
	v_pk_mov_b32 v[60:61], v[20:21], v[12:13] op_sel:[1,0]
	ds_write2_b32 v53, v60, v61 offset0:42 offset1:43
	s_waitcnt vmcnt(0)
	v_pk_mov_b32 v[60:61], v[12:13], v[8:9] op_sel:[1,0]
	v_mov_b32_e32 v57, 39
	ds_write2_b32 v53, v60, v61 offset0:44 offset1:45
	ds_write_b32 v53, v9 offset:184
.LBB92_673:
	s_or_b64 exec, exec, s[0:1]
	v_cmp_lt_i32_e32 vcc, 39, v57
	s_waitcnt lgkmcnt(0)
	s_barrier
	s_and_saveexec_b64 s[0:1], vcc
	s_cbranch_execz .LBB92_675
; %bb.674:
	ds_read_b32 v54, v53 offset:160
	ds_read2_b32 v[60:61], v53 offset0:41 offset1:42
	ds_read2_b32 v[62:63], v53 offset0:43 offset1:44
	;; [unrolled: 1-line block ×3, first 2 shown]
	v_mul_f32_e32 v0, v56, v0
	s_waitcnt vmcnt(6) lgkmcnt(3)
	v_fma_f32 v1, -v0, v54, v1
	s_waitcnt vmcnt(4) lgkmcnt(2)
	v_pk_fma_f32 v[20:21], v[0:1], v[60:61], v[20:21] op_sel_hi:[0,1,1] neg_lo:[1,0,0] neg_hi:[1,0,0]
	s_waitcnt vmcnt(2) lgkmcnt(1)
	v_pk_fma_f32 v[12:13], v[0:1], v[62:63], v[12:13] op_sel_hi:[0,1,1] neg_lo:[1,0,0] neg_hi:[1,0,0]
	;; [unrolled: 2-line block ×3, first 2 shown]
.LBB92_675:
	s_or_b64 exec, exec, s[0:1]
	v_lshl_add_u32 v54, v57, 2, v53
	s_barrier
	s_waitcnt vmcnt(6)
	ds_write_b32 v54, v1
	s_waitcnt lgkmcnt(0)
	s_barrier
	ds_read_b32 v56, v53 offset:160
	s_cmp_lt_i32 s22, 42
	v_mov_b32_e32 v54, 40
	s_cbranch_scc1 .LBB92_678
; %bb.676:
	v_add_u32_e32 v59, 0xa4, v53
	v_mov_b32_e32 v54, 40
	s_mov_b32 s0, 41
.LBB92_677:                             ; =>This Inner Loop Header: Depth=1
	ds_read_b32 v60, v59
	v_mov_b32_e32 v61, s0
	s_add_i32 s0, s0, 1
	v_add_u32_e32 v59, 4, v59
	s_cmp_lg_u32 s22, s0
	s_waitcnt lgkmcnt(0)
	v_cmp_lt_f32_e64 vcc, |v56|, |v60|
	s_nop 1
	v_cndmask_b32_e32 v56, v56, v60, vcc
	v_cndmask_b32_e32 v54, v54, v61, vcc
	s_cbranch_scc1 .LBB92_677
.LBB92_678:
	s_waitcnt lgkmcnt(0)
	v_cmp_eq_f32_e32 vcc, 0, v56
	s_and_saveexec_b64 s[0:1], vcc
	s_xor_b64 s[0:1], exec, s[0:1]
; %bb.679:
	v_cmp_ne_u32_e32 vcc, 0, v58
	s_nop 1
	v_cndmask_b32_e32 v58, 41, v58, vcc
; %bb.680:
	s_andn2_saveexec_b64 s[0:1], s[0:1]
	s_cbranch_execz .LBB92_682
; %bb.681:
	v_div_scale_f32 v59, s[2:3], v56, v56, 1.0
	v_rcp_f32_e32 v60, v59
	v_div_scale_f32 v61, vcc, 1.0, v56, 1.0
	v_fma_f32 v62, -v59, v60, 1.0
	v_fmac_f32_e32 v60, v62, v60
	v_mul_f32_e32 v62, v61, v60
	v_fma_f32 v63, -v59, v62, v61
	v_fmac_f32_e32 v62, v63, v60
	v_fma_f32 v59, -v59, v62, v61
	v_div_fmas_f32 v59, v59, v60, v62
	v_div_fixup_f32 v56, v59, v56, 1.0
.LBB92_682:
	s_or_b64 exec, exec, s[0:1]
	v_cmp_ne_u32_e32 vcc, v57, v54
	s_and_saveexec_b64 s[0:1], vcc
	s_xor_b64 s[0:1], exec, s[0:1]
	s_cbranch_execz .LBB92_688
; %bb.683:
	v_cmp_eq_u32_e32 vcc, 40, v57
	s_and_saveexec_b64 s[2:3], vcc
	s_cbranch_execz .LBB92_687
; %bb.684:
	v_cmp_ne_u32_e32 vcc, 40, v54
	s_xor_b64 s[12:13], s[20:21], -1
	s_and_b64 s[14:15], s[12:13], vcc
	s_and_saveexec_b64 s[12:13], s[14:15]
	s_cbranch_execz .LBB92_686
; %bb.685:
	v_ashrrev_i32_e32 v55, 31, v54
	v_lshl_add_u64 v[60:61], v[54:55], 2, v[4:5]
	global_load_dword v55, v[60:61], off
	global_load_dword v57, v[4:5], off offset:160
	s_waitcnt vmcnt(1)
	global_store_dword v[4:5], v55, off offset:160
	s_waitcnt vmcnt(1)
	global_store_dword v[60:61], v57, off
.LBB92_686:
	s_or_b64 exec, exec, s[12:13]
	v_mov_b32_e32 v55, v54
	v_mov_b32_e32 v57, v54
.LBB92_687:
	s_or_b64 exec, exec, s[2:3]
.LBB92_688:
	s_andn2_saveexec_b64 s[0:1], s[0:1]
	s_cbranch_execz .LBB92_690
; %bb.689:
	v_mov_b32_e32 v57, 40
	s_waitcnt vmcnt(4)
	ds_write2_b32 v53, v20, v21 offset0:41 offset1:42
	s_waitcnt vmcnt(2)
	ds_write2_b32 v53, v12, v13 offset0:43 offset1:44
	;; [unrolled: 2-line block ×3, first 2 shown]
.LBB92_690:
	s_or_b64 exec, exec, s[0:1]
	v_cmp_lt_i32_e32 vcc, 40, v57
	s_waitcnt lgkmcnt(0)
	s_barrier
	s_and_saveexec_b64 s[0:1], vcc
	s_cbranch_execz .LBB92_692
; %bb.691:
	ds_read2_b32 v[60:61], v53 offset0:41 offset1:42
	ds_read2_b32 v[62:63], v53 offset0:43 offset1:44
	;; [unrolled: 1-line block ×3, first 2 shown]
	v_mul_f32_e32 v54, v56, v1
	v_mov_b32_e32 v1, v54
	s_waitcnt vmcnt(4) lgkmcnt(2)
	v_pk_fma_f32 v[20:21], v[54:55], v[60:61], v[20:21] op_sel_hi:[0,1,1] neg_lo:[1,0,0] neg_hi:[1,0,0]
	s_waitcnt vmcnt(2) lgkmcnt(1)
	v_pk_fma_f32 v[12:13], v[54:55], v[62:63], v[12:13] op_sel_hi:[0,1,1] neg_lo:[1,0,0] neg_hi:[1,0,0]
	;; [unrolled: 2-line block ×3, first 2 shown]
.LBB92_692:
	s_or_b64 exec, exec, s[0:1]
	v_lshl_add_u32 v54, v57, 2, v53
	s_barrier
	s_waitcnt vmcnt(5)
	ds_write_b32 v54, v20
	s_waitcnt lgkmcnt(0)
	s_barrier
	ds_read_b32 v56, v53 offset:164
	s_cmp_lt_i32 s22, 43
	v_mov_b32_e32 v54, 41
	s_cbranch_scc1 .LBB92_695
; %bb.693:
	v_add_u32_e32 v59, 0xa8, v53
	v_mov_b32_e32 v54, 41
	s_mov_b32 s0, 42
.LBB92_694:                             ; =>This Inner Loop Header: Depth=1
	ds_read_b32 v60, v59
	v_mov_b32_e32 v61, s0
	s_add_i32 s0, s0, 1
	v_add_u32_e32 v59, 4, v59
	s_cmp_lg_u32 s22, s0
	s_waitcnt lgkmcnt(0)
	v_cmp_lt_f32_e64 vcc, |v56|, |v60|
	s_nop 1
	v_cndmask_b32_e32 v56, v56, v60, vcc
	v_cndmask_b32_e32 v54, v54, v61, vcc
	s_cbranch_scc1 .LBB92_694
.LBB92_695:
	s_waitcnt lgkmcnt(0)
	v_cmp_eq_f32_e32 vcc, 0, v56
	s_and_saveexec_b64 s[0:1], vcc
	s_xor_b64 s[0:1], exec, s[0:1]
; %bb.696:
	v_cmp_ne_u32_e32 vcc, 0, v58
	s_nop 1
	v_cndmask_b32_e32 v58, 42, v58, vcc
; %bb.697:
	s_andn2_saveexec_b64 s[0:1], s[0:1]
	s_cbranch_execz .LBB92_699
; %bb.698:
	v_div_scale_f32 v59, s[2:3], v56, v56, 1.0
	v_rcp_f32_e32 v60, v59
	v_div_scale_f32 v61, vcc, 1.0, v56, 1.0
	v_fma_f32 v62, -v59, v60, 1.0
	v_fmac_f32_e32 v60, v62, v60
	v_mul_f32_e32 v62, v61, v60
	v_fma_f32 v63, -v59, v62, v61
	v_fmac_f32_e32 v62, v63, v60
	v_fma_f32 v59, -v59, v62, v61
	v_div_fmas_f32 v59, v59, v60, v62
	v_div_fixup_f32 v56, v59, v56, 1.0
.LBB92_699:
	s_or_b64 exec, exec, s[0:1]
	v_cmp_ne_u32_e32 vcc, v57, v54
	s_and_saveexec_b64 s[0:1], vcc
	s_xor_b64 s[0:1], exec, s[0:1]
	s_cbranch_execz .LBB92_705
; %bb.700:
	v_cmp_eq_u32_e32 vcc, 41, v57
	s_and_saveexec_b64 s[2:3], vcc
	s_cbranch_execz .LBB92_704
; %bb.701:
	v_cmp_ne_u32_e32 vcc, 41, v54
	s_xor_b64 s[12:13], s[20:21], -1
	s_and_b64 s[14:15], s[12:13], vcc
	s_and_saveexec_b64 s[12:13], s[14:15]
	s_cbranch_execz .LBB92_703
; %bb.702:
	v_ashrrev_i32_e32 v55, 31, v54
	v_lshl_add_u64 v[60:61], v[54:55], 2, v[4:5]
	global_load_dword v55, v[60:61], off
	global_load_dword v57, v[4:5], off offset:164
	s_waitcnt vmcnt(1)
	global_store_dword v[4:5], v55, off offset:164
	s_waitcnt vmcnt(1)
	global_store_dword v[60:61], v57, off
.LBB92_703:
	s_or_b64 exec, exec, s[12:13]
	v_mov_b32_e32 v55, v54
	v_mov_b32_e32 v57, v54
.LBB92_704:
	s_or_b64 exec, exec, s[2:3]
.LBB92_705:
	s_andn2_saveexec_b64 s[0:1], s[0:1]
	s_cbranch_execz .LBB92_707
; %bb.706:
	s_waitcnt vmcnt(2)
	v_pk_mov_b32 v[60:61], v[20:21], v[12:13] op_sel:[1,0]
	ds_write2_b32 v53, v60, v61 offset0:42 offset1:43
	s_waitcnt vmcnt(0)
	v_pk_mov_b32 v[60:61], v[12:13], v[8:9] op_sel:[1,0]
	v_mov_b32_e32 v57, 41
	ds_write2_b32 v53, v60, v61 offset0:44 offset1:45
	ds_write_b32 v53, v9 offset:184
.LBB92_707:
	s_or_b64 exec, exec, s[0:1]
	v_cmp_lt_i32_e32 vcc, 41, v57
	s_waitcnt lgkmcnt(0)
	s_barrier
	s_and_saveexec_b64 s[0:1], vcc
	s_cbranch_execz .LBB92_709
; %bb.708:
	ds_read_b32 v54, v53 offset:168
	ds_read2_b32 v[60:61], v53 offset0:43 offset1:44
	ds_read2_b32 v[62:63], v53 offset0:45 offset1:46
	v_mul_f32_e32 v20, v56, v20
	s_waitcnt vmcnt(4) lgkmcnt(2)
	v_fma_f32 v21, -v20, v54, v21
	s_waitcnt vmcnt(2) lgkmcnt(1)
	v_pk_fma_f32 v[12:13], v[20:21], v[60:61], v[12:13] op_sel_hi:[0,1,1] neg_lo:[1,0,0] neg_hi:[1,0,0]
	s_waitcnt vmcnt(0) lgkmcnt(0)
	v_pk_fma_f32 v[8:9], v[20:21], v[62:63], v[8:9] op_sel_hi:[0,1,1] neg_lo:[1,0,0] neg_hi:[1,0,0]
.LBB92_709:
	s_or_b64 exec, exec, s[0:1]
	v_lshl_add_u32 v54, v57, 2, v53
	s_barrier
	s_waitcnt vmcnt(4)
	ds_write_b32 v54, v21
	s_waitcnt lgkmcnt(0)
	s_barrier
	ds_read_b32 v56, v53 offset:168
	s_cmp_lt_i32 s22, 44
	v_mov_b32_e32 v54, 42
	s_cbranch_scc1 .LBB92_712
; %bb.710:
	v_add_u32_e32 v59, 0xac, v53
	v_mov_b32_e32 v54, 42
	s_mov_b32 s0, 43
.LBB92_711:                             ; =>This Inner Loop Header: Depth=1
	ds_read_b32 v60, v59
	v_mov_b32_e32 v61, s0
	s_add_i32 s0, s0, 1
	v_add_u32_e32 v59, 4, v59
	s_cmp_lg_u32 s22, s0
	s_waitcnt lgkmcnt(0)
	v_cmp_lt_f32_e64 vcc, |v56|, |v60|
	s_nop 1
	v_cndmask_b32_e32 v56, v56, v60, vcc
	v_cndmask_b32_e32 v54, v54, v61, vcc
	s_cbranch_scc1 .LBB92_711
.LBB92_712:
	s_waitcnt lgkmcnt(0)
	v_cmp_eq_f32_e32 vcc, 0, v56
	s_and_saveexec_b64 s[0:1], vcc
	s_xor_b64 s[0:1], exec, s[0:1]
; %bb.713:
	v_cmp_ne_u32_e32 vcc, 0, v58
	s_nop 1
	v_cndmask_b32_e32 v58, 43, v58, vcc
; %bb.714:
	s_andn2_saveexec_b64 s[0:1], s[0:1]
	s_cbranch_execz .LBB92_716
; %bb.715:
	v_div_scale_f32 v59, s[2:3], v56, v56, 1.0
	v_rcp_f32_e32 v60, v59
	v_div_scale_f32 v61, vcc, 1.0, v56, 1.0
	v_fma_f32 v62, -v59, v60, 1.0
	v_fmac_f32_e32 v60, v62, v60
	v_mul_f32_e32 v62, v61, v60
	v_fma_f32 v63, -v59, v62, v61
	v_fmac_f32_e32 v62, v63, v60
	v_fma_f32 v59, -v59, v62, v61
	v_div_fmas_f32 v59, v59, v60, v62
	v_div_fixup_f32 v56, v59, v56, 1.0
.LBB92_716:
	s_or_b64 exec, exec, s[0:1]
	v_cmp_ne_u32_e32 vcc, v57, v54
	s_and_saveexec_b64 s[0:1], vcc
	s_xor_b64 s[0:1], exec, s[0:1]
	s_cbranch_execz .LBB92_722
; %bb.717:
	v_cmp_eq_u32_e32 vcc, 42, v57
	s_and_saveexec_b64 s[2:3], vcc
	s_cbranch_execz .LBB92_721
; %bb.718:
	v_cmp_ne_u32_e32 vcc, 42, v54
	s_xor_b64 s[12:13], s[20:21], -1
	s_and_b64 s[14:15], s[12:13], vcc
	s_and_saveexec_b64 s[12:13], s[14:15]
	s_cbranch_execz .LBB92_720
; %bb.719:
	v_ashrrev_i32_e32 v55, 31, v54
	v_lshl_add_u64 v[60:61], v[54:55], 2, v[4:5]
	global_load_dword v55, v[60:61], off
	global_load_dword v57, v[4:5], off offset:168
	s_waitcnt vmcnt(1)
	global_store_dword v[4:5], v55, off offset:168
	s_waitcnt vmcnt(1)
	global_store_dword v[60:61], v57, off
.LBB92_720:
	s_or_b64 exec, exec, s[12:13]
	v_mov_b32_e32 v55, v54
	v_mov_b32_e32 v57, v54
.LBB92_721:
	s_or_b64 exec, exec, s[2:3]
.LBB92_722:
	s_andn2_saveexec_b64 s[0:1], s[0:1]
	s_cbranch_execz .LBB92_724
; %bb.723:
	v_mov_b32_e32 v57, 42
	s_waitcnt vmcnt(2)
	ds_write2_b32 v53, v12, v13 offset0:43 offset1:44
	s_waitcnt vmcnt(0)
	ds_write2_b32 v53, v8, v9 offset0:45 offset1:46
.LBB92_724:
	s_or_b64 exec, exec, s[0:1]
	v_cmp_lt_i32_e32 vcc, 42, v57
	s_waitcnt lgkmcnt(0)
	s_barrier
	s_and_saveexec_b64 s[0:1], vcc
	s_cbranch_execz .LBB92_726
; %bb.725:
	ds_read2_b32 v[60:61], v53 offset0:43 offset1:44
	ds_read2_b32 v[62:63], v53 offset0:45 offset1:46
	v_mul_f32_e32 v54, v56, v21
	v_mov_b32_e32 v21, v54
	s_waitcnt vmcnt(2) lgkmcnt(1)
	v_pk_fma_f32 v[12:13], v[54:55], v[60:61], v[12:13] op_sel_hi:[0,1,1] neg_lo:[1,0,0] neg_hi:[1,0,0]
	s_waitcnt vmcnt(0) lgkmcnt(0)
	v_pk_fma_f32 v[8:9], v[54:55], v[62:63], v[8:9] op_sel_hi:[0,1,1] neg_lo:[1,0,0] neg_hi:[1,0,0]
.LBB92_726:
	s_or_b64 exec, exec, s[0:1]
	v_lshl_add_u32 v54, v57, 2, v53
	s_barrier
	s_waitcnt vmcnt(3)
	ds_write_b32 v54, v12
	s_waitcnt lgkmcnt(0)
	s_barrier
	ds_read_b32 v56, v53 offset:172
	s_cmp_lt_i32 s22, 45
	v_mov_b32_e32 v54, 43
	s_cbranch_scc1 .LBB92_729
; %bb.727:
	v_add_u32_e32 v59, 0xb0, v53
	v_mov_b32_e32 v54, 43
	s_mov_b32 s0, 44
.LBB92_728:                             ; =>This Inner Loop Header: Depth=1
	ds_read_b32 v60, v59
	v_mov_b32_e32 v61, s0
	s_add_i32 s0, s0, 1
	v_add_u32_e32 v59, 4, v59
	s_cmp_lg_u32 s22, s0
	s_waitcnt lgkmcnt(0)
	v_cmp_lt_f32_e64 vcc, |v56|, |v60|
	s_nop 1
	v_cndmask_b32_e32 v56, v56, v60, vcc
	v_cndmask_b32_e32 v54, v54, v61, vcc
	s_cbranch_scc1 .LBB92_728
.LBB92_729:
	s_waitcnt lgkmcnt(0)
	v_cmp_eq_f32_e32 vcc, 0, v56
	s_and_saveexec_b64 s[0:1], vcc
	s_xor_b64 s[0:1], exec, s[0:1]
; %bb.730:
	v_cmp_ne_u32_e32 vcc, 0, v58
	s_nop 1
	v_cndmask_b32_e32 v58, 44, v58, vcc
; %bb.731:
	s_andn2_saveexec_b64 s[0:1], s[0:1]
	s_cbranch_execz .LBB92_733
; %bb.732:
	v_div_scale_f32 v59, s[2:3], v56, v56, 1.0
	v_rcp_f32_e32 v60, v59
	v_div_scale_f32 v61, vcc, 1.0, v56, 1.0
	v_fma_f32 v62, -v59, v60, 1.0
	v_fmac_f32_e32 v60, v62, v60
	v_mul_f32_e32 v62, v61, v60
	v_fma_f32 v63, -v59, v62, v61
	v_fmac_f32_e32 v62, v63, v60
	v_fma_f32 v59, -v59, v62, v61
	v_div_fmas_f32 v59, v59, v60, v62
	v_div_fixup_f32 v56, v59, v56, 1.0
.LBB92_733:
	s_or_b64 exec, exec, s[0:1]
	v_cmp_ne_u32_e32 vcc, v57, v54
	s_and_saveexec_b64 s[0:1], vcc
	s_xor_b64 s[0:1], exec, s[0:1]
	s_cbranch_execz .LBB92_739
; %bb.734:
	v_cmp_eq_u32_e32 vcc, 43, v57
	s_and_saveexec_b64 s[2:3], vcc
	s_cbranch_execz .LBB92_738
; %bb.735:
	v_cmp_ne_u32_e32 vcc, 43, v54
	s_xor_b64 s[12:13], s[20:21], -1
	s_and_b64 s[14:15], s[12:13], vcc
	s_and_saveexec_b64 s[12:13], s[14:15]
	s_cbranch_execz .LBB92_737
; %bb.736:
	v_ashrrev_i32_e32 v55, 31, v54
	v_lshl_add_u64 v[60:61], v[54:55], 2, v[4:5]
	global_load_dword v55, v[60:61], off
	global_load_dword v57, v[4:5], off offset:172
	s_waitcnt vmcnt(1)
	global_store_dword v[4:5], v55, off offset:172
	s_waitcnt vmcnt(1)
	global_store_dword v[60:61], v57, off
.LBB92_737:
	s_or_b64 exec, exec, s[12:13]
	v_mov_b32_e32 v55, v54
	v_mov_b32_e32 v57, v54
.LBB92_738:
	s_or_b64 exec, exec, s[2:3]
.LBB92_739:
	s_andn2_saveexec_b64 s[0:1], s[0:1]
	s_cbranch_execz .LBB92_741
; %bb.740:
	s_waitcnt vmcnt(0)
	v_pk_mov_b32 v[60:61], v[12:13], v[8:9] op_sel:[1,0]
	v_mov_b32_e32 v57, 43
	ds_write2_b32 v53, v60, v61 offset0:44 offset1:45
	ds_write_b32 v53, v9 offset:184
.LBB92_741:
	s_or_b64 exec, exec, s[0:1]
	v_cmp_lt_i32_e32 vcc, 43, v57
	s_waitcnt lgkmcnt(0)
	s_barrier
	s_and_saveexec_b64 s[0:1], vcc
	s_cbranch_execz .LBB92_743
; %bb.742:
	ds_read_b32 v54, v53 offset:176
	ds_read2_b32 v[60:61], v53 offset0:45 offset1:46
	v_mul_f32_e32 v12, v56, v12
	s_waitcnt vmcnt(2) lgkmcnt(1)
	v_fma_f32 v13, -v12, v54, v13
	s_waitcnt vmcnt(0) lgkmcnt(0)
	v_pk_fma_f32 v[8:9], v[12:13], v[60:61], v[8:9] op_sel_hi:[0,1,1] neg_lo:[1,0,0] neg_hi:[1,0,0]
.LBB92_743:
	s_or_b64 exec, exec, s[0:1]
	v_lshl_add_u32 v54, v57, 2, v53
	s_barrier
	s_waitcnt vmcnt(2)
	ds_write_b32 v54, v13
	s_waitcnt lgkmcnt(0)
	s_barrier
	ds_read_b32 v56, v53 offset:176
	s_cmp_lt_i32 s22, 46
	v_mov_b32_e32 v54, 44
	s_cbranch_scc1 .LBB92_746
; %bb.744:
	v_add_u32_e32 v59, 0xb4, v53
	v_mov_b32_e32 v54, 44
	s_mov_b32 s0, 45
.LBB92_745:                             ; =>This Inner Loop Header: Depth=1
	ds_read_b32 v60, v59
	v_mov_b32_e32 v61, s0
	s_add_i32 s0, s0, 1
	v_add_u32_e32 v59, 4, v59
	s_cmp_lg_u32 s22, s0
	s_waitcnt lgkmcnt(0)
	v_cmp_lt_f32_e64 vcc, |v56|, |v60|
	s_nop 1
	v_cndmask_b32_e32 v56, v56, v60, vcc
	v_cndmask_b32_e32 v54, v54, v61, vcc
	s_cbranch_scc1 .LBB92_745
.LBB92_746:
	s_waitcnt lgkmcnt(0)
	v_cmp_eq_f32_e32 vcc, 0, v56
	s_and_saveexec_b64 s[0:1], vcc
	s_xor_b64 s[0:1], exec, s[0:1]
; %bb.747:
	v_cmp_ne_u32_e32 vcc, 0, v58
	s_nop 1
	v_cndmask_b32_e32 v58, 45, v58, vcc
; %bb.748:
	s_andn2_saveexec_b64 s[0:1], s[0:1]
	s_cbranch_execz .LBB92_750
; %bb.749:
	v_div_scale_f32 v59, s[2:3], v56, v56, 1.0
	v_rcp_f32_e32 v60, v59
	v_div_scale_f32 v61, vcc, 1.0, v56, 1.0
	v_fma_f32 v62, -v59, v60, 1.0
	v_fmac_f32_e32 v60, v62, v60
	v_mul_f32_e32 v62, v61, v60
	v_fma_f32 v63, -v59, v62, v61
	v_fmac_f32_e32 v62, v63, v60
	v_fma_f32 v59, -v59, v62, v61
	v_div_fmas_f32 v59, v59, v60, v62
	v_div_fixup_f32 v56, v59, v56, 1.0
.LBB92_750:
	s_or_b64 exec, exec, s[0:1]
	v_cmp_ne_u32_e32 vcc, v57, v54
	s_and_saveexec_b64 s[0:1], vcc
	s_xor_b64 s[0:1], exec, s[0:1]
	s_cbranch_execz .LBB92_756
; %bb.751:
	v_cmp_eq_u32_e32 vcc, 44, v57
	s_and_saveexec_b64 s[2:3], vcc
	s_cbranch_execz .LBB92_755
; %bb.752:
	v_cmp_ne_u32_e32 vcc, 44, v54
	s_xor_b64 s[12:13], s[20:21], -1
	s_and_b64 s[14:15], s[12:13], vcc
	s_and_saveexec_b64 s[12:13], s[14:15]
	s_cbranch_execz .LBB92_754
; %bb.753:
	v_ashrrev_i32_e32 v55, 31, v54
	v_lshl_add_u64 v[60:61], v[54:55], 2, v[4:5]
	global_load_dword v55, v[60:61], off
	global_load_dword v57, v[4:5], off offset:176
	s_waitcnt vmcnt(1)
	global_store_dword v[4:5], v55, off offset:176
	s_waitcnt vmcnt(1)
	global_store_dword v[60:61], v57, off
.LBB92_754:
	s_or_b64 exec, exec, s[12:13]
	v_mov_b32_e32 v55, v54
	v_mov_b32_e32 v57, v54
.LBB92_755:
	s_or_b64 exec, exec, s[2:3]
.LBB92_756:
	s_andn2_saveexec_b64 s[0:1], s[0:1]
	s_cbranch_execz .LBB92_758
; %bb.757:
	v_mov_b32_e32 v57, 44
	s_waitcnt vmcnt(0)
	ds_write2_b32 v53, v8, v9 offset0:45 offset1:46
.LBB92_758:
	s_or_b64 exec, exec, s[0:1]
	v_cmp_lt_i32_e32 vcc, 44, v57
	s_waitcnt lgkmcnt(0)
	s_barrier
	s_and_saveexec_b64 s[0:1], vcc
	s_cbranch_execz .LBB92_760
; %bb.759:
	ds_read2_b32 v[60:61], v53 offset0:45 offset1:46
	v_mul_f32_e32 v54, v56, v13
	v_mov_b32_e32 v13, v54
	s_waitcnt vmcnt(0) lgkmcnt(0)
	v_pk_fma_f32 v[8:9], v[54:55], v[60:61], v[8:9] op_sel_hi:[0,1,1] neg_lo:[1,0,0] neg_hi:[1,0,0]
.LBB92_760:
	s_or_b64 exec, exec, s[0:1]
	v_lshl_add_u32 v54, v57, 2, v53
	s_barrier
	s_waitcnt vmcnt(1)
	ds_write_b32 v54, v8
	s_waitcnt lgkmcnt(0)
	s_barrier
	ds_read_b32 v56, v53 offset:180
	s_cmp_lt_i32 s22, 47
	v_mov_b32_e32 v54, 45
	s_cbranch_scc1 .LBB92_763
; %bb.761:
	v_add_u32_e32 v59, 0xb8, v53
	v_mov_b32_e32 v54, 45
	s_mov_b32 s0, 46
.LBB92_762:                             ; =>This Inner Loop Header: Depth=1
	ds_read_b32 v60, v59
	v_mov_b32_e32 v61, s0
	s_add_i32 s0, s0, 1
	v_add_u32_e32 v59, 4, v59
	s_cmp_lg_u32 s22, s0
	s_waitcnt lgkmcnt(0)
	v_cmp_lt_f32_e64 vcc, |v56|, |v60|
	s_nop 1
	v_cndmask_b32_e32 v56, v56, v60, vcc
	v_cndmask_b32_e32 v54, v54, v61, vcc
	s_cbranch_scc1 .LBB92_762
.LBB92_763:
	s_waitcnt lgkmcnt(0)
	v_cmp_eq_f32_e32 vcc, 0, v56
	s_and_saveexec_b64 s[0:1], vcc
	s_xor_b64 s[0:1], exec, s[0:1]
; %bb.764:
	v_cmp_ne_u32_e32 vcc, 0, v58
	s_nop 1
	v_cndmask_b32_e32 v58, 46, v58, vcc
; %bb.765:
	s_andn2_saveexec_b64 s[0:1], s[0:1]
	s_cbranch_execz .LBB92_767
; %bb.766:
	v_div_scale_f32 v59, s[2:3], v56, v56, 1.0
	v_rcp_f32_e32 v60, v59
	v_div_scale_f32 v61, vcc, 1.0, v56, 1.0
	v_fma_f32 v62, -v59, v60, 1.0
	v_fmac_f32_e32 v60, v62, v60
	v_mul_f32_e32 v62, v61, v60
	v_fma_f32 v63, -v59, v62, v61
	v_fmac_f32_e32 v62, v63, v60
	v_fma_f32 v59, -v59, v62, v61
	v_div_fmas_f32 v59, v59, v60, v62
	v_div_fixup_f32 v56, v59, v56, 1.0
.LBB92_767:
	s_or_b64 exec, exec, s[0:1]
	v_cmp_ne_u32_e32 vcc, v57, v54
	s_and_saveexec_b64 s[0:1], vcc
	s_xor_b64 s[0:1], exec, s[0:1]
	s_cbranch_execz .LBB92_773
; %bb.768:
	v_cmp_eq_u32_e32 vcc, 45, v57
	s_and_saveexec_b64 s[2:3], vcc
	s_cbranch_execz .LBB92_772
; %bb.769:
	v_cmp_ne_u32_e32 vcc, 45, v54
	s_xor_b64 s[12:13], s[20:21], -1
	s_and_b64 s[14:15], s[12:13], vcc
	s_and_saveexec_b64 s[12:13], s[14:15]
	s_cbranch_execz .LBB92_771
; %bb.770:
	v_ashrrev_i32_e32 v55, 31, v54
	v_lshl_add_u64 v[60:61], v[54:55], 2, v[4:5]
	global_load_dword v55, v[60:61], off
	global_load_dword v57, v[4:5], off offset:180
	s_waitcnt vmcnt(1)
	global_store_dword v[4:5], v55, off offset:180
	s_waitcnt vmcnt(1)
	global_store_dword v[60:61], v57, off
.LBB92_771:
	s_or_b64 exec, exec, s[12:13]
	v_mov_b32_e32 v55, v54
	v_mov_b32_e32 v57, v54
.LBB92_772:
	s_or_b64 exec, exec, s[2:3]
.LBB92_773:
	s_andn2_saveexec_b64 s[0:1], s[0:1]
	s_cbranch_execz .LBB92_775
; %bb.774:
	v_mov_b32_e32 v57, 45
	s_waitcnt vmcnt(0)
	ds_write_b32 v53, v9 offset:184
.LBB92_775:
	s_or_b64 exec, exec, s[0:1]
	v_cmp_lt_i32_e32 vcc, 45, v57
	s_waitcnt lgkmcnt(0)
	s_barrier
	s_and_saveexec_b64 s[0:1], vcc
	s_cbranch_execz .LBB92_777
; %bb.776:
	ds_read_b32 v54, v53 offset:184
	v_mul_f32_e32 v8, v56, v8
	s_waitcnt vmcnt(0) lgkmcnt(0)
	v_fma_f32 v9, -v8, v54, v9
.LBB92_777:
	s_or_b64 exec, exec, s[0:1]
	v_lshl_add_u32 v54, v57, 2, v53
	s_barrier
	s_waitcnt vmcnt(0)
	ds_write_b32 v54, v9
	s_waitcnt lgkmcnt(0)
	s_barrier
	ds_read_b32 v59, v53 offset:184
	s_cmp_lt_i32 s22, 48
	v_mov_b32_e32 v54, 46
	s_cbranch_scc1 .LBB92_780
; %bb.778:
	v_add_u32_e32 v53, 0xbc, v53
	v_mov_b32_e32 v54, 46
	s_mov_b32 s0, 47
.LBB92_779:                             ; =>This Inner Loop Header: Depth=1
	ds_read_b32 v56, v53
	v_mov_b32_e32 v60, s0
	s_add_i32 s0, s0, 1
	v_add_u32_e32 v53, 4, v53
	s_cmp_lg_u32 s22, s0
	s_waitcnt lgkmcnt(0)
	v_cmp_lt_f32_e64 vcc, |v59|, |v56|
	s_nop 1
	v_cndmask_b32_e32 v59, v59, v56, vcc
	v_cndmask_b32_e32 v54, v54, v60, vcc
	s_cbranch_scc1 .LBB92_779
.LBB92_780:
	s_waitcnt lgkmcnt(0)
	v_cmp_eq_f32_e32 vcc, 0, v59
	s_and_saveexec_b64 s[0:1], vcc
	s_xor_b64 s[0:1], exec, s[0:1]
; %bb.781:
	v_cmp_ne_u32_e32 vcc, 0, v58
	s_nop 1
	v_cndmask_b32_e32 v58, 47, v58, vcc
; %bb.782:
	s_andn2_saveexec_b64 s[0:1], s[0:1]
	s_cbranch_execz .LBB92_784
; %bb.783:
	v_div_scale_f32 v53, s[2:3], v59, v59, 1.0
	v_rcp_f32_e32 v56, v53
	v_div_scale_f32 v60, vcc, 1.0, v59, 1.0
	v_fma_f32 v61, -v53, v56, 1.0
	v_fmac_f32_e32 v56, v61, v56
	v_mul_f32_e32 v61, v60, v56
	v_fma_f32 v62, -v53, v61, v60
	v_fmac_f32_e32 v61, v62, v56
	v_fma_f32 v53, -v53, v61, v60
	v_div_fmas_f32 v53, v53, v56, v61
	v_div_fixup_f32 v59, v53, v59, 1.0
.LBB92_784:
	s_or_b64 exec, exec, s[0:1]
	v_cmp_ne_u32_e32 vcc, v57, v54
	v_mov_b32_e32 v56, 46
	s_and_saveexec_b64 s[0:1], vcc
	s_cbranch_execz .LBB92_790
; %bb.785:
	v_cmp_eq_u32_e32 vcc, 46, v57
	s_and_saveexec_b64 s[2:3], vcc
	s_cbranch_execz .LBB92_789
; %bb.786:
	v_cmp_ne_u32_e32 vcc, 46, v54
	s_xor_b64 s[12:13], s[20:21], -1
	s_and_b64 s[14:15], s[12:13], vcc
	s_and_saveexec_b64 s[12:13], s[14:15]
	s_cbranch_execz .LBB92_788
; %bb.787:
	v_ashrrev_i32_e32 v55, 31, v54
	v_lshl_add_u64 v[56:57], v[54:55], 2, v[4:5]
	global_load_dword v53, v[56:57], off
	global_load_dword v55, v[4:5], off offset:184
	s_waitcnt vmcnt(1)
	global_store_dword v[4:5], v53, off offset:184
	s_waitcnt vmcnt(1)
	global_store_dword v[56:57], v55, off
.LBB92_788:
	s_or_b64 exec, exec, s[12:13]
	v_mov_b32_e32 v55, v54
	v_mov_b32_e32 v57, v54
.LBB92_789:
	s_or_b64 exec, exec, s[2:3]
	v_mov_b32_e32 v56, v57
.LBB92_790:
	s_or_b64 exec, exec, s[0:1]
	v_cmp_gt_i32_e32 vcc, 47, v56
	v_ashrrev_i32_e32 v57, 31, v56
	s_barrier
	s_barrier
	s_and_saveexec_b64 s[0:1], vcc
	s_cbranch_execz .LBB92_792
; %bb.791:
	v_mul_lo_u32 v53, s11, v2
	v_mul_lo_u32 v54, s10, v3
	v_mad_u64_u32 v[60:61], s[2:3], s10, v2, 0
	v_mov_b32_e32 v4, s6
	v_mov_b32_e32 v5, s7
	v_add3_u32 v61, v61, v54, v53
	v_lshl_add_u64 v[4:5], v[60:61], 2, v[4:5]
	v_lshl_add_u64 v[4:5], s[8:9], 2, v[4:5]
	;; [unrolled: 1-line block ×3, first 2 shown]
	v_add3_u32 v53, v55, s19, 1
	global_store_dword v[4:5], v53, off
.LBB92_792:
	s_or_b64 exec, exec, s[0:1]
	v_cmp_eq_u32_e32 vcc, 0, v56
	s_and_saveexec_b64 s[2:3], vcc
	s_cbranch_execz .LBB92_795
; %bb.793:
	v_mov_b32_e32 v4, s4
	v_mov_b32_e32 v5, s5
	v_lshl_add_u64 v[2:3], v[2:3], 2, v[4:5]
	global_load_dword v4, v[2:3], off
	v_cmp_ne_u32_e64 s[0:1], 0, v58
	s_waitcnt vmcnt(0)
	v_cmp_eq_u32_e32 vcc, 0, v4
	s_and_b64 s[0:1], vcc, s[0:1]
	s_and_b64 exec, exec, s[0:1]
	s_cbranch_execz .LBB92_795
; %bb.794:
	v_add_u32_e32 v4, s19, v58
	global_store_dword v[2:3], v4, off
.LBB92_795:
	s_or_b64 exec, exec, s[2:3]
	v_mul_f32_e32 v2, v59, v9
	v_cmp_lt_i32_e32 vcc, 46, v56
	s_nop 1
	v_cndmask_b32_e32 v9, v9, v2, vcc
	v_lshl_add_u64 v[2:3], v[56:57], 2, v[6:7]
	global_store_dword v[2:3], v52, off
	v_lshl_add_u64 v[2:3], s[16:17], 2, v[2:3]
	global_store_dword v[2:3], v50, off
	v_add_u32_e32 v2, s18, v56
	v_ashrrev_i32_e32 v3, 31, v2
	v_lshl_add_u64 v[4:5], v[2:3], 2, v[6:7]
	v_add_u32_e32 v2, s16, v2
	v_ashrrev_i32_e32 v3, 31, v2
	global_store_dword v[4:5], v51, off
	v_lshl_add_u64 v[4:5], v[2:3], 2, v[6:7]
	v_add_u32_e32 v2, s16, v2
	v_ashrrev_i32_e32 v3, 31, v2
	global_store_dword v[4:5], v46, off
	;; [unrolled: 4-line block ×38, first 2 shown]
	v_lshl_add_u64 v[4:5], v[2:3], 2, v[6:7]
	v_add_u32_e32 v0, s16, v2
	global_store_dword v[4:5], v1, off
	v_ashrrev_i32_e32 v1, 31, v0
	v_lshl_add_u64 v[2:3], v[0:1], 2, v[6:7]
	v_add_u32_e32 v0, s16, v0
	v_ashrrev_i32_e32 v1, 31, v0
	global_store_dword v[2:3], v20, off
	v_lshl_add_u64 v[2:3], v[0:1], 2, v[6:7]
	v_add_u32_e32 v0, s16, v0
	v_ashrrev_i32_e32 v1, 31, v0
	global_store_dword v[2:3], v21, off
	;; [unrolled: 4-line block ×4, first 2 shown]
	v_lshl_add_u64 v[2:3], v[0:1], 2, v[6:7]
	v_add_u32_e32 v0, s16, v0
	v_ashrrev_i32_e32 v1, 31, v0
	v_lshl_add_u64 v[0:1], v[0:1], 2, v[6:7]
	global_store_dword v[2:3], v8, off
	global_store_dword v[0:1], v9, off
.LBB92_796:
	s_endpgm
	.section	.rodata,"a",@progbits
	.p2align	6, 0x0
	.amdhsa_kernel _ZN9rocsolver6v33100L18getf2_small_kernelILi47EfiiPfEEvT1_T3_lS3_lPS3_llPT2_S3_S3_S5_l
		.amdhsa_group_segment_fixed_size 0
		.amdhsa_private_segment_fixed_size 0
		.amdhsa_kernarg_size 352
		.amdhsa_user_sgpr_count 2
		.amdhsa_user_sgpr_dispatch_ptr 0
		.amdhsa_user_sgpr_queue_ptr 0
		.amdhsa_user_sgpr_kernarg_segment_ptr 1
		.amdhsa_user_sgpr_dispatch_id 0
		.amdhsa_user_sgpr_kernarg_preload_length 0
		.amdhsa_user_sgpr_kernarg_preload_offset 0
		.amdhsa_user_sgpr_private_segment_size 0
		.amdhsa_uses_dynamic_stack 0
		.amdhsa_enable_private_segment 0
		.amdhsa_system_sgpr_workgroup_id_x 1
		.amdhsa_system_sgpr_workgroup_id_y 1
		.amdhsa_system_sgpr_workgroup_id_z 0
		.amdhsa_system_sgpr_workgroup_info 0
		.amdhsa_system_vgpr_workitem_id 1
		.amdhsa_next_free_vgpr 72
		.amdhsa_next_free_sgpr 26
		.amdhsa_accum_offset 72
		.amdhsa_reserve_vcc 1
		.amdhsa_float_round_mode_32 0
		.amdhsa_float_round_mode_16_64 0
		.amdhsa_float_denorm_mode_32 3
		.amdhsa_float_denorm_mode_16_64 3
		.amdhsa_dx10_clamp 1
		.amdhsa_ieee_mode 1
		.amdhsa_fp16_overflow 0
		.amdhsa_tg_split 0
		.amdhsa_exception_fp_ieee_invalid_op 0
		.amdhsa_exception_fp_denorm_src 0
		.amdhsa_exception_fp_ieee_div_zero 0
		.amdhsa_exception_fp_ieee_overflow 0
		.amdhsa_exception_fp_ieee_underflow 0
		.amdhsa_exception_fp_ieee_inexact 0
		.amdhsa_exception_int_div_zero 0
	.end_amdhsa_kernel
	.section	.text._ZN9rocsolver6v33100L18getf2_small_kernelILi47EfiiPfEEvT1_T3_lS3_lPS3_llPT2_S3_S3_S5_l,"axG",@progbits,_ZN9rocsolver6v33100L18getf2_small_kernelILi47EfiiPfEEvT1_T3_lS3_lPS3_llPT2_S3_S3_S5_l,comdat
.Lfunc_end92:
	.size	_ZN9rocsolver6v33100L18getf2_small_kernelILi47EfiiPfEEvT1_T3_lS3_lPS3_llPT2_S3_S3_S5_l, .Lfunc_end92-_ZN9rocsolver6v33100L18getf2_small_kernelILi47EfiiPfEEvT1_T3_lS3_lPS3_llPT2_S3_S3_S5_l
                                        ; -- End function
	.set _ZN9rocsolver6v33100L18getf2_small_kernelILi47EfiiPfEEvT1_T3_lS3_lPS3_llPT2_S3_S3_S5_l.num_vgpr, 72
	.set _ZN9rocsolver6v33100L18getf2_small_kernelILi47EfiiPfEEvT1_T3_lS3_lPS3_llPT2_S3_S3_S5_l.num_agpr, 0
	.set _ZN9rocsolver6v33100L18getf2_small_kernelILi47EfiiPfEEvT1_T3_lS3_lPS3_llPT2_S3_S3_S5_l.numbered_sgpr, 26
	.set _ZN9rocsolver6v33100L18getf2_small_kernelILi47EfiiPfEEvT1_T3_lS3_lPS3_llPT2_S3_S3_S5_l.num_named_barrier, 0
	.set _ZN9rocsolver6v33100L18getf2_small_kernelILi47EfiiPfEEvT1_T3_lS3_lPS3_llPT2_S3_S3_S5_l.private_seg_size, 0
	.set _ZN9rocsolver6v33100L18getf2_small_kernelILi47EfiiPfEEvT1_T3_lS3_lPS3_llPT2_S3_S3_S5_l.uses_vcc, 1
	.set _ZN9rocsolver6v33100L18getf2_small_kernelILi47EfiiPfEEvT1_T3_lS3_lPS3_llPT2_S3_S3_S5_l.uses_flat_scratch, 0
	.set _ZN9rocsolver6v33100L18getf2_small_kernelILi47EfiiPfEEvT1_T3_lS3_lPS3_llPT2_S3_S3_S5_l.has_dyn_sized_stack, 0
	.set _ZN9rocsolver6v33100L18getf2_small_kernelILi47EfiiPfEEvT1_T3_lS3_lPS3_llPT2_S3_S3_S5_l.has_recursion, 0
	.set _ZN9rocsolver6v33100L18getf2_small_kernelILi47EfiiPfEEvT1_T3_lS3_lPS3_llPT2_S3_S3_S5_l.has_indirect_call, 0
	.section	.AMDGPU.csdata,"",@progbits
; Kernel info:
; codeLenInByte = 40764
; TotalNumSgprs: 32
; NumVgprs: 72
; NumAgprs: 0
; TotalNumVgprs: 72
; ScratchSize: 0
; MemoryBound: 0
; FloatMode: 240
; IeeeMode: 1
; LDSByteSize: 0 bytes/workgroup (compile time only)
; SGPRBlocks: 3
; VGPRBlocks: 8
; NumSGPRsForWavesPerEU: 32
; NumVGPRsForWavesPerEU: 72
; AccumOffset: 72
; Occupancy: 7
; WaveLimiterHint : 0
; COMPUTE_PGM_RSRC2:SCRATCH_EN: 0
; COMPUTE_PGM_RSRC2:USER_SGPR: 2
; COMPUTE_PGM_RSRC2:TRAP_HANDLER: 0
; COMPUTE_PGM_RSRC2:TGID_X_EN: 1
; COMPUTE_PGM_RSRC2:TGID_Y_EN: 1
; COMPUTE_PGM_RSRC2:TGID_Z_EN: 0
; COMPUTE_PGM_RSRC2:TIDIG_COMP_CNT: 1
; COMPUTE_PGM_RSRC3_GFX90A:ACCUM_OFFSET: 17
; COMPUTE_PGM_RSRC3_GFX90A:TG_SPLIT: 0
	.section	.text._ZN9rocsolver6v33100L23getf2_npvt_small_kernelILi47EfiiPfEEvT1_T3_lS3_lPT2_S3_S3_,"axG",@progbits,_ZN9rocsolver6v33100L23getf2_npvt_small_kernelILi47EfiiPfEEvT1_T3_lS3_lPT2_S3_S3_,comdat
	.globl	_ZN9rocsolver6v33100L23getf2_npvt_small_kernelILi47EfiiPfEEvT1_T3_lS3_lPT2_S3_S3_ ; -- Begin function _ZN9rocsolver6v33100L23getf2_npvt_small_kernelILi47EfiiPfEEvT1_T3_lS3_lPT2_S3_S3_
	.p2align	8
	.type	_ZN9rocsolver6v33100L23getf2_npvt_small_kernelILi47EfiiPfEEvT1_T3_lS3_lPT2_S3_S3_,@function
_ZN9rocsolver6v33100L23getf2_npvt_small_kernelILi47EfiiPfEEvT1_T3_lS3_lPT2_S3_S3_: ; @_ZN9rocsolver6v33100L23getf2_npvt_small_kernelILi47EfiiPfEEvT1_T3_lS3_lPT2_S3_S3_
; %bb.0:
	s_load_dword s2, s[0:1], 0x44
	s_load_dwordx2 s[8:9], s[0:1], 0x30
	v_bfe_u32 v144, v0, 10, 10
	s_waitcnt lgkmcnt(0)
	s_lshr_b32 s10, s2, 16
	s_mul_i32 s3, s3, s10
	v_add_u32_e32 v34, s3, v144
	v_cmp_gt_i32_e32 vcc, s8, v34
	s_and_saveexec_b64 s[2:3], vcc
	s_cbranch_execz .LBB93_261
; %bb.1:
	s_load_dwordx4 s[12:15], s[0:1], 0x8
	s_load_dword s2, s[0:1], 0x18
	s_load_dwordx4 s[4:7], s[0:1], 0x20
	v_and_b32_e32 v25, 0x3ff, v0
	v_ashrrev_i32_e32 v35, 31, v34
	s_waitcnt lgkmcnt(0)
	v_mov_b32_e32 v2, s12
	v_mov_b32_e32 v3, s13
	v_mad_u64_u32 v[0:1], s[0:1], s4, v34, 0
	s_add_i32 s0, s2, s2
	s_nop 0
	v_add_u32_e32 v6, s0, v25
	v_add_u32_e32 v8, s2, v6
	;; [unrolled: 1-line block ×41, first 2 shown]
	v_mul_lo_u32 v4, s5, v34
	v_mul_lo_u32 v5, s4, v35
	v_add_u32_e32 v132, s2, v130
	v_add3_u32 v1, v1, v5, v4
	v_add_u32_e32 v134, s2, v132
	v_lshl_add_u64 v[0:1], v[0:1], 2, v[2:3]
	v_add_u32_e32 v138, s2, v134
	v_lshl_add_u64 v[136:137], s[14:15], 2, v[0:1]
	v_lshlrev_b32_e32 v0, 2, v25
	v_mov_b32_e32 v1, 0
	v_ashrrev_i32_e32 v7, 31, v6
	v_ashrrev_i32_e32 v9, 31, v8
	;; [unrolled: 1-line block ×44, first 2 shown]
	s_ashr_i32 s3, s2, 31
	v_lshl_add_u64 v[0:1], v[136:137], 0, v[0:1]
	v_lshl_add_u64 v[4:5], v[6:7], 2, v[136:137]
	;; [unrolled: 1-line block ×45, first 2 shown]
	v_add_u32_e32 v138, s2, v138
	v_lshl_add_u64 v[2:3], s[2:3], 2, v[0:1]
	global_load_dword v24, v[0:1], off
	global_load_dword v18, v[2:3], off
	;; [unrolled: 1-line block ×40, first 2 shown]
	v_ashrrev_i32_e32 v139, 31, v138
	v_lshl_add_u64 v[136:137], v[138:139], 2, v[136:137]
	global_load_dword v121, v[124:125], off
	global_load_dword v140, v[126:127], off
	;; [unrolled: 1-line block ×7, first 2 shown]
	s_mulk_i32 s10, 0xbc
	v_cmp_eq_u32_e64 s[0:1], 0, v25
	v_cmp_ne_u32_e64 s[2:3], 0, v25
	s_movk_i32 s11, 0xbc
	s_add_i32 s8, s10, 0
	s_and_saveexec_b64 s[4:5], s[2:3]
	s_xor_b64 s[4:5], exec, s[4:5]
	s_or_saveexec_b64 s[4:5], s[4:5]
	v_mad_u32_u24 v145, v144, s11, 0
	v_lshl_add_u32 v144, v144, 2, s8
	s_xor_b64 exec, exec, s[4:5]
	s_cbranch_execz .LBB93_5
; %bb.2:
	s_waitcnt vmcnt(46)
	ds_write_b32 v144, v24
	s_waitcnt vmcnt(44)
	ds_write2_b32 v145, v18, v19 offset0:1 offset1:2
	s_waitcnt vmcnt(42)
	ds_write2_b32 v145, v20, v21 offset0:3 offset1:4
	;; [unrolled: 2-line block ×23, first 2 shown]
	ds_read_b32 v146, v144
	s_waitcnt lgkmcnt(0)
	v_cmp_neq_f32_e32 vcc, 0, v146
	s_and_saveexec_b64 s[10:11], vcc
	s_cbranch_execz .LBB93_4
; %bb.3:
	v_div_scale_f32 v147, s[12:13], v146, v146, 1.0
	v_rcp_f32_e32 v148, v147
	v_div_scale_f32 v149, vcc, 1.0, v146, 1.0
	v_fma_f32 v150, -v147, v148, 1.0
	v_fmac_f32_e32 v148, v150, v148
	v_mul_f32_e32 v150, v149, v148
	v_fma_f32 v151, -v147, v150, v149
	v_fmac_f32_e32 v150, v151, v148
	v_fma_f32 v147, -v147, v150, v149
	v_div_fmas_f32 v147, v147, v148, v150
	v_div_fixup_f32 v146, v147, v146, 1.0
	ds_write_b32 v144, v146
.LBB93_4:
	s_or_b64 exec, exec, s[10:11]
.LBB93_5:
	s_or_b64 exec, exec, s[4:5]
	s_waitcnt lgkmcnt(0)
	s_barrier
	ds_read_b32 v146, v144
	s_and_saveexec_b64 s[4:5], s[2:3]
	s_cbranch_execz .LBB93_7
; %bb.6:
	ds_read2_b32 v[148:149], v145 offset0:1 offset1:2
	ds_read2_b32 v[150:151], v145 offset0:3 offset1:4
	ds_read2_b32 v[152:153], v145 offset0:5 offset1:6
	s_waitcnt vmcnt(46) lgkmcnt(3)
	v_mul_f32_e32 v24, v146, v24
	ds_read2_b32 v[154:155], v145 offset0:7 offset1:8
	s_waitcnt vmcnt(44) lgkmcnt(3)
	v_pk_fma_f32 v[18:19], v[24:25], v[148:149], v[18:19] op_sel_hi:[0,1,1] neg_lo:[1,0,0] neg_hi:[1,0,0]
	s_waitcnt vmcnt(42) lgkmcnt(2)
	v_pk_fma_f32 v[20:21], v[24:25], v[150:151], v[20:21] op_sel_hi:[0,1,1] neg_lo:[1,0,0] neg_hi:[1,0,0]
	s_waitcnt vmcnt(40) lgkmcnt(1)
	v_pk_fma_f32 v[22:23], v[24:25], v[152:153], v[22:23] op_sel_hi:[0,1,1] neg_lo:[1,0,0] neg_hi:[1,0,0]
	ds_read2_b32 v[148:149], v145 offset0:9 offset1:10
	ds_read2_b32 v[150:151], v145 offset0:11 offset1:12
	ds_read2_b32 v[152:153], v145 offset0:13 offset1:14
	s_waitcnt vmcnt(38) lgkmcnt(3)
	v_pk_fma_f32 v[16:17], v[24:25], v[154:155], v[16:17] op_sel_hi:[0,1,1] neg_lo:[1,0,0] neg_hi:[1,0,0]
	ds_read2_b32 v[154:155], v145 offset0:15 offset1:16
	s_waitcnt vmcnt(36) lgkmcnt(3)
	v_pk_fma_f32 v[46:47], v[24:25], v[148:149], v[46:47] op_sel_hi:[0,1,1] neg_lo:[1,0,0] neg_hi:[1,0,0]
	s_waitcnt vmcnt(34) lgkmcnt(2)
	v_pk_fma_f32 v[50:51], v[24:25], v[150:151], v[50:51] op_sel_hi:[0,1,1] neg_lo:[1,0,0] neg_hi:[1,0,0]
	s_waitcnt vmcnt(32) lgkmcnt(1)
	v_pk_fma_f32 v[44:45], v[24:25], v[152:153], v[44:45] op_sel_hi:[0,1,1] neg_lo:[1,0,0] neg_hi:[1,0,0]
	ds_read2_b32 v[148:149], v145 offset0:17 offset1:18
	ds_read2_b32 v[150:151], v145 offset0:19 offset1:20
	ds_read2_b32 v[152:153], v145 offset0:21 offset1:22
	s_waitcnt vmcnt(30) lgkmcnt(3)
	v_pk_fma_f32 v[48:49], v[24:25], v[154:155], v[48:49] op_sel_hi:[0,1,1] neg_lo:[1,0,0] neg_hi:[1,0,0]
	;; [unrolled: 12-line block ×3, first 2 shown]
	ds_read2_b32 v[154:155], v145 offset0:31 offset1:32
	s_waitcnt vmcnt(20) lgkmcnt(3)
	v_pk_fma_f32 v[94:95], v[24:25], v[148:149], v[94:95] op_sel_hi:[0,1,1] neg_lo:[1,0,0] neg_hi:[1,0,0]
	s_waitcnt vmcnt(18) lgkmcnt(2)
	v_pk_fma_f32 v[96:97], v[24:25], v[150:151], v[96:97] op_sel_hi:[0,1,1] neg_lo:[1,0,0] neg_hi:[1,0,0]
	ds_read2_b32 v[148:149], v145 offset0:33 offset1:34
	ds_read2_b32 v[150:151], v145 offset0:35 offset1:36
	s_waitcnt vmcnt(16) lgkmcnt(3)
	v_pk_fma_f32 v[98:99], v[24:25], v[152:153], v[98:99] op_sel_hi:[0,1,1] neg_lo:[1,0,0] neg_hi:[1,0,0]
	s_waitcnt vmcnt(14) lgkmcnt(2)
	v_pk_fma_f32 v[92:93], v[24:25], v[154:155], v[92:93] op_sel_hi:[0,1,1] neg_lo:[1,0,0] neg_hi:[1,0,0]
	ds_read2_b32 v[152:153], v145 offset0:37 offset1:38
	;; [unrolled: 6-line block ×3, first 2 shown]
	ds_read2_b32 v[150:151], v145 offset0:43 offset1:44
	ds_read2_b32 v[156:157], v145 offset0:45 offset1:46
	s_waitcnt vmcnt(8) lgkmcnt(4)
	v_pk_fma_f32 v[116:117], v[24:25], v[152:153], v[116:117] op_sel_hi:[0,1,1] neg_lo:[1,0,0] neg_hi:[1,0,0]
	s_waitcnt vmcnt(6) lgkmcnt(3)
	v_pk_fma_f32 v[120:121], v[24:25], v[154:155], v[120:121] op_sel_hi:[0,1,1] neg_lo:[1,0,0] neg_hi:[1,0,0]
	;; [unrolled: 2-line block ×5, first 2 shown]
.LBB93_7:
	s_or_b64 exec, exec, s[4:5]
	v_cmp_eq_u32_e32 vcc, 1, v25
	s_waitcnt lgkmcnt(0)
	s_barrier
	s_and_saveexec_b64 s[2:3], vcc
	s_cbranch_execz .LBB93_10
; %bb.8:
	s_waitcnt vmcnt(42)
	v_pk_mov_b32 v[148:149], v[18:19], v[20:21] op_sel:[1,0]
	ds_write_b32 v144, v18
	ds_write2_b32 v145, v148, v149 offset0:2 offset1:3
	s_waitcnt vmcnt(40)
	v_pk_mov_b32 v[148:149], v[20:21], v[22:23] op_sel:[1,0]
	ds_write2_b32 v145, v148, v149 offset0:4 offset1:5
	s_waitcnt vmcnt(38)
	v_pk_mov_b32 v[148:149], v[22:23], v[16:17] op_sel:[1,0]
	;; [unrolled: 3-line block ×21, first 2 shown]
	ds_write2_b32 v145, v148, v149 offset0:44 offset1:45
	ds_write_b32 v145, v143 offset:184
	ds_read_b32 v147, v144
	s_waitcnt lgkmcnt(0)
	v_cmp_neq_f32_e32 vcc, 0, v147
	s_and_b64 exec, exec, vcc
	s_cbranch_execz .LBB93_10
; %bb.9:
	v_div_scale_f32 v148, s[4:5], v147, v147, 1.0
	v_rcp_f32_e32 v149, v148
	v_div_scale_f32 v150, vcc, 1.0, v147, 1.0
	v_fma_f32 v151, -v148, v149, 1.0
	v_fmac_f32_e32 v149, v151, v149
	v_mul_f32_e32 v151, v150, v149
	v_fma_f32 v152, -v148, v151, v150
	v_fmac_f32_e32 v151, v152, v149
	v_fma_f32 v148, -v148, v151, v150
	v_div_fmas_f32 v148, v148, v149, v151
	v_div_fixup_f32 v147, v148, v147, 1.0
	ds_write_b32 v144, v147
.LBB93_10:
	s_or_b64 exec, exec, s[2:3]
	s_waitcnt lgkmcnt(0)
	s_barrier
	ds_read_b32 v147, v144
	v_cmp_lt_u32_e32 vcc, 1, v25
	s_and_saveexec_b64 s[2:3], vcc
	s_cbranch_execz .LBB93_12
; %bb.11:
	ds_read_b32 v154, v145 offset:8
	ds_read2_b32 v[148:149], v145 offset0:3 offset1:4
	ds_read2_b32 v[150:151], v145 offset0:5 offset1:6
	s_waitcnt vmcnt(45) lgkmcnt(3)
	v_mul_f32_e32 v18, v147, v18
	ds_read2_b32 v[152:153], v145 offset0:7 offset1:8
	s_waitcnt vmcnt(44) lgkmcnt(3)
	v_fma_f32 v19, -v18, v154, v19
	s_waitcnt vmcnt(42) lgkmcnt(2)
	v_pk_fma_f32 v[20:21], v[18:19], v[148:149], v[20:21] op_sel_hi:[0,1,1] neg_lo:[1,0,0] neg_hi:[1,0,0]
	s_waitcnt vmcnt(40) lgkmcnt(1)
	v_pk_fma_f32 v[22:23], v[18:19], v[150:151], v[22:23] op_sel_hi:[0,1,1] neg_lo:[1,0,0] neg_hi:[1,0,0]
	ds_read2_b32 v[148:149], v145 offset0:9 offset1:10
	ds_read2_b32 v[150:151], v145 offset0:11 offset1:12
	ds_read2_b32 v[154:155], v145 offset0:13 offset1:14
	s_waitcnt vmcnt(38) lgkmcnt(3)
	v_pk_fma_f32 v[16:17], v[18:19], v[152:153], v[16:17] op_sel_hi:[0,1,1] neg_lo:[1,0,0] neg_hi:[1,0,0]
	ds_read2_b32 v[152:153], v145 offset0:15 offset1:16
	s_waitcnt vmcnt(36) lgkmcnt(3)
	v_pk_fma_f32 v[46:47], v[18:19], v[148:149], v[46:47] op_sel_hi:[0,1,1] neg_lo:[1,0,0] neg_hi:[1,0,0]
	s_waitcnt vmcnt(34) lgkmcnt(2)
	v_pk_fma_f32 v[50:51], v[18:19], v[150:151], v[50:51] op_sel_hi:[0,1,1] neg_lo:[1,0,0] neg_hi:[1,0,0]
	s_waitcnt vmcnt(32) lgkmcnt(1)
	v_pk_fma_f32 v[44:45], v[18:19], v[154:155], v[44:45] op_sel_hi:[0,1,1] neg_lo:[1,0,0] neg_hi:[1,0,0]
	ds_read2_b32 v[148:149], v145 offset0:17 offset1:18
	ds_read2_b32 v[150:151], v145 offset0:19 offset1:20
	ds_read2_b32 v[154:155], v145 offset0:21 offset1:22
	s_waitcnt vmcnt(30) lgkmcnt(3)
	v_pk_fma_f32 v[48:49], v[18:19], v[152:153], v[48:49] op_sel_hi:[0,1,1] neg_lo:[1,0,0] neg_hi:[1,0,0]
	ds_read2_b32 v[152:153], v145 offset0:23 offset1:24
	s_waitcnt vmcnt(28) lgkmcnt(3)
	v_pk_fma_f32 v[74:75], v[18:19], v[148:149], v[74:75] op_sel_hi:[0,1,1] neg_lo:[1,0,0] neg_hi:[1,0,0]
	;; [unrolled: 12-line block ×3, first 2 shown]
	s_waitcnt vmcnt(18) lgkmcnt(2)
	v_pk_fma_f32 v[96:97], v[18:19], v[150:151], v[96:97] op_sel_hi:[0,1,1] neg_lo:[1,0,0] neg_hi:[1,0,0]
	ds_read2_b32 v[148:149], v145 offset0:33 offset1:34
	ds_read2_b32 v[150:151], v145 offset0:35 offset1:36
	s_waitcnt vmcnt(16) lgkmcnt(3)
	v_pk_fma_f32 v[98:99], v[18:19], v[154:155], v[98:99] op_sel_hi:[0,1,1] neg_lo:[1,0,0] neg_hi:[1,0,0]
	s_waitcnt vmcnt(14) lgkmcnt(2)
	v_pk_fma_f32 v[92:93], v[18:19], v[152:153], v[92:93] op_sel_hi:[0,1,1] neg_lo:[1,0,0] neg_hi:[1,0,0]
	ds_read2_b32 v[152:153], v145 offset0:37 offset1:38
	ds_read2_b32 v[154:155], v145 offset0:39 offset1:40
	s_waitcnt vmcnt(12) lgkmcnt(3)
	v_pk_fma_f32 v[118:119], v[18:19], v[148:149], v[118:119] op_sel_hi:[0,1,1] neg_lo:[1,0,0] neg_hi:[1,0,0]
	s_waitcnt vmcnt(10) lgkmcnt(2)
	v_pk_fma_f32 v[122:123], v[18:19], v[150:151], v[122:123] op_sel_hi:[0,1,1] neg_lo:[1,0,0] neg_hi:[1,0,0]
	ds_read2_b32 v[148:149], v145 offset0:41 offset1:42
	ds_read2_b32 v[150:151], v145 offset0:43 offset1:44
	;; [unrolled: 1-line block ×3, first 2 shown]
	s_waitcnt vmcnt(8) lgkmcnt(4)
	v_pk_fma_f32 v[116:117], v[18:19], v[152:153], v[116:117] op_sel_hi:[0,1,1] neg_lo:[1,0,0] neg_hi:[1,0,0]
	s_waitcnt vmcnt(6) lgkmcnt(3)
	v_pk_fma_f32 v[120:121], v[18:19], v[154:155], v[120:121] op_sel_hi:[0,1,1] neg_lo:[1,0,0] neg_hi:[1,0,0]
	;; [unrolled: 2-line block ×5, first 2 shown]
.LBB93_12:
	s_or_b64 exec, exec, s[2:3]
	v_cmp_eq_u32_e32 vcc, 2, v25
	s_waitcnt lgkmcnt(0)
	s_barrier
	s_and_saveexec_b64 s[2:3], vcc
	s_cbranch_execz .LBB93_15
; %bb.13:
	s_waitcnt vmcnt(44)
	ds_write_b32 v144, v19
	s_waitcnt vmcnt(42)
	ds_write2_b32 v145, v20, v21 offset0:3 offset1:4
	s_waitcnt vmcnt(40)
	ds_write2_b32 v145, v22, v23 offset0:5 offset1:6
	;; [unrolled: 2-line block ×22, first 2 shown]
	ds_read_b32 v148, v144
	s_waitcnt lgkmcnt(0)
	v_cmp_neq_f32_e32 vcc, 0, v148
	s_and_b64 exec, exec, vcc
	s_cbranch_execz .LBB93_15
; %bb.14:
	v_div_scale_f32 v149, s[4:5], v148, v148, 1.0
	v_rcp_f32_e32 v150, v149
	v_div_scale_f32 v151, vcc, 1.0, v148, 1.0
	v_fma_f32 v152, -v149, v150, 1.0
	v_fmac_f32_e32 v150, v152, v150
	v_mul_f32_e32 v152, v151, v150
	v_fma_f32 v153, -v149, v152, v151
	v_fmac_f32_e32 v152, v153, v150
	v_fma_f32 v149, -v149, v152, v151
	v_div_fmas_f32 v149, v149, v150, v152
	v_div_fixup_f32 v148, v149, v148, 1.0
	ds_write_b32 v144, v148
.LBB93_15:
	s_or_b64 exec, exec, s[2:3]
	s_waitcnt lgkmcnt(0)
	s_barrier
	ds_read_b32 v148, v144
	v_cmp_lt_u32_e32 vcc, 2, v25
	s_and_saveexec_b64 s[2:3], vcc
	s_cbranch_execz .LBB93_17
; %bb.16:
	ds_read2_b32 v[150:151], v145 offset0:3 offset1:4
	ds_read2_b32 v[152:153], v145 offset0:5 offset1:6
	ds_read2_b32 v[154:155], v145 offset0:7 offset1:8
	ds_read2_b32 v[158:159], v145 offset0:9 offset1:10
	s_waitcnt vmcnt(44) lgkmcnt(4)
	v_mul_f32_e32 v156, v148, v19
	s_waitcnt vmcnt(42) lgkmcnt(3)
	v_pk_fma_f32 v[20:21], v[156:157], v[150:151], v[20:21] op_sel_hi:[0,1,1] neg_lo:[1,0,0] neg_hi:[1,0,0]
	s_waitcnt vmcnt(40) lgkmcnt(2)
	v_pk_fma_f32 v[22:23], v[156:157], v[152:153], v[22:23] op_sel_hi:[0,1,1] neg_lo:[1,0,0] neg_hi:[1,0,0]
	s_waitcnt vmcnt(38) lgkmcnt(1)
	v_pk_fma_f32 v[16:17], v[156:157], v[154:155], v[16:17] op_sel_hi:[0,1,1] neg_lo:[1,0,0] neg_hi:[1,0,0]
	ds_read2_b32 v[150:151], v145 offset0:11 offset1:12
	ds_read2_b32 v[152:153], v145 offset0:13 offset1:14
	ds_read2_b32 v[154:155], v145 offset0:15 offset1:16
	s_waitcnt vmcnt(36) lgkmcnt(3)
	v_pk_fma_f32 v[46:47], v[156:157], v[158:159], v[46:47] op_sel_hi:[0,1,1] neg_lo:[1,0,0] neg_hi:[1,0,0]
	ds_read2_b32 v[158:159], v145 offset0:17 offset1:18
	s_waitcnt vmcnt(34) lgkmcnt(3)
	v_pk_fma_f32 v[50:51], v[156:157], v[150:151], v[50:51] op_sel_hi:[0,1,1] neg_lo:[1,0,0] neg_hi:[1,0,0]
	s_waitcnt vmcnt(32) lgkmcnt(2)
	v_pk_fma_f32 v[44:45], v[156:157], v[152:153], v[44:45] op_sel_hi:[0,1,1] neg_lo:[1,0,0] neg_hi:[1,0,0]
	s_waitcnt vmcnt(30) lgkmcnt(1)
	v_pk_fma_f32 v[48:49], v[156:157], v[154:155], v[48:49] op_sel_hi:[0,1,1] neg_lo:[1,0,0] neg_hi:[1,0,0]
	ds_read2_b32 v[150:151], v145 offset0:19 offset1:20
	ds_read2_b32 v[152:153], v145 offset0:21 offset1:22
	ds_read2_b32 v[154:155], v145 offset0:23 offset1:24
	s_waitcnt vmcnt(28) lgkmcnt(3)
	v_pk_fma_f32 v[74:75], v[156:157], v[158:159], v[74:75] op_sel_hi:[0,1,1] neg_lo:[1,0,0] neg_hi:[1,0,0]
	ds_read2_b32 v[158:159], v145 offset0:25 offset1:26
	;; [unrolled: 12-line block ×3, first 2 shown]
	s_waitcnt vmcnt(18) lgkmcnt(3)
	v_pk_fma_f32 v[96:97], v[156:157], v[150:151], v[96:97] op_sel_hi:[0,1,1] neg_lo:[1,0,0] neg_hi:[1,0,0]
	ds_read2_b32 v[150:151], v145 offset0:35 offset1:36
	s_waitcnt vmcnt(16) lgkmcnt(3)
	v_pk_fma_f32 v[98:99], v[156:157], v[152:153], v[98:99] op_sel_hi:[0,1,1] neg_lo:[1,0,0] neg_hi:[1,0,0]
	s_waitcnt vmcnt(14) lgkmcnt(2)
	v_pk_fma_f32 v[92:93], v[156:157], v[154:155], v[92:93] op_sel_hi:[0,1,1] neg_lo:[1,0,0] neg_hi:[1,0,0]
	;; [unrolled: 2-line block ×3, first 2 shown]
	ds_read2_b32 v[152:153], v145 offset0:37 offset1:38
	ds_read2_b32 v[154:155], v145 offset0:39 offset1:40
	ds_read2_b32 v[158:159], v145 offset0:41 offset1:42
	s_waitcnt vmcnt(10) lgkmcnt(3)
	v_pk_fma_f32 v[122:123], v[156:157], v[150:151], v[122:123] op_sel_hi:[0,1,1] neg_lo:[1,0,0] neg_hi:[1,0,0]
	ds_read2_b32 v[150:151], v145 offset0:43 offset1:44
	ds_read2_b32 v[160:161], v145 offset0:45 offset1:46
	s_waitcnt vmcnt(8) lgkmcnt(4)
	v_pk_fma_f32 v[116:117], v[156:157], v[152:153], v[116:117] op_sel_hi:[0,1,1] neg_lo:[1,0,0] neg_hi:[1,0,0]
	s_waitcnt vmcnt(6) lgkmcnt(3)
	v_pk_fma_f32 v[120:121], v[156:157], v[154:155], v[120:121] op_sel_hi:[0,1,1] neg_lo:[1,0,0] neg_hi:[1,0,0]
	;; [unrolled: 2-line block ×5, first 2 shown]
	v_mov_b32_e32 v19, v156
.LBB93_17:
	s_or_b64 exec, exec, s[2:3]
	v_cmp_eq_u32_e32 vcc, 3, v25
	s_waitcnt lgkmcnt(0)
	s_barrier
	s_and_saveexec_b64 s[2:3], vcc
	s_cbranch_execz .LBB93_20
; %bb.18:
	s_waitcnt vmcnt(40)
	v_pk_mov_b32 v[150:151], v[20:21], v[22:23] op_sel:[1,0]
	ds_write_b32 v144, v20
	ds_write2_b32 v145, v150, v151 offset0:4 offset1:5
	s_waitcnt vmcnt(38)
	v_pk_mov_b32 v[150:151], v[22:23], v[16:17] op_sel:[1,0]
	ds_write2_b32 v145, v150, v151 offset0:6 offset1:7
	s_waitcnt vmcnt(36)
	v_pk_mov_b32 v[150:151], v[16:17], v[46:47] op_sel:[1,0]
	;; [unrolled: 3-line block ×20, first 2 shown]
	ds_write2_b32 v145, v150, v151 offset0:44 offset1:45
	ds_write_b32 v145, v143 offset:184
	ds_read_b32 v149, v144
	s_waitcnt lgkmcnt(0)
	v_cmp_neq_f32_e32 vcc, 0, v149
	s_and_b64 exec, exec, vcc
	s_cbranch_execz .LBB93_20
; %bb.19:
	v_div_scale_f32 v150, s[4:5], v149, v149, 1.0
	v_rcp_f32_e32 v151, v150
	v_div_scale_f32 v152, vcc, 1.0, v149, 1.0
	v_fma_f32 v153, -v150, v151, 1.0
	v_fmac_f32_e32 v151, v153, v151
	v_mul_f32_e32 v153, v152, v151
	v_fma_f32 v154, -v150, v153, v152
	v_fmac_f32_e32 v153, v154, v151
	v_fma_f32 v150, -v150, v153, v152
	v_div_fmas_f32 v150, v150, v151, v153
	v_div_fixup_f32 v149, v150, v149, 1.0
	ds_write_b32 v144, v149
.LBB93_20:
	s_or_b64 exec, exec, s[2:3]
	s_waitcnt lgkmcnt(0)
	s_barrier
	ds_read_b32 v149, v144
	v_cmp_lt_u32_e32 vcc, 3, v25
	s_and_saveexec_b64 s[2:3], vcc
	s_cbranch_execz .LBB93_22
; %bb.21:
	ds_read_b32 v156, v145 offset:16
	ds_read2_b32 v[150:151], v145 offset0:5 offset1:6
	ds_read2_b32 v[152:153], v145 offset0:7 offset1:8
	s_waitcnt vmcnt(43) lgkmcnt(3)
	v_mul_f32_e32 v20, v149, v20
	ds_read2_b32 v[154:155], v145 offset0:9 offset1:10
	s_waitcnt vmcnt(42) lgkmcnt(3)
	v_fma_f32 v21, -v20, v156, v21
	s_waitcnt vmcnt(40) lgkmcnt(2)
	v_pk_fma_f32 v[22:23], v[20:21], v[150:151], v[22:23] op_sel_hi:[0,1,1] neg_lo:[1,0,0] neg_hi:[1,0,0]
	s_waitcnt vmcnt(38) lgkmcnt(1)
	v_pk_fma_f32 v[16:17], v[20:21], v[152:153], v[16:17] op_sel_hi:[0,1,1] neg_lo:[1,0,0] neg_hi:[1,0,0]
	ds_read2_b32 v[150:151], v145 offset0:11 offset1:12
	ds_read2_b32 v[152:153], v145 offset0:13 offset1:14
	ds_read2_b32 v[156:157], v145 offset0:15 offset1:16
	s_waitcnt vmcnt(36) lgkmcnt(3)
	v_pk_fma_f32 v[46:47], v[20:21], v[154:155], v[46:47] op_sel_hi:[0,1,1] neg_lo:[1,0,0] neg_hi:[1,0,0]
	ds_read2_b32 v[154:155], v145 offset0:17 offset1:18
	s_waitcnt vmcnt(34) lgkmcnt(3)
	v_pk_fma_f32 v[50:51], v[20:21], v[150:151], v[50:51] op_sel_hi:[0,1,1] neg_lo:[1,0,0] neg_hi:[1,0,0]
	s_waitcnt vmcnt(32) lgkmcnt(2)
	v_pk_fma_f32 v[44:45], v[20:21], v[152:153], v[44:45] op_sel_hi:[0,1,1] neg_lo:[1,0,0] neg_hi:[1,0,0]
	s_waitcnt vmcnt(30) lgkmcnt(1)
	v_pk_fma_f32 v[48:49], v[20:21], v[156:157], v[48:49] op_sel_hi:[0,1,1] neg_lo:[1,0,0] neg_hi:[1,0,0]
	ds_read2_b32 v[150:151], v145 offset0:19 offset1:20
	ds_read2_b32 v[152:153], v145 offset0:21 offset1:22
	ds_read2_b32 v[156:157], v145 offset0:23 offset1:24
	s_waitcnt vmcnt(28) lgkmcnt(3)
	v_pk_fma_f32 v[74:75], v[20:21], v[154:155], v[74:75] op_sel_hi:[0,1,1] neg_lo:[1,0,0] neg_hi:[1,0,0]
	ds_read2_b32 v[154:155], v145 offset0:25 offset1:26
	s_waitcnt vmcnt(26) lgkmcnt(3)
	v_pk_fma_f32 v[68:69], v[20:21], v[150:151], v[68:69] op_sel_hi:[0,1,1] neg_lo:[1,0,0] neg_hi:[1,0,0]
	;; [unrolled: 12-line block ×3, first 2 shown]
	ds_read2_b32 v[150:151], v145 offset0:35 offset1:36
	s_waitcnt vmcnt(16) lgkmcnt(3)
	v_pk_fma_f32 v[98:99], v[20:21], v[152:153], v[98:99] op_sel_hi:[0,1,1] neg_lo:[1,0,0] neg_hi:[1,0,0]
	s_waitcnt vmcnt(14) lgkmcnt(2)
	v_pk_fma_f32 v[92:93], v[20:21], v[156:157], v[92:93] op_sel_hi:[0,1,1] neg_lo:[1,0,0] neg_hi:[1,0,0]
	;; [unrolled: 2-line block ×3, first 2 shown]
	ds_read2_b32 v[152:153], v145 offset0:37 offset1:38
	ds_read2_b32 v[154:155], v145 offset0:39 offset1:40
	;; [unrolled: 1-line block ×3, first 2 shown]
	s_waitcnt vmcnt(10) lgkmcnt(3)
	v_pk_fma_f32 v[122:123], v[20:21], v[150:151], v[122:123] op_sel_hi:[0,1,1] neg_lo:[1,0,0] neg_hi:[1,0,0]
	ds_read2_b32 v[150:151], v145 offset0:43 offset1:44
	ds_read2_b32 v[158:159], v145 offset0:45 offset1:46
	s_waitcnt vmcnt(8) lgkmcnt(4)
	v_pk_fma_f32 v[116:117], v[20:21], v[152:153], v[116:117] op_sel_hi:[0,1,1] neg_lo:[1,0,0] neg_hi:[1,0,0]
	s_waitcnt vmcnt(6) lgkmcnt(3)
	v_pk_fma_f32 v[120:121], v[20:21], v[154:155], v[120:121] op_sel_hi:[0,1,1] neg_lo:[1,0,0] neg_hi:[1,0,0]
	;; [unrolled: 2-line block ×5, first 2 shown]
.LBB93_22:
	s_or_b64 exec, exec, s[2:3]
	v_cmp_ne_u32_e32 vcc, 4, v25
	s_waitcnt lgkmcnt(0)
	s_barrier
	s_and_saveexec_b64 s[2:3], vcc
	s_xor_b64 s[2:3], exec, s[2:3]
	s_andn2_saveexec_b64 s[2:3], s[2:3]
	s_cbranch_execz .LBB93_26
; %bb.23:
	s_waitcnt vmcnt(42)
	ds_write_b32 v144, v21
	s_waitcnt vmcnt(40)
	ds_write2_b32 v145, v22, v23 offset0:5 offset1:6
	s_waitcnt vmcnt(38)
	ds_write2_b32 v145, v16, v17 offset0:7 offset1:8
	s_waitcnt vmcnt(36)
	ds_write2_b32 v145, v46, v47 offset0:9 offset1:10
	s_waitcnt vmcnt(34)
	ds_write2_b32 v145, v50, v51 offset0:11 offset1:12
	s_waitcnt vmcnt(32)
	ds_write2_b32 v145, v44, v45 offset0:13 offset1:14
	s_waitcnt vmcnt(30)
	ds_write2_b32 v145, v48, v49 offset0:15 offset1:16
	s_waitcnt vmcnt(28)
	ds_write2_b32 v145, v74, v75 offset0:17 offset1:18
	s_waitcnt vmcnt(26)
	ds_write2_b32 v145, v68, v69 offset0:19 offset1:20
	s_waitcnt vmcnt(24)
	ds_write2_b32 v145, v70, v71 offset0:21 offset1:22
	s_waitcnt vmcnt(22)
	ds_write2_b32 v145, v72, v73 offset0:23 offset1:24
	s_waitcnt vmcnt(20)
	ds_write2_b32 v145, v94, v95 offset0:25 offset1:26
	s_waitcnt vmcnt(18)
	ds_write2_b32 v145, v96, v97 offset0:27 offset1:28
	s_waitcnt vmcnt(16)
	ds_write2_b32 v145, v98, v99 offset0:29 offset1:30
	s_waitcnt vmcnt(14)
	ds_write2_b32 v145, v92, v93 offset0:31 offset1:32
	s_waitcnt vmcnt(12)
	ds_write2_b32 v145, v118, v119 offset0:33 offset1:34
	s_waitcnt vmcnt(10)
	ds_write2_b32 v145, v122, v123 offset0:35 offset1:36
	s_waitcnt vmcnt(8)
	ds_write2_b32 v145, v116, v117 offset0:37 offset1:38
	s_waitcnt vmcnt(6)
	ds_write2_b32 v145, v120, v121 offset0:39 offset1:40
	s_waitcnt vmcnt(4)
	ds_write2_b32 v145, v140, v141 offset0:41 offset1:42
	s_waitcnt vmcnt(2)
	ds_write2_b32 v145, v138, v139 offset0:43 offset1:44
	s_waitcnt vmcnt(0)
	ds_write2_b32 v145, v142, v143 offset0:45 offset1:46
	ds_read_b32 v150, v144
	s_waitcnt lgkmcnt(0)
	v_cmp_neq_f32_e32 vcc, 0, v150
	s_and_saveexec_b64 s[4:5], vcc
	s_cbranch_execz .LBB93_25
; %bb.24:
	v_div_scale_f32 v151, s[10:11], v150, v150, 1.0
	v_rcp_f32_e32 v152, v151
	v_div_scale_f32 v153, vcc, 1.0, v150, 1.0
	v_fma_f32 v154, -v151, v152, 1.0
	v_fmac_f32_e32 v152, v154, v152
	v_mul_f32_e32 v154, v153, v152
	v_fma_f32 v155, -v151, v154, v153
	v_fmac_f32_e32 v154, v155, v152
	v_fma_f32 v151, -v151, v154, v153
	v_div_fmas_f32 v151, v151, v152, v154
	v_div_fixup_f32 v150, v151, v150, 1.0
	ds_write_b32 v144, v150
.LBB93_25:
	s_or_b64 exec, exec, s[4:5]
.LBB93_26:
	s_or_b64 exec, exec, s[2:3]
	s_waitcnt lgkmcnt(0)
	s_barrier
	ds_read_b32 v150, v144
	v_cmp_lt_u32_e32 vcc, 4, v25
	s_and_saveexec_b64 s[2:3], vcc
	s_cbranch_execz .LBB93_28
; %bb.27:
	ds_read2_b32 v[152:153], v145 offset0:5 offset1:6
	ds_read2_b32 v[154:155], v145 offset0:7 offset1:8
	;; [unrolled: 1-line block ×3, first 2 shown]
	s_waitcnt vmcnt(42) lgkmcnt(3)
	v_mul_f32_e32 v158, v150, v21
	ds_read2_b32 v[160:161], v145 offset0:11 offset1:12
	s_waitcnt vmcnt(40) lgkmcnt(3)
	v_pk_fma_f32 v[22:23], v[158:159], v[152:153], v[22:23] op_sel_hi:[0,1,1] neg_lo:[1,0,0] neg_hi:[1,0,0]
	s_waitcnt vmcnt(38) lgkmcnt(2)
	v_pk_fma_f32 v[16:17], v[158:159], v[154:155], v[16:17] op_sel_hi:[0,1,1] neg_lo:[1,0,0] neg_hi:[1,0,0]
	;; [unrolled: 2-line block ×3, first 2 shown]
	ds_read2_b32 v[152:153], v145 offset0:13 offset1:14
	ds_read2_b32 v[154:155], v145 offset0:15 offset1:16
	;; [unrolled: 1-line block ×3, first 2 shown]
	s_waitcnt vmcnt(34) lgkmcnt(3)
	v_pk_fma_f32 v[50:51], v[158:159], v[160:161], v[50:51] op_sel_hi:[0,1,1] neg_lo:[1,0,0] neg_hi:[1,0,0]
	ds_read2_b32 v[160:161], v145 offset0:19 offset1:20
	s_waitcnt vmcnt(32) lgkmcnt(3)
	v_pk_fma_f32 v[44:45], v[158:159], v[152:153], v[44:45] op_sel_hi:[0,1,1] neg_lo:[1,0,0] neg_hi:[1,0,0]
	s_waitcnt vmcnt(30) lgkmcnt(2)
	v_pk_fma_f32 v[48:49], v[158:159], v[154:155], v[48:49] op_sel_hi:[0,1,1] neg_lo:[1,0,0] neg_hi:[1,0,0]
	s_waitcnt vmcnt(28) lgkmcnt(1)
	v_pk_fma_f32 v[74:75], v[158:159], v[156:157], v[74:75] op_sel_hi:[0,1,1] neg_lo:[1,0,0] neg_hi:[1,0,0]
	ds_read2_b32 v[152:153], v145 offset0:21 offset1:22
	ds_read2_b32 v[154:155], v145 offset0:23 offset1:24
	;; [unrolled: 1-line block ×3, first 2 shown]
	s_waitcnt vmcnt(26) lgkmcnt(3)
	v_pk_fma_f32 v[68:69], v[158:159], v[160:161], v[68:69] op_sel_hi:[0,1,1] neg_lo:[1,0,0] neg_hi:[1,0,0]
	ds_read2_b32 v[160:161], v145 offset0:27 offset1:28
	s_waitcnt vmcnt(24) lgkmcnt(3)
	v_pk_fma_f32 v[70:71], v[158:159], v[152:153], v[70:71] op_sel_hi:[0,1,1] neg_lo:[1,0,0] neg_hi:[1,0,0]
	s_waitcnt vmcnt(22) lgkmcnt(2)
	v_pk_fma_f32 v[72:73], v[158:159], v[154:155], v[72:73] op_sel_hi:[0,1,1] neg_lo:[1,0,0] neg_hi:[1,0,0]
	;; [unrolled: 2-line block ×3, first 2 shown]
	ds_read2_b32 v[152:153], v145 offset0:29 offset1:30
	ds_read2_b32 v[154:155], v145 offset0:31 offset1:32
	;; [unrolled: 1-line block ×4, first 2 shown]
	s_waitcnt vmcnt(18) lgkmcnt(4)
	v_pk_fma_f32 v[96:97], v[158:159], v[160:161], v[96:97] op_sel_hi:[0,1,1] neg_lo:[1,0,0] neg_hi:[1,0,0]
	s_waitcnt vmcnt(16) lgkmcnt(3)
	v_pk_fma_f32 v[98:99], v[158:159], v[152:153], v[98:99] op_sel_hi:[0,1,1] neg_lo:[1,0,0] neg_hi:[1,0,0]
	;; [unrolled: 2-line block ×5, first 2 shown]
	ds_read2_b32 v[152:153], v145 offset0:37 offset1:38
	ds_read2_b32 v[154:155], v145 offset0:39 offset1:40
	ds_read2_b32 v[156:157], v145 offset0:41 offset1:42
	ds_read2_b32 v[160:161], v145 offset0:43 offset1:44
	ds_read2_b32 v[162:163], v145 offset0:45 offset1:46
	s_waitcnt vmcnt(8) lgkmcnt(4)
	v_pk_fma_f32 v[116:117], v[158:159], v[152:153], v[116:117] op_sel_hi:[0,1,1] neg_lo:[1,0,0] neg_hi:[1,0,0]
	s_waitcnt vmcnt(6) lgkmcnt(3)
	v_pk_fma_f32 v[120:121], v[158:159], v[154:155], v[120:121] op_sel_hi:[0,1,1] neg_lo:[1,0,0] neg_hi:[1,0,0]
	;; [unrolled: 2-line block ×5, first 2 shown]
	v_mov_b32_e32 v21, v158
.LBB93_28:
	s_or_b64 exec, exec, s[2:3]
	v_cmp_eq_u32_e32 vcc, 5, v25
	s_waitcnt lgkmcnt(0)
	s_barrier
	s_and_saveexec_b64 s[2:3], vcc
	s_cbranch_execz .LBB93_31
; %bb.29:
	s_waitcnt vmcnt(38)
	v_pk_mov_b32 v[152:153], v[22:23], v[16:17] op_sel:[1,0]
	ds_write_b32 v144, v22
	ds_write2_b32 v145, v152, v153 offset0:6 offset1:7
	s_waitcnt vmcnt(36)
	v_pk_mov_b32 v[152:153], v[16:17], v[46:47] op_sel:[1,0]
	ds_write2_b32 v145, v152, v153 offset0:8 offset1:9
	s_waitcnt vmcnt(34)
	v_pk_mov_b32 v[152:153], v[46:47], v[50:51] op_sel:[1,0]
	;; [unrolled: 3-line block ×19, first 2 shown]
	ds_write2_b32 v145, v152, v153 offset0:44 offset1:45
	ds_write_b32 v145, v143 offset:184
	ds_read_b32 v151, v144
	s_waitcnt lgkmcnt(0)
	v_cmp_neq_f32_e32 vcc, 0, v151
	s_and_b64 exec, exec, vcc
	s_cbranch_execz .LBB93_31
; %bb.30:
	v_div_scale_f32 v152, s[4:5], v151, v151, 1.0
	v_rcp_f32_e32 v153, v152
	v_div_scale_f32 v154, vcc, 1.0, v151, 1.0
	v_fma_f32 v155, -v152, v153, 1.0
	v_fmac_f32_e32 v153, v155, v153
	v_mul_f32_e32 v155, v154, v153
	v_fma_f32 v156, -v152, v155, v154
	v_fmac_f32_e32 v155, v156, v153
	v_fma_f32 v152, -v152, v155, v154
	v_div_fmas_f32 v152, v152, v153, v155
	v_div_fixup_f32 v151, v152, v151, 1.0
	ds_write_b32 v144, v151
.LBB93_31:
	s_or_b64 exec, exec, s[2:3]
	s_waitcnt lgkmcnt(0)
	s_barrier
	ds_read_b32 v151, v144
	v_cmp_lt_u32_e32 vcc, 5, v25
	s_and_saveexec_b64 s[2:3], vcc
	s_cbranch_execz .LBB93_33
; %bb.32:
	ds_read_b32 v158, v145 offset:24
	ds_read2_b32 v[152:153], v145 offset0:7 offset1:8
	ds_read2_b32 v[154:155], v145 offset0:9 offset1:10
	s_waitcnt vmcnt(41) lgkmcnt(3)
	v_mul_f32_e32 v22, v151, v22
	ds_read2_b32 v[156:157], v145 offset0:11 offset1:12
	s_waitcnt vmcnt(40) lgkmcnt(3)
	v_fma_f32 v23, -v22, v158, v23
	s_waitcnt vmcnt(38) lgkmcnt(2)
	v_pk_fma_f32 v[16:17], v[22:23], v[152:153], v[16:17] op_sel_hi:[0,1,1] neg_lo:[1,0,0] neg_hi:[1,0,0]
	s_waitcnt vmcnt(36) lgkmcnt(1)
	v_pk_fma_f32 v[46:47], v[22:23], v[154:155], v[46:47] op_sel_hi:[0,1,1] neg_lo:[1,0,0] neg_hi:[1,0,0]
	ds_read2_b32 v[152:153], v145 offset0:13 offset1:14
	ds_read2_b32 v[154:155], v145 offset0:15 offset1:16
	;; [unrolled: 1-line block ×3, first 2 shown]
	s_waitcnt vmcnt(34) lgkmcnt(3)
	v_pk_fma_f32 v[50:51], v[22:23], v[156:157], v[50:51] op_sel_hi:[0,1,1] neg_lo:[1,0,0] neg_hi:[1,0,0]
	ds_read2_b32 v[156:157], v145 offset0:19 offset1:20
	s_waitcnt vmcnt(32) lgkmcnt(3)
	v_pk_fma_f32 v[44:45], v[22:23], v[152:153], v[44:45] op_sel_hi:[0,1,1] neg_lo:[1,0,0] neg_hi:[1,0,0]
	s_waitcnt vmcnt(30) lgkmcnt(2)
	v_pk_fma_f32 v[48:49], v[22:23], v[154:155], v[48:49] op_sel_hi:[0,1,1] neg_lo:[1,0,0] neg_hi:[1,0,0]
	;; [unrolled: 2-line block ×3, first 2 shown]
	ds_read2_b32 v[152:153], v145 offset0:21 offset1:22
	ds_read2_b32 v[154:155], v145 offset0:23 offset1:24
	;; [unrolled: 1-line block ×3, first 2 shown]
	s_waitcnt vmcnt(26) lgkmcnt(3)
	v_pk_fma_f32 v[68:69], v[22:23], v[156:157], v[68:69] op_sel_hi:[0,1,1] neg_lo:[1,0,0] neg_hi:[1,0,0]
	ds_read2_b32 v[156:157], v145 offset0:27 offset1:28
	s_waitcnt vmcnt(24) lgkmcnt(3)
	v_pk_fma_f32 v[70:71], v[22:23], v[152:153], v[70:71] op_sel_hi:[0,1,1] neg_lo:[1,0,0] neg_hi:[1,0,0]
	s_waitcnt vmcnt(22) lgkmcnt(2)
	v_pk_fma_f32 v[72:73], v[22:23], v[154:155], v[72:73] op_sel_hi:[0,1,1] neg_lo:[1,0,0] neg_hi:[1,0,0]
	;; [unrolled: 2-line block ×3, first 2 shown]
	ds_read2_b32 v[152:153], v145 offset0:29 offset1:30
	ds_read2_b32 v[154:155], v145 offset0:31 offset1:32
	;; [unrolled: 1-line block ×4, first 2 shown]
	s_waitcnt vmcnt(18) lgkmcnt(4)
	v_pk_fma_f32 v[96:97], v[22:23], v[156:157], v[96:97] op_sel_hi:[0,1,1] neg_lo:[1,0,0] neg_hi:[1,0,0]
	s_waitcnt vmcnt(16) lgkmcnt(3)
	v_pk_fma_f32 v[98:99], v[22:23], v[152:153], v[98:99] op_sel_hi:[0,1,1] neg_lo:[1,0,0] neg_hi:[1,0,0]
	;; [unrolled: 2-line block ×5, first 2 shown]
	ds_read2_b32 v[152:153], v145 offset0:37 offset1:38
	ds_read2_b32 v[154:155], v145 offset0:39 offset1:40
	;; [unrolled: 1-line block ×5, first 2 shown]
	s_waitcnt vmcnt(8) lgkmcnt(4)
	v_pk_fma_f32 v[116:117], v[22:23], v[152:153], v[116:117] op_sel_hi:[0,1,1] neg_lo:[1,0,0] neg_hi:[1,0,0]
	s_waitcnt vmcnt(6) lgkmcnt(3)
	v_pk_fma_f32 v[120:121], v[22:23], v[154:155], v[120:121] op_sel_hi:[0,1,1] neg_lo:[1,0,0] neg_hi:[1,0,0]
	;; [unrolled: 2-line block ×5, first 2 shown]
.LBB93_33:
	s_or_b64 exec, exec, s[2:3]
	v_cmp_ne_u32_e32 vcc, 6, v25
	s_waitcnt lgkmcnt(0)
	s_barrier
	s_and_saveexec_b64 s[2:3], vcc
	s_xor_b64 s[2:3], exec, s[2:3]
	s_andn2_saveexec_b64 s[2:3], s[2:3]
	s_cbranch_execz .LBB93_37
; %bb.34:
	s_waitcnt vmcnt(40)
	ds_write_b32 v144, v23
	s_waitcnt vmcnt(38)
	ds_write2_b32 v145, v16, v17 offset0:7 offset1:8
	s_waitcnt vmcnt(36)
	ds_write2_b32 v145, v46, v47 offset0:9 offset1:10
	;; [unrolled: 2-line block ×20, first 2 shown]
	ds_read_b32 v152, v144
	s_waitcnt lgkmcnt(0)
	v_cmp_neq_f32_e32 vcc, 0, v152
	s_and_saveexec_b64 s[4:5], vcc
	s_cbranch_execz .LBB93_36
; %bb.35:
	v_div_scale_f32 v153, s[10:11], v152, v152, 1.0
	v_rcp_f32_e32 v154, v153
	v_div_scale_f32 v155, vcc, 1.0, v152, 1.0
	v_fma_f32 v156, -v153, v154, 1.0
	v_fmac_f32_e32 v154, v156, v154
	v_mul_f32_e32 v156, v155, v154
	v_fma_f32 v157, -v153, v156, v155
	v_fmac_f32_e32 v156, v157, v154
	v_fma_f32 v153, -v153, v156, v155
	v_div_fmas_f32 v153, v153, v154, v156
	v_div_fixup_f32 v152, v153, v152, 1.0
	ds_write_b32 v144, v152
.LBB93_36:
	s_or_b64 exec, exec, s[4:5]
.LBB93_37:
	s_or_b64 exec, exec, s[2:3]
	s_waitcnt lgkmcnt(0)
	s_barrier
	ds_read_b32 v152, v144
	v_cmp_lt_u32_e32 vcc, 6, v25
	s_and_saveexec_b64 s[2:3], vcc
	s_cbranch_execz .LBB93_39
; %bb.38:
	ds_read2_b32 v[154:155], v145 offset0:7 offset1:8
	ds_read2_b32 v[156:157], v145 offset0:9 offset1:10
	;; [unrolled: 1-line block ×3, first 2 shown]
	s_waitcnt vmcnt(40) lgkmcnt(3)
	v_mul_f32_e32 v160, v152, v23
	ds_read2_b32 v[162:163], v145 offset0:13 offset1:14
	s_waitcnt vmcnt(38) lgkmcnt(3)
	v_pk_fma_f32 v[16:17], v[160:161], v[154:155], v[16:17] op_sel_hi:[0,1,1] neg_lo:[1,0,0] neg_hi:[1,0,0]
	s_waitcnt vmcnt(36) lgkmcnt(2)
	v_pk_fma_f32 v[46:47], v[160:161], v[156:157], v[46:47] op_sel_hi:[0,1,1] neg_lo:[1,0,0] neg_hi:[1,0,0]
	s_waitcnt vmcnt(34) lgkmcnt(1)
	v_pk_fma_f32 v[50:51], v[160:161], v[158:159], v[50:51] op_sel_hi:[0,1,1] neg_lo:[1,0,0] neg_hi:[1,0,0]
	ds_read2_b32 v[154:155], v145 offset0:15 offset1:16
	ds_read2_b32 v[156:157], v145 offset0:17 offset1:18
	ds_read2_b32 v[158:159], v145 offset0:19 offset1:20
	s_waitcnt vmcnt(32) lgkmcnt(3)
	v_pk_fma_f32 v[44:45], v[160:161], v[162:163], v[44:45] op_sel_hi:[0,1,1] neg_lo:[1,0,0] neg_hi:[1,0,0]
	ds_read2_b32 v[162:163], v145 offset0:21 offset1:22
	s_waitcnt vmcnt(30) lgkmcnt(3)
	v_pk_fma_f32 v[48:49], v[160:161], v[154:155], v[48:49] op_sel_hi:[0,1,1] neg_lo:[1,0,0] neg_hi:[1,0,0]
	s_waitcnt vmcnt(28) lgkmcnt(2)
	v_pk_fma_f32 v[74:75], v[160:161], v[156:157], v[74:75] op_sel_hi:[0,1,1] neg_lo:[1,0,0] neg_hi:[1,0,0]
	s_waitcnt vmcnt(26) lgkmcnt(1)
	v_pk_fma_f32 v[68:69], v[160:161], v[158:159], v[68:69] op_sel_hi:[0,1,1] neg_lo:[1,0,0] neg_hi:[1,0,0]
	ds_read2_b32 v[154:155], v145 offset0:23 offset1:24
	ds_read2_b32 v[156:157], v145 offset0:25 offset1:26
	ds_read2_b32 v[158:159], v145 offset0:27 offset1:28
	s_waitcnt vmcnt(24) lgkmcnt(3)
	v_pk_fma_f32 v[70:71], v[160:161], v[162:163], v[70:71] op_sel_hi:[0,1,1] neg_lo:[1,0,0] neg_hi:[1,0,0]
	;; [unrolled: 12-line block ×3, first 2 shown]
	ds_read2_b32 v[162:163], v145 offset0:37 offset1:38
	s_waitcnt vmcnt(14) lgkmcnt(3)
	v_pk_fma_f32 v[92:93], v[160:161], v[154:155], v[92:93] op_sel_hi:[0,1,1] neg_lo:[1,0,0] neg_hi:[1,0,0]
	s_waitcnt vmcnt(12) lgkmcnt(2)
	v_pk_fma_f32 v[118:119], v[160:161], v[156:157], v[118:119] op_sel_hi:[0,1,1] neg_lo:[1,0,0] neg_hi:[1,0,0]
	;; [unrolled: 2-line block ×3, first 2 shown]
	ds_read2_b32 v[154:155], v145 offset0:39 offset1:40
	ds_read2_b32 v[156:157], v145 offset0:41 offset1:42
	;; [unrolled: 1-line block ×4, first 2 shown]
	s_waitcnt vmcnt(8) lgkmcnt(4)
	v_pk_fma_f32 v[116:117], v[160:161], v[162:163], v[116:117] op_sel_hi:[0,1,1] neg_lo:[1,0,0] neg_hi:[1,0,0]
	s_waitcnt vmcnt(6) lgkmcnt(3)
	v_pk_fma_f32 v[120:121], v[160:161], v[154:155], v[120:121] op_sel_hi:[0,1,1] neg_lo:[1,0,0] neg_hi:[1,0,0]
	;; [unrolled: 2-line block ×5, first 2 shown]
	v_mov_b32_e32 v23, v160
.LBB93_39:
	s_or_b64 exec, exec, s[2:3]
	v_cmp_eq_u32_e32 vcc, 7, v25
	s_waitcnt lgkmcnt(0)
	s_barrier
	s_and_saveexec_b64 s[2:3], vcc
	s_cbranch_execz .LBB93_42
; %bb.40:
	s_waitcnt vmcnt(36)
	v_pk_mov_b32 v[154:155], v[16:17], v[46:47] op_sel:[1,0]
	ds_write_b32 v144, v16
	ds_write2_b32 v145, v154, v155 offset0:8 offset1:9
	s_waitcnt vmcnt(34)
	v_pk_mov_b32 v[154:155], v[46:47], v[50:51] op_sel:[1,0]
	ds_write2_b32 v145, v154, v155 offset0:10 offset1:11
	s_waitcnt vmcnt(32)
	v_pk_mov_b32 v[154:155], v[50:51], v[44:45] op_sel:[1,0]
	;; [unrolled: 3-line block ×18, first 2 shown]
	ds_write2_b32 v145, v154, v155 offset0:44 offset1:45
	ds_write_b32 v145, v143 offset:184
	ds_read_b32 v153, v144
	s_waitcnt lgkmcnt(0)
	v_cmp_neq_f32_e32 vcc, 0, v153
	s_and_b64 exec, exec, vcc
	s_cbranch_execz .LBB93_42
; %bb.41:
	v_div_scale_f32 v154, s[4:5], v153, v153, 1.0
	v_rcp_f32_e32 v155, v154
	v_div_scale_f32 v156, vcc, 1.0, v153, 1.0
	v_fma_f32 v157, -v154, v155, 1.0
	v_fmac_f32_e32 v155, v157, v155
	v_mul_f32_e32 v157, v156, v155
	v_fma_f32 v158, -v154, v157, v156
	v_fmac_f32_e32 v157, v158, v155
	v_fma_f32 v154, -v154, v157, v156
	v_div_fmas_f32 v154, v154, v155, v157
	v_div_fixup_f32 v153, v154, v153, 1.0
	ds_write_b32 v144, v153
.LBB93_42:
	s_or_b64 exec, exec, s[2:3]
	s_waitcnt lgkmcnt(0)
	s_barrier
	ds_read_b32 v153, v144
	v_cmp_lt_u32_e32 vcc, 7, v25
	s_and_saveexec_b64 s[2:3], vcc
	s_cbranch_execz .LBB93_44
; %bb.43:
	ds_read_b32 v160, v145 offset:32
	ds_read2_b32 v[154:155], v145 offset0:9 offset1:10
	ds_read2_b32 v[156:157], v145 offset0:11 offset1:12
	s_waitcnt vmcnt(39) lgkmcnt(3)
	v_mul_f32_e32 v16, v153, v16
	ds_read2_b32 v[158:159], v145 offset0:13 offset1:14
	s_waitcnt vmcnt(38) lgkmcnt(3)
	v_fma_f32 v17, -v16, v160, v17
	s_waitcnt vmcnt(36) lgkmcnt(2)
	v_pk_fma_f32 v[46:47], v[16:17], v[154:155], v[46:47] op_sel_hi:[0,1,1] neg_lo:[1,0,0] neg_hi:[1,0,0]
	s_waitcnt vmcnt(34) lgkmcnt(1)
	v_pk_fma_f32 v[50:51], v[16:17], v[156:157], v[50:51] op_sel_hi:[0,1,1] neg_lo:[1,0,0] neg_hi:[1,0,0]
	ds_read2_b32 v[154:155], v145 offset0:15 offset1:16
	ds_read2_b32 v[156:157], v145 offset0:17 offset1:18
	ds_read2_b32 v[160:161], v145 offset0:19 offset1:20
	s_waitcnt vmcnt(32) lgkmcnt(3)
	v_pk_fma_f32 v[44:45], v[16:17], v[158:159], v[44:45] op_sel_hi:[0,1,1] neg_lo:[1,0,0] neg_hi:[1,0,0]
	ds_read2_b32 v[158:159], v145 offset0:21 offset1:22
	s_waitcnt vmcnt(30) lgkmcnt(3)
	v_pk_fma_f32 v[48:49], v[16:17], v[154:155], v[48:49] op_sel_hi:[0,1,1] neg_lo:[1,0,0] neg_hi:[1,0,0]
	s_waitcnt vmcnt(28) lgkmcnt(2)
	v_pk_fma_f32 v[74:75], v[16:17], v[156:157], v[74:75] op_sel_hi:[0,1,1] neg_lo:[1,0,0] neg_hi:[1,0,0]
	s_waitcnt vmcnt(26) lgkmcnt(1)
	v_pk_fma_f32 v[68:69], v[16:17], v[160:161], v[68:69] op_sel_hi:[0,1,1] neg_lo:[1,0,0] neg_hi:[1,0,0]
	ds_read2_b32 v[154:155], v145 offset0:23 offset1:24
	ds_read2_b32 v[156:157], v145 offset0:25 offset1:26
	ds_read2_b32 v[160:161], v145 offset0:27 offset1:28
	s_waitcnt vmcnt(24) lgkmcnt(3)
	v_pk_fma_f32 v[70:71], v[16:17], v[158:159], v[70:71] op_sel_hi:[0,1,1] neg_lo:[1,0,0] neg_hi:[1,0,0]
	ds_read2_b32 v[158:159], v145 offset0:29 offset1:30
	s_waitcnt vmcnt(22) lgkmcnt(3)
	v_pk_fma_f32 v[72:73], v[16:17], v[154:155], v[72:73] op_sel_hi:[0,1,1] neg_lo:[1,0,0] neg_hi:[1,0,0]
	;; [unrolled: 12-line block ×3, first 2 shown]
	s_waitcnt vmcnt(12) lgkmcnt(2)
	v_pk_fma_f32 v[118:119], v[16:17], v[156:157], v[118:119] op_sel_hi:[0,1,1] neg_lo:[1,0,0] neg_hi:[1,0,0]
	s_waitcnt vmcnt(10) lgkmcnt(1)
	v_pk_fma_f32 v[122:123], v[16:17], v[160:161], v[122:123] op_sel_hi:[0,1,1] neg_lo:[1,0,0] neg_hi:[1,0,0]
	ds_read2_b32 v[154:155], v145 offset0:39 offset1:40
	ds_read2_b32 v[156:157], v145 offset0:41 offset1:42
	;; [unrolled: 1-line block ×4, first 2 shown]
	s_waitcnt vmcnt(8) lgkmcnt(4)
	v_pk_fma_f32 v[116:117], v[16:17], v[158:159], v[116:117] op_sel_hi:[0,1,1] neg_lo:[1,0,0] neg_hi:[1,0,0]
	s_waitcnt vmcnt(6) lgkmcnt(3)
	v_pk_fma_f32 v[120:121], v[16:17], v[154:155], v[120:121] op_sel_hi:[0,1,1] neg_lo:[1,0,0] neg_hi:[1,0,0]
	;; [unrolled: 2-line block ×5, first 2 shown]
.LBB93_44:
	s_or_b64 exec, exec, s[2:3]
	v_cmp_ne_u32_e32 vcc, 8, v25
	s_waitcnt lgkmcnt(0)
	s_barrier
	s_and_saveexec_b64 s[2:3], vcc
	s_xor_b64 s[2:3], exec, s[2:3]
	s_andn2_saveexec_b64 s[2:3], s[2:3]
	s_cbranch_execz .LBB93_48
; %bb.45:
	s_waitcnt vmcnt(38)
	ds_write_b32 v144, v17
	s_waitcnt vmcnt(36)
	ds_write2_b32 v145, v46, v47 offset0:9 offset1:10
	s_waitcnt vmcnt(34)
	ds_write2_b32 v145, v50, v51 offset0:11 offset1:12
	;; [unrolled: 2-line block ×19, first 2 shown]
	ds_read_b32 v154, v144
	s_waitcnt lgkmcnt(0)
	v_cmp_neq_f32_e32 vcc, 0, v154
	s_and_saveexec_b64 s[4:5], vcc
	s_cbranch_execz .LBB93_47
; %bb.46:
	v_div_scale_f32 v155, s[10:11], v154, v154, 1.0
	v_rcp_f32_e32 v156, v155
	v_div_scale_f32 v157, vcc, 1.0, v154, 1.0
	v_fma_f32 v158, -v155, v156, 1.0
	v_fmac_f32_e32 v156, v158, v156
	v_mul_f32_e32 v158, v157, v156
	v_fma_f32 v159, -v155, v158, v157
	v_fmac_f32_e32 v158, v159, v156
	v_fma_f32 v155, -v155, v158, v157
	v_div_fmas_f32 v155, v155, v156, v158
	v_div_fixup_f32 v154, v155, v154, 1.0
	ds_write_b32 v144, v154
.LBB93_47:
	s_or_b64 exec, exec, s[4:5]
.LBB93_48:
	s_or_b64 exec, exec, s[2:3]
	s_waitcnt lgkmcnt(0)
	s_barrier
	ds_read_b32 v154, v144
	v_cmp_lt_u32_e32 vcc, 8, v25
	s_and_saveexec_b64 s[2:3], vcc
	s_cbranch_execz .LBB93_50
; %bb.49:
	ds_read2_b32 v[156:157], v145 offset0:9 offset1:10
	ds_read2_b32 v[158:159], v145 offset0:11 offset1:12
	ds_read2_b32 v[160:161], v145 offset0:13 offset1:14
	s_waitcnt vmcnt(38) lgkmcnt(3)
	v_mul_f32_e32 v162, v154, v17
	ds_read2_b32 v[164:165], v145 offset0:15 offset1:16
	s_waitcnt vmcnt(36) lgkmcnt(3)
	v_pk_fma_f32 v[46:47], v[162:163], v[156:157], v[46:47] op_sel_hi:[0,1,1] neg_lo:[1,0,0] neg_hi:[1,0,0]
	s_waitcnt vmcnt(34) lgkmcnt(2)
	v_pk_fma_f32 v[50:51], v[162:163], v[158:159], v[50:51] op_sel_hi:[0,1,1] neg_lo:[1,0,0] neg_hi:[1,0,0]
	;; [unrolled: 2-line block ×3, first 2 shown]
	ds_read2_b32 v[156:157], v145 offset0:17 offset1:18
	ds_read2_b32 v[158:159], v145 offset0:19 offset1:20
	;; [unrolled: 1-line block ×3, first 2 shown]
	s_waitcnt vmcnt(30) lgkmcnt(3)
	v_pk_fma_f32 v[48:49], v[162:163], v[164:165], v[48:49] op_sel_hi:[0,1,1] neg_lo:[1,0,0] neg_hi:[1,0,0]
	ds_read2_b32 v[164:165], v145 offset0:23 offset1:24
	s_waitcnt vmcnt(28) lgkmcnt(3)
	v_pk_fma_f32 v[74:75], v[162:163], v[156:157], v[74:75] op_sel_hi:[0,1,1] neg_lo:[1,0,0] neg_hi:[1,0,0]
	s_waitcnt vmcnt(26) lgkmcnt(2)
	v_pk_fma_f32 v[68:69], v[162:163], v[158:159], v[68:69] op_sel_hi:[0,1,1] neg_lo:[1,0,0] neg_hi:[1,0,0]
	;; [unrolled: 2-line block ×3, first 2 shown]
	ds_read2_b32 v[156:157], v145 offset0:25 offset1:26
	ds_read2_b32 v[158:159], v145 offset0:27 offset1:28
	ds_read2_b32 v[160:161], v145 offset0:29 offset1:30
	s_waitcnt vmcnt(22) lgkmcnt(3)
	v_pk_fma_f32 v[72:73], v[162:163], v[164:165], v[72:73] op_sel_hi:[0,1,1] neg_lo:[1,0,0] neg_hi:[1,0,0]
	ds_read2_b32 v[164:165], v145 offset0:31 offset1:32
	s_waitcnt vmcnt(20) lgkmcnt(3)
	v_pk_fma_f32 v[94:95], v[162:163], v[156:157], v[94:95] op_sel_hi:[0,1,1] neg_lo:[1,0,0] neg_hi:[1,0,0]
	s_waitcnt vmcnt(18) lgkmcnt(2)
	v_pk_fma_f32 v[96:97], v[162:163], v[158:159], v[96:97] op_sel_hi:[0,1,1] neg_lo:[1,0,0] neg_hi:[1,0,0]
	ds_read2_b32 v[156:157], v145 offset0:33 offset1:34
	ds_read2_b32 v[158:159], v145 offset0:35 offset1:36
	s_waitcnt vmcnt(16) lgkmcnt(3)
	v_pk_fma_f32 v[98:99], v[162:163], v[160:161], v[98:99] op_sel_hi:[0,1,1] neg_lo:[1,0,0] neg_hi:[1,0,0]
	s_waitcnt vmcnt(14) lgkmcnt(2)
	v_pk_fma_f32 v[92:93], v[162:163], v[164:165], v[92:93] op_sel_hi:[0,1,1] neg_lo:[1,0,0] neg_hi:[1,0,0]
	ds_read2_b32 v[160:161], v145 offset0:37 offset1:38
	;; [unrolled: 6-line block ×3, first 2 shown]
	ds_read2_b32 v[158:159], v145 offset0:43 offset1:44
	ds_read2_b32 v[166:167], v145 offset0:45 offset1:46
	s_waitcnt vmcnt(8) lgkmcnt(4)
	v_pk_fma_f32 v[116:117], v[162:163], v[160:161], v[116:117] op_sel_hi:[0,1,1] neg_lo:[1,0,0] neg_hi:[1,0,0]
	s_waitcnt vmcnt(6) lgkmcnt(3)
	v_pk_fma_f32 v[120:121], v[162:163], v[164:165], v[120:121] op_sel_hi:[0,1,1] neg_lo:[1,0,0] neg_hi:[1,0,0]
	;; [unrolled: 2-line block ×5, first 2 shown]
	v_mov_b32_e32 v17, v162
.LBB93_50:
	s_or_b64 exec, exec, s[2:3]
	v_cmp_eq_u32_e32 vcc, 9, v25
	s_waitcnt lgkmcnt(0)
	s_barrier
	s_and_saveexec_b64 s[2:3], vcc
	s_cbranch_execz .LBB93_53
; %bb.51:
	s_waitcnt vmcnt(34)
	v_pk_mov_b32 v[156:157], v[46:47], v[50:51] op_sel:[1,0]
	ds_write_b32 v144, v46
	ds_write2_b32 v145, v156, v157 offset0:10 offset1:11
	s_waitcnt vmcnt(32)
	v_pk_mov_b32 v[156:157], v[50:51], v[44:45] op_sel:[1,0]
	ds_write2_b32 v145, v156, v157 offset0:12 offset1:13
	s_waitcnt vmcnt(30)
	v_pk_mov_b32 v[156:157], v[44:45], v[48:49] op_sel:[1,0]
	;; [unrolled: 3-line block ×17, first 2 shown]
	ds_write2_b32 v145, v156, v157 offset0:44 offset1:45
	ds_write_b32 v145, v143 offset:184
	ds_read_b32 v155, v144
	s_waitcnt lgkmcnt(0)
	v_cmp_neq_f32_e32 vcc, 0, v155
	s_and_b64 exec, exec, vcc
	s_cbranch_execz .LBB93_53
; %bb.52:
	v_div_scale_f32 v156, s[4:5], v155, v155, 1.0
	v_rcp_f32_e32 v157, v156
	v_div_scale_f32 v158, vcc, 1.0, v155, 1.0
	v_fma_f32 v159, -v156, v157, 1.0
	v_fmac_f32_e32 v157, v159, v157
	v_mul_f32_e32 v159, v158, v157
	v_fma_f32 v160, -v156, v159, v158
	v_fmac_f32_e32 v159, v160, v157
	v_fma_f32 v156, -v156, v159, v158
	v_div_fmas_f32 v156, v156, v157, v159
	v_div_fixup_f32 v155, v156, v155, 1.0
	ds_write_b32 v144, v155
.LBB93_53:
	s_or_b64 exec, exec, s[2:3]
	s_waitcnt lgkmcnt(0)
	s_barrier
	ds_read_b32 v155, v144
	v_cmp_lt_u32_e32 vcc, 9, v25
	s_and_saveexec_b64 s[2:3], vcc
	s_cbranch_execz .LBB93_55
; %bb.54:
	ds_read_b32 v162, v145 offset:40
	ds_read2_b32 v[156:157], v145 offset0:11 offset1:12
	ds_read2_b32 v[158:159], v145 offset0:13 offset1:14
	s_waitcnt vmcnt(37) lgkmcnt(3)
	v_mul_f32_e32 v46, v155, v46
	ds_read2_b32 v[160:161], v145 offset0:15 offset1:16
	s_waitcnt vmcnt(36) lgkmcnt(3)
	v_fma_f32 v47, -v46, v162, v47
	s_waitcnt vmcnt(34) lgkmcnt(2)
	v_pk_fma_f32 v[50:51], v[46:47], v[156:157], v[50:51] op_sel_hi:[0,1,1] neg_lo:[1,0,0] neg_hi:[1,0,0]
	s_waitcnt vmcnt(32) lgkmcnt(1)
	v_pk_fma_f32 v[44:45], v[46:47], v[158:159], v[44:45] op_sel_hi:[0,1,1] neg_lo:[1,0,0] neg_hi:[1,0,0]
	ds_read2_b32 v[156:157], v145 offset0:17 offset1:18
	ds_read2_b32 v[158:159], v145 offset0:19 offset1:20
	;; [unrolled: 1-line block ×3, first 2 shown]
	s_waitcnt vmcnt(30) lgkmcnt(3)
	v_pk_fma_f32 v[48:49], v[46:47], v[160:161], v[48:49] op_sel_hi:[0,1,1] neg_lo:[1,0,0] neg_hi:[1,0,0]
	ds_read2_b32 v[160:161], v145 offset0:23 offset1:24
	s_waitcnt vmcnt(28) lgkmcnt(3)
	v_pk_fma_f32 v[74:75], v[46:47], v[156:157], v[74:75] op_sel_hi:[0,1,1] neg_lo:[1,0,0] neg_hi:[1,0,0]
	s_waitcnt vmcnt(26) lgkmcnt(2)
	v_pk_fma_f32 v[68:69], v[46:47], v[158:159], v[68:69] op_sel_hi:[0,1,1] neg_lo:[1,0,0] neg_hi:[1,0,0]
	;; [unrolled: 2-line block ×3, first 2 shown]
	ds_read2_b32 v[156:157], v145 offset0:25 offset1:26
	ds_read2_b32 v[158:159], v145 offset0:27 offset1:28
	;; [unrolled: 1-line block ×3, first 2 shown]
	s_waitcnt vmcnt(22) lgkmcnt(3)
	v_pk_fma_f32 v[72:73], v[46:47], v[160:161], v[72:73] op_sel_hi:[0,1,1] neg_lo:[1,0,0] neg_hi:[1,0,0]
	ds_read2_b32 v[160:161], v145 offset0:31 offset1:32
	s_waitcnt vmcnt(20) lgkmcnt(3)
	v_pk_fma_f32 v[94:95], v[46:47], v[156:157], v[94:95] op_sel_hi:[0,1,1] neg_lo:[1,0,0] neg_hi:[1,0,0]
	s_waitcnt vmcnt(18) lgkmcnt(2)
	v_pk_fma_f32 v[96:97], v[46:47], v[158:159], v[96:97] op_sel_hi:[0,1,1] neg_lo:[1,0,0] neg_hi:[1,0,0]
	ds_read2_b32 v[156:157], v145 offset0:33 offset1:34
	ds_read2_b32 v[158:159], v145 offset0:35 offset1:36
	s_waitcnt vmcnt(16) lgkmcnt(3)
	v_pk_fma_f32 v[98:99], v[46:47], v[162:163], v[98:99] op_sel_hi:[0,1,1] neg_lo:[1,0,0] neg_hi:[1,0,0]
	s_waitcnt vmcnt(14) lgkmcnt(2)
	v_pk_fma_f32 v[92:93], v[46:47], v[160:161], v[92:93] op_sel_hi:[0,1,1] neg_lo:[1,0,0] neg_hi:[1,0,0]
	ds_read2_b32 v[160:161], v145 offset0:37 offset1:38
	;; [unrolled: 6-line block ×3, first 2 shown]
	ds_read2_b32 v[158:159], v145 offset0:43 offset1:44
	ds_read2_b32 v[164:165], v145 offset0:45 offset1:46
	s_waitcnt vmcnt(8) lgkmcnt(4)
	v_pk_fma_f32 v[116:117], v[46:47], v[160:161], v[116:117] op_sel_hi:[0,1,1] neg_lo:[1,0,0] neg_hi:[1,0,0]
	s_waitcnt vmcnt(6) lgkmcnt(3)
	v_pk_fma_f32 v[120:121], v[46:47], v[162:163], v[120:121] op_sel_hi:[0,1,1] neg_lo:[1,0,0] neg_hi:[1,0,0]
	;; [unrolled: 2-line block ×5, first 2 shown]
.LBB93_55:
	s_or_b64 exec, exec, s[2:3]
	v_cmp_ne_u32_e32 vcc, 10, v25
	s_waitcnt lgkmcnt(0)
	s_barrier
	s_and_saveexec_b64 s[2:3], vcc
	s_xor_b64 s[2:3], exec, s[2:3]
	s_andn2_saveexec_b64 s[2:3], s[2:3]
	s_cbranch_execz .LBB93_59
; %bb.56:
	s_waitcnt vmcnt(36)
	ds_write_b32 v144, v47
	s_waitcnt vmcnt(34)
	ds_write2_b32 v145, v50, v51 offset0:11 offset1:12
	s_waitcnt vmcnt(32)
	ds_write2_b32 v145, v44, v45 offset0:13 offset1:14
	;; [unrolled: 2-line block ×18, first 2 shown]
	ds_read_b32 v156, v144
	s_waitcnt lgkmcnt(0)
	v_cmp_neq_f32_e32 vcc, 0, v156
	s_and_saveexec_b64 s[4:5], vcc
	s_cbranch_execz .LBB93_58
; %bb.57:
	v_div_scale_f32 v157, s[10:11], v156, v156, 1.0
	v_rcp_f32_e32 v158, v157
	v_div_scale_f32 v159, vcc, 1.0, v156, 1.0
	v_fma_f32 v160, -v157, v158, 1.0
	v_fmac_f32_e32 v158, v160, v158
	v_mul_f32_e32 v160, v159, v158
	v_fma_f32 v161, -v157, v160, v159
	v_fmac_f32_e32 v160, v161, v158
	v_fma_f32 v157, -v157, v160, v159
	v_div_fmas_f32 v157, v157, v158, v160
	v_div_fixup_f32 v156, v157, v156, 1.0
	ds_write_b32 v144, v156
.LBB93_58:
	s_or_b64 exec, exec, s[4:5]
.LBB93_59:
	s_or_b64 exec, exec, s[2:3]
	s_waitcnt lgkmcnt(0)
	s_barrier
	ds_read_b32 v156, v144
	v_cmp_lt_u32_e32 vcc, 10, v25
	s_and_saveexec_b64 s[2:3], vcc
	s_cbranch_execz .LBB93_61
; %bb.60:
	ds_read2_b32 v[158:159], v145 offset0:11 offset1:12
	ds_read2_b32 v[160:161], v145 offset0:13 offset1:14
	;; [unrolled: 1-line block ×4, first 2 shown]
	s_waitcnt vmcnt(36) lgkmcnt(4)
	v_mul_f32_e32 v164, v156, v47
	s_waitcnt vmcnt(34) lgkmcnt(3)
	v_pk_fma_f32 v[50:51], v[164:165], v[158:159], v[50:51] op_sel_hi:[0,1,1] neg_lo:[1,0,0] neg_hi:[1,0,0]
	s_waitcnt vmcnt(32) lgkmcnt(2)
	v_pk_fma_f32 v[44:45], v[164:165], v[160:161], v[44:45] op_sel_hi:[0,1,1] neg_lo:[1,0,0] neg_hi:[1,0,0]
	;; [unrolled: 2-line block ×3, first 2 shown]
	ds_read2_b32 v[158:159], v145 offset0:19 offset1:20
	ds_read2_b32 v[160:161], v145 offset0:21 offset1:22
	;; [unrolled: 1-line block ×3, first 2 shown]
	s_waitcnt vmcnt(28) lgkmcnt(3)
	v_pk_fma_f32 v[74:75], v[164:165], v[166:167], v[74:75] op_sel_hi:[0,1,1] neg_lo:[1,0,0] neg_hi:[1,0,0]
	ds_read2_b32 v[166:167], v145 offset0:25 offset1:26
	s_waitcnt vmcnt(26) lgkmcnt(3)
	v_pk_fma_f32 v[68:69], v[164:165], v[158:159], v[68:69] op_sel_hi:[0,1,1] neg_lo:[1,0,0] neg_hi:[1,0,0]
	s_waitcnt vmcnt(24) lgkmcnt(2)
	v_pk_fma_f32 v[70:71], v[164:165], v[160:161], v[70:71] op_sel_hi:[0,1,1] neg_lo:[1,0,0] neg_hi:[1,0,0]
	;; [unrolled: 2-line block ×3, first 2 shown]
	ds_read2_b32 v[158:159], v145 offset0:27 offset1:28
	ds_read2_b32 v[160:161], v145 offset0:29 offset1:30
	;; [unrolled: 1-line block ×3, first 2 shown]
	s_waitcnt vmcnt(20) lgkmcnt(3)
	v_pk_fma_f32 v[94:95], v[164:165], v[166:167], v[94:95] op_sel_hi:[0,1,1] neg_lo:[1,0,0] neg_hi:[1,0,0]
	ds_read2_b32 v[166:167], v145 offset0:33 offset1:34
	s_waitcnt vmcnt(18) lgkmcnt(3)
	v_pk_fma_f32 v[96:97], v[164:165], v[158:159], v[96:97] op_sel_hi:[0,1,1] neg_lo:[1,0,0] neg_hi:[1,0,0]
	ds_read2_b32 v[158:159], v145 offset0:35 offset1:36
	s_waitcnt vmcnt(16) lgkmcnt(3)
	v_pk_fma_f32 v[98:99], v[164:165], v[160:161], v[98:99] op_sel_hi:[0,1,1] neg_lo:[1,0,0] neg_hi:[1,0,0]
	s_waitcnt vmcnt(14) lgkmcnt(2)
	v_pk_fma_f32 v[92:93], v[164:165], v[162:163], v[92:93] op_sel_hi:[0,1,1] neg_lo:[1,0,0] neg_hi:[1,0,0]
	;; [unrolled: 2-line block ×3, first 2 shown]
	ds_read2_b32 v[160:161], v145 offset0:37 offset1:38
	ds_read2_b32 v[162:163], v145 offset0:39 offset1:40
	;; [unrolled: 1-line block ×3, first 2 shown]
	s_waitcnt vmcnt(10) lgkmcnt(3)
	v_pk_fma_f32 v[122:123], v[164:165], v[158:159], v[122:123] op_sel_hi:[0,1,1] neg_lo:[1,0,0] neg_hi:[1,0,0]
	ds_read2_b32 v[158:159], v145 offset0:43 offset1:44
	ds_read2_b32 v[168:169], v145 offset0:45 offset1:46
	s_waitcnt vmcnt(8) lgkmcnt(4)
	v_pk_fma_f32 v[116:117], v[164:165], v[160:161], v[116:117] op_sel_hi:[0,1,1] neg_lo:[1,0,0] neg_hi:[1,0,0]
	s_waitcnt vmcnt(6) lgkmcnt(3)
	v_pk_fma_f32 v[120:121], v[164:165], v[162:163], v[120:121] op_sel_hi:[0,1,1] neg_lo:[1,0,0] neg_hi:[1,0,0]
	;; [unrolled: 2-line block ×5, first 2 shown]
	v_mov_b32_e32 v47, v164
.LBB93_61:
	s_or_b64 exec, exec, s[2:3]
	v_cmp_eq_u32_e32 vcc, 11, v25
	s_waitcnt lgkmcnt(0)
	s_barrier
	s_and_saveexec_b64 s[2:3], vcc
	s_cbranch_execz .LBB93_64
; %bb.62:
	s_waitcnt vmcnt(32)
	v_pk_mov_b32 v[158:159], v[50:51], v[44:45] op_sel:[1,0]
	ds_write_b32 v144, v50
	ds_write2_b32 v145, v158, v159 offset0:12 offset1:13
	s_waitcnt vmcnt(30)
	v_pk_mov_b32 v[158:159], v[44:45], v[48:49] op_sel:[1,0]
	ds_write2_b32 v145, v158, v159 offset0:14 offset1:15
	s_waitcnt vmcnt(28)
	v_pk_mov_b32 v[158:159], v[48:49], v[74:75] op_sel:[1,0]
	;; [unrolled: 3-line block ×16, first 2 shown]
	ds_write2_b32 v145, v158, v159 offset0:44 offset1:45
	ds_write_b32 v145, v143 offset:184
	ds_read_b32 v157, v144
	s_waitcnt lgkmcnt(0)
	v_cmp_neq_f32_e32 vcc, 0, v157
	s_and_b64 exec, exec, vcc
	s_cbranch_execz .LBB93_64
; %bb.63:
	v_div_scale_f32 v158, s[4:5], v157, v157, 1.0
	v_rcp_f32_e32 v159, v158
	v_div_scale_f32 v160, vcc, 1.0, v157, 1.0
	v_fma_f32 v161, -v158, v159, 1.0
	v_fmac_f32_e32 v159, v161, v159
	v_mul_f32_e32 v161, v160, v159
	v_fma_f32 v162, -v158, v161, v160
	v_fmac_f32_e32 v161, v162, v159
	v_fma_f32 v158, -v158, v161, v160
	v_div_fmas_f32 v158, v158, v159, v161
	v_div_fixup_f32 v157, v158, v157, 1.0
	ds_write_b32 v144, v157
.LBB93_64:
	s_or_b64 exec, exec, s[2:3]
	s_waitcnt lgkmcnt(0)
	s_barrier
	ds_read_b32 v157, v144
	v_cmp_lt_u32_e32 vcc, 11, v25
	s_and_saveexec_b64 s[2:3], vcc
	s_cbranch_execz .LBB93_66
; %bb.65:
	ds_read_b32 v164, v145 offset:48
	ds_read2_b32 v[158:159], v145 offset0:13 offset1:14
	ds_read2_b32 v[160:161], v145 offset0:15 offset1:16
	s_waitcnt vmcnt(35) lgkmcnt(3)
	v_mul_f32_e32 v50, v157, v50
	ds_read2_b32 v[162:163], v145 offset0:17 offset1:18
	s_waitcnt vmcnt(34) lgkmcnt(3)
	v_fma_f32 v51, -v50, v164, v51
	s_waitcnt vmcnt(32) lgkmcnt(2)
	v_pk_fma_f32 v[44:45], v[50:51], v[158:159], v[44:45] op_sel_hi:[0,1,1] neg_lo:[1,0,0] neg_hi:[1,0,0]
	s_waitcnt vmcnt(30) lgkmcnt(1)
	v_pk_fma_f32 v[48:49], v[50:51], v[160:161], v[48:49] op_sel_hi:[0,1,1] neg_lo:[1,0,0] neg_hi:[1,0,0]
	ds_read2_b32 v[158:159], v145 offset0:19 offset1:20
	ds_read2_b32 v[160:161], v145 offset0:21 offset1:22
	;; [unrolled: 1-line block ×3, first 2 shown]
	s_waitcnt vmcnt(28) lgkmcnt(3)
	v_pk_fma_f32 v[74:75], v[50:51], v[162:163], v[74:75] op_sel_hi:[0,1,1] neg_lo:[1,0,0] neg_hi:[1,0,0]
	ds_read2_b32 v[162:163], v145 offset0:25 offset1:26
	s_waitcnt vmcnt(26) lgkmcnt(3)
	v_pk_fma_f32 v[68:69], v[50:51], v[158:159], v[68:69] op_sel_hi:[0,1,1] neg_lo:[1,0,0] neg_hi:[1,0,0]
	s_waitcnt vmcnt(24) lgkmcnt(2)
	v_pk_fma_f32 v[70:71], v[50:51], v[160:161], v[70:71] op_sel_hi:[0,1,1] neg_lo:[1,0,0] neg_hi:[1,0,0]
	;; [unrolled: 2-line block ×3, first 2 shown]
	ds_read2_b32 v[158:159], v145 offset0:27 offset1:28
	ds_read2_b32 v[160:161], v145 offset0:29 offset1:30
	;; [unrolled: 1-line block ×3, first 2 shown]
	s_waitcnt vmcnt(20) lgkmcnt(3)
	v_pk_fma_f32 v[94:95], v[50:51], v[162:163], v[94:95] op_sel_hi:[0,1,1] neg_lo:[1,0,0] neg_hi:[1,0,0]
	ds_read2_b32 v[162:163], v145 offset0:33 offset1:34
	s_waitcnt vmcnt(18) lgkmcnt(3)
	v_pk_fma_f32 v[96:97], v[50:51], v[158:159], v[96:97] op_sel_hi:[0,1,1] neg_lo:[1,0,0] neg_hi:[1,0,0]
	ds_read2_b32 v[158:159], v145 offset0:35 offset1:36
	s_waitcnt vmcnt(16) lgkmcnt(3)
	v_pk_fma_f32 v[98:99], v[50:51], v[160:161], v[98:99] op_sel_hi:[0,1,1] neg_lo:[1,0,0] neg_hi:[1,0,0]
	s_waitcnt vmcnt(14) lgkmcnt(2)
	v_pk_fma_f32 v[92:93], v[50:51], v[164:165], v[92:93] op_sel_hi:[0,1,1] neg_lo:[1,0,0] neg_hi:[1,0,0]
	;; [unrolled: 2-line block ×3, first 2 shown]
	ds_read2_b32 v[160:161], v145 offset0:37 offset1:38
	ds_read2_b32 v[162:163], v145 offset0:39 offset1:40
	;; [unrolled: 1-line block ×3, first 2 shown]
	s_waitcnt vmcnt(10) lgkmcnt(3)
	v_pk_fma_f32 v[122:123], v[50:51], v[158:159], v[122:123] op_sel_hi:[0,1,1] neg_lo:[1,0,0] neg_hi:[1,0,0]
	ds_read2_b32 v[158:159], v145 offset0:43 offset1:44
	ds_read2_b32 v[166:167], v145 offset0:45 offset1:46
	s_waitcnt vmcnt(8) lgkmcnt(4)
	v_pk_fma_f32 v[116:117], v[50:51], v[160:161], v[116:117] op_sel_hi:[0,1,1] neg_lo:[1,0,0] neg_hi:[1,0,0]
	s_waitcnt vmcnt(6) lgkmcnt(3)
	v_pk_fma_f32 v[120:121], v[50:51], v[162:163], v[120:121] op_sel_hi:[0,1,1] neg_lo:[1,0,0] neg_hi:[1,0,0]
	;; [unrolled: 2-line block ×5, first 2 shown]
.LBB93_66:
	s_or_b64 exec, exec, s[2:3]
	v_cmp_ne_u32_e32 vcc, 12, v25
	s_waitcnt lgkmcnt(0)
	s_barrier
	s_and_saveexec_b64 s[2:3], vcc
	s_xor_b64 s[2:3], exec, s[2:3]
	s_andn2_saveexec_b64 s[2:3], s[2:3]
	s_cbranch_execz .LBB93_70
; %bb.67:
	s_waitcnt vmcnt(34)
	ds_write_b32 v144, v51
	s_waitcnt vmcnt(32)
	ds_write2_b32 v145, v44, v45 offset0:13 offset1:14
	s_waitcnt vmcnt(30)
	ds_write2_b32 v145, v48, v49 offset0:15 offset1:16
	;; [unrolled: 2-line block ×17, first 2 shown]
	ds_read_b32 v158, v144
	s_waitcnt lgkmcnt(0)
	v_cmp_neq_f32_e32 vcc, 0, v158
	s_and_saveexec_b64 s[4:5], vcc
	s_cbranch_execz .LBB93_69
; %bb.68:
	v_div_scale_f32 v159, s[10:11], v158, v158, 1.0
	v_rcp_f32_e32 v160, v159
	v_div_scale_f32 v161, vcc, 1.0, v158, 1.0
	v_fma_f32 v162, -v159, v160, 1.0
	v_fmac_f32_e32 v160, v162, v160
	v_mul_f32_e32 v162, v161, v160
	v_fma_f32 v163, -v159, v162, v161
	v_fmac_f32_e32 v162, v163, v160
	v_fma_f32 v159, -v159, v162, v161
	v_div_fmas_f32 v159, v159, v160, v162
	v_div_fixup_f32 v158, v159, v158, 1.0
	ds_write_b32 v144, v158
.LBB93_69:
	s_or_b64 exec, exec, s[4:5]
.LBB93_70:
	s_or_b64 exec, exec, s[2:3]
	s_waitcnt lgkmcnt(0)
	s_barrier
	ds_read_b32 v158, v144
	v_cmp_lt_u32_e32 vcc, 12, v25
	s_and_saveexec_b64 s[2:3], vcc
	s_cbranch_execz .LBB93_72
; %bb.71:
	ds_read2_b32 v[162:163], v145 offset0:13 offset1:14
	s_waitcnt vmcnt(34) lgkmcnt(1)
	v_mul_f32_e32 v160, v158, v51
	v_mov_b32_e32 v51, v160
	s_waitcnt vmcnt(32) lgkmcnt(0)
	v_pk_fma_f32 v[44:45], v[160:161], v[162:163], v[44:45] op_sel_hi:[0,1,1] neg_lo:[1,0,0] neg_hi:[1,0,0]
	ds_read2_b32 v[162:163], v145 offset0:15 offset1:16
	s_waitcnt vmcnt(30) lgkmcnt(0)
	v_pk_fma_f32 v[48:49], v[160:161], v[162:163], v[48:49] op_sel_hi:[0,1,1] neg_lo:[1,0,0] neg_hi:[1,0,0]
	ds_read2_b32 v[162:163], v145 offset0:17 offset1:18
	;; [unrolled: 3-line block ×16, first 2 shown]
	s_waitcnt vmcnt(0) lgkmcnt(0)
	v_pk_fma_f32 v[142:143], v[160:161], v[162:163], v[142:143] op_sel_hi:[0,1,1] neg_lo:[1,0,0] neg_hi:[1,0,0]
.LBB93_72:
	s_or_b64 exec, exec, s[2:3]
	v_cmp_eq_u32_e32 vcc, 13, v25
	s_waitcnt lgkmcnt(0)
	s_barrier
	s_and_saveexec_b64 s[2:3], vcc
	s_cbranch_execz .LBB93_75
; %bb.73:
	s_waitcnt vmcnt(30)
	v_pk_mov_b32 v[160:161], v[44:45], v[48:49] op_sel:[1,0]
	ds_write_b32 v144, v44
	ds_write2_b32 v145, v160, v161 offset0:14 offset1:15
	s_waitcnt vmcnt(28)
	v_pk_mov_b32 v[160:161], v[48:49], v[74:75] op_sel:[1,0]
	ds_write2_b32 v145, v160, v161 offset0:16 offset1:17
	s_waitcnt vmcnt(26)
	v_pk_mov_b32 v[160:161], v[74:75], v[68:69] op_sel:[1,0]
	;; [unrolled: 3-line block ×15, first 2 shown]
	ds_write2_b32 v145, v160, v161 offset0:44 offset1:45
	ds_write_b32 v145, v143 offset:184
	ds_read_b32 v159, v144
	s_waitcnt lgkmcnt(0)
	v_cmp_neq_f32_e32 vcc, 0, v159
	s_and_b64 exec, exec, vcc
	s_cbranch_execz .LBB93_75
; %bb.74:
	v_div_scale_f32 v160, s[4:5], v159, v159, 1.0
	v_rcp_f32_e32 v161, v160
	v_div_scale_f32 v162, vcc, 1.0, v159, 1.0
	v_fma_f32 v163, -v160, v161, 1.0
	v_fmac_f32_e32 v161, v163, v161
	v_mul_f32_e32 v163, v162, v161
	v_fma_f32 v164, -v160, v163, v162
	v_fmac_f32_e32 v163, v164, v161
	v_fma_f32 v160, -v160, v163, v162
	v_div_fmas_f32 v160, v160, v161, v163
	v_div_fixup_f32 v159, v160, v159, 1.0
	ds_write_b32 v144, v159
.LBB93_75:
	s_or_b64 exec, exec, s[2:3]
	s_waitcnt lgkmcnt(0)
	s_barrier
	ds_read_b32 v159, v144
	v_cmp_lt_u32_e32 vcc, 13, v25
	s_and_saveexec_b64 s[2:3], vcc
	s_cbranch_execz .LBB93_77
; %bb.76:
	ds_read_b32 v160, v145 offset:56
	s_waitcnt vmcnt(33) lgkmcnt(1)
	v_mul_f32_e32 v44, v159, v44
	s_waitcnt vmcnt(32) lgkmcnt(0)
	v_fma_f32 v45, -v44, v160, v45
	ds_read2_b32 v[160:161], v145 offset0:15 offset1:16
	s_waitcnt vmcnt(30) lgkmcnt(0)
	v_pk_fma_f32 v[48:49], v[44:45], v[160:161], v[48:49] op_sel_hi:[0,1,1] neg_lo:[1,0,0] neg_hi:[1,0,0]
	ds_read2_b32 v[160:161], v145 offset0:17 offset1:18
	s_waitcnt vmcnt(28) lgkmcnt(0)
	v_pk_fma_f32 v[74:75], v[44:45], v[160:161], v[74:75] op_sel_hi:[0,1,1] neg_lo:[1,0,0] neg_hi:[1,0,0]
	;; [unrolled: 3-line block ×16, first 2 shown]
.LBB93_77:
	s_or_b64 exec, exec, s[2:3]
	v_cmp_ne_u32_e32 vcc, 14, v25
	s_waitcnt lgkmcnt(0)
	s_barrier
	s_and_saveexec_b64 s[2:3], vcc
	s_xor_b64 s[2:3], exec, s[2:3]
	s_andn2_saveexec_b64 s[2:3], s[2:3]
	s_cbranch_execz .LBB93_81
; %bb.78:
	s_waitcnt vmcnt(32)
	ds_write_b32 v144, v45
	s_waitcnt vmcnt(30)
	ds_write2_b32 v145, v48, v49 offset0:15 offset1:16
	s_waitcnt vmcnt(28)
	ds_write2_b32 v145, v74, v75 offset0:17 offset1:18
	;; [unrolled: 2-line block ×16, first 2 shown]
	ds_read_b32 v160, v144
	s_waitcnt lgkmcnt(0)
	v_cmp_neq_f32_e32 vcc, 0, v160
	s_and_saveexec_b64 s[4:5], vcc
	s_cbranch_execz .LBB93_80
; %bb.79:
	v_div_scale_f32 v161, s[10:11], v160, v160, 1.0
	v_rcp_f32_e32 v162, v161
	v_div_scale_f32 v163, vcc, 1.0, v160, 1.0
	v_fma_f32 v164, -v161, v162, 1.0
	v_fmac_f32_e32 v162, v164, v162
	v_mul_f32_e32 v164, v163, v162
	v_fma_f32 v165, -v161, v164, v163
	v_fmac_f32_e32 v164, v165, v162
	v_fma_f32 v161, -v161, v164, v163
	v_div_fmas_f32 v161, v161, v162, v164
	v_div_fixup_f32 v160, v161, v160, 1.0
	ds_write_b32 v144, v160
.LBB93_80:
	s_or_b64 exec, exec, s[4:5]
.LBB93_81:
	s_or_b64 exec, exec, s[2:3]
	s_waitcnt lgkmcnt(0)
	s_barrier
	ds_read_b32 v160, v144
	v_cmp_lt_u32_e32 vcc, 14, v25
	s_and_saveexec_b64 s[2:3], vcc
	s_cbranch_execz .LBB93_83
; %bb.82:
	ds_read2_b32 v[164:165], v145 offset0:15 offset1:16
	s_waitcnt vmcnt(32) lgkmcnt(1)
	v_mul_f32_e32 v162, v160, v45
	v_mov_b32_e32 v45, v162
	s_waitcnt vmcnt(30) lgkmcnt(0)
	v_pk_fma_f32 v[48:49], v[162:163], v[164:165], v[48:49] op_sel_hi:[0,1,1] neg_lo:[1,0,0] neg_hi:[1,0,0]
	ds_read2_b32 v[164:165], v145 offset0:17 offset1:18
	s_waitcnt vmcnt(28) lgkmcnt(0)
	v_pk_fma_f32 v[74:75], v[162:163], v[164:165], v[74:75] op_sel_hi:[0,1,1] neg_lo:[1,0,0] neg_hi:[1,0,0]
	ds_read2_b32 v[164:165], v145 offset0:19 offset1:20
	;; [unrolled: 3-line block ×15, first 2 shown]
	s_waitcnt vmcnt(0) lgkmcnt(0)
	v_pk_fma_f32 v[142:143], v[162:163], v[164:165], v[142:143] op_sel_hi:[0,1,1] neg_lo:[1,0,0] neg_hi:[1,0,0]
.LBB93_83:
	s_or_b64 exec, exec, s[2:3]
	v_cmp_eq_u32_e32 vcc, 15, v25
	s_waitcnt lgkmcnt(0)
	s_barrier
	s_and_saveexec_b64 s[2:3], vcc
	s_cbranch_execz .LBB93_86
; %bb.84:
	s_waitcnt vmcnt(28)
	v_pk_mov_b32 v[162:163], v[48:49], v[74:75] op_sel:[1,0]
	ds_write_b32 v144, v48
	ds_write2_b32 v145, v162, v163 offset0:16 offset1:17
	s_waitcnt vmcnt(26)
	v_pk_mov_b32 v[162:163], v[74:75], v[68:69] op_sel:[1,0]
	ds_write2_b32 v145, v162, v163 offset0:18 offset1:19
	s_waitcnt vmcnt(24)
	v_pk_mov_b32 v[162:163], v[68:69], v[70:71] op_sel:[1,0]
	;; [unrolled: 3-line block ×14, first 2 shown]
	ds_write2_b32 v145, v162, v163 offset0:44 offset1:45
	ds_write_b32 v145, v143 offset:184
	ds_read_b32 v161, v144
	s_waitcnt lgkmcnt(0)
	v_cmp_neq_f32_e32 vcc, 0, v161
	s_and_b64 exec, exec, vcc
	s_cbranch_execz .LBB93_86
; %bb.85:
	v_div_scale_f32 v162, s[4:5], v161, v161, 1.0
	v_rcp_f32_e32 v163, v162
	v_div_scale_f32 v164, vcc, 1.0, v161, 1.0
	v_fma_f32 v165, -v162, v163, 1.0
	v_fmac_f32_e32 v163, v165, v163
	v_mul_f32_e32 v165, v164, v163
	v_fma_f32 v166, -v162, v165, v164
	v_fmac_f32_e32 v165, v166, v163
	v_fma_f32 v162, -v162, v165, v164
	v_div_fmas_f32 v162, v162, v163, v165
	v_div_fixup_f32 v161, v162, v161, 1.0
	ds_write_b32 v144, v161
.LBB93_86:
	s_or_b64 exec, exec, s[2:3]
	s_waitcnt lgkmcnt(0)
	s_barrier
	ds_read_b32 v161, v144
	v_cmp_lt_u32_e32 vcc, 15, v25
	s_and_saveexec_b64 s[2:3], vcc
	s_cbranch_execz .LBB93_88
; %bb.87:
	ds_read_b32 v162, v145 offset:64
	s_waitcnt vmcnt(31) lgkmcnt(1)
	v_mul_f32_e32 v48, v161, v48
	s_waitcnt vmcnt(30) lgkmcnt(0)
	v_fma_f32 v49, -v48, v162, v49
	ds_read2_b32 v[162:163], v145 offset0:17 offset1:18
	s_waitcnt vmcnt(28) lgkmcnt(0)
	v_pk_fma_f32 v[74:75], v[48:49], v[162:163], v[74:75] op_sel_hi:[0,1,1] neg_lo:[1,0,0] neg_hi:[1,0,0]
	ds_read2_b32 v[162:163], v145 offset0:19 offset1:20
	s_waitcnt vmcnt(26) lgkmcnt(0)
	v_pk_fma_f32 v[68:69], v[48:49], v[162:163], v[68:69] op_sel_hi:[0,1,1] neg_lo:[1,0,0] neg_hi:[1,0,0]
	;; [unrolled: 3-line block ×15, first 2 shown]
.LBB93_88:
	s_or_b64 exec, exec, s[2:3]
	v_cmp_ne_u32_e32 vcc, 16, v25
	s_waitcnt lgkmcnt(0)
	s_barrier
	s_and_saveexec_b64 s[2:3], vcc
	s_xor_b64 s[2:3], exec, s[2:3]
	s_andn2_saveexec_b64 s[2:3], s[2:3]
	s_cbranch_execz .LBB93_92
; %bb.89:
	s_waitcnt vmcnt(30)
	ds_write_b32 v144, v49
	s_waitcnt vmcnt(28)
	ds_write2_b32 v145, v74, v75 offset0:17 offset1:18
	s_waitcnt vmcnt(26)
	ds_write2_b32 v145, v68, v69 offset0:19 offset1:20
	;; [unrolled: 2-line block ×15, first 2 shown]
	ds_read_b32 v162, v144
	s_waitcnt lgkmcnt(0)
	v_cmp_neq_f32_e32 vcc, 0, v162
	s_and_saveexec_b64 s[4:5], vcc
	s_cbranch_execz .LBB93_91
; %bb.90:
	v_div_scale_f32 v163, s[10:11], v162, v162, 1.0
	v_rcp_f32_e32 v164, v163
	v_div_scale_f32 v165, vcc, 1.0, v162, 1.0
	v_fma_f32 v166, -v163, v164, 1.0
	v_fmac_f32_e32 v164, v166, v164
	v_mul_f32_e32 v166, v165, v164
	v_fma_f32 v167, -v163, v166, v165
	v_fmac_f32_e32 v166, v167, v164
	v_fma_f32 v163, -v163, v166, v165
	v_div_fmas_f32 v163, v163, v164, v166
	v_div_fixup_f32 v162, v163, v162, 1.0
	ds_write_b32 v144, v162
.LBB93_91:
	s_or_b64 exec, exec, s[4:5]
.LBB93_92:
	s_or_b64 exec, exec, s[2:3]
	s_waitcnt lgkmcnt(0)
	s_barrier
	ds_read_b32 v162, v144
	v_cmp_lt_u32_e32 vcc, 16, v25
	s_and_saveexec_b64 s[2:3], vcc
	s_cbranch_execz .LBB93_94
; %bb.93:
	ds_read2_b32 v[166:167], v145 offset0:17 offset1:18
	s_waitcnt vmcnt(30) lgkmcnt(1)
	v_mul_f32_e32 v164, v162, v49
	v_mov_b32_e32 v49, v164
	s_waitcnt vmcnt(28) lgkmcnt(0)
	v_pk_fma_f32 v[74:75], v[164:165], v[166:167], v[74:75] op_sel_hi:[0,1,1] neg_lo:[1,0,0] neg_hi:[1,0,0]
	ds_read2_b32 v[166:167], v145 offset0:19 offset1:20
	s_waitcnt vmcnt(26) lgkmcnt(0)
	v_pk_fma_f32 v[68:69], v[164:165], v[166:167], v[68:69] op_sel_hi:[0,1,1] neg_lo:[1,0,0] neg_hi:[1,0,0]
	ds_read2_b32 v[166:167], v145 offset0:21 offset1:22
	;; [unrolled: 3-line block ×14, first 2 shown]
	s_waitcnt vmcnt(0) lgkmcnt(0)
	v_pk_fma_f32 v[142:143], v[164:165], v[166:167], v[142:143] op_sel_hi:[0,1,1] neg_lo:[1,0,0] neg_hi:[1,0,0]
.LBB93_94:
	s_or_b64 exec, exec, s[2:3]
	v_cmp_eq_u32_e32 vcc, 17, v25
	s_waitcnt lgkmcnt(0)
	s_barrier
	s_and_saveexec_b64 s[2:3], vcc
	s_cbranch_execz .LBB93_97
; %bb.95:
	s_waitcnt vmcnt(26)
	v_pk_mov_b32 v[164:165], v[74:75], v[68:69] op_sel:[1,0]
	ds_write_b32 v144, v74
	ds_write2_b32 v145, v164, v165 offset0:18 offset1:19
	s_waitcnt vmcnt(24)
	v_pk_mov_b32 v[164:165], v[68:69], v[70:71] op_sel:[1,0]
	ds_write2_b32 v145, v164, v165 offset0:20 offset1:21
	s_waitcnt vmcnt(22)
	v_pk_mov_b32 v[164:165], v[70:71], v[72:73] op_sel:[1,0]
	;; [unrolled: 3-line block ×13, first 2 shown]
	ds_write2_b32 v145, v164, v165 offset0:44 offset1:45
	ds_write_b32 v145, v143 offset:184
	ds_read_b32 v163, v144
	s_waitcnt lgkmcnt(0)
	v_cmp_neq_f32_e32 vcc, 0, v163
	s_and_b64 exec, exec, vcc
	s_cbranch_execz .LBB93_97
; %bb.96:
	v_div_scale_f32 v164, s[4:5], v163, v163, 1.0
	v_rcp_f32_e32 v165, v164
	v_div_scale_f32 v166, vcc, 1.0, v163, 1.0
	v_fma_f32 v167, -v164, v165, 1.0
	v_fmac_f32_e32 v165, v167, v165
	v_mul_f32_e32 v167, v166, v165
	v_fma_f32 v168, -v164, v167, v166
	v_fmac_f32_e32 v167, v168, v165
	v_fma_f32 v164, -v164, v167, v166
	v_div_fmas_f32 v164, v164, v165, v167
	v_div_fixup_f32 v163, v164, v163, 1.0
	ds_write_b32 v144, v163
.LBB93_97:
	s_or_b64 exec, exec, s[2:3]
	s_waitcnt lgkmcnt(0)
	s_barrier
	ds_read_b32 v163, v144
	v_cmp_lt_u32_e32 vcc, 17, v25
	s_and_saveexec_b64 s[2:3], vcc
	s_cbranch_execz .LBB93_99
; %bb.98:
	ds_read_b32 v170, v145 offset:72
	ds_read2_b32 v[164:165], v145 offset0:19 offset1:20
	ds_read2_b32 v[166:167], v145 offset0:21 offset1:22
	s_waitcnt vmcnt(29) lgkmcnt(3)
	v_mul_f32_e32 v74, v163, v74
	ds_read2_b32 v[168:169], v145 offset0:23 offset1:24
	s_waitcnt vmcnt(28) lgkmcnt(3)
	v_fma_f32 v75, -v74, v170, v75
	s_waitcnt vmcnt(26) lgkmcnt(2)
	v_pk_fma_f32 v[68:69], v[74:75], v[164:165], v[68:69] op_sel_hi:[0,1,1] neg_lo:[1,0,0] neg_hi:[1,0,0]
	s_waitcnt vmcnt(24) lgkmcnt(1)
	v_pk_fma_f32 v[70:71], v[74:75], v[166:167], v[70:71] op_sel_hi:[0,1,1] neg_lo:[1,0,0] neg_hi:[1,0,0]
	ds_read2_b32 v[164:165], v145 offset0:25 offset1:26
	ds_read2_b32 v[166:167], v145 offset0:27 offset1:28
	;; [unrolled: 1-line block ×3, first 2 shown]
	s_waitcnt vmcnt(22) lgkmcnt(3)
	v_pk_fma_f32 v[72:73], v[74:75], v[168:169], v[72:73] op_sel_hi:[0,1,1] neg_lo:[1,0,0] neg_hi:[1,0,0]
	ds_read2_b32 v[168:169], v145 offset0:31 offset1:32
	s_waitcnt vmcnt(20) lgkmcnt(3)
	v_pk_fma_f32 v[94:95], v[74:75], v[164:165], v[94:95] op_sel_hi:[0,1,1] neg_lo:[1,0,0] neg_hi:[1,0,0]
	s_waitcnt vmcnt(18) lgkmcnt(2)
	v_pk_fma_f32 v[96:97], v[74:75], v[166:167], v[96:97] op_sel_hi:[0,1,1] neg_lo:[1,0,0] neg_hi:[1,0,0]
	ds_read2_b32 v[164:165], v145 offset0:33 offset1:34
	ds_read2_b32 v[166:167], v145 offset0:35 offset1:36
	s_waitcnt vmcnt(16) lgkmcnt(3)
	v_pk_fma_f32 v[98:99], v[74:75], v[170:171], v[98:99] op_sel_hi:[0,1,1] neg_lo:[1,0,0] neg_hi:[1,0,0]
	s_waitcnt vmcnt(14) lgkmcnt(2)
	v_pk_fma_f32 v[92:93], v[74:75], v[168:169], v[92:93] op_sel_hi:[0,1,1] neg_lo:[1,0,0] neg_hi:[1,0,0]
	ds_read2_b32 v[168:169], v145 offset0:37 offset1:38
	;; [unrolled: 6-line block ×3, first 2 shown]
	ds_read2_b32 v[166:167], v145 offset0:43 offset1:44
	ds_read2_b32 v[172:173], v145 offset0:45 offset1:46
	s_waitcnt vmcnt(8) lgkmcnt(4)
	v_pk_fma_f32 v[116:117], v[74:75], v[168:169], v[116:117] op_sel_hi:[0,1,1] neg_lo:[1,0,0] neg_hi:[1,0,0]
	s_waitcnt vmcnt(6) lgkmcnt(3)
	v_pk_fma_f32 v[120:121], v[74:75], v[170:171], v[120:121] op_sel_hi:[0,1,1] neg_lo:[1,0,0] neg_hi:[1,0,0]
	;; [unrolled: 2-line block ×5, first 2 shown]
.LBB93_99:
	s_or_b64 exec, exec, s[2:3]
	v_cmp_ne_u32_e32 vcc, 18, v25
	s_waitcnt lgkmcnt(0)
	s_barrier
	s_and_saveexec_b64 s[2:3], vcc
	s_xor_b64 s[2:3], exec, s[2:3]
	s_andn2_saveexec_b64 s[2:3], s[2:3]
	s_cbranch_execz .LBB93_103
; %bb.100:
	s_waitcnt vmcnt(28)
	ds_write_b32 v144, v75
	s_waitcnt vmcnt(26)
	ds_write2_b32 v145, v68, v69 offset0:19 offset1:20
	s_waitcnt vmcnt(24)
	ds_write2_b32 v145, v70, v71 offset0:21 offset1:22
	;; [unrolled: 2-line block ×14, first 2 shown]
	ds_read_b32 v164, v144
	s_waitcnt lgkmcnt(0)
	v_cmp_neq_f32_e32 vcc, 0, v164
	s_and_saveexec_b64 s[4:5], vcc
	s_cbranch_execz .LBB93_102
; %bb.101:
	v_div_scale_f32 v165, s[10:11], v164, v164, 1.0
	v_rcp_f32_e32 v166, v165
	v_div_scale_f32 v167, vcc, 1.0, v164, 1.0
	v_fma_f32 v168, -v165, v166, 1.0
	v_fmac_f32_e32 v166, v168, v166
	v_mul_f32_e32 v168, v167, v166
	v_fma_f32 v169, -v165, v168, v167
	v_fmac_f32_e32 v168, v169, v166
	v_fma_f32 v165, -v165, v168, v167
	v_div_fmas_f32 v165, v165, v166, v168
	v_div_fixup_f32 v164, v165, v164, 1.0
	ds_write_b32 v144, v164
.LBB93_102:
	s_or_b64 exec, exec, s[4:5]
.LBB93_103:
	s_or_b64 exec, exec, s[2:3]
	s_waitcnt lgkmcnt(0)
	s_barrier
	ds_read_b32 v164, v144
	v_cmp_lt_u32_e32 vcc, 18, v25
	s_and_saveexec_b64 s[2:3], vcc
	s_cbranch_execz .LBB93_105
; %bb.104:
	ds_read2_b32 v[166:167], v145 offset0:19 offset1:20
	ds_read2_b32 v[168:169], v145 offset0:21 offset1:22
	;; [unrolled: 1-line block ×4, first 2 shown]
	s_waitcnt vmcnt(28) lgkmcnt(4)
	v_mul_f32_e32 v172, v164, v75
	s_waitcnt vmcnt(26) lgkmcnt(3)
	v_pk_fma_f32 v[68:69], v[172:173], v[166:167], v[68:69] op_sel_hi:[0,1,1] neg_lo:[1,0,0] neg_hi:[1,0,0]
	s_waitcnt vmcnt(24) lgkmcnt(2)
	v_pk_fma_f32 v[70:71], v[172:173], v[168:169], v[70:71] op_sel_hi:[0,1,1] neg_lo:[1,0,0] neg_hi:[1,0,0]
	;; [unrolled: 2-line block ×3, first 2 shown]
	ds_read2_b32 v[166:167], v145 offset0:27 offset1:28
	ds_read2_b32 v[168:169], v145 offset0:29 offset1:30
	;; [unrolled: 1-line block ×3, first 2 shown]
	s_waitcnt vmcnt(20) lgkmcnt(3)
	v_pk_fma_f32 v[94:95], v[172:173], v[174:175], v[94:95] op_sel_hi:[0,1,1] neg_lo:[1,0,0] neg_hi:[1,0,0]
	ds_read2_b32 v[174:175], v145 offset0:33 offset1:34
	s_waitcnt vmcnt(18) lgkmcnt(3)
	v_pk_fma_f32 v[96:97], v[172:173], v[166:167], v[96:97] op_sel_hi:[0,1,1] neg_lo:[1,0,0] neg_hi:[1,0,0]
	ds_read2_b32 v[166:167], v145 offset0:35 offset1:36
	s_waitcnt vmcnt(16) lgkmcnt(3)
	v_pk_fma_f32 v[98:99], v[172:173], v[168:169], v[98:99] op_sel_hi:[0,1,1] neg_lo:[1,0,0] neg_hi:[1,0,0]
	s_waitcnt vmcnt(14) lgkmcnt(2)
	v_pk_fma_f32 v[92:93], v[172:173], v[170:171], v[92:93] op_sel_hi:[0,1,1] neg_lo:[1,0,0] neg_hi:[1,0,0]
	;; [unrolled: 2-line block ×3, first 2 shown]
	ds_read2_b32 v[168:169], v145 offset0:37 offset1:38
	ds_read2_b32 v[170:171], v145 offset0:39 offset1:40
	;; [unrolled: 1-line block ×3, first 2 shown]
	s_waitcnt vmcnt(10) lgkmcnt(3)
	v_pk_fma_f32 v[122:123], v[172:173], v[166:167], v[122:123] op_sel_hi:[0,1,1] neg_lo:[1,0,0] neg_hi:[1,0,0]
	ds_read2_b32 v[166:167], v145 offset0:43 offset1:44
	ds_read2_b32 v[176:177], v145 offset0:45 offset1:46
	s_waitcnt vmcnt(8) lgkmcnt(4)
	v_pk_fma_f32 v[116:117], v[172:173], v[168:169], v[116:117] op_sel_hi:[0,1,1] neg_lo:[1,0,0] neg_hi:[1,0,0]
	s_waitcnt vmcnt(6) lgkmcnt(3)
	v_pk_fma_f32 v[120:121], v[172:173], v[170:171], v[120:121] op_sel_hi:[0,1,1] neg_lo:[1,0,0] neg_hi:[1,0,0]
	;; [unrolled: 2-line block ×5, first 2 shown]
	v_mov_b32_e32 v75, v172
.LBB93_105:
	s_or_b64 exec, exec, s[2:3]
	v_cmp_eq_u32_e32 vcc, 19, v25
	s_waitcnt lgkmcnt(0)
	s_barrier
	s_and_saveexec_b64 s[2:3], vcc
	s_cbranch_execz .LBB93_108
; %bb.106:
	s_waitcnt vmcnt(24)
	v_pk_mov_b32 v[166:167], v[68:69], v[70:71] op_sel:[1,0]
	ds_write_b32 v144, v68
	ds_write2_b32 v145, v166, v167 offset0:20 offset1:21
	s_waitcnt vmcnt(22)
	v_pk_mov_b32 v[166:167], v[70:71], v[72:73] op_sel:[1,0]
	ds_write2_b32 v145, v166, v167 offset0:22 offset1:23
	s_waitcnt vmcnt(20)
	v_pk_mov_b32 v[166:167], v[72:73], v[94:95] op_sel:[1,0]
	;; [unrolled: 3-line block ×12, first 2 shown]
	ds_write2_b32 v145, v166, v167 offset0:44 offset1:45
	ds_write_b32 v145, v143 offset:184
	ds_read_b32 v165, v144
	s_waitcnt lgkmcnt(0)
	v_cmp_neq_f32_e32 vcc, 0, v165
	s_and_b64 exec, exec, vcc
	s_cbranch_execz .LBB93_108
; %bb.107:
	v_div_scale_f32 v166, s[4:5], v165, v165, 1.0
	v_rcp_f32_e32 v167, v166
	v_div_scale_f32 v168, vcc, 1.0, v165, 1.0
	v_fma_f32 v169, -v166, v167, 1.0
	v_fmac_f32_e32 v167, v169, v167
	v_mul_f32_e32 v169, v168, v167
	v_fma_f32 v170, -v166, v169, v168
	v_fmac_f32_e32 v169, v170, v167
	v_fma_f32 v166, -v166, v169, v168
	v_div_fmas_f32 v166, v166, v167, v169
	v_div_fixup_f32 v165, v166, v165, 1.0
	ds_write_b32 v144, v165
.LBB93_108:
	s_or_b64 exec, exec, s[2:3]
	s_waitcnt lgkmcnt(0)
	s_barrier
	ds_read_b32 v165, v144
	v_cmp_lt_u32_e32 vcc, 19, v25
	s_and_saveexec_b64 s[2:3], vcc
	s_cbranch_execz .LBB93_110
; %bb.109:
	ds_read_b32 v172, v145 offset:80
	ds_read2_b32 v[166:167], v145 offset0:21 offset1:22
	ds_read2_b32 v[168:169], v145 offset0:23 offset1:24
	s_waitcnt vmcnt(27) lgkmcnt(3)
	v_mul_f32_e32 v68, v165, v68
	ds_read2_b32 v[170:171], v145 offset0:25 offset1:26
	s_waitcnt vmcnt(26) lgkmcnt(3)
	v_fma_f32 v69, -v68, v172, v69
	s_waitcnt vmcnt(24) lgkmcnt(2)
	v_pk_fma_f32 v[70:71], v[68:69], v[166:167], v[70:71] op_sel_hi:[0,1,1] neg_lo:[1,0,0] neg_hi:[1,0,0]
	s_waitcnt vmcnt(22) lgkmcnt(1)
	v_pk_fma_f32 v[72:73], v[68:69], v[168:169], v[72:73] op_sel_hi:[0,1,1] neg_lo:[1,0,0] neg_hi:[1,0,0]
	ds_read2_b32 v[166:167], v145 offset0:27 offset1:28
	ds_read2_b32 v[168:169], v145 offset0:29 offset1:30
	;; [unrolled: 1-line block ×3, first 2 shown]
	s_waitcnt vmcnt(20) lgkmcnt(3)
	v_pk_fma_f32 v[94:95], v[68:69], v[170:171], v[94:95] op_sel_hi:[0,1,1] neg_lo:[1,0,0] neg_hi:[1,0,0]
	ds_read2_b32 v[170:171], v145 offset0:33 offset1:34
	s_waitcnt vmcnt(18) lgkmcnt(3)
	v_pk_fma_f32 v[96:97], v[68:69], v[166:167], v[96:97] op_sel_hi:[0,1,1] neg_lo:[1,0,0] neg_hi:[1,0,0]
	ds_read2_b32 v[166:167], v145 offset0:35 offset1:36
	s_waitcnt vmcnt(16) lgkmcnt(3)
	v_pk_fma_f32 v[98:99], v[68:69], v[168:169], v[98:99] op_sel_hi:[0,1,1] neg_lo:[1,0,0] neg_hi:[1,0,0]
	s_waitcnt vmcnt(14) lgkmcnt(2)
	v_pk_fma_f32 v[92:93], v[68:69], v[172:173], v[92:93] op_sel_hi:[0,1,1] neg_lo:[1,0,0] neg_hi:[1,0,0]
	;; [unrolled: 2-line block ×3, first 2 shown]
	ds_read2_b32 v[168:169], v145 offset0:37 offset1:38
	ds_read2_b32 v[170:171], v145 offset0:39 offset1:40
	;; [unrolled: 1-line block ×3, first 2 shown]
	s_waitcnt vmcnt(10) lgkmcnt(3)
	v_pk_fma_f32 v[122:123], v[68:69], v[166:167], v[122:123] op_sel_hi:[0,1,1] neg_lo:[1,0,0] neg_hi:[1,0,0]
	ds_read2_b32 v[166:167], v145 offset0:43 offset1:44
	ds_read2_b32 v[174:175], v145 offset0:45 offset1:46
	s_waitcnt vmcnt(8) lgkmcnt(4)
	v_pk_fma_f32 v[116:117], v[68:69], v[168:169], v[116:117] op_sel_hi:[0,1,1] neg_lo:[1,0,0] neg_hi:[1,0,0]
	s_waitcnt vmcnt(6) lgkmcnt(3)
	v_pk_fma_f32 v[120:121], v[68:69], v[170:171], v[120:121] op_sel_hi:[0,1,1] neg_lo:[1,0,0] neg_hi:[1,0,0]
	;; [unrolled: 2-line block ×5, first 2 shown]
.LBB93_110:
	s_or_b64 exec, exec, s[2:3]
	v_cmp_ne_u32_e32 vcc, 20, v25
	s_waitcnt lgkmcnt(0)
	s_barrier
	s_and_saveexec_b64 s[2:3], vcc
	s_xor_b64 s[2:3], exec, s[2:3]
	s_andn2_saveexec_b64 s[2:3], s[2:3]
	s_cbranch_execz .LBB93_114
; %bb.111:
	s_waitcnt vmcnt(26)
	ds_write_b32 v144, v69
	s_waitcnt vmcnt(24)
	ds_write2_b32 v145, v70, v71 offset0:21 offset1:22
	s_waitcnt vmcnt(22)
	ds_write2_b32 v145, v72, v73 offset0:23 offset1:24
	;; [unrolled: 2-line block ×13, first 2 shown]
	ds_read_b32 v166, v144
	s_waitcnt lgkmcnt(0)
	v_cmp_neq_f32_e32 vcc, 0, v166
	s_and_saveexec_b64 s[4:5], vcc
	s_cbranch_execz .LBB93_113
; %bb.112:
	v_div_scale_f32 v167, s[10:11], v166, v166, 1.0
	v_rcp_f32_e32 v168, v167
	v_div_scale_f32 v169, vcc, 1.0, v166, 1.0
	v_fma_f32 v170, -v167, v168, 1.0
	v_fmac_f32_e32 v168, v170, v168
	v_mul_f32_e32 v170, v169, v168
	v_fma_f32 v171, -v167, v170, v169
	v_fmac_f32_e32 v170, v171, v168
	v_fma_f32 v167, -v167, v170, v169
	v_div_fmas_f32 v167, v167, v168, v170
	v_div_fixup_f32 v166, v167, v166, 1.0
	ds_write_b32 v144, v166
.LBB93_113:
	s_or_b64 exec, exec, s[4:5]
.LBB93_114:
	s_or_b64 exec, exec, s[2:3]
	s_waitcnt lgkmcnt(0)
	s_barrier
	ds_read_b32 v166, v144
	v_cmp_lt_u32_e32 vcc, 20, v25
	s_and_saveexec_b64 s[2:3], vcc
	s_cbranch_execz .LBB93_116
; %bb.115:
	ds_read2_b32 v[168:169], v145 offset0:21 offset1:22
	ds_read2_b32 v[170:171], v145 offset0:23 offset1:24
	;; [unrolled: 1-line block ×3, first 2 shown]
	s_waitcnt vmcnt(26) lgkmcnt(3)
	v_mul_f32_e32 v174, v166, v69
	ds_read2_b32 v[176:177], v145 offset0:27 offset1:28
	s_waitcnt vmcnt(24) lgkmcnt(3)
	v_pk_fma_f32 v[70:71], v[174:175], v[168:169], v[70:71] op_sel_hi:[0,1,1] neg_lo:[1,0,0] neg_hi:[1,0,0]
	s_waitcnt vmcnt(22) lgkmcnt(2)
	v_pk_fma_f32 v[72:73], v[174:175], v[170:171], v[72:73] op_sel_hi:[0,1,1] neg_lo:[1,0,0] neg_hi:[1,0,0]
	;; [unrolled: 2-line block ×3, first 2 shown]
	ds_read2_b32 v[168:169], v145 offset0:29 offset1:30
	ds_read2_b32 v[170:171], v145 offset0:31 offset1:32
	;; [unrolled: 1-line block ×4, first 2 shown]
	s_waitcnt vmcnt(18) lgkmcnt(4)
	v_pk_fma_f32 v[96:97], v[174:175], v[176:177], v[96:97] op_sel_hi:[0,1,1] neg_lo:[1,0,0] neg_hi:[1,0,0]
	s_waitcnt vmcnt(16) lgkmcnt(3)
	v_pk_fma_f32 v[98:99], v[174:175], v[168:169], v[98:99] op_sel_hi:[0,1,1] neg_lo:[1,0,0] neg_hi:[1,0,0]
	;; [unrolled: 2-line block ×5, first 2 shown]
	ds_read2_b32 v[168:169], v145 offset0:37 offset1:38
	ds_read2_b32 v[170:171], v145 offset0:39 offset1:40
	;; [unrolled: 1-line block ×5, first 2 shown]
	s_waitcnt vmcnt(8) lgkmcnt(4)
	v_pk_fma_f32 v[116:117], v[174:175], v[168:169], v[116:117] op_sel_hi:[0,1,1] neg_lo:[1,0,0] neg_hi:[1,0,0]
	s_waitcnt vmcnt(6) lgkmcnt(3)
	v_pk_fma_f32 v[120:121], v[174:175], v[170:171], v[120:121] op_sel_hi:[0,1,1] neg_lo:[1,0,0] neg_hi:[1,0,0]
	;; [unrolled: 2-line block ×5, first 2 shown]
	v_mov_b32_e32 v69, v174
.LBB93_116:
	s_or_b64 exec, exec, s[2:3]
	v_cmp_eq_u32_e32 vcc, 21, v25
	s_waitcnt lgkmcnt(0)
	s_barrier
	s_and_saveexec_b64 s[2:3], vcc
	s_cbranch_execz .LBB93_119
; %bb.117:
	s_waitcnt vmcnt(22)
	v_pk_mov_b32 v[168:169], v[70:71], v[72:73] op_sel:[1,0]
	ds_write_b32 v144, v70
	ds_write2_b32 v145, v168, v169 offset0:22 offset1:23
	s_waitcnt vmcnt(20)
	v_pk_mov_b32 v[168:169], v[72:73], v[94:95] op_sel:[1,0]
	ds_write2_b32 v145, v168, v169 offset0:24 offset1:25
	s_waitcnt vmcnt(18)
	v_pk_mov_b32 v[168:169], v[94:95], v[96:97] op_sel:[1,0]
	;; [unrolled: 3-line block ×11, first 2 shown]
	ds_write2_b32 v145, v168, v169 offset0:44 offset1:45
	ds_write_b32 v145, v143 offset:184
	ds_read_b32 v167, v144
	s_waitcnt lgkmcnt(0)
	v_cmp_neq_f32_e32 vcc, 0, v167
	s_and_b64 exec, exec, vcc
	s_cbranch_execz .LBB93_119
; %bb.118:
	v_div_scale_f32 v168, s[4:5], v167, v167, 1.0
	v_rcp_f32_e32 v169, v168
	v_div_scale_f32 v170, vcc, 1.0, v167, 1.0
	v_fma_f32 v171, -v168, v169, 1.0
	v_fmac_f32_e32 v169, v171, v169
	v_mul_f32_e32 v171, v170, v169
	v_fma_f32 v172, -v168, v171, v170
	v_fmac_f32_e32 v171, v172, v169
	v_fma_f32 v168, -v168, v171, v170
	v_div_fmas_f32 v168, v168, v169, v171
	v_div_fixup_f32 v167, v168, v167, 1.0
	ds_write_b32 v144, v167
.LBB93_119:
	s_or_b64 exec, exec, s[2:3]
	s_waitcnt lgkmcnt(0)
	s_barrier
	ds_read_b32 v167, v144
	v_cmp_lt_u32_e32 vcc, 21, v25
	s_and_saveexec_b64 s[2:3], vcc
	s_cbranch_execz .LBB93_121
; %bb.120:
	ds_read_b32 v174, v145 offset:88
	ds_read2_b32 v[168:169], v145 offset0:23 offset1:24
	ds_read2_b32 v[170:171], v145 offset0:25 offset1:26
	s_waitcnt vmcnt(25) lgkmcnt(3)
	v_mul_f32_e32 v70, v167, v70
	ds_read2_b32 v[172:173], v145 offset0:27 offset1:28
	s_waitcnt vmcnt(24) lgkmcnt(3)
	v_fma_f32 v71, -v70, v174, v71
	s_waitcnt vmcnt(22) lgkmcnt(2)
	v_pk_fma_f32 v[72:73], v[70:71], v[168:169], v[72:73] op_sel_hi:[0,1,1] neg_lo:[1,0,0] neg_hi:[1,0,0]
	s_waitcnt vmcnt(20) lgkmcnt(1)
	v_pk_fma_f32 v[94:95], v[70:71], v[170:171], v[94:95] op_sel_hi:[0,1,1] neg_lo:[1,0,0] neg_hi:[1,0,0]
	ds_read2_b32 v[168:169], v145 offset0:29 offset1:30
	ds_read2_b32 v[170:171], v145 offset0:31 offset1:32
	;; [unrolled: 1-line block ×4, first 2 shown]
	s_waitcnt vmcnt(18) lgkmcnt(4)
	v_pk_fma_f32 v[96:97], v[70:71], v[172:173], v[96:97] op_sel_hi:[0,1,1] neg_lo:[1,0,0] neg_hi:[1,0,0]
	s_waitcnt vmcnt(16) lgkmcnt(3)
	v_pk_fma_f32 v[98:99], v[70:71], v[168:169], v[98:99] op_sel_hi:[0,1,1] neg_lo:[1,0,0] neg_hi:[1,0,0]
	;; [unrolled: 2-line block ×5, first 2 shown]
	ds_read2_b32 v[168:169], v145 offset0:37 offset1:38
	ds_read2_b32 v[170:171], v145 offset0:39 offset1:40
	;; [unrolled: 1-line block ×5, first 2 shown]
	s_waitcnt vmcnt(8) lgkmcnt(4)
	v_pk_fma_f32 v[116:117], v[70:71], v[168:169], v[116:117] op_sel_hi:[0,1,1] neg_lo:[1,0,0] neg_hi:[1,0,0]
	s_waitcnt vmcnt(6) lgkmcnt(3)
	v_pk_fma_f32 v[120:121], v[70:71], v[170:171], v[120:121] op_sel_hi:[0,1,1] neg_lo:[1,0,0] neg_hi:[1,0,0]
	;; [unrolled: 2-line block ×5, first 2 shown]
.LBB93_121:
	s_or_b64 exec, exec, s[2:3]
	v_cmp_ne_u32_e32 vcc, 22, v25
	s_waitcnt lgkmcnt(0)
	s_barrier
	s_and_saveexec_b64 s[2:3], vcc
	s_xor_b64 s[2:3], exec, s[2:3]
	s_andn2_saveexec_b64 s[2:3], s[2:3]
	s_cbranch_execz .LBB93_125
; %bb.122:
	s_waitcnt vmcnt(24)
	ds_write_b32 v144, v71
	s_waitcnt vmcnt(22)
	ds_write2_b32 v145, v72, v73 offset0:23 offset1:24
	s_waitcnt vmcnt(20)
	ds_write2_b32 v145, v94, v95 offset0:25 offset1:26
	;; [unrolled: 2-line block ×12, first 2 shown]
	ds_read_b32 v168, v144
	s_waitcnt lgkmcnt(0)
	v_cmp_neq_f32_e32 vcc, 0, v168
	s_and_saveexec_b64 s[4:5], vcc
	s_cbranch_execz .LBB93_124
; %bb.123:
	v_div_scale_f32 v169, s[10:11], v168, v168, 1.0
	v_rcp_f32_e32 v170, v169
	v_div_scale_f32 v171, vcc, 1.0, v168, 1.0
	v_fma_f32 v172, -v169, v170, 1.0
	v_fmac_f32_e32 v170, v172, v170
	v_mul_f32_e32 v172, v171, v170
	v_fma_f32 v173, -v169, v172, v171
	v_fmac_f32_e32 v172, v173, v170
	v_fma_f32 v169, -v169, v172, v171
	v_div_fmas_f32 v169, v169, v170, v172
	v_div_fixup_f32 v168, v169, v168, 1.0
	ds_write_b32 v144, v168
.LBB93_124:
	s_or_b64 exec, exec, s[4:5]
.LBB93_125:
	s_or_b64 exec, exec, s[2:3]
	s_waitcnt lgkmcnt(0)
	s_barrier
	ds_read_b32 v168, v144
	v_cmp_lt_u32_e32 vcc, 22, v25
	s_and_saveexec_b64 s[2:3], vcc
	s_cbranch_execz .LBB93_127
; %bb.126:
	ds_read2_b32 v[170:171], v145 offset0:23 offset1:24
	ds_read2_b32 v[172:173], v145 offset0:25 offset1:26
	;; [unrolled: 1-line block ×3, first 2 shown]
	s_waitcnt vmcnt(24) lgkmcnt(3)
	v_mul_f32_e32 v176, v168, v71
	ds_read2_b32 v[178:179], v145 offset0:29 offset1:30
	s_waitcnt vmcnt(22) lgkmcnt(3)
	v_pk_fma_f32 v[72:73], v[176:177], v[170:171], v[72:73] op_sel_hi:[0,1,1] neg_lo:[1,0,0] neg_hi:[1,0,0]
	s_waitcnt vmcnt(20) lgkmcnt(2)
	v_pk_fma_f32 v[94:95], v[176:177], v[172:173], v[94:95] op_sel_hi:[0,1,1] neg_lo:[1,0,0] neg_hi:[1,0,0]
	;; [unrolled: 2-line block ×3, first 2 shown]
	ds_read2_b32 v[170:171], v145 offset0:31 offset1:32
	ds_read2_b32 v[172:173], v145 offset0:33 offset1:34
	;; [unrolled: 1-line block ×3, first 2 shown]
	s_waitcnt vmcnt(16) lgkmcnt(3)
	v_pk_fma_f32 v[98:99], v[176:177], v[178:179], v[98:99] op_sel_hi:[0,1,1] neg_lo:[1,0,0] neg_hi:[1,0,0]
	ds_read2_b32 v[178:179], v145 offset0:37 offset1:38
	s_waitcnt vmcnt(14) lgkmcnt(3)
	v_pk_fma_f32 v[92:93], v[176:177], v[170:171], v[92:93] op_sel_hi:[0,1,1] neg_lo:[1,0,0] neg_hi:[1,0,0]
	s_waitcnt vmcnt(12) lgkmcnt(2)
	v_pk_fma_f32 v[118:119], v[176:177], v[172:173], v[118:119] op_sel_hi:[0,1,1] neg_lo:[1,0,0] neg_hi:[1,0,0]
	;; [unrolled: 2-line block ×3, first 2 shown]
	ds_read2_b32 v[170:171], v145 offset0:39 offset1:40
	ds_read2_b32 v[172:173], v145 offset0:41 offset1:42
	;; [unrolled: 1-line block ×4, first 2 shown]
	s_waitcnt vmcnt(8) lgkmcnt(4)
	v_pk_fma_f32 v[116:117], v[176:177], v[178:179], v[116:117] op_sel_hi:[0,1,1] neg_lo:[1,0,0] neg_hi:[1,0,0]
	s_waitcnt vmcnt(6) lgkmcnt(3)
	v_pk_fma_f32 v[120:121], v[176:177], v[170:171], v[120:121] op_sel_hi:[0,1,1] neg_lo:[1,0,0] neg_hi:[1,0,0]
	;; [unrolled: 2-line block ×5, first 2 shown]
	v_mov_b32_e32 v71, v176
.LBB93_127:
	s_or_b64 exec, exec, s[2:3]
	v_cmp_eq_u32_e32 vcc, 23, v25
	s_waitcnt lgkmcnt(0)
	s_barrier
	s_and_saveexec_b64 s[2:3], vcc
	s_cbranch_execz .LBB93_130
; %bb.128:
	s_waitcnt vmcnt(20)
	v_pk_mov_b32 v[170:171], v[72:73], v[94:95] op_sel:[1,0]
	ds_write_b32 v144, v72
	ds_write2_b32 v145, v170, v171 offset0:24 offset1:25
	s_waitcnt vmcnt(18)
	v_pk_mov_b32 v[170:171], v[94:95], v[96:97] op_sel:[1,0]
	ds_write2_b32 v145, v170, v171 offset0:26 offset1:27
	s_waitcnt vmcnt(16)
	v_pk_mov_b32 v[170:171], v[96:97], v[98:99] op_sel:[1,0]
	ds_write2_b32 v145, v170, v171 offset0:28 offset1:29
	s_waitcnt vmcnt(14)
	v_pk_mov_b32 v[170:171], v[98:99], v[92:93] op_sel:[1,0]
	ds_write2_b32 v145, v170, v171 offset0:30 offset1:31
	s_waitcnt vmcnt(12)
	v_pk_mov_b32 v[170:171], v[92:93], v[118:119] op_sel:[1,0]
	ds_write2_b32 v145, v170, v171 offset0:32 offset1:33
	s_waitcnt vmcnt(10)
	v_pk_mov_b32 v[170:171], v[118:119], v[122:123] op_sel:[1,0]
	ds_write2_b32 v145, v170, v171 offset0:34 offset1:35
	s_waitcnt vmcnt(8)
	v_pk_mov_b32 v[170:171], v[122:123], v[116:117] op_sel:[1,0]
	ds_write2_b32 v145, v170, v171 offset0:36 offset1:37
	s_waitcnt vmcnt(6)
	v_pk_mov_b32 v[170:171], v[116:117], v[120:121] op_sel:[1,0]
	ds_write2_b32 v145, v170, v171 offset0:38 offset1:39
	s_waitcnt vmcnt(4)
	v_pk_mov_b32 v[170:171], v[120:121], v[140:141] op_sel:[1,0]
	ds_write2_b32 v145, v170, v171 offset0:40 offset1:41
	s_waitcnt vmcnt(2)
	v_pk_mov_b32 v[170:171], v[140:141], v[138:139] op_sel:[1,0]
	ds_write2_b32 v145, v170, v171 offset0:42 offset1:43
	s_waitcnt vmcnt(0)
	v_pk_mov_b32 v[170:171], v[138:139], v[142:143] op_sel:[1,0]
	ds_write2_b32 v145, v170, v171 offset0:44 offset1:45
	ds_write_b32 v145, v143 offset:184
	ds_read_b32 v169, v144
	s_waitcnt lgkmcnt(0)
	v_cmp_neq_f32_e32 vcc, 0, v169
	s_and_b64 exec, exec, vcc
	s_cbranch_execz .LBB93_130
; %bb.129:
	v_div_scale_f32 v170, s[4:5], v169, v169, 1.0
	v_rcp_f32_e32 v171, v170
	v_div_scale_f32 v172, vcc, 1.0, v169, 1.0
	v_fma_f32 v173, -v170, v171, 1.0
	v_fmac_f32_e32 v171, v173, v171
	v_mul_f32_e32 v173, v172, v171
	v_fma_f32 v174, -v170, v173, v172
	v_fmac_f32_e32 v173, v174, v171
	v_fma_f32 v170, -v170, v173, v172
	v_div_fmas_f32 v170, v170, v171, v173
	v_div_fixup_f32 v169, v170, v169, 1.0
	ds_write_b32 v144, v169
.LBB93_130:
	s_or_b64 exec, exec, s[2:3]
	s_waitcnt lgkmcnt(0)
	s_barrier
	ds_read_b32 v169, v144
	v_cmp_lt_u32_e32 vcc, 23, v25
	s_and_saveexec_b64 s[2:3], vcc
	s_cbranch_execz .LBB93_132
; %bb.131:
	ds_read_b32 v176, v145 offset:96
	ds_read2_b32 v[170:171], v145 offset0:25 offset1:26
	ds_read2_b32 v[172:173], v145 offset0:27 offset1:28
	s_waitcnt vmcnt(23) lgkmcnt(3)
	v_mul_f32_e32 v72, v169, v72
	ds_read2_b32 v[174:175], v145 offset0:29 offset1:30
	s_waitcnt vmcnt(22) lgkmcnt(3)
	v_fma_f32 v73, -v72, v176, v73
	s_waitcnt vmcnt(20) lgkmcnt(2)
	v_pk_fma_f32 v[94:95], v[72:73], v[170:171], v[94:95] op_sel_hi:[0,1,1] neg_lo:[1,0,0] neg_hi:[1,0,0]
	s_waitcnt vmcnt(18) lgkmcnt(1)
	v_pk_fma_f32 v[96:97], v[72:73], v[172:173], v[96:97] op_sel_hi:[0,1,1] neg_lo:[1,0,0] neg_hi:[1,0,0]
	ds_read2_b32 v[170:171], v145 offset0:31 offset1:32
	ds_read2_b32 v[172:173], v145 offset0:33 offset1:34
	;; [unrolled: 1-line block ×3, first 2 shown]
	s_waitcnt vmcnt(16) lgkmcnt(3)
	v_pk_fma_f32 v[98:99], v[72:73], v[174:175], v[98:99] op_sel_hi:[0,1,1] neg_lo:[1,0,0] neg_hi:[1,0,0]
	ds_read2_b32 v[174:175], v145 offset0:37 offset1:38
	s_waitcnt vmcnt(14) lgkmcnt(3)
	v_pk_fma_f32 v[92:93], v[72:73], v[170:171], v[92:93] op_sel_hi:[0,1,1] neg_lo:[1,0,0] neg_hi:[1,0,0]
	s_waitcnt vmcnt(12) lgkmcnt(2)
	v_pk_fma_f32 v[118:119], v[72:73], v[172:173], v[118:119] op_sel_hi:[0,1,1] neg_lo:[1,0,0] neg_hi:[1,0,0]
	;; [unrolled: 2-line block ×3, first 2 shown]
	ds_read2_b32 v[170:171], v145 offset0:39 offset1:40
	ds_read2_b32 v[172:173], v145 offset0:41 offset1:42
	;; [unrolled: 1-line block ×4, first 2 shown]
	s_waitcnt vmcnt(8) lgkmcnt(4)
	v_pk_fma_f32 v[116:117], v[72:73], v[174:175], v[116:117] op_sel_hi:[0,1,1] neg_lo:[1,0,0] neg_hi:[1,0,0]
	s_waitcnt vmcnt(6) lgkmcnt(3)
	v_pk_fma_f32 v[120:121], v[72:73], v[170:171], v[120:121] op_sel_hi:[0,1,1] neg_lo:[1,0,0] neg_hi:[1,0,0]
	;; [unrolled: 2-line block ×5, first 2 shown]
.LBB93_132:
	s_or_b64 exec, exec, s[2:3]
	v_cmp_ne_u32_e32 vcc, 24, v25
	s_waitcnt lgkmcnt(0)
	s_barrier
	s_and_saveexec_b64 s[2:3], vcc
	s_xor_b64 s[2:3], exec, s[2:3]
	s_andn2_saveexec_b64 s[2:3], s[2:3]
	s_cbranch_execz .LBB93_136
; %bb.133:
	s_waitcnt vmcnt(22)
	ds_write_b32 v144, v73
	s_waitcnt vmcnt(20)
	ds_write2_b32 v145, v94, v95 offset0:25 offset1:26
	s_waitcnt vmcnt(18)
	ds_write2_b32 v145, v96, v97 offset0:27 offset1:28
	;; [unrolled: 2-line block ×11, first 2 shown]
	ds_read_b32 v170, v144
	s_waitcnt lgkmcnt(0)
	v_cmp_neq_f32_e32 vcc, 0, v170
	s_and_saveexec_b64 s[4:5], vcc
	s_cbranch_execz .LBB93_135
; %bb.134:
	v_div_scale_f32 v171, s[10:11], v170, v170, 1.0
	v_rcp_f32_e32 v172, v171
	v_div_scale_f32 v173, vcc, 1.0, v170, 1.0
	v_fma_f32 v174, -v171, v172, 1.0
	v_fmac_f32_e32 v172, v174, v172
	v_mul_f32_e32 v174, v173, v172
	v_fma_f32 v175, -v171, v174, v173
	v_fmac_f32_e32 v174, v175, v172
	v_fma_f32 v171, -v171, v174, v173
	v_div_fmas_f32 v171, v171, v172, v174
	v_div_fixup_f32 v170, v171, v170, 1.0
	ds_write_b32 v144, v170
.LBB93_135:
	s_or_b64 exec, exec, s[4:5]
.LBB93_136:
	s_or_b64 exec, exec, s[2:3]
	s_waitcnt lgkmcnt(0)
	s_barrier
	ds_read_b32 v170, v144
	v_cmp_lt_u32_e32 vcc, 24, v25
	s_and_saveexec_b64 s[2:3], vcc
	s_cbranch_execz .LBB93_138
; %bb.137:
	ds_read2_b32 v[172:173], v145 offset0:25 offset1:26
	ds_read2_b32 v[174:175], v145 offset0:27 offset1:28
	;; [unrolled: 1-line block ×3, first 2 shown]
	s_waitcnt vmcnt(22) lgkmcnt(3)
	v_mul_f32_e32 v178, v170, v73
	ds_read2_b32 v[180:181], v145 offset0:31 offset1:32
	s_waitcnt vmcnt(20) lgkmcnt(3)
	v_pk_fma_f32 v[94:95], v[178:179], v[172:173], v[94:95] op_sel_hi:[0,1,1] neg_lo:[1,0,0] neg_hi:[1,0,0]
	s_waitcnt vmcnt(18) lgkmcnt(2)
	v_pk_fma_f32 v[96:97], v[178:179], v[174:175], v[96:97] op_sel_hi:[0,1,1] neg_lo:[1,0,0] neg_hi:[1,0,0]
	ds_read2_b32 v[172:173], v145 offset0:33 offset1:34
	ds_read2_b32 v[174:175], v145 offset0:35 offset1:36
	s_waitcnt vmcnt(16) lgkmcnt(3)
	v_pk_fma_f32 v[98:99], v[178:179], v[176:177], v[98:99] op_sel_hi:[0,1,1] neg_lo:[1,0,0] neg_hi:[1,0,0]
	s_waitcnt vmcnt(14) lgkmcnt(2)
	v_pk_fma_f32 v[92:93], v[178:179], v[180:181], v[92:93] op_sel_hi:[0,1,1] neg_lo:[1,0,0] neg_hi:[1,0,0]
	ds_read2_b32 v[176:177], v145 offset0:37 offset1:38
	;; [unrolled: 6-line block ×3, first 2 shown]
	ds_read2_b32 v[174:175], v145 offset0:43 offset1:44
	ds_read2_b32 v[182:183], v145 offset0:45 offset1:46
	s_waitcnt vmcnt(8) lgkmcnt(4)
	v_pk_fma_f32 v[116:117], v[178:179], v[176:177], v[116:117] op_sel_hi:[0,1,1] neg_lo:[1,0,0] neg_hi:[1,0,0]
	s_waitcnt vmcnt(6) lgkmcnt(3)
	v_pk_fma_f32 v[120:121], v[178:179], v[180:181], v[120:121] op_sel_hi:[0,1,1] neg_lo:[1,0,0] neg_hi:[1,0,0]
	;; [unrolled: 2-line block ×5, first 2 shown]
	v_mov_b32_e32 v73, v178
.LBB93_138:
	s_or_b64 exec, exec, s[2:3]
	v_cmp_eq_u32_e32 vcc, 25, v25
	s_waitcnt lgkmcnt(0)
	s_barrier
	s_and_saveexec_b64 s[2:3], vcc
	s_cbranch_execz .LBB93_141
; %bb.139:
	s_waitcnt vmcnt(18)
	v_pk_mov_b32 v[172:173], v[94:95], v[96:97] op_sel:[1,0]
	ds_write_b32 v144, v94
	ds_write2_b32 v145, v172, v173 offset0:26 offset1:27
	s_waitcnt vmcnt(16)
	v_pk_mov_b32 v[172:173], v[96:97], v[98:99] op_sel:[1,0]
	ds_write2_b32 v145, v172, v173 offset0:28 offset1:29
	s_waitcnt vmcnt(14)
	v_pk_mov_b32 v[172:173], v[98:99], v[92:93] op_sel:[1,0]
	;; [unrolled: 3-line block ×9, first 2 shown]
	ds_write2_b32 v145, v172, v173 offset0:44 offset1:45
	ds_write_b32 v145, v143 offset:184
	ds_read_b32 v171, v144
	s_waitcnt lgkmcnt(0)
	v_cmp_neq_f32_e32 vcc, 0, v171
	s_and_b64 exec, exec, vcc
	s_cbranch_execz .LBB93_141
; %bb.140:
	v_div_scale_f32 v172, s[4:5], v171, v171, 1.0
	v_rcp_f32_e32 v173, v172
	v_div_scale_f32 v174, vcc, 1.0, v171, 1.0
	v_fma_f32 v175, -v172, v173, 1.0
	v_fmac_f32_e32 v173, v175, v173
	v_mul_f32_e32 v175, v174, v173
	v_fma_f32 v176, -v172, v175, v174
	v_fmac_f32_e32 v175, v176, v173
	v_fma_f32 v172, -v172, v175, v174
	v_div_fmas_f32 v172, v172, v173, v175
	v_div_fixup_f32 v171, v172, v171, 1.0
	ds_write_b32 v144, v171
.LBB93_141:
	s_or_b64 exec, exec, s[2:3]
	s_waitcnt lgkmcnt(0)
	s_barrier
	ds_read_b32 v171, v144
	v_cmp_lt_u32_e32 vcc, 25, v25
	s_and_saveexec_b64 s[2:3], vcc
	s_cbranch_execz .LBB93_143
; %bb.142:
	ds_read_b32 v178, v145 offset:104
	ds_read2_b32 v[172:173], v145 offset0:27 offset1:28
	ds_read2_b32 v[174:175], v145 offset0:29 offset1:30
	s_waitcnt vmcnt(21) lgkmcnt(3)
	v_mul_f32_e32 v94, v171, v94
	ds_read2_b32 v[176:177], v145 offset0:31 offset1:32
	s_waitcnt vmcnt(20) lgkmcnt(3)
	v_fma_f32 v95, -v94, v178, v95
	s_waitcnt vmcnt(18) lgkmcnt(2)
	v_pk_fma_f32 v[96:97], v[94:95], v[172:173], v[96:97] op_sel_hi:[0,1,1] neg_lo:[1,0,0] neg_hi:[1,0,0]
	s_waitcnt vmcnt(16) lgkmcnt(1)
	v_pk_fma_f32 v[98:99], v[94:95], v[174:175], v[98:99] op_sel_hi:[0,1,1] neg_lo:[1,0,0] neg_hi:[1,0,0]
	ds_read2_b32 v[172:173], v145 offset0:33 offset1:34
	ds_read2_b32 v[174:175], v145 offset0:35 offset1:36
	s_waitcnt vmcnt(14) lgkmcnt(2)
	v_pk_fma_f32 v[92:93], v[94:95], v[176:177], v[92:93] op_sel_hi:[0,1,1] neg_lo:[1,0,0] neg_hi:[1,0,0]
	ds_read2_b32 v[176:177], v145 offset0:37 offset1:38
	ds_read2_b32 v[178:179], v145 offset0:39 offset1:40
	s_waitcnt vmcnt(12) lgkmcnt(3)
	v_pk_fma_f32 v[118:119], v[94:95], v[172:173], v[118:119] op_sel_hi:[0,1,1] neg_lo:[1,0,0] neg_hi:[1,0,0]
	s_waitcnt vmcnt(10) lgkmcnt(2)
	v_pk_fma_f32 v[122:123], v[94:95], v[174:175], v[122:123] op_sel_hi:[0,1,1] neg_lo:[1,0,0] neg_hi:[1,0,0]
	ds_read2_b32 v[172:173], v145 offset0:41 offset1:42
	ds_read2_b32 v[174:175], v145 offset0:43 offset1:44
	;; [unrolled: 1-line block ×3, first 2 shown]
	s_waitcnt vmcnt(8) lgkmcnt(4)
	v_pk_fma_f32 v[116:117], v[94:95], v[176:177], v[116:117] op_sel_hi:[0,1,1] neg_lo:[1,0,0] neg_hi:[1,0,0]
	s_waitcnt vmcnt(6) lgkmcnt(3)
	v_pk_fma_f32 v[120:121], v[94:95], v[178:179], v[120:121] op_sel_hi:[0,1,1] neg_lo:[1,0,0] neg_hi:[1,0,0]
	;; [unrolled: 2-line block ×5, first 2 shown]
.LBB93_143:
	s_or_b64 exec, exec, s[2:3]
	v_cmp_ne_u32_e32 vcc, 26, v25
	s_waitcnt lgkmcnt(0)
	s_barrier
	s_and_saveexec_b64 s[2:3], vcc
	s_xor_b64 s[2:3], exec, s[2:3]
	s_andn2_saveexec_b64 s[2:3], s[2:3]
	s_cbranch_execz .LBB93_147
; %bb.144:
	s_waitcnt vmcnt(20)
	ds_write_b32 v144, v95
	s_waitcnt vmcnt(18)
	ds_write2_b32 v145, v96, v97 offset0:27 offset1:28
	s_waitcnt vmcnt(16)
	ds_write2_b32 v145, v98, v99 offset0:29 offset1:30
	;; [unrolled: 2-line block ×10, first 2 shown]
	ds_read_b32 v172, v144
	s_waitcnt lgkmcnt(0)
	v_cmp_neq_f32_e32 vcc, 0, v172
	s_and_saveexec_b64 s[4:5], vcc
	s_cbranch_execz .LBB93_146
; %bb.145:
	v_div_scale_f32 v173, s[10:11], v172, v172, 1.0
	v_rcp_f32_e32 v174, v173
	v_div_scale_f32 v175, vcc, 1.0, v172, 1.0
	v_fma_f32 v176, -v173, v174, 1.0
	v_fmac_f32_e32 v174, v176, v174
	v_mul_f32_e32 v176, v175, v174
	v_fma_f32 v177, -v173, v176, v175
	v_fmac_f32_e32 v176, v177, v174
	v_fma_f32 v173, -v173, v176, v175
	v_div_fmas_f32 v173, v173, v174, v176
	v_div_fixup_f32 v172, v173, v172, 1.0
	ds_write_b32 v144, v172
.LBB93_146:
	s_or_b64 exec, exec, s[4:5]
.LBB93_147:
	s_or_b64 exec, exec, s[2:3]
	s_waitcnt lgkmcnt(0)
	s_barrier
	ds_read_b32 v172, v144
	v_cmp_lt_u32_e32 vcc, 26, v25
	s_and_saveexec_b64 s[2:3], vcc
	s_cbranch_execz .LBB93_149
; %bb.148:
	ds_read2_b32 v[174:175], v145 offset0:27 offset1:28
	ds_read2_b32 v[176:177], v145 offset0:29 offset1:30
	;; [unrolled: 1-line block ×3, first 2 shown]
	s_waitcnt vmcnt(20) lgkmcnt(3)
	v_mul_f32_e32 v180, v172, v95
	ds_read2_b32 v[182:183], v145 offset0:33 offset1:34
	s_waitcnt vmcnt(18) lgkmcnt(3)
	v_pk_fma_f32 v[96:97], v[180:181], v[174:175], v[96:97] op_sel_hi:[0,1,1] neg_lo:[1,0,0] neg_hi:[1,0,0]
	ds_read2_b32 v[174:175], v145 offset0:35 offset1:36
	s_waitcnt vmcnt(16) lgkmcnt(3)
	v_pk_fma_f32 v[98:99], v[180:181], v[176:177], v[98:99] op_sel_hi:[0,1,1] neg_lo:[1,0,0] neg_hi:[1,0,0]
	s_waitcnt vmcnt(14) lgkmcnt(2)
	v_pk_fma_f32 v[92:93], v[180:181], v[178:179], v[92:93] op_sel_hi:[0,1,1] neg_lo:[1,0,0] neg_hi:[1,0,0]
	;; [unrolled: 2-line block ×3, first 2 shown]
	ds_read2_b32 v[176:177], v145 offset0:37 offset1:38
	ds_read2_b32 v[178:179], v145 offset0:39 offset1:40
	;; [unrolled: 1-line block ×3, first 2 shown]
	s_waitcnt vmcnt(10) lgkmcnt(3)
	v_pk_fma_f32 v[122:123], v[180:181], v[174:175], v[122:123] op_sel_hi:[0,1,1] neg_lo:[1,0,0] neg_hi:[1,0,0]
	ds_read2_b32 v[174:175], v145 offset0:43 offset1:44
	ds_read2_b32 v[184:185], v145 offset0:45 offset1:46
	s_waitcnt vmcnt(8) lgkmcnt(4)
	v_pk_fma_f32 v[116:117], v[180:181], v[176:177], v[116:117] op_sel_hi:[0,1,1] neg_lo:[1,0,0] neg_hi:[1,0,0]
	s_waitcnt vmcnt(6) lgkmcnt(3)
	v_pk_fma_f32 v[120:121], v[180:181], v[178:179], v[120:121] op_sel_hi:[0,1,1] neg_lo:[1,0,0] neg_hi:[1,0,0]
	;; [unrolled: 2-line block ×5, first 2 shown]
	v_mov_b32_e32 v95, v180
.LBB93_149:
	s_or_b64 exec, exec, s[2:3]
	v_cmp_eq_u32_e32 vcc, 27, v25
	s_waitcnt lgkmcnt(0)
	s_barrier
	s_and_saveexec_b64 s[2:3], vcc
	s_cbranch_execz .LBB93_152
; %bb.150:
	s_waitcnt vmcnt(16)
	v_pk_mov_b32 v[174:175], v[96:97], v[98:99] op_sel:[1,0]
	ds_write_b32 v144, v96
	ds_write2_b32 v145, v174, v175 offset0:28 offset1:29
	s_waitcnt vmcnt(14)
	v_pk_mov_b32 v[174:175], v[98:99], v[92:93] op_sel:[1,0]
	ds_write2_b32 v145, v174, v175 offset0:30 offset1:31
	s_waitcnt vmcnt(12)
	v_pk_mov_b32 v[174:175], v[92:93], v[118:119] op_sel:[1,0]
	ds_write2_b32 v145, v174, v175 offset0:32 offset1:33
	s_waitcnt vmcnt(10)
	v_pk_mov_b32 v[174:175], v[118:119], v[122:123] op_sel:[1,0]
	ds_write2_b32 v145, v174, v175 offset0:34 offset1:35
	s_waitcnt vmcnt(8)
	v_pk_mov_b32 v[174:175], v[122:123], v[116:117] op_sel:[1,0]
	ds_write2_b32 v145, v174, v175 offset0:36 offset1:37
	s_waitcnt vmcnt(6)
	v_pk_mov_b32 v[174:175], v[116:117], v[120:121] op_sel:[1,0]
	ds_write2_b32 v145, v174, v175 offset0:38 offset1:39
	s_waitcnt vmcnt(4)
	v_pk_mov_b32 v[174:175], v[120:121], v[140:141] op_sel:[1,0]
	ds_write2_b32 v145, v174, v175 offset0:40 offset1:41
	s_waitcnt vmcnt(2)
	v_pk_mov_b32 v[174:175], v[140:141], v[138:139] op_sel:[1,0]
	ds_write2_b32 v145, v174, v175 offset0:42 offset1:43
	s_waitcnt vmcnt(0)
	v_pk_mov_b32 v[174:175], v[138:139], v[142:143] op_sel:[1,0]
	ds_write2_b32 v145, v174, v175 offset0:44 offset1:45
	ds_write_b32 v145, v143 offset:184
	ds_read_b32 v173, v144
	s_waitcnt lgkmcnt(0)
	v_cmp_neq_f32_e32 vcc, 0, v173
	s_and_b64 exec, exec, vcc
	s_cbranch_execz .LBB93_152
; %bb.151:
	v_div_scale_f32 v174, s[4:5], v173, v173, 1.0
	v_rcp_f32_e32 v175, v174
	v_div_scale_f32 v176, vcc, 1.0, v173, 1.0
	v_fma_f32 v177, -v174, v175, 1.0
	v_fmac_f32_e32 v175, v177, v175
	v_mul_f32_e32 v177, v176, v175
	v_fma_f32 v178, -v174, v177, v176
	v_fmac_f32_e32 v177, v178, v175
	v_fma_f32 v174, -v174, v177, v176
	v_div_fmas_f32 v174, v174, v175, v177
	v_div_fixup_f32 v173, v174, v173, 1.0
	ds_write_b32 v144, v173
.LBB93_152:
	s_or_b64 exec, exec, s[2:3]
	s_waitcnt lgkmcnt(0)
	s_barrier
	ds_read_b32 v173, v144
	v_cmp_lt_u32_e32 vcc, 27, v25
	s_and_saveexec_b64 s[2:3], vcc
	s_cbranch_execz .LBB93_154
; %bb.153:
	ds_read_b32 v180, v145 offset:112
	ds_read2_b32 v[174:175], v145 offset0:29 offset1:30
	ds_read2_b32 v[176:177], v145 offset0:31 offset1:32
	s_waitcnt vmcnt(19) lgkmcnt(3)
	v_mul_f32_e32 v96, v173, v96
	ds_read2_b32 v[178:179], v145 offset0:33 offset1:34
	s_waitcnt vmcnt(18) lgkmcnt(3)
	v_fma_f32 v97, -v96, v180, v97
	s_waitcnt vmcnt(16) lgkmcnt(2)
	v_pk_fma_f32 v[98:99], v[96:97], v[174:175], v[98:99] op_sel_hi:[0,1,1] neg_lo:[1,0,0] neg_hi:[1,0,0]
	ds_read2_b32 v[174:175], v145 offset0:35 offset1:36
	s_waitcnt vmcnt(14) lgkmcnt(2)
	v_pk_fma_f32 v[92:93], v[96:97], v[176:177], v[92:93] op_sel_hi:[0,1,1] neg_lo:[1,0,0] neg_hi:[1,0,0]
	s_waitcnt vmcnt(12) lgkmcnt(1)
	v_pk_fma_f32 v[118:119], v[96:97], v[178:179], v[118:119] op_sel_hi:[0,1,1] neg_lo:[1,0,0] neg_hi:[1,0,0]
	ds_read2_b32 v[176:177], v145 offset0:37 offset1:38
	ds_read2_b32 v[178:179], v145 offset0:39 offset1:40
	ds_read2_b32 v[180:181], v145 offset0:41 offset1:42
	s_waitcnt vmcnt(10) lgkmcnt(3)
	v_pk_fma_f32 v[122:123], v[96:97], v[174:175], v[122:123] op_sel_hi:[0,1,1] neg_lo:[1,0,0] neg_hi:[1,0,0]
	ds_read2_b32 v[174:175], v145 offset0:43 offset1:44
	ds_read2_b32 v[182:183], v145 offset0:45 offset1:46
	s_waitcnt vmcnt(8) lgkmcnt(4)
	v_pk_fma_f32 v[116:117], v[96:97], v[176:177], v[116:117] op_sel_hi:[0,1,1] neg_lo:[1,0,0] neg_hi:[1,0,0]
	s_waitcnt vmcnt(6) lgkmcnt(3)
	v_pk_fma_f32 v[120:121], v[96:97], v[178:179], v[120:121] op_sel_hi:[0,1,1] neg_lo:[1,0,0] neg_hi:[1,0,0]
	;; [unrolled: 2-line block ×5, first 2 shown]
.LBB93_154:
	s_or_b64 exec, exec, s[2:3]
	v_cmp_ne_u32_e32 vcc, 28, v25
	s_waitcnt lgkmcnt(0)
	s_barrier
	s_and_saveexec_b64 s[2:3], vcc
	s_xor_b64 s[2:3], exec, s[2:3]
	s_andn2_saveexec_b64 s[2:3], s[2:3]
	s_cbranch_execz .LBB93_158
; %bb.155:
	s_waitcnt vmcnt(18)
	ds_write_b32 v144, v97
	s_waitcnt vmcnt(16)
	ds_write2_b32 v145, v98, v99 offset0:29 offset1:30
	s_waitcnt vmcnt(14)
	ds_write2_b32 v145, v92, v93 offset0:31 offset1:32
	;; [unrolled: 2-line block ×9, first 2 shown]
	ds_read_b32 v174, v144
	s_waitcnt lgkmcnt(0)
	v_cmp_neq_f32_e32 vcc, 0, v174
	s_and_saveexec_b64 s[4:5], vcc
	s_cbranch_execz .LBB93_157
; %bb.156:
	v_div_scale_f32 v175, s[10:11], v174, v174, 1.0
	v_rcp_f32_e32 v176, v175
	v_div_scale_f32 v177, vcc, 1.0, v174, 1.0
	v_fma_f32 v178, -v175, v176, 1.0
	v_fmac_f32_e32 v176, v178, v176
	v_mul_f32_e32 v178, v177, v176
	v_fma_f32 v179, -v175, v178, v177
	v_fmac_f32_e32 v178, v179, v176
	v_fma_f32 v175, -v175, v178, v177
	v_div_fmas_f32 v175, v175, v176, v178
	v_div_fixup_f32 v174, v175, v174, 1.0
	ds_write_b32 v144, v174
.LBB93_157:
	s_or_b64 exec, exec, s[4:5]
.LBB93_158:
	s_or_b64 exec, exec, s[2:3]
	s_waitcnt lgkmcnt(0)
	s_barrier
	ds_read_b32 v174, v144
	v_cmp_lt_u32_e32 vcc, 28, v25
	s_and_saveexec_b64 s[2:3], vcc
	s_cbranch_execz .LBB93_160
; %bb.159:
	ds_read2_b32 v[176:177], v145 offset0:29 offset1:30
	ds_read2_b32 v[178:179], v145 offset0:31 offset1:32
	;; [unrolled: 1-line block ×4, first 2 shown]
	s_waitcnt vmcnt(18) lgkmcnt(4)
	v_mul_f32_e32 v184, v174, v97
	s_waitcnt vmcnt(16) lgkmcnt(3)
	v_pk_fma_f32 v[98:99], v[184:185], v[176:177], v[98:99] op_sel_hi:[0,1,1] neg_lo:[1,0,0] neg_hi:[1,0,0]
	s_waitcnt vmcnt(14) lgkmcnt(2)
	v_pk_fma_f32 v[92:93], v[184:185], v[178:179], v[92:93] op_sel_hi:[0,1,1] neg_lo:[1,0,0] neg_hi:[1,0,0]
	;; [unrolled: 2-line block ×4, first 2 shown]
	ds_read2_b32 v[176:177], v145 offset0:37 offset1:38
	ds_read2_b32 v[178:179], v145 offset0:39 offset1:40
	;; [unrolled: 1-line block ×5, first 2 shown]
	s_waitcnt vmcnt(8) lgkmcnt(4)
	v_pk_fma_f32 v[116:117], v[184:185], v[176:177], v[116:117] op_sel_hi:[0,1,1] neg_lo:[1,0,0] neg_hi:[1,0,0]
	s_waitcnt vmcnt(6) lgkmcnt(3)
	v_pk_fma_f32 v[120:121], v[184:185], v[178:179], v[120:121] op_sel_hi:[0,1,1] neg_lo:[1,0,0] neg_hi:[1,0,0]
	;; [unrolled: 2-line block ×5, first 2 shown]
	v_mov_b32_e32 v97, v184
.LBB93_160:
	s_or_b64 exec, exec, s[2:3]
	v_cmp_eq_u32_e32 vcc, 29, v25
	s_waitcnt lgkmcnt(0)
	s_barrier
	s_and_saveexec_b64 s[2:3], vcc
	s_cbranch_execz .LBB93_163
; %bb.161:
	s_waitcnt vmcnt(14)
	v_pk_mov_b32 v[176:177], v[98:99], v[92:93] op_sel:[1,0]
	ds_write_b32 v144, v98
	ds_write2_b32 v145, v176, v177 offset0:30 offset1:31
	s_waitcnt vmcnt(12)
	v_pk_mov_b32 v[176:177], v[92:93], v[118:119] op_sel:[1,0]
	ds_write2_b32 v145, v176, v177 offset0:32 offset1:33
	s_waitcnt vmcnt(10)
	v_pk_mov_b32 v[176:177], v[118:119], v[122:123] op_sel:[1,0]
	;; [unrolled: 3-line block ×7, first 2 shown]
	ds_write2_b32 v145, v176, v177 offset0:44 offset1:45
	ds_write_b32 v145, v143 offset:184
	ds_read_b32 v175, v144
	s_waitcnt lgkmcnt(0)
	v_cmp_neq_f32_e32 vcc, 0, v175
	s_and_b64 exec, exec, vcc
	s_cbranch_execz .LBB93_163
; %bb.162:
	v_div_scale_f32 v176, s[4:5], v175, v175, 1.0
	v_rcp_f32_e32 v177, v176
	v_div_scale_f32 v178, vcc, 1.0, v175, 1.0
	v_fma_f32 v179, -v176, v177, 1.0
	v_fmac_f32_e32 v177, v179, v177
	v_mul_f32_e32 v179, v178, v177
	v_fma_f32 v180, -v176, v179, v178
	v_fmac_f32_e32 v179, v180, v177
	v_fma_f32 v176, -v176, v179, v178
	v_div_fmas_f32 v176, v176, v177, v179
	v_div_fixup_f32 v175, v176, v175, 1.0
	ds_write_b32 v144, v175
.LBB93_163:
	s_or_b64 exec, exec, s[2:3]
	s_waitcnt lgkmcnt(0)
	s_barrier
	ds_read_b32 v175, v144
	v_cmp_lt_u32_e32 vcc, 29, v25
	s_and_saveexec_b64 s[2:3], vcc
	s_cbranch_execz .LBB93_165
; %bb.164:
	ds_read_b32 v182, v145 offset:120
	ds_read2_b32 v[176:177], v145 offset0:31 offset1:32
	ds_read2_b32 v[178:179], v145 offset0:33 offset1:34
	;; [unrolled: 1-line block ×3, first 2 shown]
	s_waitcnt vmcnt(17) lgkmcnt(4)
	v_mul_f32_e32 v98, v175, v98
	s_waitcnt vmcnt(16) lgkmcnt(3)
	v_fma_f32 v99, -v98, v182, v99
	s_waitcnt vmcnt(14) lgkmcnt(2)
	v_pk_fma_f32 v[92:93], v[98:99], v[176:177], v[92:93] op_sel_hi:[0,1,1] neg_lo:[1,0,0] neg_hi:[1,0,0]
	s_waitcnt vmcnt(12) lgkmcnt(1)
	v_pk_fma_f32 v[118:119], v[98:99], v[178:179], v[118:119] op_sel_hi:[0,1,1] neg_lo:[1,0,0] neg_hi:[1,0,0]
	;; [unrolled: 2-line block ×3, first 2 shown]
	ds_read2_b32 v[176:177], v145 offset0:37 offset1:38
	ds_read2_b32 v[178:179], v145 offset0:39 offset1:40
	;; [unrolled: 1-line block ×5, first 2 shown]
	s_waitcnt vmcnt(8) lgkmcnt(4)
	v_pk_fma_f32 v[116:117], v[98:99], v[176:177], v[116:117] op_sel_hi:[0,1,1] neg_lo:[1,0,0] neg_hi:[1,0,0]
	s_waitcnt vmcnt(6) lgkmcnt(3)
	v_pk_fma_f32 v[120:121], v[98:99], v[178:179], v[120:121] op_sel_hi:[0,1,1] neg_lo:[1,0,0] neg_hi:[1,0,0]
	;; [unrolled: 2-line block ×5, first 2 shown]
.LBB93_165:
	s_or_b64 exec, exec, s[2:3]
	v_cmp_ne_u32_e32 vcc, 30, v25
	s_waitcnt lgkmcnt(0)
	s_barrier
	s_and_saveexec_b64 s[2:3], vcc
	s_xor_b64 s[2:3], exec, s[2:3]
	s_andn2_saveexec_b64 s[2:3], s[2:3]
	s_cbranch_execz .LBB93_169
; %bb.166:
	s_waitcnt vmcnt(16)
	ds_write_b32 v144, v99
	s_waitcnt vmcnt(14)
	ds_write2_b32 v145, v92, v93 offset0:31 offset1:32
	s_waitcnt vmcnt(12)
	ds_write2_b32 v145, v118, v119 offset0:33 offset1:34
	;; [unrolled: 2-line block ×8, first 2 shown]
	ds_read_b32 v176, v144
	s_waitcnt lgkmcnt(0)
	v_cmp_neq_f32_e32 vcc, 0, v176
	s_and_saveexec_b64 s[4:5], vcc
	s_cbranch_execz .LBB93_168
; %bb.167:
	v_div_scale_f32 v177, s[10:11], v176, v176, 1.0
	v_rcp_f32_e32 v178, v177
	v_div_scale_f32 v179, vcc, 1.0, v176, 1.0
	v_fma_f32 v180, -v177, v178, 1.0
	v_fmac_f32_e32 v178, v180, v178
	v_mul_f32_e32 v180, v179, v178
	v_fma_f32 v181, -v177, v180, v179
	v_fmac_f32_e32 v180, v181, v178
	v_fma_f32 v177, -v177, v180, v179
	v_div_fmas_f32 v177, v177, v178, v180
	v_div_fixup_f32 v176, v177, v176, 1.0
	ds_write_b32 v144, v176
.LBB93_168:
	s_or_b64 exec, exec, s[4:5]
.LBB93_169:
	s_or_b64 exec, exec, s[2:3]
	s_waitcnt lgkmcnt(0)
	s_barrier
	ds_read_b32 v176, v144
	v_cmp_lt_u32_e32 vcc, 30, v25
	s_and_saveexec_b64 s[2:3], vcc
	s_cbranch_execz .LBB93_171
; %bb.170:
	ds_read2_b32 v[178:179], v145 offset0:31 offset1:32
	ds_read2_b32 v[180:181], v145 offset0:33 offset1:34
	;; [unrolled: 1-line block ×3, first 2 shown]
	s_waitcnt vmcnt(16) lgkmcnt(3)
	v_mul_f32_e32 v184, v176, v99
	ds_read2_b32 v[186:187], v145 offset0:37 offset1:38
	s_waitcnt vmcnt(14) lgkmcnt(3)
	v_pk_fma_f32 v[92:93], v[184:185], v[178:179], v[92:93] op_sel_hi:[0,1,1] neg_lo:[1,0,0] neg_hi:[1,0,0]
	s_waitcnt vmcnt(12) lgkmcnt(2)
	v_pk_fma_f32 v[118:119], v[184:185], v[180:181], v[118:119] op_sel_hi:[0,1,1] neg_lo:[1,0,0] neg_hi:[1,0,0]
	;; [unrolled: 2-line block ×3, first 2 shown]
	ds_read2_b32 v[178:179], v145 offset0:39 offset1:40
	ds_read2_b32 v[180:181], v145 offset0:41 offset1:42
	ds_read2_b32 v[182:183], v145 offset0:43 offset1:44
	ds_read2_b32 v[188:189], v145 offset0:45 offset1:46
	s_waitcnt vmcnt(8) lgkmcnt(4)
	v_pk_fma_f32 v[116:117], v[184:185], v[186:187], v[116:117] op_sel_hi:[0,1,1] neg_lo:[1,0,0] neg_hi:[1,0,0]
	s_waitcnt vmcnt(6) lgkmcnt(3)
	v_pk_fma_f32 v[120:121], v[184:185], v[178:179], v[120:121] op_sel_hi:[0,1,1] neg_lo:[1,0,0] neg_hi:[1,0,0]
	;; [unrolled: 2-line block ×5, first 2 shown]
	v_mov_b32_e32 v99, v184
.LBB93_171:
	s_or_b64 exec, exec, s[2:3]
	v_cmp_eq_u32_e32 vcc, 31, v25
	s_waitcnt lgkmcnt(0)
	s_barrier
	s_and_saveexec_b64 s[2:3], vcc
	s_cbranch_execz .LBB93_174
; %bb.172:
	s_waitcnt vmcnt(12)
	v_pk_mov_b32 v[178:179], v[92:93], v[118:119] op_sel:[1,0]
	ds_write_b32 v144, v92
	ds_write2_b32 v145, v178, v179 offset0:32 offset1:33
	s_waitcnt vmcnt(10)
	v_pk_mov_b32 v[178:179], v[118:119], v[122:123] op_sel:[1,0]
	ds_write2_b32 v145, v178, v179 offset0:34 offset1:35
	s_waitcnt vmcnt(8)
	v_pk_mov_b32 v[178:179], v[122:123], v[116:117] op_sel:[1,0]
	;; [unrolled: 3-line block ×6, first 2 shown]
	ds_write2_b32 v145, v178, v179 offset0:44 offset1:45
	ds_write_b32 v145, v143 offset:184
	ds_read_b32 v177, v144
	s_waitcnt lgkmcnt(0)
	v_cmp_neq_f32_e32 vcc, 0, v177
	s_and_b64 exec, exec, vcc
	s_cbranch_execz .LBB93_174
; %bb.173:
	v_div_scale_f32 v178, s[4:5], v177, v177, 1.0
	v_rcp_f32_e32 v179, v178
	v_div_scale_f32 v180, vcc, 1.0, v177, 1.0
	v_fma_f32 v181, -v178, v179, 1.0
	v_fmac_f32_e32 v179, v181, v179
	v_mul_f32_e32 v181, v180, v179
	v_fma_f32 v182, -v178, v181, v180
	v_fmac_f32_e32 v181, v182, v179
	v_fma_f32 v178, -v178, v181, v180
	v_div_fmas_f32 v178, v178, v179, v181
	v_div_fixup_f32 v177, v178, v177, 1.0
	ds_write_b32 v144, v177
.LBB93_174:
	s_or_b64 exec, exec, s[2:3]
	s_waitcnt lgkmcnt(0)
	s_barrier
	ds_read_b32 v177, v144
	v_cmp_lt_u32_e32 vcc, 31, v25
	s_and_saveexec_b64 s[2:3], vcc
	s_cbranch_execz .LBB93_176
; %bb.175:
	ds_read_b32 v184, v145 offset:128
	ds_read2_b32 v[178:179], v145 offset0:33 offset1:34
	ds_read2_b32 v[180:181], v145 offset0:35 offset1:36
	s_waitcnt vmcnt(15) lgkmcnt(3)
	v_mul_f32_e32 v92, v177, v92
	ds_read2_b32 v[182:183], v145 offset0:37 offset1:38
	s_waitcnt vmcnt(14) lgkmcnt(3)
	v_fma_f32 v93, -v92, v184, v93
	s_waitcnt vmcnt(12) lgkmcnt(2)
	v_pk_fma_f32 v[118:119], v[92:93], v[178:179], v[118:119] op_sel_hi:[0,1,1] neg_lo:[1,0,0] neg_hi:[1,0,0]
	s_waitcnt vmcnt(10) lgkmcnt(1)
	v_pk_fma_f32 v[122:123], v[92:93], v[180:181], v[122:123] op_sel_hi:[0,1,1] neg_lo:[1,0,0] neg_hi:[1,0,0]
	ds_read2_b32 v[178:179], v145 offset0:39 offset1:40
	ds_read2_b32 v[180:181], v145 offset0:41 offset1:42
	;; [unrolled: 1-line block ×4, first 2 shown]
	s_waitcnt vmcnt(8) lgkmcnt(4)
	v_pk_fma_f32 v[116:117], v[92:93], v[182:183], v[116:117] op_sel_hi:[0,1,1] neg_lo:[1,0,0] neg_hi:[1,0,0]
	s_waitcnt vmcnt(6) lgkmcnt(3)
	v_pk_fma_f32 v[120:121], v[92:93], v[178:179], v[120:121] op_sel_hi:[0,1,1] neg_lo:[1,0,0] neg_hi:[1,0,0]
	;; [unrolled: 2-line block ×5, first 2 shown]
.LBB93_176:
	s_or_b64 exec, exec, s[2:3]
	v_cmp_ne_u32_e32 vcc, 32, v25
	s_waitcnt lgkmcnt(0)
	s_barrier
	s_and_saveexec_b64 s[2:3], vcc
	s_xor_b64 s[2:3], exec, s[2:3]
	s_andn2_saveexec_b64 s[2:3], s[2:3]
	s_cbranch_execz .LBB93_180
; %bb.177:
	s_waitcnt vmcnt(14)
	ds_write_b32 v144, v93
	s_waitcnt vmcnt(12)
	ds_write2_b32 v145, v118, v119 offset0:33 offset1:34
	s_waitcnt vmcnt(10)
	ds_write2_b32 v145, v122, v123 offset0:35 offset1:36
	;; [unrolled: 2-line block ×7, first 2 shown]
	ds_read_b32 v178, v144
	s_waitcnt lgkmcnt(0)
	v_cmp_neq_f32_e32 vcc, 0, v178
	s_and_saveexec_b64 s[4:5], vcc
	s_cbranch_execz .LBB93_179
; %bb.178:
	v_div_scale_f32 v179, s[10:11], v178, v178, 1.0
	v_rcp_f32_e32 v180, v179
	v_div_scale_f32 v181, vcc, 1.0, v178, 1.0
	v_fma_f32 v182, -v179, v180, 1.0
	v_fmac_f32_e32 v180, v182, v180
	v_mul_f32_e32 v182, v181, v180
	v_fma_f32 v183, -v179, v182, v181
	v_fmac_f32_e32 v182, v183, v180
	v_fma_f32 v179, -v179, v182, v181
	v_div_fmas_f32 v179, v179, v180, v182
	v_div_fixup_f32 v178, v179, v178, 1.0
	ds_write_b32 v144, v178
.LBB93_179:
	s_or_b64 exec, exec, s[4:5]
.LBB93_180:
	s_or_b64 exec, exec, s[2:3]
	s_waitcnt lgkmcnt(0)
	s_barrier
	ds_read_b32 v178, v144
	v_cmp_lt_u32_e32 vcc, 32, v25
	s_and_saveexec_b64 s[2:3], vcc
	s_cbranch_execz .LBB93_182
; %bb.181:
	ds_read2_b32 v[180:181], v145 offset0:33 offset1:34
	ds_read2_b32 v[182:183], v145 offset0:35 offset1:36
	s_waitcnt vmcnt(14) lgkmcnt(2)
	v_mul_f32_e32 v184, v178, v93
	ds_read2_b32 v[186:187], v145 offset0:37 offset1:38
	ds_read2_b32 v[188:189], v145 offset0:39 offset1:40
	v_mov_b32_e32 v93, v184
	s_waitcnt vmcnt(12) lgkmcnt(3)
	v_pk_fma_f32 v[118:119], v[184:185], v[180:181], v[118:119] op_sel_hi:[0,1,1] neg_lo:[1,0,0] neg_hi:[1,0,0]
	s_waitcnt vmcnt(10) lgkmcnt(2)
	v_pk_fma_f32 v[122:123], v[184:185], v[182:183], v[122:123] op_sel_hi:[0,1,1] neg_lo:[1,0,0] neg_hi:[1,0,0]
	ds_read2_b32 v[180:181], v145 offset0:41 offset1:42
	ds_read2_b32 v[182:183], v145 offset0:43 offset1:44
	;; [unrolled: 1-line block ×3, first 2 shown]
	s_waitcnt vmcnt(8) lgkmcnt(4)
	v_pk_fma_f32 v[116:117], v[184:185], v[186:187], v[116:117] op_sel_hi:[0,1,1] neg_lo:[1,0,0] neg_hi:[1,0,0]
	s_waitcnt vmcnt(6) lgkmcnt(3)
	v_pk_fma_f32 v[120:121], v[184:185], v[188:189], v[120:121] op_sel_hi:[0,1,1] neg_lo:[1,0,0] neg_hi:[1,0,0]
	;; [unrolled: 2-line block ×5, first 2 shown]
.LBB93_182:
	s_or_b64 exec, exec, s[2:3]
	v_cmp_eq_u32_e32 vcc, 33, v25
	s_waitcnt lgkmcnt(0)
	s_barrier
	s_and_saveexec_b64 s[2:3], vcc
	s_cbranch_execz .LBB93_185
; %bb.183:
	s_waitcnt vmcnt(10)
	v_pk_mov_b32 v[180:181], v[118:119], v[122:123] op_sel:[1,0]
	ds_write_b32 v144, v118
	ds_write2_b32 v145, v180, v181 offset0:34 offset1:35
	s_waitcnt vmcnt(8)
	v_pk_mov_b32 v[180:181], v[122:123], v[116:117] op_sel:[1,0]
	ds_write2_b32 v145, v180, v181 offset0:36 offset1:37
	s_waitcnt vmcnt(6)
	v_pk_mov_b32 v[180:181], v[116:117], v[120:121] op_sel:[1,0]
	;; [unrolled: 3-line block ×5, first 2 shown]
	ds_write2_b32 v145, v180, v181 offset0:44 offset1:45
	ds_write_b32 v145, v143 offset:184
	ds_read_b32 v179, v144
	s_waitcnt lgkmcnt(0)
	v_cmp_neq_f32_e32 vcc, 0, v179
	s_and_b64 exec, exec, vcc
	s_cbranch_execz .LBB93_185
; %bb.184:
	v_div_scale_f32 v180, s[4:5], v179, v179, 1.0
	v_rcp_f32_e32 v181, v180
	v_div_scale_f32 v182, vcc, 1.0, v179, 1.0
	v_fma_f32 v183, -v180, v181, 1.0
	v_fmac_f32_e32 v181, v183, v181
	v_mul_f32_e32 v183, v182, v181
	v_fma_f32 v184, -v180, v183, v182
	v_fmac_f32_e32 v183, v184, v181
	v_fma_f32 v180, -v180, v183, v182
	v_div_fmas_f32 v180, v180, v181, v183
	v_div_fixup_f32 v179, v180, v179, 1.0
	ds_write_b32 v144, v179
.LBB93_185:
	s_or_b64 exec, exec, s[2:3]
	s_waitcnt lgkmcnt(0)
	s_barrier
	ds_read_b32 v179, v144
	v_cmp_lt_u32_e32 vcc, 33, v25
	s_and_saveexec_b64 s[2:3], vcc
	s_cbranch_execz .LBB93_187
; %bb.186:
	ds_read_b32 v186, v145 offset:136
	ds_read2_b32 v[180:181], v145 offset0:35 offset1:36
	s_waitcnt vmcnt(13) lgkmcnt(2)
	v_mul_f32_e32 v118, v179, v118
	ds_read2_b32 v[182:183], v145 offset0:37 offset1:38
	ds_read2_b32 v[184:185], v145 offset0:39 offset1:40
	s_waitcnt vmcnt(12) lgkmcnt(3)
	v_fma_f32 v119, -v118, v186, v119
	s_waitcnt vmcnt(10) lgkmcnt(2)
	v_pk_fma_f32 v[122:123], v[118:119], v[180:181], v[122:123] op_sel_hi:[0,1,1] neg_lo:[1,0,0] neg_hi:[1,0,0]
	ds_read2_b32 v[180:181], v145 offset0:41 offset1:42
	ds_read2_b32 v[186:187], v145 offset0:43 offset1:44
	;; [unrolled: 1-line block ×3, first 2 shown]
	s_waitcnt vmcnt(8) lgkmcnt(4)
	v_pk_fma_f32 v[116:117], v[118:119], v[182:183], v[116:117] op_sel_hi:[0,1,1] neg_lo:[1,0,0] neg_hi:[1,0,0]
	s_waitcnt vmcnt(6) lgkmcnt(3)
	v_pk_fma_f32 v[120:121], v[118:119], v[184:185], v[120:121] op_sel_hi:[0,1,1] neg_lo:[1,0,0] neg_hi:[1,0,0]
	;; [unrolled: 2-line block ×5, first 2 shown]
.LBB93_187:
	s_or_b64 exec, exec, s[2:3]
	v_cmp_ne_u32_e32 vcc, 34, v25
	s_waitcnt lgkmcnt(0)
	s_barrier
	s_and_saveexec_b64 s[2:3], vcc
	s_xor_b64 s[2:3], exec, s[2:3]
	s_andn2_saveexec_b64 s[2:3], s[2:3]
	s_cbranch_execz .LBB93_191
; %bb.188:
	s_waitcnt vmcnt(12)
	ds_write_b32 v144, v119
	s_waitcnt vmcnt(10)
	ds_write2_b32 v145, v122, v123 offset0:35 offset1:36
	s_waitcnt vmcnt(8)
	ds_write2_b32 v145, v116, v117 offset0:37 offset1:38
	s_waitcnt vmcnt(6)
	ds_write2_b32 v145, v120, v121 offset0:39 offset1:40
	s_waitcnt vmcnt(4)
	ds_write2_b32 v145, v140, v141 offset0:41 offset1:42
	s_waitcnt vmcnt(2)
	ds_write2_b32 v145, v138, v139 offset0:43 offset1:44
	s_waitcnt vmcnt(0)
	ds_write2_b32 v145, v142, v143 offset0:45 offset1:46
	ds_read_b32 v180, v144
	s_waitcnt lgkmcnt(0)
	v_cmp_neq_f32_e32 vcc, 0, v180
	s_and_saveexec_b64 s[4:5], vcc
	s_cbranch_execz .LBB93_190
; %bb.189:
	v_div_scale_f32 v181, s[10:11], v180, v180, 1.0
	v_rcp_f32_e32 v182, v181
	v_div_scale_f32 v183, vcc, 1.0, v180, 1.0
	v_fma_f32 v184, -v181, v182, 1.0
	v_fmac_f32_e32 v182, v184, v182
	v_mul_f32_e32 v184, v183, v182
	v_fma_f32 v185, -v181, v184, v183
	v_fmac_f32_e32 v184, v185, v182
	v_fma_f32 v181, -v181, v184, v183
	v_div_fmas_f32 v181, v181, v182, v184
	v_div_fixup_f32 v180, v181, v180, 1.0
	ds_write_b32 v144, v180
.LBB93_190:
	s_or_b64 exec, exec, s[4:5]
.LBB93_191:
	s_or_b64 exec, exec, s[2:3]
	s_waitcnt lgkmcnt(0)
	s_barrier
	ds_read_b32 v180, v144
	v_cmp_lt_u32_e32 vcc, 34, v25
	s_and_saveexec_b64 s[2:3], vcc
	s_cbranch_execz .LBB93_193
; %bb.192:
	ds_read2_b32 v[182:183], v145 offset0:35 offset1:36
	s_waitcnt vmcnt(12) lgkmcnt(1)
	v_mul_f32_e32 v184, v180, v119
	ds_read2_b32 v[186:187], v145 offset0:37 offset1:38
	ds_read2_b32 v[188:189], v145 offset0:39 offset1:40
	;; [unrolled: 1-line block ×3, first 2 shown]
	v_mov_b32_e32 v119, v184
	s_waitcnt vmcnt(8) lgkmcnt(2)
	v_pk_fma_f32 v[116:117], v[184:185], v[186:187], v[116:117] op_sel_hi:[0,1,1] neg_lo:[1,0,0] neg_hi:[1,0,0]
	v_pk_fma_f32 v[122:123], v[184:185], v[182:183], v[122:123] op_sel_hi:[0,1,1] neg_lo:[1,0,0] neg_hi:[1,0,0]
	ds_read2_b32 v[182:183], v145 offset0:43 offset1:44
	ds_read2_b32 v[192:193], v145 offset0:45 offset1:46
	s_waitcnt vmcnt(6) lgkmcnt(3)
	v_pk_fma_f32 v[120:121], v[184:185], v[188:189], v[120:121] op_sel_hi:[0,1,1] neg_lo:[1,0,0] neg_hi:[1,0,0]
	s_waitcnt vmcnt(4) lgkmcnt(2)
	v_pk_fma_f32 v[140:141], v[184:185], v[190:191], v[140:141] op_sel_hi:[0,1,1] neg_lo:[1,0,0] neg_hi:[1,0,0]
	;; [unrolled: 2-line block ×4, first 2 shown]
.LBB93_193:
	s_or_b64 exec, exec, s[2:3]
	v_cmp_eq_u32_e32 vcc, 35, v25
	s_waitcnt lgkmcnt(0)
	s_barrier
	s_and_saveexec_b64 s[2:3], vcc
	s_cbranch_execz .LBB93_196
; %bb.194:
	s_waitcnt vmcnt(8)
	v_pk_mov_b32 v[182:183], v[122:123], v[116:117] op_sel:[1,0]
	ds_write_b32 v144, v122
	ds_write2_b32 v145, v182, v183 offset0:36 offset1:37
	s_waitcnt vmcnt(6)
	v_pk_mov_b32 v[182:183], v[116:117], v[120:121] op_sel:[1,0]
	ds_write2_b32 v145, v182, v183 offset0:38 offset1:39
	s_waitcnt vmcnt(4)
	v_pk_mov_b32 v[182:183], v[120:121], v[140:141] op_sel:[1,0]
	;; [unrolled: 3-line block ×4, first 2 shown]
	ds_write2_b32 v145, v182, v183 offset0:44 offset1:45
	ds_write_b32 v145, v143 offset:184
	ds_read_b32 v181, v144
	s_waitcnt lgkmcnt(0)
	v_cmp_neq_f32_e32 vcc, 0, v181
	s_and_b64 exec, exec, vcc
	s_cbranch_execz .LBB93_196
; %bb.195:
	v_div_scale_f32 v182, s[4:5], v181, v181, 1.0
	v_rcp_f32_e32 v183, v182
	v_div_scale_f32 v184, vcc, 1.0, v181, 1.0
	v_fma_f32 v185, -v182, v183, 1.0
	v_fmac_f32_e32 v183, v185, v183
	v_mul_f32_e32 v185, v184, v183
	v_fma_f32 v186, -v182, v185, v184
	v_fmac_f32_e32 v185, v186, v183
	v_fma_f32 v182, -v182, v185, v184
	v_div_fmas_f32 v182, v182, v183, v185
	v_div_fixup_f32 v181, v182, v181, 1.0
	ds_write_b32 v144, v181
.LBB93_196:
	s_or_b64 exec, exec, s[2:3]
	s_waitcnt lgkmcnt(0)
	s_barrier
	ds_read_b32 v181, v144
	v_cmp_lt_u32_e32 vcc, 35, v25
	s_and_saveexec_b64 s[2:3], vcc
	s_cbranch_execz .LBB93_198
; %bb.197:
	ds_read_b32 v188, v145 offset:144
	s_waitcnt vmcnt(11) lgkmcnt(1)
	v_mul_f32_e32 v122, v181, v122
	ds_read2_b32 v[182:183], v145 offset0:37 offset1:38
	ds_read2_b32 v[184:185], v145 offset0:39 offset1:40
	;; [unrolled: 1-line block ×3, first 2 shown]
	s_waitcnt vmcnt(10) lgkmcnt(3)
	v_fma_f32 v123, -v122, v188, v123
	ds_read2_b32 v[188:189], v145 offset0:43 offset1:44
	ds_read2_b32 v[190:191], v145 offset0:45 offset1:46
	s_waitcnt vmcnt(8) lgkmcnt(4)
	v_pk_fma_f32 v[116:117], v[122:123], v[182:183], v[116:117] op_sel_hi:[0,1,1] neg_lo:[1,0,0] neg_hi:[1,0,0]
	s_waitcnt vmcnt(6) lgkmcnt(3)
	v_pk_fma_f32 v[120:121], v[122:123], v[184:185], v[120:121] op_sel_hi:[0,1,1] neg_lo:[1,0,0] neg_hi:[1,0,0]
	;; [unrolled: 2-line block ×5, first 2 shown]
.LBB93_198:
	s_or_b64 exec, exec, s[2:3]
	v_cmp_ne_u32_e32 vcc, 36, v25
	s_waitcnt lgkmcnt(0)
	s_barrier
	s_and_saveexec_b64 s[2:3], vcc
	s_xor_b64 s[2:3], exec, s[2:3]
	s_andn2_saveexec_b64 s[2:3], s[2:3]
	s_cbranch_execz .LBB93_202
; %bb.199:
	s_waitcnt vmcnt(10)
	ds_write_b32 v144, v123
	s_waitcnt vmcnt(8)
	ds_write2_b32 v145, v116, v117 offset0:37 offset1:38
	s_waitcnt vmcnt(6)
	ds_write2_b32 v145, v120, v121 offset0:39 offset1:40
	;; [unrolled: 2-line block ×5, first 2 shown]
	ds_read_b32 v182, v144
	s_waitcnt lgkmcnt(0)
	v_cmp_neq_f32_e32 vcc, 0, v182
	s_and_saveexec_b64 s[4:5], vcc
	s_cbranch_execz .LBB93_201
; %bb.200:
	v_div_scale_f32 v183, s[10:11], v182, v182, 1.0
	v_rcp_f32_e32 v184, v183
	v_div_scale_f32 v185, vcc, 1.0, v182, 1.0
	v_fma_f32 v186, -v183, v184, 1.0
	v_fmac_f32_e32 v184, v186, v184
	v_mul_f32_e32 v186, v185, v184
	v_fma_f32 v187, -v183, v186, v185
	v_fmac_f32_e32 v186, v187, v184
	v_fma_f32 v183, -v183, v186, v185
	v_div_fmas_f32 v183, v183, v184, v186
	v_div_fixup_f32 v182, v183, v182, 1.0
	ds_write_b32 v144, v182
.LBB93_201:
	s_or_b64 exec, exec, s[4:5]
.LBB93_202:
	s_or_b64 exec, exec, s[2:3]
	s_waitcnt lgkmcnt(0)
	s_barrier
	ds_read_b32 v182, v144
	v_cmp_lt_u32_e32 vcc, 36, v25
	s_and_saveexec_b64 s[2:3], vcc
	s_cbranch_execz .LBB93_204
; %bb.203:
	ds_read2_b32 v[186:187], v145 offset0:37 offset1:38
	ds_read2_b32 v[188:189], v145 offset0:39 offset1:40
	;; [unrolled: 1-line block ×5, first 2 shown]
	s_waitcnt vmcnt(10) lgkmcnt(5)
	v_mul_f32_e32 v184, v182, v123
	s_waitcnt vmcnt(8) lgkmcnt(4)
	v_pk_fma_f32 v[116:117], v[184:185], v[186:187], v[116:117] op_sel_hi:[0,1,1] neg_lo:[1,0,0] neg_hi:[1,0,0]
	s_waitcnt vmcnt(6) lgkmcnt(3)
	v_pk_fma_f32 v[120:121], v[184:185], v[188:189], v[120:121] op_sel_hi:[0,1,1] neg_lo:[1,0,0] neg_hi:[1,0,0]
	s_waitcnt vmcnt(4) lgkmcnt(2)
	v_pk_fma_f32 v[140:141], v[184:185], v[190:191], v[140:141] op_sel_hi:[0,1,1] neg_lo:[1,0,0] neg_hi:[1,0,0]
	s_waitcnt vmcnt(2) lgkmcnt(1)
	v_pk_fma_f32 v[138:139], v[184:185], v[192:193], v[138:139] op_sel_hi:[0,1,1] neg_lo:[1,0,0] neg_hi:[1,0,0]
	s_waitcnt vmcnt(0) lgkmcnt(0)
	v_pk_fma_f32 v[142:143], v[184:185], v[194:195], v[142:143] op_sel_hi:[0,1,1] neg_lo:[1,0,0] neg_hi:[1,0,0]
	v_mov_b32_e32 v123, v184
.LBB93_204:
	s_or_b64 exec, exec, s[2:3]
	v_cmp_eq_u32_e32 vcc, 37, v25
	s_waitcnt lgkmcnt(0)
	s_barrier
	s_and_saveexec_b64 s[2:3], vcc
	s_cbranch_execz .LBB93_207
; %bb.205:
	s_waitcnt vmcnt(6)
	v_pk_mov_b32 v[184:185], v[116:117], v[120:121] op_sel:[1,0]
	ds_write_b32 v144, v116
	ds_write2_b32 v145, v184, v185 offset0:38 offset1:39
	s_waitcnt vmcnt(4)
	v_pk_mov_b32 v[184:185], v[120:121], v[140:141] op_sel:[1,0]
	ds_write2_b32 v145, v184, v185 offset0:40 offset1:41
	s_waitcnt vmcnt(2)
	v_pk_mov_b32 v[184:185], v[140:141], v[138:139] op_sel:[1,0]
	;; [unrolled: 3-line block ×3, first 2 shown]
	ds_write2_b32 v145, v184, v185 offset0:44 offset1:45
	ds_write_b32 v145, v143 offset:184
	ds_read_b32 v183, v144
	s_waitcnt lgkmcnt(0)
	v_cmp_neq_f32_e32 vcc, 0, v183
	s_and_b64 exec, exec, vcc
	s_cbranch_execz .LBB93_207
; %bb.206:
	v_div_scale_f32 v184, s[4:5], v183, v183, 1.0
	v_rcp_f32_e32 v185, v184
	v_div_scale_f32 v186, vcc, 1.0, v183, 1.0
	v_fma_f32 v187, -v184, v185, 1.0
	v_fmac_f32_e32 v185, v187, v185
	v_mul_f32_e32 v187, v186, v185
	v_fma_f32 v188, -v184, v187, v186
	v_fmac_f32_e32 v187, v188, v185
	v_fma_f32 v184, -v184, v187, v186
	v_div_fmas_f32 v184, v184, v185, v187
	v_div_fixup_f32 v183, v184, v183, 1.0
	ds_write_b32 v144, v183
.LBB93_207:
	s_or_b64 exec, exec, s[2:3]
	s_waitcnt lgkmcnt(0)
	s_barrier
	ds_read_b32 v183, v144
	v_cmp_lt_u32_e32 vcc, 37, v25
	s_and_saveexec_b64 s[2:3], vcc
	s_cbranch_execz .LBB93_209
; %bb.208:
	ds_read_b32 v192, v145 offset:152
	ds_read2_b32 v[184:185], v145 offset0:39 offset1:40
	ds_read2_b32 v[186:187], v145 offset0:41 offset1:42
	;; [unrolled: 1-line block ×4, first 2 shown]
	s_waitcnt vmcnt(9) lgkmcnt(5)
	v_mul_f32_e32 v116, v183, v116
	s_waitcnt vmcnt(8) lgkmcnt(4)
	v_fma_f32 v117, -v116, v192, v117
	s_waitcnt vmcnt(6) lgkmcnt(3)
	v_pk_fma_f32 v[120:121], v[116:117], v[184:185], v[120:121] op_sel_hi:[0,1,1] neg_lo:[1,0,0] neg_hi:[1,0,0]
	s_waitcnt vmcnt(4) lgkmcnt(2)
	v_pk_fma_f32 v[140:141], v[116:117], v[186:187], v[140:141] op_sel_hi:[0,1,1] neg_lo:[1,0,0] neg_hi:[1,0,0]
	;; [unrolled: 2-line block ×4, first 2 shown]
.LBB93_209:
	s_or_b64 exec, exec, s[2:3]
	v_cmp_ne_u32_e32 vcc, 38, v25
	s_waitcnt lgkmcnt(0)
	s_barrier
	s_and_saveexec_b64 s[2:3], vcc
	s_xor_b64 s[2:3], exec, s[2:3]
	s_andn2_saveexec_b64 s[2:3], s[2:3]
	s_cbranch_execz .LBB93_213
; %bb.210:
	s_waitcnt vmcnt(8)
	ds_write_b32 v144, v117
	s_waitcnt vmcnt(6)
	ds_write2_b32 v145, v120, v121 offset0:39 offset1:40
	s_waitcnt vmcnt(4)
	ds_write2_b32 v145, v140, v141 offset0:41 offset1:42
	;; [unrolled: 2-line block ×4, first 2 shown]
	ds_read_b32 v184, v144
	s_waitcnt lgkmcnt(0)
	v_cmp_neq_f32_e32 vcc, 0, v184
	s_and_saveexec_b64 s[4:5], vcc
	s_cbranch_execz .LBB93_212
; %bb.211:
	v_div_scale_f32 v185, s[10:11], v184, v184, 1.0
	v_rcp_f32_e32 v186, v185
	v_div_scale_f32 v187, vcc, 1.0, v184, 1.0
	v_fma_f32 v188, -v185, v186, 1.0
	v_fmac_f32_e32 v186, v188, v186
	v_mul_f32_e32 v188, v187, v186
	v_fma_f32 v189, -v185, v188, v187
	v_fmac_f32_e32 v188, v189, v186
	v_fma_f32 v185, -v185, v188, v187
	v_div_fmas_f32 v185, v185, v186, v188
	v_div_fixup_f32 v184, v185, v184, 1.0
	ds_write_b32 v144, v184
.LBB93_212:
	s_or_b64 exec, exec, s[4:5]
.LBB93_213:
	s_or_b64 exec, exec, s[2:3]
	s_waitcnt lgkmcnt(0)
	s_barrier
	ds_read_b32 v184, v144
	v_cmp_lt_u32_e32 vcc, 38, v25
	s_and_saveexec_b64 s[2:3], vcc
	s_cbranch_execz .LBB93_215
; %bb.214:
	ds_read2_b32 v[186:187], v145 offset0:39 offset1:40
	ds_read2_b32 v[188:189], v145 offset0:41 offset1:42
	;; [unrolled: 1-line block ×4, first 2 shown]
	s_waitcnt vmcnt(8) lgkmcnt(4)
	v_mul_f32_e32 v194, v184, v117
	s_waitcnt vmcnt(6) lgkmcnt(3)
	v_pk_fma_f32 v[120:121], v[194:195], v[186:187], v[120:121] op_sel_hi:[0,1,1] neg_lo:[1,0,0] neg_hi:[1,0,0]
	s_waitcnt vmcnt(4) lgkmcnt(2)
	v_pk_fma_f32 v[140:141], v[194:195], v[188:189], v[140:141] op_sel_hi:[0,1,1] neg_lo:[1,0,0] neg_hi:[1,0,0]
	;; [unrolled: 2-line block ×4, first 2 shown]
	v_mov_b32_e32 v117, v194
.LBB93_215:
	s_or_b64 exec, exec, s[2:3]
	v_cmp_eq_u32_e32 vcc, 39, v25
	s_waitcnt lgkmcnt(0)
	s_barrier
	s_and_saveexec_b64 s[2:3], vcc
	s_cbranch_execz .LBB93_218
; %bb.216:
	s_waitcnt vmcnt(4)
	v_pk_mov_b32 v[186:187], v[120:121], v[140:141] op_sel:[1,0]
	ds_write_b32 v144, v120
	ds_write2_b32 v145, v186, v187 offset0:40 offset1:41
	s_waitcnt vmcnt(2)
	v_pk_mov_b32 v[186:187], v[140:141], v[138:139] op_sel:[1,0]
	ds_write2_b32 v145, v186, v187 offset0:42 offset1:43
	s_waitcnt vmcnt(0)
	v_pk_mov_b32 v[186:187], v[138:139], v[142:143] op_sel:[1,0]
	ds_write2_b32 v145, v186, v187 offset0:44 offset1:45
	ds_write_b32 v145, v143 offset:184
	ds_read_b32 v185, v144
	s_waitcnt lgkmcnt(0)
	v_cmp_neq_f32_e32 vcc, 0, v185
	s_and_b64 exec, exec, vcc
	s_cbranch_execz .LBB93_218
; %bb.217:
	v_div_scale_f32 v186, s[4:5], v185, v185, 1.0
	v_rcp_f32_e32 v187, v186
	v_div_scale_f32 v188, vcc, 1.0, v185, 1.0
	v_fma_f32 v189, -v186, v187, 1.0
	v_fmac_f32_e32 v187, v189, v187
	v_mul_f32_e32 v189, v188, v187
	v_fma_f32 v190, -v186, v189, v188
	v_fmac_f32_e32 v189, v190, v187
	v_fma_f32 v186, -v186, v189, v188
	v_div_fmas_f32 v186, v186, v187, v189
	v_div_fixup_f32 v185, v186, v185, 1.0
	ds_write_b32 v144, v185
.LBB93_218:
	s_or_b64 exec, exec, s[2:3]
	s_waitcnt lgkmcnt(0)
	s_barrier
	ds_read_b32 v185, v144
	v_cmp_lt_u32_e32 vcc, 39, v25
	s_and_saveexec_b64 s[2:3], vcc
	s_cbranch_execz .LBB93_220
; %bb.219:
	ds_read_b32 v192, v145 offset:160
	ds_read2_b32 v[186:187], v145 offset0:41 offset1:42
	ds_read2_b32 v[188:189], v145 offset0:43 offset1:44
	;; [unrolled: 1-line block ×3, first 2 shown]
	s_waitcnt vmcnt(7) lgkmcnt(4)
	v_mul_f32_e32 v120, v185, v120
	s_waitcnt vmcnt(6) lgkmcnt(3)
	v_fma_f32 v121, -v120, v192, v121
	s_waitcnt vmcnt(4) lgkmcnt(2)
	v_pk_fma_f32 v[140:141], v[120:121], v[186:187], v[140:141] op_sel_hi:[0,1,1] neg_lo:[1,0,0] neg_hi:[1,0,0]
	s_waitcnt vmcnt(2) lgkmcnt(1)
	v_pk_fma_f32 v[138:139], v[120:121], v[188:189], v[138:139] op_sel_hi:[0,1,1] neg_lo:[1,0,0] neg_hi:[1,0,0]
	s_waitcnt vmcnt(0) lgkmcnt(0)
	v_pk_fma_f32 v[142:143], v[120:121], v[190:191], v[142:143] op_sel_hi:[0,1,1] neg_lo:[1,0,0] neg_hi:[1,0,0]
.LBB93_220:
	s_or_b64 exec, exec, s[2:3]
	v_cmp_ne_u32_e32 vcc, 40, v25
	s_waitcnt lgkmcnt(0)
	s_barrier
	s_and_saveexec_b64 s[2:3], vcc
	s_xor_b64 s[2:3], exec, s[2:3]
	s_andn2_saveexec_b64 s[2:3], s[2:3]
	s_cbranch_execz .LBB93_224
; %bb.221:
	s_waitcnt vmcnt(6)
	ds_write_b32 v144, v121
	s_waitcnt vmcnt(4)
	ds_write2_b32 v145, v140, v141 offset0:41 offset1:42
	s_waitcnt vmcnt(2)
	ds_write2_b32 v145, v138, v139 offset0:43 offset1:44
	;; [unrolled: 2-line block ×3, first 2 shown]
	ds_read_b32 v186, v144
	s_waitcnt lgkmcnt(0)
	v_cmp_neq_f32_e32 vcc, 0, v186
	s_and_saveexec_b64 s[4:5], vcc
	s_cbranch_execz .LBB93_223
; %bb.222:
	v_div_scale_f32 v187, s[10:11], v186, v186, 1.0
	v_rcp_f32_e32 v188, v187
	v_div_scale_f32 v189, vcc, 1.0, v186, 1.0
	v_fma_f32 v190, -v187, v188, 1.0
	v_fmac_f32_e32 v188, v190, v188
	v_mul_f32_e32 v190, v189, v188
	v_fma_f32 v191, -v187, v190, v189
	v_fmac_f32_e32 v190, v191, v188
	v_fma_f32 v187, -v187, v190, v189
	v_div_fmas_f32 v187, v187, v188, v190
	v_div_fixup_f32 v186, v187, v186, 1.0
	ds_write_b32 v144, v186
.LBB93_223:
	s_or_b64 exec, exec, s[4:5]
.LBB93_224:
	s_or_b64 exec, exec, s[2:3]
	s_waitcnt lgkmcnt(0)
	s_barrier
	ds_read_b32 v186, v144
	v_cmp_lt_u32_e32 vcc, 40, v25
	s_and_saveexec_b64 s[2:3], vcc
	s_cbranch_execz .LBB93_226
; %bb.225:
	ds_read2_b32 v[188:189], v145 offset0:41 offset1:42
	ds_read2_b32 v[190:191], v145 offset0:43 offset1:44
	;; [unrolled: 1-line block ×3, first 2 shown]
	s_waitcnt vmcnt(6) lgkmcnt(3)
	v_mul_f32_e32 v194, v186, v121
	v_mov_b32_e32 v121, v194
	s_waitcnt vmcnt(4) lgkmcnt(2)
	v_pk_fma_f32 v[140:141], v[194:195], v[188:189], v[140:141] op_sel_hi:[0,1,1] neg_lo:[1,0,0] neg_hi:[1,0,0]
	s_waitcnt vmcnt(2) lgkmcnt(1)
	v_pk_fma_f32 v[138:139], v[194:195], v[190:191], v[138:139] op_sel_hi:[0,1,1] neg_lo:[1,0,0] neg_hi:[1,0,0]
	;; [unrolled: 2-line block ×3, first 2 shown]
.LBB93_226:
	s_or_b64 exec, exec, s[2:3]
	v_cmp_eq_u32_e32 vcc, 41, v25
	s_waitcnt lgkmcnt(0)
	s_barrier
	s_and_saveexec_b64 s[2:3], vcc
	s_cbranch_execz .LBB93_229
; %bb.227:
	s_waitcnt vmcnt(2)
	v_pk_mov_b32 v[188:189], v[140:141], v[138:139] op_sel:[1,0]
	ds_write_b32 v144, v140
	ds_write2_b32 v145, v188, v189 offset0:42 offset1:43
	s_waitcnt vmcnt(0)
	v_pk_mov_b32 v[188:189], v[138:139], v[142:143] op_sel:[1,0]
	ds_write2_b32 v145, v188, v189 offset0:44 offset1:45
	ds_write_b32 v145, v143 offset:184
	ds_read_b32 v187, v144
	s_waitcnt lgkmcnt(0)
	v_cmp_neq_f32_e32 vcc, 0, v187
	s_and_b64 exec, exec, vcc
	s_cbranch_execz .LBB93_229
; %bb.228:
	v_div_scale_f32 v188, s[4:5], v187, v187, 1.0
	v_rcp_f32_e32 v189, v188
	v_div_scale_f32 v190, vcc, 1.0, v187, 1.0
	v_fma_f32 v191, -v188, v189, 1.0
	v_fmac_f32_e32 v189, v191, v189
	v_mul_f32_e32 v191, v190, v189
	v_fma_f32 v192, -v188, v191, v190
	v_fmac_f32_e32 v191, v192, v189
	v_fma_f32 v188, -v188, v191, v190
	v_div_fmas_f32 v188, v188, v189, v191
	v_div_fixup_f32 v187, v188, v187, 1.0
	ds_write_b32 v144, v187
.LBB93_229:
	s_or_b64 exec, exec, s[2:3]
	s_waitcnt lgkmcnt(0)
	s_barrier
	ds_read_b32 v187, v144
	v_cmp_lt_u32_e32 vcc, 41, v25
	s_and_saveexec_b64 s[2:3], vcc
	s_cbranch_execz .LBB93_231
; %bb.230:
	ds_read_b32 v192, v145 offset:168
	ds_read2_b32 v[188:189], v145 offset0:43 offset1:44
	ds_read2_b32 v[190:191], v145 offset0:45 offset1:46
	s_waitcnt vmcnt(5) lgkmcnt(3)
	v_mul_f32_e32 v140, v187, v140
	s_waitcnt vmcnt(4) lgkmcnt(2)
	v_fma_f32 v141, -v140, v192, v141
	s_waitcnt vmcnt(2) lgkmcnt(1)
	v_pk_fma_f32 v[138:139], v[140:141], v[188:189], v[138:139] op_sel_hi:[0,1,1] neg_lo:[1,0,0] neg_hi:[1,0,0]
	s_waitcnt vmcnt(0) lgkmcnt(0)
	v_pk_fma_f32 v[142:143], v[140:141], v[190:191], v[142:143] op_sel_hi:[0,1,1] neg_lo:[1,0,0] neg_hi:[1,0,0]
.LBB93_231:
	s_or_b64 exec, exec, s[2:3]
	v_cmp_ne_u32_e32 vcc, 42, v25
	s_waitcnt lgkmcnt(0)
	s_barrier
	s_and_saveexec_b64 s[2:3], vcc
	s_xor_b64 s[2:3], exec, s[2:3]
	s_andn2_saveexec_b64 s[2:3], s[2:3]
	s_cbranch_execz .LBB93_235
; %bb.232:
	s_waitcnt vmcnt(4)
	ds_write_b32 v144, v141
	s_waitcnt vmcnt(2)
	ds_write2_b32 v145, v138, v139 offset0:43 offset1:44
	s_waitcnt vmcnt(0)
	ds_write2_b32 v145, v142, v143 offset0:45 offset1:46
	ds_read_b32 v188, v144
	s_waitcnt lgkmcnt(0)
	v_cmp_neq_f32_e32 vcc, 0, v188
	s_and_saveexec_b64 s[4:5], vcc
	s_cbranch_execz .LBB93_234
; %bb.233:
	v_div_scale_f32 v189, s[10:11], v188, v188, 1.0
	v_rcp_f32_e32 v190, v189
	v_div_scale_f32 v191, vcc, 1.0, v188, 1.0
	v_fma_f32 v192, -v189, v190, 1.0
	v_fmac_f32_e32 v190, v192, v190
	v_mul_f32_e32 v192, v191, v190
	v_fma_f32 v193, -v189, v192, v191
	v_fmac_f32_e32 v192, v193, v190
	v_fma_f32 v189, -v189, v192, v191
	v_div_fmas_f32 v189, v189, v190, v192
	v_div_fixup_f32 v188, v189, v188, 1.0
	ds_write_b32 v144, v188
.LBB93_234:
	s_or_b64 exec, exec, s[4:5]
.LBB93_235:
	s_or_b64 exec, exec, s[2:3]
	s_waitcnt lgkmcnt(0)
	s_barrier
	ds_read_b32 v188, v144
	v_cmp_lt_u32_e32 vcc, 42, v25
	s_and_saveexec_b64 s[2:3], vcc
	s_cbranch_execz .LBB93_237
; %bb.236:
	ds_read2_b32 v[190:191], v145 offset0:43 offset1:44
	ds_read2_b32 v[192:193], v145 offset0:45 offset1:46
	s_waitcnt vmcnt(4) lgkmcnt(2)
	v_mul_f32_e32 v194, v188, v141
	v_mov_b32_e32 v141, v194
	s_waitcnt vmcnt(2) lgkmcnt(1)
	v_pk_fma_f32 v[138:139], v[194:195], v[190:191], v[138:139] op_sel_hi:[0,1,1] neg_lo:[1,0,0] neg_hi:[1,0,0]
	s_waitcnt vmcnt(0) lgkmcnt(0)
	v_pk_fma_f32 v[142:143], v[194:195], v[192:193], v[142:143] op_sel_hi:[0,1,1] neg_lo:[1,0,0] neg_hi:[1,0,0]
.LBB93_237:
	s_or_b64 exec, exec, s[2:3]
	v_cmp_eq_u32_e32 vcc, 43, v25
	s_waitcnt lgkmcnt(0)
	s_barrier
	s_and_saveexec_b64 s[2:3], vcc
	s_cbranch_execz .LBB93_240
; %bb.238:
	s_waitcnt vmcnt(0)
	v_pk_mov_b32 v[190:191], v[138:139], v[142:143] op_sel:[1,0]
	ds_write_b32 v144, v138
	ds_write2_b32 v145, v190, v191 offset0:44 offset1:45
	ds_write_b32 v145, v143 offset:184
	ds_read_b32 v189, v144
	s_waitcnt lgkmcnt(0)
	v_cmp_neq_f32_e32 vcc, 0, v189
	s_and_b64 exec, exec, vcc
	s_cbranch_execz .LBB93_240
; %bb.239:
	v_div_scale_f32 v190, s[4:5], v189, v189, 1.0
	v_rcp_f32_e32 v191, v190
	v_div_scale_f32 v192, vcc, 1.0, v189, 1.0
	v_fma_f32 v193, -v190, v191, 1.0
	v_fmac_f32_e32 v191, v193, v191
	v_mul_f32_e32 v193, v192, v191
	v_fma_f32 v194, -v190, v193, v192
	v_fmac_f32_e32 v193, v194, v191
	v_fma_f32 v190, -v190, v193, v192
	v_div_fmas_f32 v190, v190, v191, v193
	v_div_fixup_f32 v189, v190, v189, 1.0
	ds_write_b32 v144, v189
.LBB93_240:
	s_or_b64 exec, exec, s[2:3]
	s_waitcnt lgkmcnt(0)
	s_barrier
	ds_read_b32 v189, v144
	v_cmp_lt_u32_e32 vcc, 43, v25
	s_and_saveexec_b64 s[2:3], vcc
	s_cbranch_execz .LBB93_242
; %bb.241:
	ds_read_b32 v192, v145 offset:176
	ds_read2_b32 v[190:191], v145 offset0:45 offset1:46
	s_waitcnt vmcnt(3) lgkmcnt(2)
	v_mul_f32_e32 v138, v189, v138
	s_waitcnt vmcnt(2) lgkmcnt(1)
	v_fma_f32 v139, -v138, v192, v139
	s_waitcnt vmcnt(0) lgkmcnt(0)
	v_pk_fma_f32 v[142:143], v[138:139], v[190:191], v[142:143] op_sel_hi:[0,1,1] neg_lo:[1,0,0] neg_hi:[1,0,0]
.LBB93_242:
	s_or_b64 exec, exec, s[2:3]
	v_cmp_ne_u32_e32 vcc, 44, v25
	s_waitcnt lgkmcnt(0)
	s_barrier
	s_and_saveexec_b64 s[2:3], vcc
	s_xor_b64 s[2:3], exec, s[2:3]
	s_andn2_saveexec_b64 s[2:3], s[2:3]
	s_cbranch_execz .LBB93_246
; %bb.243:
	s_waitcnt vmcnt(2)
	ds_write_b32 v144, v139
	s_waitcnt vmcnt(0)
	ds_write2_b32 v145, v142, v143 offset0:45 offset1:46
	ds_read_b32 v190, v144
	s_waitcnt lgkmcnt(0)
	v_cmp_neq_f32_e32 vcc, 0, v190
	s_and_saveexec_b64 s[4:5], vcc
	s_cbranch_execz .LBB93_245
; %bb.244:
	v_div_scale_f32 v191, s[10:11], v190, v190, 1.0
	v_rcp_f32_e32 v192, v191
	v_div_scale_f32 v193, vcc, 1.0, v190, 1.0
	v_fma_f32 v194, -v191, v192, 1.0
	v_fmac_f32_e32 v192, v194, v192
	v_mul_f32_e32 v194, v193, v192
	v_fma_f32 v195, -v191, v194, v193
	v_fmac_f32_e32 v194, v195, v192
	v_fma_f32 v191, -v191, v194, v193
	v_div_fmas_f32 v191, v191, v192, v194
	v_div_fixup_f32 v190, v191, v190, 1.0
	ds_write_b32 v144, v190
.LBB93_245:
	s_or_b64 exec, exec, s[4:5]
.LBB93_246:
	s_or_b64 exec, exec, s[2:3]
	s_waitcnt lgkmcnt(0)
	s_barrier
	ds_read_b32 v190, v144
	v_cmp_lt_u32_e32 vcc, 44, v25
	s_and_saveexec_b64 s[2:3], vcc
	s_cbranch_execz .LBB93_248
; %bb.247:
	ds_read2_b32 v[192:193], v145 offset0:45 offset1:46
	s_waitcnt vmcnt(2) lgkmcnt(1)
	v_mul_f32_e32 v194, v190, v139
	v_mov_b32_e32 v139, v194
	s_waitcnt vmcnt(0) lgkmcnt(0)
	v_pk_fma_f32 v[142:143], v[194:195], v[192:193], v[142:143] op_sel_hi:[0,1,1] neg_lo:[1,0,0] neg_hi:[1,0,0]
.LBB93_248:
	s_or_b64 exec, exec, s[2:3]
	v_cmp_eq_u32_e32 vcc, 45, v25
	s_waitcnt lgkmcnt(0)
	s_barrier
	s_and_saveexec_b64 s[2:3], vcc
	s_cbranch_execz .LBB93_251
; %bb.249:
	s_waitcnt vmcnt(1)
	ds_write_b32 v144, v142
	s_waitcnt vmcnt(0)
	ds_write_b32 v145, v143 offset:184
	ds_read_b32 v191, v144
	s_waitcnt lgkmcnt(0)
	v_cmp_neq_f32_e32 vcc, 0, v191
	s_and_b64 exec, exec, vcc
	s_cbranch_execz .LBB93_251
; %bb.250:
	v_div_scale_f32 v192, s[4:5], v191, v191, 1.0
	v_rcp_f32_e32 v193, v192
	v_div_scale_f32 v194, vcc, 1.0, v191, 1.0
	v_fma_f32 v195, -v192, v193, 1.0
	v_fmac_f32_e32 v193, v195, v193
	v_mul_f32_e32 v195, v194, v193
	v_fma_f32 v196, -v192, v195, v194
	v_fmac_f32_e32 v195, v196, v193
	v_fma_f32 v192, -v192, v195, v194
	v_div_fmas_f32 v192, v192, v193, v195
	v_div_fixup_f32 v191, v192, v191, 1.0
	ds_write_b32 v144, v191
.LBB93_251:
	s_or_b64 exec, exec, s[2:3]
	s_waitcnt lgkmcnt(0)
	s_barrier
	ds_read_b32 v191, v144
	v_cmp_lt_u32_e32 vcc, 45, v25
	s_and_saveexec_b64 s[2:3], vcc
	s_cbranch_execz .LBB93_253
; %bb.252:
	ds_read_b32 v145, v145 offset:184
	s_waitcnt vmcnt(1) lgkmcnt(1)
	v_mul_f32_e32 v142, v191, v142
	s_waitcnt vmcnt(0) lgkmcnt(0)
	v_fma_f32 v143, -v142, v145, v143
.LBB93_253:
	s_or_b64 exec, exec, s[2:3]
	v_cmp_ne_u32_e32 vcc, 46, v25
	s_waitcnt lgkmcnt(0)
	s_barrier
	s_and_saveexec_b64 s[2:3], vcc
	s_xor_b64 s[2:3], exec, s[2:3]
	s_andn2_saveexec_b64 s[2:3], s[2:3]
	s_cbranch_execz .LBB93_257
; %bb.254:
	s_waitcnt vmcnt(0)
	v_cmp_neq_f32_e32 vcc, 0, v143
	ds_write_b32 v144, v143
	s_and_saveexec_b64 s[4:5], vcc
	s_cbranch_execz .LBB93_256
; %bb.255:
	v_div_scale_f32 v145, s[10:11], v143, v143, 1.0
	v_rcp_f32_e32 v192, v145
	v_div_scale_f32 v193, vcc, 1.0, v143, 1.0
	v_fma_f32 v194, -v145, v192, 1.0
	v_fmac_f32_e32 v192, v194, v192
	v_mul_f32_e32 v194, v193, v192
	v_fma_f32 v195, -v145, v194, v193
	v_fmac_f32_e32 v194, v195, v192
	v_fma_f32 v145, -v145, v194, v193
	v_div_fmas_f32 v145, v145, v192, v194
	v_div_fixup_f32 v145, v145, v143, 1.0
	ds_write_b32 v144, v145
.LBB93_256:
	s_or_b64 exec, exec, s[4:5]
.LBB93_257:
	s_or_b64 exec, exec, s[2:3]
	s_waitcnt lgkmcnt(0)
	s_barrier
	ds_read_b32 v144, v144
	s_waitcnt lgkmcnt(0)
	s_barrier
	s_and_saveexec_b64 s[2:3], s[0:1]
	s_cbranch_execz .LBB93_260
; %bb.258:
	v_cmp_eq_f32_e32 vcc, 0, v146
	v_cmp_neq_f32_e64 s[0:1], 0, v147
	v_mov_b32_e32 v146, s6
	v_cndmask_b32_e64 v145, 0, 1, vcc
	s_or_b64 vcc, s[0:1], vcc
	v_cndmask_b32_e32 v145, 2, v145, vcc
	v_cmp_eq_f32_e32 vcc, 0, v148
	v_cmp_eq_u32_e64 s[0:1], 0, v145
	s_and_b64 s[0:1], vcc, s[0:1]
	v_cmp_eq_f32_e32 vcc, 0, v149
	v_cndmask_b32_e64 v145, v145, 3, s[0:1]
	v_cmp_eq_u32_e64 s[0:1], 0, v145
	s_and_b64 s[0:1], vcc, s[0:1]
	v_cmp_eq_f32_e32 vcc, 0, v150
	v_cndmask_b32_e64 v145, v145, 4, s[0:1]
	;; [unrolled: 4-line block ×17, first 2 shown]
	v_cmp_eq_u32_e64 s[0:1], 0, v145
	s_and_b64 s[0:1], vcc, s[0:1]
	v_mov_b32_e32 v147, s7
	v_cndmask_b32_e64 v145, v145, 20, s[0:1]
	v_cmp_eq_f32_e32 vcc, 0, v166
	v_cmp_eq_u32_e64 s[0:1], 0, v145
	v_lshl_add_u64 v[34:35], v[34:35], 2, v[146:147]
	s_and_b64 s[0:1], vcc, s[0:1]
	global_load_dword v146, v[34:35], off
	v_cndmask_b32_e64 v145, v145, 21, s[0:1]
	v_cmp_eq_f32_e32 vcc, 0, v167
	v_cmp_eq_u32_e64 s[0:1], 0, v145
	s_and_b64 s[0:1], vcc, s[0:1]
	v_cmp_eq_f32_e32 vcc, 0, v168
	v_cndmask_b32_e64 v145, v145, 22, s[0:1]
	v_cmp_eq_u32_e64 s[0:1], 0, v145
	s_and_b64 s[0:1], vcc, s[0:1]
	v_cmp_eq_f32_e32 vcc, 0, v169
	v_cndmask_b32_e64 v145, v145, 23, s[0:1]
	;; [unrolled: 4-line block ×25, first 2 shown]
	v_cmp_eq_u32_e64 s[0:1], 0, v145
	s_and_b64 s[0:1], vcc, s[0:1]
	s_waitcnt vmcnt(0)
	v_cmp_eq_u32_e32 vcc, 0, v146
	v_cndmask_b32_e64 v145, v145, 47, s[0:1]
	v_cmp_ne_u32_e64 s[0:1], 0, v145
	s_and_b64 s[0:1], vcc, s[0:1]
	s_and_b64 exec, exec, s[0:1]
	s_cbranch_execz .LBB93_260
; %bb.259:
	v_add_u32_e32 v145, s9, v145
	global_store_dword v[34:35], v145, off
.LBB93_260:
	s_or_b64 exec, exec, s[2:3]
	s_waitcnt vmcnt(0)
	v_mul_f32_e32 v34, v144, v143
	v_cmp_lt_u32_e32 vcc, 46, v25
	s_nop 1
	v_cndmask_b32_e32 v25, v143, v34, vcc
	global_store_dword v[0:1], v24, off
	global_store_dword v[2:3], v18, off
	;; [unrolled: 1-line block ×47, first 2 shown]
.LBB93_261:
	s_endpgm
	.section	.rodata,"a",@progbits
	.p2align	6, 0x0
	.amdhsa_kernel _ZN9rocsolver6v33100L23getf2_npvt_small_kernelILi47EfiiPfEEvT1_T3_lS3_lPT2_S3_S3_
		.amdhsa_group_segment_fixed_size 0
		.amdhsa_private_segment_fixed_size 0
		.amdhsa_kernarg_size 312
		.amdhsa_user_sgpr_count 2
		.amdhsa_user_sgpr_dispatch_ptr 0
		.amdhsa_user_sgpr_queue_ptr 0
		.amdhsa_user_sgpr_kernarg_segment_ptr 1
		.amdhsa_user_sgpr_dispatch_id 0
		.amdhsa_user_sgpr_kernarg_preload_length 0
		.amdhsa_user_sgpr_kernarg_preload_offset 0
		.amdhsa_user_sgpr_private_segment_size 0
		.amdhsa_uses_dynamic_stack 0
		.amdhsa_enable_private_segment 0
		.amdhsa_system_sgpr_workgroup_id_x 1
		.amdhsa_system_sgpr_workgroup_id_y 1
		.amdhsa_system_sgpr_workgroup_id_z 0
		.amdhsa_system_sgpr_workgroup_info 0
		.amdhsa_system_vgpr_workitem_id 1
		.amdhsa_next_free_vgpr 197
		.amdhsa_next_free_sgpr 16
		.amdhsa_accum_offset 200
		.amdhsa_reserve_vcc 1
		.amdhsa_float_round_mode_32 0
		.amdhsa_float_round_mode_16_64 0
		.amdhsa_float_denorm_mode_32 3
		.amdhsa_float_denorm_mode_16_64 3
		.amdhsa_dx10_clamp 1
		.amdhsa_ieee_mode 1
		.amdhsa_fp16_overflow 0
		.amdhsa_tg_split 0
		.amdhsa_exception_fp_ieee_invalid_op 0
		.amdhsa_exception_fp_denorm_src 0
		.amdhsa_exception_fp_ieee_div_zero 0
		.amdhsa_exception_fp_ieee_overflow 0
		.amdhsa_exception_fp_ieee_underflow 0
		.amdhsa_exception_fp_ieee_inexact 0
		.amdhsa_exception_int_div_zero 0
	.end_amdhsa_kernel
	.section	.text._ZN9rocsolver6v33100L23getf2_npvt_small_kernelILi47EfiiPfEEvT1_T3_lS3_lPT2_S3_S3_,"axG",@progbits,_ZN9rocsolver6v33100L23getf2_npvt_small_kernelILi47EfiiPfEEvT1_T3_lS3_lPT2_S3_S3_,comdat
.Lfunc_end93:
	.size	_ZN9rocsolver6v33100L23getf2_npvt_small_kernelILi47EfiiPfEEvT1_T3_lS3_lPT2_S3_S3_, .Lfunc_end93-_ZN9rocsolver6v33100L23getf2_npvt_small_kernelILi47EfiiPfEEvT1_T3_lS3_lPT2_S3_S3_
                                        ; -- End function
	.set _ZN9rocsolver6v33100L23getf2_npvt_small_kernelILi47EfiiPfEEvT1_T3_lS3_lPT2_S3_S3_.num_vgpr, 197
	.set _ZN9rocsolver6v33100L23getf2_npvt_small_kernelILi47EfiiPfEEvT1_T3_lS3_lPT2_S3_S3_.num_agpr, 0
	.set _ZN9rocsolver6v33100L23getf2_npvt_small_kernelILi47EfiiPfEEvT1_T3_lS3_lPT2_S3_S3_.numbered_sgpr, 16
	.set _ZN9rocsolver6v33100L23getf2_npvt_small_kernelILi47EfiiPfEEvT1_T3_lS3_lPT2_S3_S3_.num_named_barrier, 0
	.set _ZN9rocsolver6v33100L23getf2_npvt_small_kernelILi47EfiiPfEEvT1_T3_lS3_lPT2_S3_S3_.private_seg_size, 0
	.set _ZN9rocsolver6v33100L23getf2_npvt_small_kernelILi47EfiiPfEEvT1_T3_lS3_lPT2_S3_S3_.uses_vcc, 1
	.set _ZN9rocsolver6v33100L23getf2_npvt_small_kernelILi47EfiiPfEEvT1_T3_lS3_lPT2_S3_S3_.uses_flat_scratch, 0
	.set _ZN9rocsolver6v33100L23getf2_npvt_small_kernelILi47EfiiPfEEvT1_T3_lS3_lPT2_S3_S3_.has_dyn_sized_stack, 0
	.set _ZN9rocsolver6v33100L23getf2_npvt_small_kernelILi47EfiiPfEEvT1_T3_lS3_lPT2_S3_S3_.has_recursion, 0
	.set _ZN9rocsolver6v33100L23getf2_npvt_small_kernelILi47EfiiPfEEvT1_T3_lS3_lPT2_S3_S3_.has_indirect_call, 0
	.section	.AMDGPU.csdata,"",@progbits
; Kernel info:
; codeLenInByte = 31200
; TotalNumSgprs: 22
; NumVgprs: 197
; NumAgprs: 0
; TotalNumVgprs: 197
; ScratchSize: 0
; MemoryBound: 0
; FloatMode: 240
; IeeeMode: 1
; LDSByteSize: 0 bytes/workgroup (compile time only)
; SGPRBlocks: 2
; VGPRBlocks: 24
; NumSGPRsForWavesPerEU: 22
; NumVGPRsForWavesPerEU: 197
; AccumOffset: 200
; Occupancy: 2
; WaveLimiterHint : 0
; COMPUTE_PGM_RSRC2:SCRATCH_EN: 0
; COMPUTE_PGM_RSRC2:USER_SGPR: 2
; COMPUTE_PGM_RSRC2:TRAP_HANDLER: 0
; COMPUTE_PGM_RSRC2:TGID_X_EN: 1
; COMPUTE_PGM_RSRC2:TGID_Y_EN: 1
; COMPUTE_PGM_RSRC2:TGID_Z_EN: 0
; COMPUTE_PGM_RSRC2:TIDIG_COMP_CNT: 1
; COMPUTE_PGM_RSRC3_GFX90A:ACCUM_OFFSET: 49
; COMPUTE_PGM_RSRC3_GFX90A:TG_SPLIT: 0
	.section	.text._ZN9rocsolver6v33100L18getf2_small_kernelILi48EfiiPfEEvT1_T3_lS3_lPS3_llPT2_S3_S3_S5_l,"axG",@progbits,_ZN9rocsolver6v33100L18getf2_small_kernelILi48EfiiPfEEvT1_T3_lS3_lPS3_llPT2_S3_S3_S5_l,comdat
	.globl	_ZN9rocsolver6v33100L18getf2_small_kernelILi48EfiiPfEEvT1_T3_lS3_lPS3_llPT2_S3_S3_S5_l ; -- Begin function _ZN9rocsolver6v33100L18getf2_small_kernelILi48EfiiPfEEvT1_T3_lS3_lPS3_llPT2_S3_S3_S5_l
	.p2align	8
	.type	_ZN9rocsolver6v33100L18getf2_small_kernelILi48EfiiPfEEvT1_T3_lS3_lPS3_llPT2_S3_S3_S5_l,@function
_ZN9rocsolver6v33100L18getf2_small_kernelILi48EfiiPfEEvT1_T3_lS3_lPS3_llPT2_S3_S3_S5_l: ; @_ZN9rocsolver6v33100L18getf2_small_kernelILi48EfiiPfEEvT1_T3_lS3_lPS3_llPT2_S3_S3_S5_l
; %bb.0:
	s_load_dword s2, s[0:1], 0x6c
	s_load_dwordx2 s[18:19], s[0:1], 0x48
	v_bfe_u32 v53, v0, 10, 10
	s_waitcnt lgkmcnt(0)
	s_lshr_b32 s2, s2, 16
	s_mul_i32 s3, s3, s2
	v_add_u32_e32 v2, s3, v53
	v_cmp_gt_i32_e32 vcc, s18, v2
	s_and_saveexec_b64 s[2:3], vcc
	s_cbranch_execz .LBB94_813
; %bb.1:
	s_load_dwordx4 s[4:7], s[0:1], 0x50
	v_ashrrev_i32_e32 v3, 31, v2
	v_mov_b64_e32 v[4:5], 0
	s_waitcnt lgkmcnt(0)
	s_cmp_eq_u64 s[4:5], 0
	s_cselect_b64 s[20:21], -1, 0
	s_and_b64 vcc, exec, s[20:21]
	s_cbranch_vccnz .LBB94_3
; %bb.2:
	v_mul_lo_u32 v1, s7, v2
	v_mul_lo_u32 v6, s6, v3
	v_mad_u64_u32 v[4:5], s[2:3], s6, v2, 0
	v_add3_u32 v5, v5, v6, v1
	v_lshl_add_u64 v[4:5], v[4:5], 2, s[4:5]
.LBB94_3:
	s_load_dwordx4 s[12:15], s[0:1], 0x8
	s_load_dwordx8 s[4:11], s[0:1], 0x20
	s_load_dword s16, s[0:1], 0x18
	s_load_dword s22, s[0:1], 0x0
	v_and_b32_e32 v55, 0x3ff, v0
	s_waitcnt lgkmcnt(0)
	v_mov_b32_e32 v6, s12
	v_mul_lo_u32 v1, s5, v2
	v_mul_lo_u32 v10, s4, v3
	v_mad_u64_u32 v[8:9], s[2:3], s4, v2, 0
	v_mov_b32_e32 v7, s13
	v_add3_u32 v9, v9, v10, v1
	s_add_i32 s18, s16, s16
	v_lshl_add_u64 v[6:7], v[8:9], 2, v[6:7]
	v_add_u32_e32 v10, s18, v55
	v_lshl_add_u64 v[6:7], s[14:15], 2, v[6:7]
	v_ashrrev_i32_e32 v11, 31, v10
	v_lshl_add_u64 v[12:13], v[10:11], 2, v[6:7]
	v_add_u32_e32 v10, s16, v10
	v_ashrrev_i32_e32 v11, 31, v10
	v_lshl_add_u64 v[14:15], v[10:11], 2, v[6:7]
	v_add_u32_e32 v10, s16, v10
	;; [unrolled: 3-line block ×4, first 2 shown]
	v_ashrrev_i32_e32 v11, 31, v10
	v_lshlrev_b32_e32 v56, 2, v55
	v_mov_b32_e32 v57, 0
	v_lshl_add_u64 v[20:21], v[10:11], 2, v[6:7]
	v_add_u32_e32 v10, s16, v10
	v_lshl_add_u64 v[0:1], v[6:7], 0, v[56:57]
	s_ashr_i32 s17, s16, 31
	v_ashrrev_i32_e32 v11, 31, v10
	v_lshl_add_u64 v[8:9], s[16:17], 2, v[0:1]
	v_lshl_add_u64 v[22:23], v[10:11], 2, v[6:7]
	global_load_dword v54, v[0:1], off
	global_load_dword v52, v[8:9], off
	;; [unrolled: 1-line block ×8, first 2 shown]
	v_add_u32_e32 v0, s16, v10
	v_ashrrev_i32_e32 v1, 31, v0
	v_lshl_add_u64 v[8:9], v[0:1], 2, v[6:7]
	v_add_u32_e32 v0, s16, v0
	v_ashrrev_i32_e32 v1, 31, v0
	v_lshl_add_u64 v[10:11], v[0:1], 2, v[6:7]
	;; [unrolled: 3-line block ×8, first 2 shown]
	v_add_u32_e32 v0, s16, v0
	v_ashrrev_i32_e32 v1, 31, v0
	global_load_dword v50, v[8:9], off
	global_load_dword v51, v[10:11], off
	;; [unrolled: 1-line block ×8, first 2 shown]
	v_lshl_add_u64 v[8:9], v[0:1], 2, v[6:7]
	v_add_u32_e32 v0, s16, v0
	v_ashrrev_i32_e32 v1, 31, v0
	v_lshl_add_u64 v[10:11], v[0:1], 2, v[6:7]
	v_add_u32_e32 v0, s16, v0
	v_ashrrev_i32_e32 v1, 31, v0
	;; [unrolled: 3-line block ×8, first 2 shown]
	global_load_dword v46, v[8:9], off
	global_load_dword v47, v[10:11], off
	;; [unrolled: 1-line block ×8, first 2 shown]
	v_lshl_add_u64 v[8:9], v[0:1], 2, v[6:7]
	v_add_u32_e32 v0, s16, v0
	v_ashrrev_i32_e32 v1, 31, v0
	v_lshl_add_u64 v[10:11], v[0:1], 2, v[6:7]
	v_add_u32_e32 v0, s16, v0
	v_ashrrev_i32_e32 v1, 31, v0
	;; [unrolled: 3-line block ×8, first 2 shown]
	global_load_dword v40, v[8:9], off
	global_load_dword v41, v[10:11], off
	;; [unrolled: 1-line block ×8, first 2 shown]
	v_lshl_add_u64 v[8:9], v[0:1], 2, v[6:7]
	v_add_u32_e32 v0, s16, v0
	v_ashrrev_i32_e32 v1, 31, v0
	v_lshl_add_u64 v[10:11], v[0:1], 2, v[6:7]
	v_add_u32_e32 v0, s16, v0
	v_ashrrev_i32_e32 v1, 31, v0
	;; [unrolled: 3-line block ×5, first 2 shown]
	v_lshl_add_u64 v[60:61], v[0:1], 2, v[6:7]
	v_add_u32_e32 v0, s16, v0
	v_add_u32_e32 v64, s16, v0
	v_ashrrev_i32_e32 v1, 31, v0
	v_ashrrev_i32_e32 v65, 31, v64
	v_lshl_add_u64 v[62:63], v[0:1], 2, v[6:7]
	v_lshl_add_u64 v[66:67], v[64:65], 2, v[6:7]
	global_load_dword v32, v[8:9], off
	global_load_dword v33, v[10:11], off
	;; [unrolled: 1-line block ×8, first 2 shown]
	v_add_u32_e32 v8, s16, v64
	v_ashrrev_i32_e32 v9, 31, v8
	v_lshl_add_u64 v[10:11], v[8:9], 2, v[6:7]
	v_add_u32_e32 v8, s16, v8
	v_ashrrev_i32_e32 v9, 31, v8
	v_lshl_add_u64 v[58:59], v[8:9], 2, v[6:7]
	;; [unrolled: 3-line block ×8, first 2 shown]
	global_load_dword v24, v[10:11], off
	global_load_dword v25, v[58:59], off
	;; [unrolled: 1-line block ×6, first 2 shown]
                                        ; kill: killed $vgpr10_vgpr11
                                        ; kill: killed $vgpr58_vgpr59
                                        ; kill: killed $vgpr60_vgpr61
                                        ; kill: killed $vgpr62_vgpr63
                                        ; kill: killed $vgpr64_vgpr65
                                        ; kill: killed $vgpr66_vgpr67
	global_load_dword v10, v[68:69], off
	global_load_dword v11, v[70:71], off
	s_load_dwordx2 s[4:5], s[0:1], 0x40
	s_max_i32 s0, s22, 48
	v_mul_lo_u32 v58, s0, v53
	v_lshl_add_u32 v53, v58, 2, 0
	v_add_u32_e32 v56, v53, v56
	s_waitcnt vmcnt(47)
	ds_write_b32 v56, v54
	s_waitcnt lgkmcnt(0)
	s_barrier
	ds_read_b32 v56, v53
	s_cmp_lt_i32 s22, 2
	v_lshlrev_b32_e32 v58, 2, v58
	s_cbranch_scc1 .LBB94_6
; %bb.4:
	v_add3_u32 v59, v58, 0, 4
	v_mov_b32_e32 v57, 0
	s_mov_b32 s0, 1
.LBB94_5:                               ; =>This Inner Loop Header: Depth=1
	ds_read_b32 v60, v59
	v_mov_b32_e32 v61, s0
	s_add_i32 s0, s0, 1
	v_add_u32_e32 v59, 4, v59
	s_cmp_eq_u32 s22, s0
	s_waitcnt lgkmcnt(0)
	v_cmp_lt_f32_e64 vcc, |v56|, |v60|
	s_nop 1
	v_cndmask_b32_e32 v56, v56, v60, vcc
	v_cndmask_b32_e32 v57, v57, v61, vcc
	s_cbranch_scc0 .LBB94_5
.LBB94_6:
	v_cmp_ne_u32_e32 vcc, v55, v57
                                        ; implicit-def: $vgpr59
	s_and_saveexec_b64 s[0:1], vcc
	s_xor_b64 s[0:1], exec, s[0:1]
	s_cbranch_execz .LBB94_12
; %bb.7:
	v_cmp_eq_u32_e32 vcc, 0, v55
	s_and_saveexec_b64 s[2:3], vcc
	s_cbranch_execz .LBB94_11
; %bb.8:
	v_cmp_ne_u32_e32 vcc, 0, v57
	s_xor_b64 s[12:13], s[20:21], -1
	s_and_b64 s[14:15], s[12:13], vcc
	s_and_saveexec_b64 s[12:13], s[14:15]
	s_cbranch_execz .LBB94_10
; %bb.9:
	v_ashrrev_i32_e32 v61, 31, v57
	v_mov_b32_e32 v60, v57
	v_lshl_add_u64 v[60:61], v[60:61], 2, v[4:5]
	global_load_dword v55, v[60:61], off
	global_load_dword v59, v[4:5], off
	s_waitcnt vmcnt(1)
	global_store_dword v[4:5], v55, off
	s_waitcnt vmcnt(1)
	global_store_dword v[60:61], v59, off
.LBB94_10:
	s_or_b64 exec, exec, s[12:13]
	v_mov_b32_e32 v55, v57
.LBB94_11:
	s_or_b64 exec, exec, s[2:3]
	v_mov_b32_e32 v59, v55
                                        ; implicit-def: $vgpr55
.LBB94_12:
	s_or_saveexec_b64 s[0:1], s[0:1]
	v_mov_b32_e32 v57, v59
	s_xor_b64 exec, exec, s[0:1]
	s_cbranch_execz .LBB94_14
; %bb.13:
	v_mov_b32_e32 v59, 0
	v_mov_b32_e32 v57, v55
	s_waitcnt vmcnt(45)
	ds_write2_b32 v53, v52, v48 offset0:1 offset1:2
	s_waitcnt vmcnt(43)
	ds_write2_b32 v53, v49, v42 offset0:3 offset1:4
	;; [unrolled: 2-line block ×23, first 2 shown]
	s_waitcnt vmcnt(0)
	ds_write_b32 v53, v11 offset:188
.LBB94_14:
	s_or_b64 exec, exec, s[0:1]
	s_waitcnt lgkmcnt(0)
	v_cmp_eq_f32_e64 s[0:1], 0, v56
	v_cmp_lt_i32_e32 vcc, 0, v59
	s_barrier
	s_and_saveexec_b64 s[2:3], vcc
	s_cbranch_execz .LBB94_16
; %bb.15:
	v_div_scale_f32 v55, s[12:13], v56, v56, 1.0
	v_rcp_f32_e32 v60, v55
	v_div_scale_f32 v61, vcc, 1.0, v56, 1.0
	v_fma_f32 v62, -v55, v60, 1.0
	v_fmac_f32_e32 v60, v62, v60
	v_mul_f32_e32 v62, v61, v60
	v_fma_f32 v63, -v55, v62, v61
	v_fmac_f32_e32 v62, v63, v60
	v_fma_f32 v55, -v55, v62, v61
	v_div_fmas_f32 v55, v55, v60, v62
	v_div_fixup_f32 v55, v55, v56, 1.0
	v_cndmask_b32_e64 v55, v55, v56, s[0:1]
	ds_read_b32 v56, v53 offset:4
	ds_read2_b32 v[60:61], v53 offset0:2 offset1:3
	ds_read2_b32 v[62:63], v53 offset0:4 offset1:5
	v_mul_f32_e32 v54, v55, v54
	ds_read2_b32 v[64:65], v53 offset0:6 offset1:7
	s_waitcnt vmcnt(46) lgkmcnt(3)
	v_fma_f32 v52, -v54, v56, v52
	s_waitcnt vmcnt(44) lgkmcnt(2)
	v_pk_fma_f32 v[48:49], v[54:55], v[60:61], v[48:49] op_sel_hi:[0,1,1] neg_lo:[1,0,0] neg_hi:[1,0,0]
	s_waitcnt vmcnt(42) lgkmcnt(1)
	v_pk_fma_f32 v[42:43], v[54:55], v[62:63], v[42:43] op_sel_hi:[0,1,1] neg_lo:[1,0,0] neg_hi:[1,0,0]
	ds_read2_b32 v[60:61], v53 offset0:8 offset1:9
	ds_read2_b32 v[62:63], v53 offset0:10 offset1:11
	ds_read2_b32 v[66:67], v53 offset0:12 offset1:13
	s_waitcnt vmcnt(40) lgkmcnt(3)
	v_pk_fma_f32 v[34:35], v[54:55], v[64:65], v[34:35] op_sel_hi:[0,1,1] neg_lo:[1,0,0] neg_hi:[1,0,0]
	ds_read2_b32 v[64:65], v53 offset0:14 offset1:15
	s_waitcnt vmcnt(38) lgkmcnt(3)
	v_pk_fma_f32 v[50:51], v[54:55], v[60:61], v[50:51] op_sel_hi:[0,1,1] neg_lo:[1,0,0] neg_hi:[1,0,0]
	s_waitcnt vmcnt(36) lgkmcnt(2)
	v_pk_fma_f32 v[44:45], v[54:55], v[62:63], v[44:45] op_sel_hi:[0,1,1] neg_lo:[1,0,0] neg_hi:[1,0,0]
	s_waitcnt vmcnt(34) lgkmcnt(1)
	v_pk_fma_f32 v[36:37], v[54:55], v[66:67], v[36:37] op_sel_hi:[0,1,1] neg_lo:[1,0,0] neg_hi:[1,0,0]
	ds_read2_b32 v[60:61], v53 offset0:16 offset1:17
	ds_read2_b32 v[62:63], v53 offset0:18 offset1:19
	ds_read2_b32 v[66:67], v53 offset0:20 offset1:21
	s_waitcnt vmcnt(32) lgkmcnt(3)
	v_pk_fma_f32 v[26:27], v[54:55], v[64:65], v[26:27] op_sel_hi:[0,1,1] neg_lo:[1,0,0] neg_hi:[1,0,0]
	ds_read2_b32 v[64:65], v53 offset0:22 offset1:23
	s_waitcnt vmcnt(30) lgkmcnt(3)
	v_pk_fma_f32 v[46:47], v[54:55], v[60:61], v[46:47] op_sel_hi:[0,1,1] neg_lo:[1,0,0] neg_hi:[1,0,0]
	;; [unrolled: 12-line block ×4, first 2 shown]
	s_waitcnt vmcnt(12) lgkmcnt(2)
	v_pk_fma_f32 v[22:23], v[54:55], v[62:63], v[22:23] op_sel_hi:[0,1,1] neg_lo:[1,0,0] neg_hi:[1,0,0]
	s_waitcnt vmcnt(10) lgkmcnt(1)
	v_pk_fma_f32 v[14:15], v[54:55], v[66:67], v[14:15] op_sel_hi:[0,1,1] neg_lo:[1,0,0] neg_hi:[1,0,0]
	ds_read2_b32 v[60:61], v53 offset0:40 offset1:41
	ds_read2_b32 v[62:63], v53 offset0:42 offset1:43
	;; [unrolled: 1-line block ×4, first 2 shown]
	s_waitcnt vmcnt(8) lgkmcnt(4)
	v_pk_fma_f32 v[0:1], v[54:55], v[64:65], v[0:1] op_sel_hi:[0,1,1] neg_lo:[1,0,0] neg_hi:[1,0,0]
	s_waitcnt vmcnt(6) lgkmcnt(3)
	v_pk_fma_f32 v[24:25], v[54:55], v[60:61], v[24:25] op_sel_hi:[0,1,1] neg_lo:[1,0,0] neg_hi:[1,0,0]
	;; [unrolled: 2-line block ×5, first 2 shown]
.LBB94_16:
	s_or_b64 exec, exec, s[2:3]
	v_lshl_add_u32 v55, v59, 2, v53
	s_barrier
	s_waitcnt vmcnt(46)
	ds_write_b32 v55, v52
	s_waitcnt lgkmcnt(0)
	s_barrier
	ds_read_b32 v55, v53 offset:4
	s_mov_b32 s2, 2
	s_cmp_lt_i32 s22, 3
	v_mov_b32_e32 v56, 1
	s_cbranch_scc1 .LBB94_19
; %bb.17:
	v_add3_u32 v60, v58, 0, 8
	v_mov_b32_e32 v56, 1
.LBB94_18:                              ; =>This Inner Loop Header: Depth=1
	ds_read_b32 v61, v60
	v_mov_b32_e32 v62, s2
	s_add_i32 s2, s2, 1
	v_add_u32_e32 v60, 4, v60
	s_cmp_lg_u32 s22, s2
	s_waitcnt lgkmcnt(0)
	v_cmp_lt_f32_e64 vcc, |v55|, |v61|
	s_nop 1
	v_cndmask_b32_e32 v55, v55, v61, vcc
	v_cndmask_b32_e32 v56, v56, v62, vcc
	s_cbranch_scc1 .LBB94_18
.LBB94_19:
	v_cmp_ne_u32_e32 vcc, v59, v56
	s_and_saveexec_b64 s[2:3], vcc
	s_xor_b64 s[2:3], exec, s[2:3]
	s_cbranch_execz .LBB94_25
; %bb.20:
	v_cmp_eq_u32_e32 vcc, 1, v59
	s_and_saveexec_b64 s[12:13], vcc
	s_cbranch_execz .LBB94_24
; %bb.21:
	v_cmp_ne_u32_e32 vcc, 1, v56
	s_xor_b64 s[14:15], s[20:21], -1
	s_and_b64 s[24:25], s[14:15], vcc
	s_and_saveexec_b64 s[14:15], s[24:25]
	s_cbranch_execz .LBB94_23
; %bb.22:
	v_ashrrev_i32_e32 v57, 31, v56
	v_lshl_add_u64 v[60:61], v[56:57], 2, v[4:5]
	global_load_dword v57, v[60:61], off
	global_load_dword v59, v[4:5], off offset:4
	s_waitcnt vmcnt(1)
	global_store_dword v[4:5], v57, off offset:4
	s_waitcnt vmcnt(1)
	global_store_dword v[60:61], v59, off
.LBB94_23:
	s_or_b64 exec, exec, s[14:15]
	v_mov_b32_e32 v57, v56
	v_mov_b32_e32 v59, v56
.LBB94_24:
	s_or_b64 exec, exec, s[12:13]
.LBB94_25:
	s_andn2_saveexec_b64 s[2:3], s[2:3]
	s_cbranch_execz .LBB94_27
; %bb.26:
	v_mov_b32_e32 v59, 1
	s_waitcnt vmcnt(44)
	ds_write2_b32 v53, v48, v49 offset0:2 offset1:3
	s_waitcnt vmcnt(42)
	ds_write2_b32 v53, v42, v43 offset0:4 offset1:5
	;; [unrolled: 2-line block ×23, first 2 shown]
.LBB94_27:
	s_or_b64 exec, exec, s[2:3]
	s_waitcnt lgkmcnt(0)
	v_cmp_neq_f32_e64 s[2:3], 0, v55
	v_cmp_lt_i32_e32 vcc, 1, v59
	s_barrier
	s_and_saveexec_b64 s[12:13], vcc
	s_cbranch_execz .LBB94_29
; %bb.28:
	v_div_scale_f32 v56, s[14:15], v55, v55, 1.0
	v_rcp_f32_e32 v60, v56
	v_div_scale_f32 v61, vcc, 1.0, v55, 1.0
	v_fma_f32 v62, -v56, v60, 1.0
	v_fmac_f32_e32 v60, v62, v60
	v_mul_f32_e32 v62, v61, v60
	v_fma_f32 v63, -v56, v62, v61
	v_fmac_f32_e32 v62, v63, v60
	v_fma_f32 v56, -v56, v62, v61
	v_div_fmas_f32 v56, v56, v60, v62
	ds_read2_b32 v[60:61], v53 offset0:2 offset1:3
	ds_read2_b32 v[62:63], v53 offset0:4 offset1:5
	ds_read2_b32 v[64:65], v53 offset0:6 offset1:7
	v_div_fixup_f32 v56, v56, v55, 1.0
	v_cndmask_b32_e64 v55, v55, v56, s[2:3]
	v_mul_f32_e32 v52, v55, v52
	ds_read2_b32 v[66:67], v53 offset0:8 offset1:9
	s_waitcnt vmcnt(44) lgkmcnt(3)
	v_pk_fma_f32 v[48:49], v[52:53], v[60:61], v[48:49] op_sel_hi:[0,1,1] neg_lo:[1,0,0] neg_hi:[1,0,0]
	s_waitcnt vmcnt(42) lgkmcnt(2)
	v_pk_fma_f32 v[42:43], v[52:53], v[62:63], v[42:43] op_sel_hi:[0,1,1] neg_lo:[1,0,0] neg_hi:[1,0,0]
	s_waitcnt vmcnt(40) lgkmcnt(1)
	v_pk_fma_f32 v[34:35], v[52:53], v[64:65], v[34:35] op_sel_hi:[0,1,1] neg_lo:[1,0,0] neg_hi:[1,0,0]
	ds_read2_b32 v[60:61], v53 offset0:10 offset1:11
	ds_read2_b32 v[62:63], v53 offset0:12 offset1:13
	ds_read2_b32 v[64:65], v53 offset0:14 offset1:15
	s_waitcnt vmcnt(38) lgkmcnt(3)
	v_pk_fma_f32 v[50:51], v[52:53], v[66:67], v[50:51] op_sel_hi:[0,1,1] neg_lo:[1,0,0] neg_hi:[1,0,0]
	ds_read2_b32 v[66:67], v53 offset0:16 offset1:17
	s_waitcnt vmcnt(36) lgkmcnt(3)
	v_pk_fma_f32 v[44:45], v[52:53], v[60:61], v[44:45] op_sel_hi:[0,1,1] neg_lo:[1,0,0] neg_hi:[1,0,0]
	s_waitcnt vmcnt(34) lgkmcnt(2)
	v_pk_fma_f32 v[36:37], v[52:53], v[62:63], v[36:37] op_sel_hi:[0,1,1] neg_lo:[1,0,0] neg_hi:[1,0,0]
	s_waitcnt vmcnt(32) lgkmcnt(1)
	v_pk_fma_f32 v[26:27], v[52:53], v[64:65], v[26:27] op_sel_hi:[0,1,1] neg_lo:[1,0,0] neg_hi:[1,0,0]
	ds_read2_b32 v[60:61], v53 offset0:18 offset1:19
	ds_read2_b32 v[62:63], v53 offset0:20 offset1:21
	ds_read2_b32 v[64:65], v53 offset0:22 offset1:23
	s_waitcnt vmcnt(30) lgkmcnt(3)
	v_pk_fma_f32 v[46:47], v[52:53], v[66:67], v[46:47] op_sel_hi:[0,1,1] neg_lo:[1,0,0] neg_hi:[1,0,0]
	;; [unrolled: 12-line block ×3, first 2 shown]
	ds_read2_b32 v[66:67], v53 offset0:32 offset1:33
	s_waitcnt vmcnt(20) lgkmcnt(3)
	v_pk_fma_f32 v[30:31], v[52:53], v[60:61], v[30:31] op_sel_hi:[0,1,1] neg_lo:[1,0,0] neg_hi:[1,0,0]
	s_waitcnt vmcnt(18) lgkmcnt(2)
	v_pk_fma_f32 v[20:21], v[52:53], v[62:63], v[20:21] op_sel_hi:[0,1,1] neg_lo:[1,0,0] neg_hi:[1,0,0]
	ds_read2_b32 v[60:61], v53 offset0:34 offset1:35
	ds_read2_b32 v[62:63], v53 offset0:36 offset1:37
	s_waitcnt vmcnt(16) lgkmcnt(3)
	v_pk_fma_f32 v[12:13], v[52:53], v[64:65], v[12:13] op_sel_hi:[0,1,1] neg_lo:[1,0,0] neg_hi:[1,0,0]
	s_waitcnt vmcnt(14) lgkmcnt(2)
	v_pk_fma_f32 v[32:33], v[52:53], v[66:67], v[32:33] op_sel_hi:[0,1,1] neg_lo:[1,0,0] neg_hi:[1,0,0]
	ds_read2_b32 v[64:65], v53 offset0:38 offset1:39
	;; [unrolled: 6-line block ×3, first 2 shown]
	ds_read2_b32 v[62:63], v53 offset0:44 offset1:45
	ds_read2_b32 v[68:69], v53 offset0:46 offset1:47
	s_waitcnt vmcnt(8) lgkmcnt(4)
	v_pk_fma_f32 v[0:1], v[52:53], v[64:65], v[0:1] op_sel_hi:[0,1,1] neg_lo:[1,0,0] neg_hi:[1,0,0]
	s_waitcnt vmcnt(6) lgkmcnt(3)
	v_pk_fma_f32 v[24:25], v[52:53], v[66:67], v[24:25] op_sel_hi:[0,1,1] neg_lo:[1,0,0] neg_hi:[1,0,0]
	;; [unrolled: 2-line block ×5, first 2 shown]
.LBB94_29:
	s_or_b64 exec, exec, s[12:13]
	v_lshl_add_u32 v55, v59, 2, v53
	s_barrier
	s_waitcnt vmcnt(45)
	ds_write_b32 v55, v48
	s_waitcnt lgkmcnt(0)
	s_barrier
	ds_read_b32 v60, v53 offset:8
	s_cmp_lt_i32 s22, 4
	v_mov_b32_e32 v56, 2
	s_cbranch_scc1 .LBB94_32
; %bb.30:
	v_mov_b32_e32 v56, 2
	v_add3_u32 v55, v58, 0, 12
	s_mov_b32 s12, 3
.LBB94_31:                              ; =>This Inner Loop Header: Depth=1
	ds_read_b32 v61, v55
	v_mov_b32_e32 v62, s12
	s_add_i32 s12, s12, 1
	v_add_u32_e32 v55, 4, v55
	s_cmp_lg_u32 s22, s12
	s_waitcnt lgkmcnt(0)
	v_cmp_lt_f32_e64 vcc, |v60|, |v61|
	s_nop 1
	v_cndmask_b32_e32 v60, v60, v61, vcc
	v_cndmask_b32_e32 v56, v56, v62, vcc
	s_cbranch_scc1 .LBB94_31
.LBB94_32:
	v_cndmask_b32_e64 v55, 2, 1, s[0:1]
	v_cndmask_b32_e64 v61, 0, 1, s[0:1]
	;; [unrolled: 1-line block ×3, first 2 shown]
	s_waitcnt lgkmcnt(0)
	v_cmp_eq_f32_e32 vcc, 0, v60
	s_and_saveexec_b64 s[0:1], vcc
	s_xor_b64 s[0:1], exec, s[0:1]
; %bb.33:
	v_cmp_ne_u32_e32 vcc, 0, v55
	s_nop 1
	v_cndmask_b32_e32 v55, 3, v55, vcc
; %bb.34:
	s_andn2_saveexec_b64 s[0:1], s[0:1]
	s_cbranch_execz .LBB94_36
; %bb.35:
	v_div_scale_f32 v61, s[2:3], v60, v60, 1.0
	v_rcp_f32_e32 v62, v61
	v_div_scale_f32 v63, vcc, 1.0, v60, 1.0
	v_fma_f32 v64, -v61, v62, 1.0
	v_fmac_f32_e32 v62, v64, v62
	v_mul_f32_e32 v64, v63, v62
	v_fma_f32 v65, -v61, v64, v63
	v_fmac_f32_e32 v64, v65, v62
	v_fma_f32 v61, -v61, v64, v63
	v_div_fmas_f32 v61, v61, v62, v64
	v_div_fixup_f32 v60, v61, v60, 1.0
.LBB94_36:
	s_or_b64 exec, exec, s[0:1]
	v_cmp_ne_u32_e32 vcc, v59, v56
	s_and_saveexec_b64 s[0:1], vcc
	s_xor_b64 s[0:1], exec, s[0:1]
	s_cbranch_execz .LBB94_42
; %bb.37:
	v_cmp_eq_u32_e32 vcc, 2, v59
	s_and_saveexec_b64 s[2:3], vcc
	s_cbranch_execz .LBB94_41
; %bb.38:
	v_cmp_ne_u32_e32 vcc, 2, v56
	s_xor_b64 s[12:13], s[20:21], -1
	s_and_b64 s[14:15], s[12:13], vcc
	s_and_saveexec_b64 s[12:13], s[14:15]
	s_cbranch_execz .LBB94_40
; %bb.39:
	v_ashrrev_i32_e32 v57, 31, v56
	v_lshl_add_u64 v[62:63], v[56:57], 2, v[4:5]
	global_load_dword v57, v[62:63], off
	global_load_dword v59, v[4:5], off offset:8
	s_waitcnt vmcnt(1)
	global_store_dword v[4:5], v57, off offset:8
	s_waitcnt vmcnt(1)
	global_store_dword v[62:63], v59, off
.LBB94_40:
	s_or_b64 exec, exec, s[12:13]
	v_mov_b32_e32 v57, v56
	v_mov_b32_e32 v59, v56
.LBB94_41:
	s_or_b64 exec, exec, s[2:3]
.LBB94_42:
	s_andn2_saveexec_b64 s[0:1], s[0:1]
	s_cbranch_execz .LBB94_44
; %bb.43:
	s_waitcnt vmcnt(42)
	v_pk_mov_b32 v[62:63], v[48:49], v[42:43] op_sel:[1,0]
	ds_write2_b32 v53, v62, v63 offset0:3 offset1:4
	s_waitcnt vmcnt(40)
	v_pk_mov_b32 v[62:63], v[42:43], v[34:35] op_sel:[1,0]
	ds_write2_b32 v53, v62, v63 offset0:5 offset1:6
	;; [unrolled: 3-line block ×21, first 2 shown]
	s_waitcnt vmcnt(0)
	v_pk_mov_b32 v[62:63], v[8:9], v[10:11] op_sel:[1,0]
	v_mov_b32_e32 v59, 2
	ds_write2_b32 v53, v62, v63 offset0:45 offset1:46
	ds_write_b32 v53, v11 offset:188
.LBB94_44:
	s_or_b64 exec, exec, s[0:1]
	v_cmp_lt_i32_e32 vcc, 2, v59
	s_waitcnt lgkmcnt(0)
	s_barrier
	s_and_saveexec_b64 s[0:1], vcc
	s_cbranch_execz .LBB94_46
; %bb.45:
	ds_read_b32 v56, v53 offset:12
	ds_read2_b32 v[62:63], v53 offset0:4 offset1:5
	ds_read2_b32 v[64:65], v53 offset0:6 offset1:7
	v_mul_f32_e32 v48, v60, v48
	ds_read2_b32 v[60:61], v53 offset0:8 offset1:9
	s_waitcnt vmcnt(44) lgkmcnt(3)
	v_fma_f32 v49, -v48, v56, v49
	s_waitcnt vmcnt(42) lgkmcnt(2)
	v_pk_fma_f32 v[42:43], v[48:49], v[62:63], v[42:43] op_sel_hi:[0,1,1] neg_lo:[1,0,0] neg_hi:[1,0,0]
	s_waitcnt vmcnt(40) lgkmcnt(1)
	v_pk_fma_f32 v[34:35], v[48:49], v[64:65], v[34:35] op_sel_hi:[0,1,1] neg_lo:[1,0,0] neg_hi:[1,0,0]
	ds_read2_b32 v[62:63], v53 offset0:10 offset1:11
	ds_read2_b32 v[64:65], v53 offset0:12 offset1:13
	ds_read2_b32 v[66:67], v53 offset0:14 offset1:15
	s_waitcnt vmcnt(38) lgkmcnt(3)
	v_pk_fma_f32 v[50:51], v[48:49], v[60:61], v[50:51] op_sel_hi:[0,1,1] neg_lo:[1,0,0] neg_hi:[1,0,0]
	ds_read2_b32 v[60:61], v53 offset0:16 offset1:17
	s_waitcnt vmcnt(36) lgkmcnt(3)
	v_pk_fma_f32 v[44:45], v[48:49], v[62:63], v[44:45] op_sel_hi:[0,1,1] neg_lo:[1,0,0] neg_hi:[1,0,0]
	s_waitcnt vmcnt(34) lgkmcnt(2)
	v_pk_fma_f32 v[36:37], v[48:49], v[64:65], v[36:37] op_sel_hi:[0,1,1] neg_lo:[1,0,0] neg_hi:[1,0,0]
	s_waitcnt vmcnt(32) lgkmcnt(1)
	v_pk_fma_f32 v[26:27], v[48:49], v[66:67], v[26:27] op_sel_hi:[0,1,1] neg_lo:[1,0,0] neg_hi:[1,0,0]
	ds_read2_b32 v[62:63], v53 offset0:18 offset1:19
	ds_read2_b32 v[64:65], v53 offset0:20 offset1:21
	ds_read2_b32 v[66:67], v53 offset0:22 offset1:23
	s_waitcnt vmcnt(30) lgkmcnt(3)
	v_pk_fma_f32 v[46:47], v[48:49], v[60:61], v[46:47] op_sel_hi:[0,1,1] neg_lo:[1,0,0] neg_hi:[1,0,0]
	ds_read2_b32 v[60:61], v53 offset0:24 offset1:25
	s_waitcnt vmcnt(28) lgkmcnt(3)
	v_pk_fma_f32 v[38:39], v[48:49], v[62:63], v[38:39] op_sel_hi:[0,1,1] neg_lo:[1,0,0] neg_hi:[1,0,0]
	;; [unrolled: 12-line block ×3, first 2 shown]
	s_waitcnt vmcnt(18) lgkmcnt(2)
	v_pk_fma_f32 v[20:21], v[48:49], v[64:65], v[20:21] op_sel_hi:[0,1,1] neg_lo:[1,0,0] neg_hi:[1,0,0]
	ds_read2_b32 v[62:63], v53 offset0:34 offset1:35
	ds_read2_b32 v[64:65], v53 offset0:36 offset1:37
	s_waitcnt vmcnt(16) lgkmcnt(3)
	v_pk_fma_f32 v[12:13], v[48:49], v[66:67], v[12:13] op_sel_hi:[0,1,1] neg_lo:[1,0,0] neg_hi:[1,0,0]
	s_waitcnt vmcnt(14) lgkmcnt(2)
	v_pk_fma_f32 v[32:33], v[48:49], v[60:61], v[32:33] op_sel_hi:[0,1,1] neg_lo:[1,0,0] neg_hi:[1,0,0]
	ds_read2_b32 v[60:61], v53 offset0:38 offset1:39
	ds_read2_b32 v[66:67], v53 offset0:40 offset1:41
	s_waitcnt vmcnt(12) lgkmcnt(3)
	v_pk_fma_f32 v[22:23], v[48:49], v[62:63], v[22:23] op_sel_hi:[0,1,1] neg_lo:[1,0,0] neg_hi:[1,0,0]
	s_waitcnt vmcnt(10) lgkmcnt(2)
	v_pk_fma_f32 v[14:15], v[48:49], v[64:65], v[14:15] op_sel_hi:[0,1,1] neg_lo:[1,0,0] neg_hi:[1,0,0]
	ds_read2_b32 v[62:63], v53 offset0:42 offset1:43
	ds_read2_b32 v[64:65], v53 offset0:44 offset1:45
	;; [unrolled: 1-line block ×3, first 2 shown]
	s_waitcnt vmcnt(8) lgkmcnt(4)
	v_pk_fma_f32 v[0:1], v[48:49], v[60:61], v[0:1] op_sel_hi:[0,1,1] neg_lo:[1,0,0] neg_hi:[1,0,0]
	s_waitcnt vmcnt(6) lgkmcnt(3)
	v_pk_fma_f32 v[24:25], v[48:49], v[66:67], v[24:25] op_sel_hi:[0,1,1] neg_lo:[1,0,0] neg_hi:[1,0,0]
	;; [unrolled: 2-line block ×5, first 2 shown]
.LBB94_46:
	s_or_b64 exec, exec, s[0:1]
	v_lshl_add_u32 v56, v59, 2, v53
	s_barrier
	s_waitcnt vmcnt(44)
	ds_write_b32 v56, v49
	s_waitcnt lgkmcnt(0)
	s_barrier
	ds_read_b32 v60, v53 offset:12
	s_cmp_lt_i32 s22, 5
	v_mov_b32_e32 v56, 3
	s_cbranch_scc1 .LBB94_49
; %bb.47:
	v_add3_u32 v61, v58, 0, 16
	v_mov_b32_e32 v56, 3
	s_mov_b32 s0, 4
.LBB94_48:                              ; =>This Inner Loop Header: Depth=1
	ds_read_b32 v62, v61
	v_mov_b32_e32 v63, s0
	s_add_i32 s0, s0, 1
	v_add_u32_e32 v61, 4, v61
	s_cmp_lg_u32 s22, s0
	s_waitcnt lgkmcnt(0)
	v_cmp_lt_f32_e64 vcc, |v60|, |v62|
	s_nop 1
	v_cndmask_b32_e32 v60, v60, v62, vcc
	v_cndmask_b32_e32 v56, v56, v63, vcc
	s_cbranch_scc1 .LBB94_48
.LBB94_49:
	s_waitcnt lgkmcnt(0)
	v_cmp_eq_f32_e32 vcc, 0, v60
	s_and_saveexec_b64 s[0:1], vcc
	s_xor_b64 s[0:1], exec, s[0:1]
; %bb.50:
	v_cmp_ne_u32_e32 vcc, 0, v55
	s_nop 1
	v_cndmask_b32_e32 v55, 4, v55, vcc
; %bb.51:
	s_andn2_saveexec_b64 s[0:1], s[0:1]
	s_cbranch_execz .LBB94_53
; %bb.52:
	v_div_scale_f32 v61, s[2:3], v60, v60, 1.0
	v_rcp_f32_e32 v62, v61
	v_div_scale_f32 v63, vcc, 1.0, v60, 1.0
	v_fma_f32 v64, -v61, v62, 1.0
	v_fmac_f32_e32 v62, v64, v62
	v_mul_f32_e32 v64, v63, v62
	v_fma_f32 v65, -v61, v64, v63
	v_fmac_f32_e32 v64, v65, v62
	v_fma_f32 v61, -v61, v64, v63
	v_div_fmas_f32 v61, v61, v62, v64
	v_div_fixup_f32 v60, v61, v60, 1.0
.LBB94_53:
	s_or_b64 exec, exec, s[0:1]
	v_cmp_ne_u32_e32 vcc, v59, v56
	s_and_saveexec_b64 s[0:1], vcc
	s_xor_b64 s[0:1], exec, s[0:1]
	s_cbranch_execz .LBB94_59
; %bb.54:
	v_cmp_eq_u32_e32 vcc, 3, v59
	s_and_saveexec_b64 s[2:3], vcc
	s_cbranch_execz .LBB94_58
; %bb.55:
	v_cmp_ne_u32_e32 vcc, 3, v56
	s_xor_b64 s[12:13], s[20:21], -1
	s_and_b64 s[14:15], s[12:13], vcc
	s_and_saveexec_b64 s[12:13], s[14:15]
	s_cbranch_execz .LBB94_57
; %bb.56:
	v_ashrrev_i32_e32 v57, 31, v56
	v_lshl_add_u64 v[62:63], v[56:57], 2, v[4:5]
	global_load_dword v57, v[62:63], off
	global_load_dword v59, v[4:5], off offset:12
	s_waitcnt vmcnt(1)
	global_store_dword v[4:5], v57, off offset:12
	s_waitcnt vmcnt(1)
	global_store_dword v[62:63], v59, off
.LBB94_57:
	s_or_b64 exec, exec, s[12:13]
	v_mov_b32_e32 v57, v56
	v_mov_b32_e32 v59, v56
.LBB94_58:
	s_or_b64 exec, exec, s[2:3]
.LBB94_59:
	s_andn2_saveexec_b64 s[0:1], s[0:1]
	s_cbranch_execz .LBB94_61
; %bb.60:
	v_mov_b32_e32 v59, 3
	s_waitcnt vmcnt(42)
	ds_write2_b32 v53, v42, v43 offset0:4 offset1:5
	s_waitcnt vmcnt(40)
	ds_write2_b32 v53, v34, v35 offset0:6 offset1:7
	;; [unrolled: 2-line block ×22, first 2 shown]
.LBB94_61:
	s_or_b64 exec, exec, s[0:1]
	v_cmp_lt_i32_e32 vcc, 3, v59
	s_waitcnt lgkmcnt(0)
	s_barrier
	s_and_saveexec_b64 s[0:1], vcc
	s_cbranch_execz .LBB94_63
; %bb.62:
	ds_read2_b32 v[62:63], v53 offset0:4 offset1:5
	ds_read2_b32 v[64:65], v53 offset0:6 offset1:7
	;; [unrolled: 1-line block ×3, first 2 shown]
	v_mul_f32_e32 v56, v60, v49
	ds_read2_b32 v[60:61], v53 offset0:10 offset1:11
	s_waitcnt vmcnt(42) lgkmcnt(3)
	v_pk_fma_f32 v[42:43], v[56:57], v[62:63], v[42:43] op_sel_hi:[0,1,1] neg_lo:[1,0,0] neg_hi:[1,0,0]
	s_waitcnt vmcnt(40) lgkmcnt(2)
	v_pk_fma_f32 v[34:35], v[56:57], v[64:65], v[34:35] op_sel_hi:[0,1,1] neg_lo:[1,0,0] neg_hi:[1,0,0]
	s_waitcnt vmcnt(38) lgkmcnt(1)
	v_pk_fma_f32 v[50:51], v[56:57], v[66:67], v[50:51] op_sel_hi:[0,1,1] neg_lo:[1,0,0] neg_hi:[1,0,0]
	ds_read2_b32 v[62:63], v53 offset0:12 offset1:13
	ds_read2_b32 v[64:65], v53 offset0:14 offset1:15
	ds_read2_b32 v[66:67], v53 offset0:16 offset1:17
	s_waitcnt vmcnt(36) lgkmcnt(3)
	v_pk_fma_f32 v[44:45], v[56:57], v[60:61], v[44:45] op_sel_hi:[0,1,1] neg_lo:[1,0,0] neg_hi:[1,0,0]
	ds_read2_b32 v[60:61], v53 offset0:18 offset1:19
	s_waitcnt vmcnt(34) lgkmcnt(3)
	v_pk_fma_f32 v[36:37], v[56:57], v[62:63], v[36:37] op_sel_hi:[0,1,1] neg_lo:[1,0,0] neg_hi:[1,0,0]
	s_waitcnt vmcnt(32) lgkmcnt(2)
	v_pk_fma_f32 v[26:27], v[56:57], v[64:65], v[26:27] op_sel_hi:[0,1,1] neg_lo:[1,0,0] neg_hi:[1,0,0]
	s_waitcnt vmcnt(30) lgkmcnt(1)
	v_pk_fma_f32 v[46:47], v[56:57], v[66:67], v[46:47] op_sel_hi:[0,1,1] neg_lo:[1,0,0] neg_hi:[1,0,0]
	ds_read2_b32 v[62:63], v53 offset0:20 offset1:21
	ds_read2_b32 v[64:65], v53 offset0:22 offset1:23
	ds_read2_b32 v[66:67], v53 offset0:24 offset1:25
	s_waitcnt vmcnt(28) lgkmcnt(3)
	v_pk_fma_f32 v[38:39], v[56:57], v[60:61], v[38:39] op_sel_hi:[0,1,1] neg_lo:[1,0,0] neg_hi:[1,0,0]
	;; [unrolled: 12-line block ×3, first 2 shown]
	ds_read2_b32 v[60:61], v53 offset0:34 offset1:35
	s_waitcnt vmcnt(18) lgkmcnt(3)
	v_pk_fma_f32 v[20:21], v[56:57], v[62:63], v[20:21] op_sel_hi:[0,1,1] neg_lo:[1,0,0] neg_hi:[1,0,0]
	ds_read2_b32 v[62:63], v53 offset0:36 offset1:37
	s_waitcnt vmcnt(16) lgkmcnt(3)
	v_pk_fma_f32 v[12:13], v[56:57], v[64:65], v[12:13] op_sel_hi:[0,1,1] neg_lo:[1,0,0] neg_hi:[1,0,0]
	s_waitcnt vmcnt(14) lgkmcnt(2)
	v_pk_fma_f32 v[32:33], v[56:57], v[66:67], v[32:33] op_sel_hi:[0,1,1] neg_lo:[1,0,0] neg_hi:[1,0,0]
	;; [unrolled: 2-line block ×3, first 2 shown]
	ds_read2_b32 v[60:61], v53 offset0:38 offset1:39
	ds_read2_b32 v[64:65], v53 offset0:40 offset1:41
	;; [unrolled: 1-line block ×3, first 2 shown]
	s_waitcnt vmcnt(10) lgkmcnt(3)
	v_pk_fma_f32 v[14:15], v[56:57], v[62:63], v[14:15] op_sel_hi:[0,1,1] neg_lo:[1,0,0] neg_hi:[1,0,0]
	ds_read2_b32 v[62:63], v53 offset0:44 offset1:45
	ds_read2_b32 v[68:69], v53 offset0:46 offset1:47
	s_waitcnt vmcnt(8) lgkmcnt(4)
	v_pk_fma_f32 v[0:1], v[56:57], v[60:61], v[0:1] op_sel_hi:[0,1,1] neg_lo:[1,0,0] neg_hi:[1,0,0]
	s_waitcnt vmcnt(6) lgkmcnt(3)
	v_pk_fma_f32 v[24:25], v[56:57], v[64:65], v[24:25] op_sel_hi:[0,1,1] neg_lo:[1,0,0] neg_hi:[1,0,0]
	;; [unrolled: 2-line block ×5, first 2 shown]
	v_mov_b32_e32 v49, v56
.LBB94_63:
	s_or_b64 exec, exec, s[0:1]
	v_lshl_add_u32 v56, v59, 2, v53
	s_barrier
	s_waitcnt vmcnt(43)
	ds_write_b32 v56, v42
	s_waitcnt lgkmcnt(0)
	s_barrier
	ds_read_b32 v60, v53 offset:16
	s_cmp_lt_i32 s22, 6
	v_mov_b32_e32 v56, 4
	s_cbranch_scc1 .LBB94_66
; %bb.64:
	v_add3_u32 v61, v58, 0, 20
	v_mov_b32_e32 v56, 4
	s_mov_b32 s0, 5
.LBB94_65:                              ; =>This Inner Loop Header: Depth=1
	ds_read_b32 v62, v61
	v_mov_b32_e32 v63, s0
	s_add_i32 s0, s0, 1
	v_add_u32_e32 v61, 4, v61
	s_cmp_lg_u32 s22, s0
	s_waitcnt lgkmcnt(0)
	v_cmp_lt_f32_e64 vcc, |v60|, |v62|
	s_nop 1
	v_cndmask_b32_e32 v60, v60, v62, vcc
	v_cndmask_b32_e32 v56, v56, v63, vcc
	s_cbranch_scc1 .LBB94_65
.LBB94_66:
	s_waitcnt lgkmcnt(0)
	v_cmp_eq_f32_e32 vcc, 0, v60
	s_and_saveexec_b64 s[0:1], vcc
	s_xor_b64 s[0:1], exec, s[0:1]
; %bb.67:
	v_cmp_ne_u32_e32 vcc, 0, v55
	s_nop 1
	v_cndmask_b32_e32 v55, 5, v55, vcc
; %bb.68:
	s_andn2_saveexec_b64 s[0:1], s[0:1]
	s_cbranch_execz .LBB94_70
; %bb.69:
	v_div_scale_f32 v61, s[2:3], v60, v60, 1.0
	v_rcp_f32_e32 v62, v61
	v_div_scale_f32 v63, vcc, 1.0, v60, 1.0
	v_fma_f32 v64, -v61, v62, 1.0
	v_fmac_f32_e32 v62, v64, v62
	v_mul_f32_e32 v64, v63, v62
	v_fma_f32 v65, -v61, v64, v63
	v_fmac_f32_e32 v64, v65, v62
	v_fma_f32 v61, -v61, v64, v63
	v_div_fmas_f32 v61, v61, v62, v64
	v_div_fixup_f32 v60, v61, v60, 1.0
.LBB94_70:
	s_or_b64 exec, exec, s[0:1]
	v_cmp_ne_u32_e32 vcc, v59, v56
	s_and_saveexec_b64 s[0:1], vcc
	s_xor_b64 s[0:1], exec, s[0:1]
	s_cbranch_execz .LBB94_76
; %bb.71:
	v_cmp_eq_u32_e32 vcc, 4, v59
	s_and_saveexec_b64 s[2:3], vcc
	s_cbranch_execz .LBB94_75
; %bb.72:
	v_cmp_ne_u32_e32 vcc, 4, v56
	s_xor_b64 s[12:13], s[20:21], -1
	s_and_b64 s[14:15], s[12:13], vcc
	s_and_saveexec_b64 s[12:13], s[14:15]
	s_cbranch_execz .LBB94_74
; %bb.73:
	v_ashrrev_i32_e32 v57, 31, v56
	v_lshl_add_u64 v[62:63], v[56:57], 2, v[4:5]
	global_load_dword v57, v[62:63], off
	global_load_dword v59, v[4:5], off offset:16
	s_waitcnt vmcnt(1)
	global_store_dword v[4:5], v57, off offset:16
	s_waitcnt vmcnt(1)
	global_store_dword v[62:63], v59, off
.LBB94_74:
	s_or_b64 exec, exec, s[12:13]
	v_mov_b32_e32 v57, v56
	v_mov_b32_e32 v59, v56
.LBB94_75:
	s_or_b64 exec, exec, s[2:3]
.LBB94_76:
	s_andn2_saveexec_b64 s[0:1], s[0:1]
	s_cbranch_execz .LBB94_78
; %bb.77:
	s_waitcnt vmcnt(40)
	v_pk_mov_b32 v[62:63], v[42:43], v[34:35] op_sel:[1,0]
	ds_write2_b32 v53, v62, v63 offset0:5 offset1:6
	s_waitcnt vmcnt(38)
	v_pk_mov_b32 v[62:63], v[34:35], v[50:51] op_sel:[1,0]
	ds_write2_b32 v53, v62, v63 offset0:7 offset1:8
	;; [unrolled: 3-line block ×20, first 2 shown]
	s_waitcnt vmcnt(0)
	v_pk_mov_b32 v[62:63], v[8:9], v[10:11] op_sel:[1,0]
	v_mov_b32_e32 v59, 4
	ds_write2_b32 v53, v62, v63 offset0:45 offset1:46
	ds_write_b32 v53, v11 offset:188
.LBB94_78:
	s_or_b64 exec, exec, s[0:1]
	v_cmp_lt_i32_e32 vcc, 4, v59
	s_waitcnt lgkmcnt(0)
	s_barrier
	s_and_saveexec_b64 s[0:1], vcc
	s_cbranch_execz .LBB94_80
; %bb.79:
	ds_read_b32 v56, v53 offset:20
	ds_read2_b32 v[62:63], v53 offset0:6 offset1:7
	ds_read2_b32 v[64:65], v53 offset0:8 offset1:9
	v_mul_f32_e32 v42, v60, v42
	ds_read2_b32 v[60:61], v53 offset0:10 offset1:11
	s_waitcnt vmcnt(42) lgkmcnt(3)
	v_fma_f32 v43, -v42, v56, v43
	s_waitcnt vmcnt(40) lgkmcnt(2)
	v_pk_fma_f32 v[34:35], v[42:43], v[62:63], v[34:35] op_sel_hi:[0,1,1] neg_lo:[1,0,0] neg_hi:[1,0,0]
	s_waitcnt vmcnt(38) lgkmcnt(1)
	v_pk_fma_f32 v[50:51], v[42:43], v[64:65], v[50:51] op_sel_hi:[0,1,1] neg_lo:[1,0,0] neg_hi:[1,0,0]
	ds_read2_b32 v[62:63], v53 offset0:12 offset1:13
	ds_read2_b32 v[64:65], v53 offset0:14 offset1:15
	ds_read2_b32 v[66:67], v53 offset0:16 offset1:17
	s_waitcnt vmcnt(36) lgkmcnt(3)
	v_pk_fma_f32 v[44:45], v[42:43], v[60:61], v[44:45] op_sel_hi:[0,1,1] neg_lo:[1,0,0] neg_hi:[1,0,0]
	ds_read2_b32 v[60:61], v53 offset0:18 offset1:19
	s_waitcnt vmcnt(34) lgkmcnt(3)
	v_pk_fma_f32 v[36:37], v[42:43], v[62:63], v[36:37] op_sel_hi:[0,1,1] neg_lo:[1,0,0] neg_hi:[1,0,0]
	s_waitcnt vmcnt(32) lgkmcnt(2)
	v_pk_fma_f32 v[26:27], v[42:43], v[64:65], v[26:27] op_sel_hi:[0,1,1] neg_lo:[1,0,0] neg_hi:[1,0,0]
	s_waitcnt vmcnt(30) lgkmcnt(1)
	v_pk_fma_f32 v[46:47], v[42:43], v[66:67], v[46:47] op_sel_hi:[0,1,1] neg_lo:[1,0,0] neg_hi:[1,0,0]
	ds_read2_b32 v[62:63], v53 offset0:20 offset1:21
	ds_read2_b32 v[64:65], v53 offset0:22 offset1:23
	ds_read2_b32 v[66:67], v53 offset0:24 offset1:25
	s_waitcnt vmcnt(28) lgkmcnt(3)
	v_pk_fma_f32 v[38:39], v[42:43], v[60:61], v[38:39] op_sel_hi:[0,1,1] neg_lo:[1,0,0] neg_hi:[1,0,0]
	ds_read2_b32 v[60:61], v53 offset0:26 offset1:27
	s_waitcnt vmcnt(26) lgkmcnt(3)
	v_pk_fma_f32 v[28:29], v[42:43], v[62:63], v[28:29] op_sel_hi:[0,1,1] neg_lo:[1,0,0] neg_hi:[1,0,0]
	;; [unrolled: 12-line block ×3, first 2 shown]
	ds_read2_b32 v[62:63], v53 offset0:36 offset1:37
	s_waitcnt vmcnt(16) lgkmcnt(3)
	v_pk_fma_f32 v[12:13], v[42:43], v[64:65], v[12:13] op_sel_hi:[0,1,1] neg_lo:[1,0,0] neg_hi:[1,0,0]
	s_waitcnt vmcnt(14) lgkmcnt(2)
	v_pk_fma_f32 v[32:33], v[42:43], v[66:67], v[32:33] op_sel_hi:[0,1,1] neg_lo:[1,0,0] neg_hi:[1,0,0]
	;; [unrolled: 2-line block ×3, first 2 shown]
	ds_read2_b32 v[60:61], v53 offset0:38 offset1:39
	ds_read2_b32 v[64:65], v53 offset0:40 offset1:41
	;; [unrolled: 1-line block ×3, first 2 shown]
	s_waitcnt vmcnt(10) lgkmcnt(3)
	v_pk_fma_f32 v[14:15], v[42:43], v[62:63], v[14:15] op_sel_hi:[0,1,1] neg_lo:[1,0,0] neg_hi:[1,0,0]
	ds_read2_b32 v[62:63], v53 offset0:44 offset1:45
	ds_read2_b32 v[68:69], v53 offset0:46 offset1:47
	s_waitcnt vmcnt(8) lgkmcnt(4)
	v_pk_fma_f32 v[0:1], v[42:43], v[60:61], v[0:1] op_sel_hi:[0,1,1] neg_lo:[1,0,0] neg_hi:[1,0,0]
	s_waitcnt vmcnt(6) lgkmcnt(3)
	v_pk_fma_f32 v[24:25], v[42:43], v[64:65], v[24:25] op_sel_hi:[0,1,1] neg_lo:[1,0,0] neg_hi:[1,0,0]
	;; [unrolled: 2-line block ×5, first 2 shown]
.LBB94_80:
	s_or_b64 exec, exec, s[0:1]
	v_lshl_add_u32 v56, v59, 2, v53
	s_barrier
	s_waitcnt vmcnt(42)
	ds_write_b32 v56, v43
	s_waitcnt lgkmcnt(0)
	s_barrier
	ds_read_b32 v60, v53 offset:20
	s_cmp_lt_i32 s22, 7
	v_mov_b32_e32 v56, 5
	s_cbranch_scc1 .LBB94_83
; %bb.81:
	v_add3_u32 v61, v58, 0, 24
	v_mov_b32_e32 v56, 5
	s_mov_b32 s0, 6
.LBB94_82:                              ; =>This Inner Loop Header: Depth=1
	ds_read_b32 v62, v61
	v_mov_b32_e32 v63, s0
	s_add_i32 s0, s0, 1
	v_add_u32_e32 v61, 4, v61
	s_cmp_lg_u32 s22, s0
	s_waitcnt lgkmcnt(0)
	v_cmp_lt_f32_e64 vcc, |v60|, |v62|
	s_nop 1
	v_cndmask_b32_e32 v60, v60, v62, vcc
	v_cndmask_b32_e32 v56, v56, v63, vcc
	s_cbranch_scc1 .LBB94_82
.LBB94_83:
	s_waitcnt lgkmcnt(0)
	v_cmp_eq_f32_e32 vcc, 0, v60
	s_and_saveexec_b64 s[0:1], vcc
	s_xor_b64 s[0:1], exec, s[0:1]
; %bb.84:
	v_cmp_ne_u32_e32 vcc, 0, v55
	s_nop 1
	v_cndmask_b32_e32 v55, 6, v55, vcc
; %bb.85:
	s_andn2_saveexec_b64 s[0:1], s[0:1]
	s_cbranch_execz .LBB94_87
; %bb.86:
	v_div_scale_f32 v61, s[2:3], v60, v60, 1.0
	v_rcp_f32_e32 v62, v61
	v_div_scale_f32 v63, vcc, 1.0, v60, 1.0
	v_fma_f32 v64, -v61, v62, 1.0
	v_fmac_f32_e32 v62, v64, v62
	v_mul_f32_e32 v64, v63, v62
	v_fma_f32 v65, -v61, v64, v63
	v_fmac_f32_e32 v64, v65, v62
	v_fma_f32 v61, -v61, v64, v63
	v_div_fmas_f32 v61, v61, v62, v64
	v_div_fixup_f32 v60, v61, v60, 1.0
.LBB94_87:
	s_or_b64 exec, exec, s[0:1]
	v_cmp_ne_u32_e32 vcc, v59, v56
	s_and_saveexec_b64 s[0:1], vcc
	s_xor_b64 s[0:1], exec, s[0:1]
	s_cbranch_execz .LBB94_93
; %bb.88:
	v_cmp_eq_u32_e32 vcc, 5, v59
	s_and_saveexec_b64 s[2:3], vcc
	s_cbranch_execz .LBB94_92
; %bb.89:
	v_cmp_ne_u32_e32 vcc, 5, v56
	s_xor_b64 s[12:13], s[20:21], -1
	s_and_b64 s[14:15], s[12:13], vcc
	s_and_saveexec_b64 s[12:13], s[14:15]
	s_cbranch_execz .LBB94_91
; %bb.90:
	v_ashrrev_i32_e32 v57, 31, v56
	v_lshl_add_u64 v[62:63], v[56:57], 2, v[4:5]
	global_load_dword v57, v[62:63], off
	global_load_dword v59, v[4:5], off offset:20
	s_waitcnt vmcnt(1)
	global_store_dword v[4:5], v57, off offset:20
	s_waitcnt vmcnt(1)
	global_store_dword v[62:63], v59, off
.LBB94_91:
	s_or_b64 exec, exec, s[12:13]
	v_mov_b32_e32 v57, v56
	v_mov_b32_e32 v59, v56
.LBB94_92:
	s_or_b64 exec, exec, s[2:3]
.LBB94_93:
	s_andn2_saveexec_b64 s[0:1], s[0:1]
	s_cbranch_execz .LBB94_95
; %bb.94:
	v_mov_b32_e32 v59, 5
	s_waitcnt vmcnt(40)
	ds_write2_b32 v53, v34, v35 offset0:6 offset1:7
	s_waitcnt vmcnt(38)
	ds_write2_b32 v53, v50, v51 offset0:8 offset1:9
	;; [unrolled: 2-line block ×21, first 2 shown]
.LBB94_95:
	s_or_b64 exec, exec, s[0:1]
	v_cmp_lt_i32_e32 vcc, 5, v59
	s_waitcnt lgkmcnt(0)
	s_barrier
	s_and_saveexec_b64 s[0:1], vcc
	s_cbranch_execz .LBB94_97
; %bb.96:
	ds_read2_b32 v[62:63], v53 offset0:6 offset1:7
	ds_read2_b32 v[64:65], v53 offset0:8 offset1:9
	ds_read2_b32 v[66:67], v53 offset0:10 offset1:11
	v_mul_f32_e32 v56, v60, v43
	ds_read2_b32 v[60:61], v53 offset0:12 offset1:13
	s_waitcnt vmcnt(40) lgkmcnt(3)
	v_pk_fma_f32 v[34:35], v[56:57], v[62:63], v[34:35] op_sel_hi:[0,1,1] neg_lo:[1,0,0] neg_hi:[1,0,0]
	s_waitcnt vmcnt(38) lgkmcnt(2)
	v_pk_fma_f32 v[50:51], v[56:57], v[64:65], v[50:51] op_sel_hi:[0,1,1] neg_lo:[1,0,0] neg_hi:[1,0,0]
	;; [unrolled: 2-line block ×3, first 2 shown]
	ds_read2_b32 v[62:63], v53 offset0:14 offset1:15
	ds_read2_b32 v[64:65], v53 offset0:16 offset1:17
	;; [unrolled: 1-line block ×3, first 2 shown]
	s_waitcnt vmcnt(34) lgkmcnt(3)
	v_pk_fma_f32 v[36:37], v[56:57], v[60:61], v[36:37] op_sel_hi:[0,1,1] neg_lo:[1,0,0] neg_hi:[1,0,0]
	ds_read2_b32 v[60:61], v53 offset0:20 offset1:21
	s_waitcnt vmcnt(32) lgkmcnt(3)
	v_pk_fma_f32 v[26:27], v[56:57], v[62:63], v[26:27] op_sel_hi:[0,1,1] neg_lo:[1,0,0] neg_hi:[1,0,0]
	s_waitcnt vmcnt(30) lgkmcnt(2)
	v_pk_fma_f32 v[46:47], v[56:57], v[64:65], v[46:47] op_sel_hi:[0,1,1] neg_lo:[1,0,0] neg_hi:[1,0,0]
	;; [unrolled: 2-line block ×3, first 2 shown]
	ds_read2_b32 v[62:63], v53 offset0:22 offset1:23
	ds_read2_b32 v[64:65], v53 offset0:24 offset1:25
	;; [unrolled: 1-line block ×3, first 2 shown]
	s_waitcnt vmcnt(26) lgkmcnt(3)
	v_pk_fma_f32 v[28:29], v[56:57], v[60:61], v[28:29] op_sel_hi:[0,1,1] neg_lo:[1,0,0] neg_hi:[1,0,0]
	ds_read2_b32 v[60:61], v53 offset0:28 offset1:29
	s_waitcnt vmcnt(24) lgkmcnt(3)
	v_pk_fma_f32 v[18:19], v[56:57], v[62:63], v[18:19] op_sel_hi:[0,1,1] neg_lo:[1,0,0] neg_hi:[1,0,0]
	s_waitcnt vmcnt(22) lgkmcnt(2)
	v_pk_fma_f32 v[40:41], v[56:57], v[64:65], v[40:41] op_sel_hi:[0,1,1] neg_lo:[1,0,0] neg_hi:[1,0,0]
	;; [unrolled: 2-line block ×3, first 2 shown]
	ds_read2_b32 v[62:63], v53 offset0:30 offset1:31
	ds_read2_b32 v[64:65], v53 offset0:32 offset1:33
	;; [unrolled: 1-line block ×4, first 2 shown]
	s_waitcnt vmcnt(18) lgkmcnt(4)
	v_pk_fma_f32 v[20:21], v[56:57], v[60:61], v[20:21] op_sel_hi:[0,1,1] neg_lo:[1,0,0] neg_hi:[1,0,0]
	s_waitcnt vmcnt(16) lgkmcnt(3)
	v_pk_fma_f32 v[12:13], v[56:57], v[62:63], v[12:13] op_sel_hi:[0,1,1] neg_lo:[1,0,0] neg_hi:[1,0,0]
	;; [unrolled: 2-line block ×5, first 2 shown]
	ds_read2_b32 v[60:61], v53 offset0:38 offset1:39
	ds_read2_b32 v[62:63], v53 offset0:40 offset1:41
	;; [unrolled: 1-line block ×5, first 2 shown]
	s_waitcnt vmcnt(8) lgkmcnt(4)
	v_pk_fma_f32 v[0:1], v[56:57], v[60:61], v[0:1] op_sel_hi:[0,1,1] neg_lo:[1,0,0] neg_hi:[1,0,0]
	s_waitcnt vmcnt(6) lgkmcnt(3)
	v_pk_fma_f32 v[24:25], v[56:57], v[62:63], v[24:25] op_sel_hi:[0,1,1] neg_lo:[1,0,0] neg_hi:[1,0,0]
	;; [unrolled: 2-line block ×5, first 2 shown]
	v_mov_b32_e32 v43, v56
.LBB94_97:
	s_or_b64 exec, exec, s[0:1]
	v_lshl_add_u32 v56, v59, 2, v53
	s_barrier
	s_waitcnt vmcnt(41)
	ds_write_b32 v56, v34
	s_waitcnt lgkmcnt(0)
	s_barrier
	ds_read_b32 v60, v53 offset:24
	s_cmp_lt_i32 s22, 8
	v_mov_b32_e32 v56, 6
	s_cbranch_scc1 .LBB94_100
; %bb.98:
	v_add3_u32 v61, v58, 0, 28
	v_mov_b32_e32 v56, 6
	s_mov_b32 s0, 7
.LBB94_99:                              ; =>This Inner Loop Header: Depth=1
	ds_read_b32 v62, v61
	v_mov_b32_e32 v63, s0
	s_add_i32 s0, s0, 1
	v_add_u32_e32 v61, 4, v61
	s_cmp_lg_u32 s22, s0
	s_waitcnt lgkmcnt(0)
	v_cmp_lt_f32_e64 vcc, |v60|, |v62|
	s_nop 1
	v_cndmask_b32_e32 v60, v60, v62, vcc
	v_cndmask_b32_e32 v56, v56, v63, vcc
	s_cbranch_scc1 .LBB94_99
.LBB94_100:
	s_waitcnt lgkmcnt(0)
	v_cmp_eq_f32_e32 vcc, 0, v60
	s_and_saveexec_b64 s[0:1], vcc
	s_xor_b64 s[0:1], exec, s[0:1]
; %bb.101:
	v_cmp_ne_u32_e32 vcc, 0, v55
	s_nop 1
	v_cndmask_b32_e32 v55, 7, v55, vcc
; %bb.102:
	s_andn2_saveexec_b64 s[0:1], s[0:1]
	s_cbranch_execz .LBB94_104
; %bb.103:
	v_div_scale_f32 v61, s[2:3], v60, v60, 1.0
	v_rcp_f32_e32 v62, v61
	v_div_scale_f32 v63, vcc, 1.0, v60, 1.0
	v_fma_f32 v64, -v61, v62, 1.0
	v_fmac_f32_e32 v62, v64, v62
	v_mul_f32_e32 v64, v63, v62
	v_fma_f32 v65, -v61, v64, v63
	v_fmac_f32_e32 v64, v65, v62
	v_fma_f32 v61, -v61, v64, v63
	v_div_fmas_f32 v61, v61, v62, v64
	v_div_fixup_f32 v60, v61, v60, 1.0
.LBB94_104:
	s_or_b64 exec, exec, s[0:1]
	v_cmp_ne_u32_e32 vcc, v59, v56
	s_and_saveexec_b64 s[0:1], vcc
	s_xor_b64 s[0:1], exec, s[0:1]
	s_cbranch_execz .LBB94_110
; %bb.105:
	v_cmp_eq_u32_e32 vcc, 6, v59
	s_and_saveexec_b64 s[2:3], vcc
	s_cbranch_execz .LBB94_109
; %bb.106:
	v_cmp_ne_u32_e32 vcc, 6, v56
	s_xor_b64 s[12:13], s[20:21], -1
	s_and_b64 s[14:15], s[12:13], vcc
	s_and_saveexec_b64 s[12:13], s[14:15]
	s_cbranch_execz .LBB94_108
; %bb.107:
	v_ashrrev_i32_e32 v57, 31, v56
	v_lshl_add_u64 v[62:63], v[56:57], 2, v[4:5]
	global_load_dword v57, v[62:63], off
	global_load_dword v59, v[4:5], off offset:24
	s_waitcnt vmcnt(1)
	global_store_dword v[4:5], v57, off offset:24
	s_waitcnt vmcnt(1)
	global_store_dword v[62:63], v59, off
.LBB94_108:
	s_or_b64 exec, exec, s[12:13]
	v_mov_b32_e32 v57, v56
	v_mov_b32_e32 v59, v56
.LBB94_109:
	s_or_b64 exec, exec, s[2:3]
.LBB94_110:
	s_andn2_saveexec_b64 s[0:1], s[0:1]
	s_cbranch_execz .LBB94_112
; %bb.111:
	s_waitcnt vmcnt(38)
	v_pk_mov_b32 v[62:63], v[34:35], v[50:51] op_sel:[1,0]
	ds_write2_b32 v53, v62, v63 offset0:7 offset1:8
	s_waitcnt vmcnt(36)
	v_pk_mov_b32 v[62:63], v[50:51], v[44:45] op_sel:[1,0]
	ds_write2_b32 v53, v62, v63 offset0:9 offset1:10
	;; [unrolled: 3-line block ×19, first 2 shown]
	s_waitcnt vmcnt(0)
	v_pk_mov_b32 v[62:63], v[8:9], v[10:11] op_sel:[1,0]
	v_mov_b32_e32 v59, 6
	ds_write2_b32 v53, v62, v63 offset0:45 offset1:46
	ds_write_b32 v53, v11 offset:188
.LBB94_112:
	s_or_b64 exec, exec, s[0:1]
	v_cmp_lt_i32_e32 vcc, 6, v59
	s_waitcnt lgkmcnt(0)
	s_barrier
	s_and_saveexec_b64 s[0:1], vcc
	s_cbranch_execz .LBB94_114
; %bb.113:
	ds_read_b32 v56, v53 offset:28
	ds_read2_b32 v[62:63], v53 offset0:8 offset1:9
	ds_read2_b32 v[64:65], v53 offset0:10 offset1:11
	v_mul_f32_e32 v34, v60, v34
	ds_read2_b32 v[60:61], v53 offset0:12 offset1:13
	s_waitcnt vmcnt(40) lgkmcnt(3)
	v_fma_f32 v35, -v34, v56, v35
	s_waitcnt vmcnt(38) lgkmcnt(2)
	v_pk_fma_f32 v[50:51], v[34:35], v[62:63], v[50:51] op_sel_hi:[0,1,1] neg_lo:[1,0,0] neg_hi:[1,0,0]
	s_waitcnt vmcnt(36) lgkmcnt(1)
	v_pk_fma_f32 v[44:45], v[34:35], v[64:65], v[44:45] op_sel_hi:[0,1,1] neg_lo:[1,0,0] neg_hi:[1,0,0]
	ds_read2_b32 v[62:63], v53 offset0:14 offset1:15
	ds_read2_b32 v[64:65], v53 offset0:16 offset1:17
	;; [unrolled: 1-line block ×3, first 2 shown]
	s_waitcnt vmcnt(34) lgkmcnt(3)
	v_pk_fma_f32 v[36:37], v[34:35], v[60:61], v[36:37] op_sel_hi:[0,1,1] neg_lo:[1,0,0] neg_hi:[1,0,0]
	ds_read2_b32 v[60:61], v53 offset0:20 offset1:21
	s_waitcnt vmcnt(32) lgkmcnt(3)
	v_pk_fma_f32 v[26:27], v[34:35], v[62:63], v[26:27] op_sel_hi:[0,1,1] neg_lo:[1,0,0] neg_hi:[1,0,0]
	s_waitcnt vmcnt(30) lgkmcnt(2)
	v_pk_fma_f32 v[46:47], v[34:35], v[64:65], v[46:47] op_sel_hi:[0,1,1] neg_lo:[1,0,0] neg_hi:[1,0,0]
	;; [unrolled: 2-line block ×3, first 2 shown]
	ds_read2_b32 v[62:63], v53 offset0:22 offset1:23
	ds_read2_b32 v[64:65], v53 offset0:24 offset1:25
	;; [unrolled: 1-line block ×3, first 2 shown]
	s_waitcnt vmcnt(26) lgkmcnt(3)
	v_pk_fma_f32 v[28:29], v[34:35], v[60:61], v[28:29] op_sel_hi:[0,1,1] neg_lo:[1,0,0] neg_hi:[1,0,0]
	ds_read2_b32 v[60:61], v53 offset0:28 offset1:29
	s_waitcnt vmcnt(24) lgkmcnt(3)
	v_pk_fma_f32 v[18:19], v[34:35], v[62:63], v[18:19] op_sel_hi:[0,1,1] neg_lo:[1,0,0] neg_hi:[1,0,0]
	s_waitcnt vmcnt(22) lgkmcnt(2)
	v_pk_fma_f32 v[40:41], v[34:35], v[64:65], v[40:41] op_sel_hi:[0,1,1] neg_lo:[1,0,0] neg_hi:[1,0,0]
	;; [unrolled: 2-line block ×3, first 2 shown]
	ds_read2_b32 v[62:63], v53 offset0:30 offset1:31
	ds_read2_b32 v[64:65], v53 offset0:32 offset1:33
	;; [unrolled: 1-line block ×4, first 2 shown]
	s_waitcnt vmcnt(18) lgkmcnt(4)
	v_pk_fma_f32 v[20:21], v[34:35], v[60:61], v[20:21] op_sel_hi:[0,1,1] neg_lo:[1,0,0] neg_hi:[1,0,0]
	s_waitcnt vmcnt(16) lgkmcnt(3)
	v_pk_fma_f32 v[12:13], v[34:35], v[62:63], v[12:13] op_sel_hi:[0,1,1] neg_lo:[1,0,0] neg_hi:[1,0,0]
	;; [unrolled: 2-line block ×5, first 2 shown]
	ds_read2_b32 v[60:61], v53 offset0:38 offset1:39
	ds_read2_b32 v[62:63], v53 offset0:40 offset1:41
	;; [unrolled: 1-line block ×5, first 2 shown]
	s_waitcnt vmcnt(8) lgkmcnt(4)
	v_pk_fma_f32 v[0:1], v[34:35], v[60:61], v[0:1] op_sel_hi:[0,1,1] neg_lo:[1,0,0] neg_hi:[1,0,0]
	s_waitcnt vmcnt(6) lgkmcnt(3)
	v_pk_fma_f32 v[24:25], v[34:35], v[62:63], v[24:25] op_sel_hi:[0,1,1] neg_lo:[1,0,0] neg_hi:[1,0,0]
	;; [unrolled: 2-line block ×5, first 2 shown]
.LBB94_114:
	s_or_b64 exec, exec, s[0:1]
	v_lshl_add_u32 v56, v59, 2, v53
	s_barrier
	s_waitcnt vmcnt(40)
	ds_write_b32 v56, v35
	s_waitcnt lgkmcnt(0)
	s_barrier
	ds_read_b32 v60, v53 offset:28
	s_cmp_lt_i32 s22, 9
	v_mov_b32_e32 v56, 7
	s_cbranch_scc1 .LBB94_117
; %bb.115:
	v_add3_u32 v61, v58, 0, 32
	v_mov_b32_e32 v56, 7
	s_mov_b32 s0, 8
.LBB94_116:                             ; =>This Inner Loop Header: Depth=1
	ds_read_b32 v62, v61
	v_mov_b32_e32 v63, s0
	s_add_i32 s0, s0, 1
	v_add_u32_e32 v61, 4, v61
	s_cmp_lg_u32 s22, s0
	s_waitcnt lgkmcnt(0)
	v_cmp_lt_f32_e64 vcc, |v60|, |v62|
	s_nop 1
	v_cndmask_b32_e32 v60, v60, v62, vcc
	v_cndmask_b32_e32 v56, v56, v63, vcc
	s_cbranch_scc1 .LBB94_116
.LBB94_117:
	s_waitcnt lgkmcnt(0)
	v_cmp_eq_f32_e32 vcc, 0, v60
	s_and_saveexec_b64 s[0:1], vcc
	s_xor_b64 s[0:1], exec, s[0:1]
; %bb.118:
	v_cmp_ne_u32_e32 vcc, 0, v55
	s_nop 1
	v_cndmask_b32_e32 v55, 8, v55, vcc
; %bb.119:
	s_andn2_saveexec_b64 s[0:1], s[0:1]
	s_cbranch_execz .LBB94_121
; %bb.120:
	v_div_scale_f32 v61, s[2:3], v60, v60, 1.0
	v_rcp_f32_e32 v62, v61
	v_div_scale_f32 v63, vcc, 1.0, v60, 1.0
	v_fma_f32 v64, -v61, v62, 1.0
	v_fmac_f32_e32 v62, v64, v62
	v_mul_f32_e32 v64, v63, v62
	v_fma_f32 v65, -v61, v64, v63
	v_fmac_f32_e32 v64, v65, v62
	v_fma_f32 v61, -v61, v64, v63
	v_div_fmas_f32 v61, v61, v62, v64
	v_div_fixup_f32 v60, v61, v60, 1.0
.LBB94_121:
	s_or_b64 exec, exec, s[0:1]
	v_cmp_ne_u32_e32 vcc, v59, v56
	s_and_saveexec_b64 s[0:1], vcc
	s_xor_b64 s[0:1], exec, s[0:1]
	s_cbranch_execz .LBB94_127
; %bb.122:
	v_cmp_eq_u32_e32 vcc, 7, v59
	s_and_saveexec_b64 s[2:3], vcc
	s_cbranch_execz .LBB94_126
; %bb.123:
	v_cmp_ne_u32_e32 vcc, 7, v56
	s_xor_b64 s[12:13], s[20:21], -1
	s_and_b64 s[14:15], s[12:13], vcc
	s_and_saveexec_b64 s[12:13], s[14:15]
	s_cbranch_execz .LBB94_125
; %bb.124:
	v_ashrrev_i32_e32 v57, 31, v56
	v_lshl_add_u64 v[62:63], v[56:57], 2, v[4:5]
	global_load_dword v57, v[62:63], off
	global_load_dword v59, v[4:5], off offset:28
	s_waitcnt vmcnt(1)
	global_store_dword v[4:5], v57, off offset:28
	s_waitcnt vmcnt(1)
	global_store_dword v[62:63], v59, off
.LBB94_125:
	s_or_b64 exec, exec, s[12:13]
	v_mov_b32_e32 v57, v56
	v_mov_b32_e32 v59, v56
.LBB94_126:
	s_or_b64 exec, exec, s[2:3]
.LBB94_127:
	s_andn2_saveexec_b64 s[0:1], s[0:1]
	s_cbranch_execz .LBB94_129
; %bb.128:
	v_mov_b32_e32 v59, 7
	s_waitcnt vmcnt(38)
	ds_write2_b32 v53, v50, v51 offset0:8 offset1:9
	s_waitcnt vmcnt(36)
	ds_write2_b32 v53, v44, v45 offset0:10 offset1:11
	;; [unrolled: 2-line block ×20, first 2 shown]
.LBB94_129:
	s_or_b64 exec, exec, s[0:1]
	v_cmp_lt_i32_e32 vcc, 7, v59
	s_waitcnt lgkmcnt(0)
	s_barrier
	s_and_saveexec_b64 s[0:1], vcc
	s_cbranch_execz .LBB94_131
; %bb.130:
	ds_read2_b32 v[62:63], v53 offset0:8 offset1:9
	ds_read2_b32 v[64:65], v53 offset0:10 offset1:11
	;; [unrolled: 1-line block ×3, first 2 shown]
	v_mul_f32_e32 v56, v60, v35
	ds_read2_b32 v[60:61], v53 offset0:14 offset1:15
	s_waitcnt vmcnt(38) lgkmcnt(3)
	v_pk_fma_f32 v[50:51], v[56:57], v[62:63], v[50:51] op_sel_hi:[0,1,1] neg_lo:[1,0,0] neg_hi:[1,0,0]
	s_waitcnt vmcnt(36) lgkmcnt(2)
	v_pk_fma_f32 v[44:45], v[56:57], v[64:65], v[44:45] op_sel_hi:[0,1,1] neg_lo:[1,0,0] neg_hi:[1,0,0]
	s_waitcnt vmcnt(34) lgkmcnt(1)
	v_pk_fma_f32 v[36:37], v[56:57], v[66:67], v[36:37] op_sel_hi:[0,1,1] neg_lo:[1,0,0] neg_hi:[1,0,0]
	ds_read2_b32 v[62:63], v53 offset0:16 offset1:17
	ds_read2_b32 v[64:65], v53 offset0:18 offset1:19
	ds_read2_b32 v[66:67], v53 offset0:20 offset1:21
	s_waitcnt vmcnt(32) lgkmcnt(3)
	v_pk_fma_f32 v[26:27], v[56:57], v[60:61], v[26:27] op_sel_hi:[0,1,1] neg_lo:[1,0,0] neg_hi:[1,0,0]
	ds_read2_b32 v[60:61], v53 offset0:22 offset1:23
	s_waitcnt vmcnt(30) lgkmcnt(3)
	v_pk_fma_f32 v[46:47], v[56:57], v[62:63], v[46:47] op_sel_hi:[0,1,1] neg_lo:[1,0,0] neg_hi:[1,0,0]
	s_waitcnt vmcnt(28) lgkmcnt(2)
	v_pk_fma_f32 v[38:39], v[56:57], v[64:65], v[38:39] op_sel_hi:[0,1,1] neg_lo:[1,0,0] neg_hi:[1,0,0]
	s_waitcnt vmcnt(26) lgkmcnt(1)
	v_pk_fma_f32 v[28:29], v[56:57], v[66:67], v[28:29] op_sel_hi:[0,1,1] neg_lo:[1,0,0] neg_hi:[1,0,0]
	ds_read2_b32 v[62:63], v53 offset0:24 offset1:25
	ds_read2_b32 v[64:65], v53 offset0:26 offset1:27
	ds_read2_b32 v[66:67], v53 offset0:28 offset1:29
	s_waitcnt vmcnt(24) lgkmcnt(3)
	v_pk_fma_f32 v[18:19], v[56:57], v[60:61], v[18:19] op_sel_hi:[0,1,1] neg_lo:[1,0,0] neg_hi:[1,0,0]
	;; [unrolled: 12-line block ×3, first 2 shown]
	ds_read2_b32 v[60:61], v53 offset0:38 offset1:39
	s_waitcnt vmcnt(14) lgkmcnt(3)
	v_pk_fma_f32 v[32:33], v[56:57], v[62:63], v[32:33] op_sel_hi:[0,1,1] neg_lo:[1,0,0] neg_hi:[1,0,0]
	s_waitcnt vmcnt(12) lgkmcnt(2)
	v_pk_fma_f32 v[22:23], v[56:57], v[64:65], v[22:23] op_sel_hi:[0,1,1] neg_lo:[1,0,0] neg_hi:[1,0,0]
	;; [unrolled: 2-line block ×3, first 2 shown]
	ds_read2_b32 v[62:63], v53 offset0:40 offset1:41
	ds_read2_b32 v[64:65], v53 offset0:42 offset1:43
	;; [unrolled: 1-line block ×4, first 2 shown]
	s_waitcnt vmcnt(8) lgkmcnt(4)
	v_pk_fma_f32 v[0:1], v[56:57], v[60:61], v[0:1] op_sel_hi:[0,1,1] neg_lo:[1,0,0] neg_hi:[1,0,0]
	s_waitcnt vmcnt(6) lgkmcnt(3)
	v_pk_fma_f32 v[24:25], v[56:57], v[62:63], v[24:25] op_sel_hi:[0,1,1] neg_lo:[1,0,0] neg_hi:[1,0,0]
	;; [unrolled: 2-line block ×5, first 2 shown]
	v_mov_b32_e32 v35, v56
.LBB94_131:
	s_or_b64 exec, exec, s[0:1]
	v_lshl_add_u32 v56, v59, 2, v53
	s_barrier
	s_waitcnt vmcnt(39)
	ds_write_b32 v56, v50
	s_waitcnt lgkmcnt(0)
	s_barrier
	ds_read_b32 v60, v53 offset:32
	s_cmp_lt_i32 s22, 10
	v_mov_b32_e32 v56, 8
	s_cbranch_scc1 .LBB94_134
; %bb.132:
	v_add3_u32 v61, v58, 0, 36
	v_mov_b32_e32 v56, 8
	s_mov_b32 s0, 9
.LBB94_133:                             ; =>This Inner Loop Header: Depth=1
	ds_read_b32 v62, v61
	v_mov_b32_e32 v63, s0
	s_add_i32 s0, s0, 1
	v_add_u32_e32 v61, 4, v61
	s_cmp_lg_u32 s22, s0
	s_waitcnt lgkmcnt(0)
	v_cmp_lt_f32_e64 vcc, |v60|, |v62|
	s_nop 1
	v_cndmask_b32_e32 v60, v60, v62, vcc
	v_cndmask_b32_e32 v56, v56, v63, vcc
	s_cbranch_scc1 .LBB94_133
.LBB94_134:
	s_waitcnt lgkmcnt(0)
	v_cmp_eq_f32_e32 vcc, 0, v60
	s_and_saveexec_b64 s[0:1], vcc
	s_xor_b64 s[0:1], exec, s[0:1]
; %bb.135:
	v_cmp_ne_u32_e32 vcc, 0, v55
	s_nop 1
	v_cndmask_b32_e32 v55, 9, v55, vcc
; %bb.136:
	s_andn2_saveexec_b64 s[0:1], s[0:1]
	s_cbranch_execz .LBB94_138
; %bb.137:
	v_div_scale_f32 v61, s[2:3], v60, v60, 1.0
	v_rcp_f32_e32 v62, v61
	v_div_scale_f32 v63, vcc, 1.0, v60, 1.0
	v_fma_f32 v64, -v61, v62, 1.0
	v_fmac_f32_e32 v62, v64, v62
	v_mul_f32_e32 v64, v63, v62
	v_fma_f32 v65, -v61, v64, v63
	v_fmac_f32_e32 v64, v65, v62
	v_fma_f32 v61, -v61, v64, v63
	v_div_fmas_f32 v61, v61, v62, v64
	v_div_fixup_f32 v60, v61, v60, 1.0
.LBB94_138:
	s_or_b64 exec, exec, s[0:1]
	v_cmp_ne_u32_e32 vcc, v59, v56
	s_and_saveexec_b64 s[0:1], vcc
	s_xor_b64 s[0:1], exec, s[0:1]
	s_cbranch_execz .LBB94_144
; %bb.139:
	v_cmp_eq_u32_e32 vcc, 8, v59
	s_and_saveexec_b64 s[2:3], vcc
	s_cbranch_execz .LBB94_143
; %bb.140:
	v_cmp_ne_u32_e32 vcc, 8, v56
	s_xor_b64 s[12:13], s[20:21], -1
	s_and_b64 s[14:15], s[12:13], vcc
	s_and_saveexec_b64 s[12:13], s[14:15]
	s_cbranch_execz .LBB94_142
; %bb.141:
	v_ashrrev_i32_e32 v57, 31, v56
	v_lshl_add_u64 v[62:63], v[56:57], 2, v[4:5]
	global_load_dword v57, v[62:63], off
	global_load_dword v59, v[4:5], off offset:32
	s_waitcnt vmcnt(1)
	global_store_dword v[4:5], v57, off offset:32
	s_waitcnt vmcnt(1)
	global_store_dword v[62:63], v59, off
.LBB94_142:
	s_or_b64 exec, exec, s[12:13]
	v_mov_b32_e32 v57, v56
	v_mov_b32_e32 v59, v56
.LBB94_143:
	s_or_b64 exec, exec, s[2:3]
.LBB94_144:
	s_andn2_saveexec_b64 s[0:1], s[0:1]
	s_cbranch_execz .LBB94_146
; %bb.145:
	s_waitcnt vmcnt(36)
	v_pk_mov_b32 v[62:63], v[50:51], v[44:45] op_sel:[1,0]
	ds_write2_b32 v53, v62, v63 offset0:9 offset1:10
	s_waitcnt vmcnt(34)
	v_pk_mov_b32 v[62:63], v[44:45], v[36:37] op_sel:[1,0]
	ds_write2_b32 v53, v62, v63 offset0:11 offset1:12
	;; [unrolled: 3-line block ×18, first 2 shown]
	s_waitcnt vmcnt(0)
	v_pk_mov_b32 v[62:63], v[8:9], v[10:11] op_sel:[1,0]
	v_mov_b32_e32 v59, 8
	ds_write2_b32 v53, v62, v63 offset0:45 offset1:46
	ds_write_b32 v53, v11 offset:188
.LBB94_146:
	s_or_b64 exec, exec, s[0:1]
	v_cmp_lt_i32_e32 vcc, 8, v59
	s_waitcnt lgkmcnt(0)
	s_barrier
	s_and_saveexec_b64 s[0:1], vcc
	s_cbranch_execz .LBB94_148
; %bb.147:
	ds_read_b32 v56, v53 offset:36
	ds_read2_b32 v[62:63], v53 offset0:10 offset1:11
	ds_read2_b32 v[64:65], v53 offset0:12 offset1:13
	v_mul_f32_e32 v50, v60, v50
	ds_read2_b32 v[60:61], v53 offset0:14 offset1:15
	s_waitcnt vmcnt(38) lgkmcnt(3)
	v_fma_f32 v51, -v50, v56, v51
	s_waitcnt vmcnt(36) lgkmcnt(2)
	v_pk_fma_f32 v[44:45], v[50:51], v[62:63], v[44:45] op_sel_hi:[0,1,1] neg_lo:[1,0,0] neg_hi:[1,0,0]
	s_waitcnt vmcnt(34) lgkmcnt(1)
	v_pk_fma_f32 v[36:37], v[50:51], v[64:65], v[36:37] op_sel_hi:[0,1,1] neg_lo:[1,0,0] neg_hi:[1,0,0]
	ds_read2_b32 v[62:63], v53 offset0:16 offset1:17
	ds_read2_b32 v[64:65], v53 offset0:18 offset1:19
	ds_read2_b32 v[66:67], v53 offset0:20 offset1:21
	s_waitcnt vmcnt(32) lgkmcnt(3)
	v_pk_fma_f32 v[26:27], v[50:51], v[60:61], v[26:27] op_sel_hi:[0,1,1] neg_lo:[1,0,0] neg_hi:[1,0,0]
	ds_read2_b32 v[60:61], v53 offset0:22 offset1:23
	s_waitcnt vmcnt(30) lgkmcnt(3)
	v_pk_fma_f32 v[46:47], v[50:51], v[62:63], v[46:47] op_sel_hi:[0,1,1] neg_lo:[1,0,0] neg_hi:[1,0,0]
	s_waitcnt vmcnt(28) lgkmcnt(2)
	v_pk_fma_f32 v[38:39], v[50:51], v[64:65], v[38:39] op_sel_hi:[0,1,1] neg_lo:[1,0,0] neg_hi:[1,0,0]
	s_waitcnt vmcnt(26) lgkmcnt(1)
	v_pk_fma_f32 v[28:29], v[50:51], v[66:67], v[28:29] op_sel_hi:[0,1,1] neg_lo:[1,0,0] neg_hi:[1,0,0]
	ds_read2_b32 v[62:63], v53 offset0:24 offset1:25
	ds_read2_b32 v[64:65], v53 offset0:26 offset1:27
	ds_read2_b32 v[66:67], v53 offset0:28 offset1:29
	s_waitcnt vmcnt(24) lgkmcnt(3)
	v_pk_fma_f32 v[18:19], v[50:51], v[60:61], v[18:19] op_sel_hi:[0,1,1] neg_lo:[1,0,0] neg_hi:[1,0,0]
	ds_read2_b32 v[60:61], v53 offset0:30 offset1:31
	s_waitcnt vmcnt(22) lgkmcnt(3)
	v_pk_fma_f32 v[40:41], v[50:51], v[62:63], v[40:41] op_sel_hi:[0,1,1] neg_lo:[1,0,0] neg_hi:[1,0,0]
	;; [unrolled: 12-line block ×3, first 2 shown]
	s_waitcnt vmcnt(12) lgkmcnt(2)
	v_pk_fma_f32 v[22:23], v[50:51], v[64:65], v[22:23] op_sel_hi:[0,1,1] neg_lo:[1,0,0] neg_hi:[1,0,0]
	s_waitcnt vmcnt(10) lgkmcnt(1)
	v_pk_fma_f32 v[14:15], v[50:51], v[66:67], v[14:15] op_sel_hi:[0,1,1] neg_lo:[1,0,0] neg_hi:[1,0,0]
	ds_read2_b32 v[62:63], v53 offset0:40 offset1:41
	ds_read2_b32 v[64:65], v53 offset0:42 offset1:43
	;; [unrolled: 1-line block ×4, first 2 shown]
	s_waitcnt vmcnt(8) lgkmcnt(4)
	v_pk_fma_f32 v[0:1], v[50:51], v[60:61], v[0:1] op_sel_hi:[0,1,1] neg_lo:[1,0,0] neg_hi:[1,0,0]
	s_waitcnt vmcnt(6) lgkmcnt(3)
	v_pk_fma_f32 v[24:25], v[50:51], v[62:63], v[24:25] op_sel_hi:[0,1,1] neg_lo:[1,0,0] neg_hi:[1,0,0]
	;; [unrolled: 2-line block ×5, first 2 shown]
.LBB94_148:
	s_or_b64 exec, exec, s[0:1]
	v_lshl_add_u32 v56, v59, 2, v53
	s_barrier
	s_waitcnt vmcnt(38)
	ds_write_b32 v56, v51
	s_waitcnt lgkmcnt(0)
	s_barrier
	ds_read_b32 v60, v53 offset:36
	s_cmp_lt_i32 s22, 11
	v_mov_b32_e32 v56, 9
	s_cbranch_scc1 .LBB94_151
; %bb.149:
	v_add3_u32 v61, v58, 0, 40
	v_mov_b32_e32 v56, 9
	s_mov_b32 s0, 10
.LBB94_150:                             ; =>This Inner Loop Header: Depth=1
	ds_read_b32 v62, v61
	v_mov_b32_e32 v63, s0
	s_add_i32 s0, s0, 1
	v_add_u32_e32 v61, 4, v61
	s_cmp_lg_u32 s22, s0
	s_waitcnt lgkmcnt(0)
	v_cmp_lt_f32_e64 vcc, |v60|, |v62|
	s_nop 1
	v_cndmask_b32_e32 v60, v60, v62, vcc
	v_cndmask_b32_e32 v56, v56, v63, vcc
	s_cbranch_scc1 .LBB94_150
.LBB94_151:
	s_waitcnt lgkmcnt(0)
	v_cmp_eq_f32_e32 vcc, 0, v60
	s_and_saveexec_b64 s[0:1], vcc
	s_xor_b64 s[0:1], exec, s[0:1]
; %bb.152:
	v_cmp_ne_u32_e32 vcc, 0, v55
	s_nop 1
	v_cndmask_b32_e32 v55, 10, v55, vcc
; %bb.153:
	s_andn2_saveexec_b64 s[0:1], s[0:1]
	s_cbranch_execz .LBB94_155
; %bb.154:
	v_div_scale_f32 v61, s[2:3], v60, v60, 1.0
	v_rcp_f32_e32 v62, v61
	v_div_scale_f32 v63, vcc, 1.0, v60, 1.0
	v_fma_f32 v64, -v61, v62, 1.0
	v_fmac_f32_e32 v62, v64, v62
	v_mul_f32_e32 v64, v63, v62
	v_fma_f32 v65, -v61, v64, v63
	v_fmac_f32_e32 v64, v65, v62
	v_fma_f32 v61, -v61, v64, v63
	v_div_fmas_f32 v61, v61, v62, v64
	v_div_fixup_f32 v60, v61, v60, 1.0
.LBB94_155:
	s_or_b64 exec, exec, s[0:1]
	v_cmp_ne_u32_e32 vcc, v59, v56
	s_and_saveexec_b64 s[0:1], vcc
	s_xor_b64 s[0:1], exec, s[0:1]
	s_cbranch_execz .LBB94_161
; %bb.156:
	v_cmp_eq_u32_e32 vcc, 9, v59
	s_and_saveexec_b64 s[2:3], vcc
	s_cbranch_execz .LBB94_160
; %bb.157:
	v_cmp_ne_u32_e32 vcc, 9, v56
	s_xor_b64 s[12:13], s[20:21], -1
	s_and_b64 s[14:15], s[12:13], vcc
	s_and_saveexec_b64 s[12:13], s[14:15]
	s_cbranch_execz .LBB94_159
; %bb.158:
	v_ashrrev_i32_e32 v57, 31, v56
	v_lshl_add_u64 v[62:63], v[56:57], 2, v[4:5]
	global_load_dword v57, v[62:63], off
	global_load_dword v59, v[4:5], off offset:36
	s_waitcnt vmcnt(1)
	global_store_dword v[4:5], v57, off offset:36
	s_waitcnt vmcnt(1)
	global_store_dword v[62:63], v59, off
.LBB94_159:
	s_or_b64 exec, exec, s[12:13]
	v_mov_b32_e32 v57, v56
	v_mov_b32_e32 v59, v56
.LBB94_160:
	s_or_b64 exec, exec, s[2:3]
.LBB94_161:
	s_andn2_saveexec_b64 s[0:1], s[0:1]
	s_cbranch_execz .LBB94_163
; %bb.162:
	v_mov_b32_e32 v59, 9
	s_waitcnt vmcnt(36)
	ds_write2_b32 v53, v44, v45 offset0:10 offset1:11
	s_waitcnt vmcnt(34)
	ds_write2_b32 v53, v36, v37 offset0:12 offset1:13
	;; [unrolled: 2-line block ×19, first 2 shown]
.LBB94_163:
	s_or_b64 exec, exec, s[0:1]
	v_cmp_lt_i32_e32 vcc, 9, v59
	s_waitcnt lgkmcnt(0)
	s_barrier
	s_and_saveexec_b64 s[0:1], vcc
	s_cbranch_execz .LBB94_165
; %bb.164:
	ds_read2_b32 v[62:63], v53 offset0:10 offset1:11
	ds_read2_b32 v[64:65], v53 offset0:12 offset1:13
	;; [unrolled: 1-line block ×3, first 2 shown]
	v_mul_f32_e32 v56, v60, v51
	ds_read2_b32 v[60:61], v53 offset0:16 offset1:17
	s_waitcnt vmcnt(36) lgkmcnt(3)
	v_pk_fma_f32 v[44:45], v[56:57], v[62:63], v[44:45] op_sel_hi:[0,1,1] neg_lo:[1,0,0] neg_hi:[1,0,0]
	s_waitcnt vmcnt(34) lgkmcnt(2)
	v_pk_fma_f32 v[36:37], v[56:57], v[64:65], v[36:37] op_sel_hi:[0,1,1] neg_lo:[1,0,0] neg_hi:[1,0,0]
	;; [unrolled: 2-line block ×3, first 2 shown]
	ds_read2_b32 v[62:63], v53 offset0:18 offset1:19
	ds_read2_b32 v[64:65], v53 offset0:20 offset1:21
	;; [unrolled: 1-line block ×3, first 2 shown]
	s_waitcnt vmcnt(30) lgkmcnt(3)
	v_pk_fma_f32 v[46:47], v[56:57], v[60:61], v[46:47] op_sel_hi:[0,1,1] neg_lo:[1,0,0] neg_hi:[1,0,0]
	ds_read2_b32 v[60:61], v53 offset0:24 offset1:25
	s_waitcnt vmcnt(28) lgkmcnt(3)
	v_pk_fma_f32 v[38:39], v[56:57], v[62:63], v[38:39] op_sel_hi:[0,1,1] neg_lo:[1,0,0] neg_hi:[1,0,0]
	s_waitcnt vmcnt(26) lgkmcnt(2)
	v_pk_fma_f32 v[28:29], v[56:57], v[64:65], v[28:29] op_sel_hi:[0,1,1] neg_lo:[1,0,0] neg_hi:[1,0,0]
	;; [unrolled: 2-line block ×3, first 2 shown]
	ds_read2_b32 v[62:63], v53 offset0:26 offset1:27
	ds_read2_b32 v[64:65], v53 offset0:28 offset1:29
	;; [unrolled: 1-line block ×3, first 2 shown]
	s_waitcnt vmcnt(22) lgkmcnt(3)
	v_pk_fma_f32 v[40:41], v[56:57], v[60:61], v[40:41] op_sel_hi:[0,1,1] neg_lo:[1,0,0] neg_hi:[1,0,0]
	ds_read2_b32 v[60:61], v53 offset0:32 offset1:33
	s_waitcnt vmcnt(20) lgkmcnt(3)
	v_pk_fma_f32 v[30:31], v[56:57], v[62:63], v[30:31] op_sel_hi:[0,1,1] neg_lo:[1,0,0] neg_hi:[1,0,0]
	s_waitcnt vmcnt(18) lgkmcnt(2)
	v_pk_fma_f32 v[20:21], v[56:57], v[64:65], v[20:21] op_sel_hi:[0,1,1] neg_lo:[1,0,0] neg_hi:[1,0,0]
	ds_read2_b32 v[62:63], v53 offset0:34 offset1:35
	ds_read2_b32 v[64:65], v53 offset0:36 offset1:37
	s_waitcnt vmcnt(16) lgkmcnt(3)
	v_pk_fma_f32 v[12:13], v[56:57], v[66:67], v[12:13] op_sel_hi:[0,1,1] neg_lo:[1,0,0] neg_hi:[1,0,0]
	s_waitcnt vmcnt(14) lgkmcnt(2)
	v_pk_fma_f32 v[32:33], v[56:57], v[60:61], v[32:33] op_sel_hi:[0,1,1] neg_lo:[1,0,0] neg_hi:[1,0,0]
	ds_read2_b32 v[60:61], v53 offset0:38 offset1:39
	;; [unrolled: 6-line block ×3, first 2 shown]
	ds_read2_b32 v[64:65], v53 offset0:44 offset1:45
	ds_read2_b32 v[68:69], v53 offset0:46 offset1:47
	s_waitcnt vmcnt(8) lgkmcnt(4)
	v_pk_fma_f32 v[0:1], v[56:57], v[60:61], v[0:1] op_sel_hi:[0,1,1] neg_lo:[1,0,0] neg_hi:[1,0,0]
	s_waitcnt vmcnt(6) lgkmcnt(3)
	v_pk_fma_f32 v[24:25], v[56:57], v[66:67], v[24:25] op_sel_hi:[0,1,1] neg_lo:[1,0,0] neg_hi:[1,0,0]
	s_waitcnt vmcnt(4) lgkmcnt(2)
	v_pk_fma_f32 v[16:17], v[56:57], v[62:63], v[16:17] op_sel_hi:[0,1,1] neg_lo:[1,0,0] neg_hi:[1,0,0]
	s_waitcnt vmcnt(2) lgkmcnt(1)
	v_pk_fma_f32 v[8:9], v[56:57], v[64:65], v[8:9] op_sel_hi:[0,1,1] neg_lo:[1,0,0] neg_hi:[1,0,0]
	s_waitcnt vmcnt(0) lgkmcnt(0)
	v_pk_fma_f32 v[10:11], v[56:57], v[68:69], v[10:11] op_sel_hi:[0,1,1] neg_lo:[1,0,0] neg_hi:[1,0,0]
	v_mov_b32_e32 v51, v56
.LBB94_165:
	s_or_b64 exec, exec, s[0:1]
	v_lshl_add_u32 v56, v59, 2, v53
	s_barrier
	s_waitcnt vmcnt(37)
	ds_write_b32 v56, v44
	s_waitcnt lgkmcnt(0)
	s_barrier
	ds_read_b32 v60, v53 offset:40
	s_cmp_lt_i32 s22, 12
	v_mov_b32_e32 v56, 10
	s_cbranch_scc1 .LBB94_168
; %bb.166:
	v_add3_u32 v61, v58, 0, 44
	v_mov_b32_e32 v56, 10
	s_mov_b32 s0, 11
.LBB94_167:                             ; =>This Inner Loop Header: Depth=1
	ds_read_b32 v62, v61
	v_mov_b32_e32 v63, s0
	s_add_i32 s0, s0, 1
	v_add_u32_e32 v61, 4, v61
	s_cmp_lg_u32 s22, s0
	s_waitcnt lgkmcnt(0)
	v_cmp_lt_f32_e64 vcc, |v60|, |v62|
	s_nop 1
	v_cndmask_b32_e32 v60, v60, v62, vcc
	v_cndmask_b32_e32 v56, v56, v63, vcc
	s_cbranch_scc1 .LBB94_167
.LBB94_168:
	s_waitcnt lgkmcnt(0)
	v_cmp_eq_f32_e32 vcc, 0, v60
	s_and_saveexec_b64 s[0:1], vcc
	s_xor_b64 s[0:1], exec, s[0:1]
; %bb.169:
	v_cmp_ne_u32_e32 vcc, 0, v55
	s_nop 1
	v_cndmask_b32_e32 v55, 11, v55, vcc
; %bb.170:
	s_andn2_saveexec_b64 s[0:1], s[0:1]
	s_cbranch_execz .LBB94_172
; %bb.171:
	v_div_scale_f32 v61, s[2:3], v60, v60, 1.0
	v_rcp_f32_e32 v62, v61
	v_div_scale_f32 v63, vcc, 1.0, v60, 1.0
	v_fma_f32 v64, -v61, v62, 1.0
	v_fmac_f32_e32 v62, v64, v62
	v_mul_f32_e32 v64, v63, v62
	v_fma_f32 v65, -v61, v64, v63
	v_fmac_f32_e32 v64, v65, v62
	v_fma_f32 v61, -v61, v64, v63
	v_div_fmas_f32 v61, v61, v62, v64
	v_div_fixup_f32 v60, v61, v60, 1.0
.LBB94_172:
	s_or_b64 exec, exec, s[0:1]
	v_cmp_ne_u32_e32 vcc, v59, v56
	s_and_saveexec_b64 s[0:1], vcc
	s_xor_b64 s[0:1], exec, s[0:1]
	s_cbranch_execz .LBB94_178
; %bb.173:
	v_cmp_eq_u32_e32 vcc, 10, v59
	s_and_saveexec_b64 s[2:3], vcc
	s_cbranch_execz .LBB94_177
; %bb.174:
	v_cmp_ne_u32_e32 vcc, 10, v56
	s_xor_b64 s[12:13], s[20:21], -1
	s_and_b64 s[14:15], s[12:13], vcc
	s_and_saveexec_b64 s[12:13], s[14:15]
	s_cbranch_execz .LBB94_176
; %bb.175:
	v_ashrrev_i32_e32 v57, 31, v56
	v_lshl_add_u64 v[62:63], v[56:57], 2, v[4:5]
	global_load_dword v57, v[62:63], off
	global_load_dword v59, v[4:5], off offset:40
	s_waitcnt vmcnt(1)
	global_store_dword v[4:5], v57, off offset:40
	s_waitcnt vmcnt(1)
	global_store_dword v[62:63], v59, off
.LBB94_176:
	s_or_b64 exec, exec, s[12:13]
	v_mov_b32_e32 v57, v56
	v_mov_b32_e32 v59, v56
.LBB94_177:
	s_or_b64 exec, exec, s[2:3]
.LBB94_178:
	s_andn2_saveexec_b64 s[0:1], s[0:1]
	s_cbranch_execz .LBB94_180
; %bb.179:
	s_waitcnt vmcnt(34)
	v_pk_mov_b32 v[62:63], v[44:45], v[36:37] op_sel:[1,0]
	ds_write2_b32 v53, v62, v63 offset0:11 offset1:12
	s_waitcnt vmcnt(32)
	v_pk_mov_b32 v[62:63], v[36:37], v[26:27] op_sel:[1,0]
	ds_write2_b32 v53, v62, v63 offset0:13 offset1:14
	;; [unrolled: 3-line block ×17, first 2 shown]
	s_waitcnt vmcnt(0)
	v_pk_mov_b32 v[62:63], v[8:9], v[10:11] op_sel:[1,0]
	v_mov_b32_e32 v59, 10
	ds_write2_b32 v53, v62, v63 offset0:45 offset1:46
	ds_write_b32 v53, v11 offset:188
.LBB94_180:
	s_or_b64 exec, exec, s[0:1]
	v_cmp_lt_i32_e32 vcc, 10, v59
	s_waitcnt lgkmcnt(0)
	s_barrier
	s_and_saveexec_b64 s[0:1], vcc
	s_cbranch_execz .LBB94_182
; %bb.181:
	ds_read_b32 v56, v53 offset:44
	ds_read2_b32 v[62:63], v53 offset0:12 offset1:13
	ds_read2_b32 v[64:65], v53 offset0:14 offset1:15
	v_mul_f32_e32 v44, v60, v44
	ds_read2_b32 v[60:61], v53 offset0:16 offset1:17
	s_waitcnt vmcnt(36) lgkmcnt(3)
	v_fma_f32 v45, -v44, v56, v45
	s_waitcnt vmcnt(34) lgkmcnt(2)
	v_pk_fma_f32 v[36:37], v[44:45], v[62:63], v[36:37] op_sel_hi:[0,1,1] neg_lo:[1,0,0] neg_hi:[1,0,0]
	s_waitcnt vmcnt(32) lgkmcnt(1)
	v_pk_fma_f32 v[26:27], v[44:45], v[64:65], v[26:27] op_sel_hi:[0,1,1] neg_lo:[1,0,0] neg_hi:[1,0,0]
	ds_read2_b32 v[62:63], v53 offset0:18 offset1:19
	ds_read2_b32 v[64:65], v53 offset0:20 offset1:21
	ds_read2_b32 v[66:67], v53 offset0:22 offset1:23
	s_waitcnt vmcnt(30) lgkmcnt(3)
	v_pk_fma_f32 v[46:47], v[44:45], v[60:61], v[46:47] op_sel_hi:[0,1,1] neg_lo:[1,0,0] neg_hi:[1,0,0]
	ds_read2_b32 v[60:61], v53 offset0:24 offset1:25
	s_waitcnt vmcnt(28) lgkmcnt(3)
	v_pk_fma_f32 v[38:39], v[44:45], v[62:63], v[38:39] op_sel_hi:[0,1,1] neg_lo:[1,0,0] neg_hi:[1,0,0]
	s_waitcnt vmcnt(26) lgkmcnt(2)
	v_pk_fma_f32 v[28:29], v[44:45], v[64:65], v[28:29] op_sel_hi:[0,1,1] neg_lo:[1,0,0] neg_hi:[1,0,0]
	s_waitcnt vmcnt(24) lgkmcnt(1)
	v_pk_fma_f32 v[18:19], v[44:45], v[66:67], v[18:19] op_sel_hi:[0,1,1] neg_lo:[1,0,0] neg_hi:[1,0,0]
	ds_read2_b32 v[62:63], v53 offset0:26 offset1:27
	ds_read2_b32 v[64:65], v53 offset0:28 offset1:29
	;; [unrolled: 1-line block ×3, first 2 shown]
	s_waitcnt vmcnt(22) lgkmcnt(3)
	v_pk_fma_f32 v[40:41], v[44:45], v[60:61], v[40:41] op_sel_hi:[0,1,1] neg_lo:[1,0,0] neg_hi:[1,0,0]
	ds_read2_b32 v[60:61], v53 offset0:32 offset1:33
	s_waitcnt vmcnt(20) lgkmcnt(3)
	v_pk_fma_f32 v[30:31], v[44:45], v[62:63], v[30:31] op_sel_hi:[0,1,1] neg_lo:[1,0,0] neg_hi:[1,0,0]
	s_waitcnt vmcnt(18) lgkmcnt(2)
	v_pk_fma_f32 v[20:21], v[44:45], v[64:65], v[20:21] op_sel_hi:[0,1,1] neg_lo:[1,0,0] neg_hi:[1,0,0]
	ds_read2_b32 v[62:63], v53 offset0:34 offset1:35
	ds_read2_b32 v[64:65], v53 offset0:36 offset1:37
	s_waitcnt vmcnt(16) lgkmcnt(3)
	v_pk_fma_f32 v[12:13], v[44:45], v[66:67], v[12:13] op_sel_hi:[0,1,1] neg_lo:[1,0,0] neg_hi:[1,0,0]
	s_waitcnt vmcnt(14) lgkmcnt(2)
	v_pk_fma_f32 v[32:33], v[44:45], v[60:61], v[32:33] op_sel_hi:[0,1,1] neg_lo:[1,0,0] neg_hi:[1,0,0]
	ds_read2_b32 v[60:61], v53 offset0:38 offset1:39
	;; [unrolled: 6-line block ×3, first 2 shown]
	ds_read2_b32 v[64:65], v53 offset0:44 offset1:45
	ds_read2_b32 v[68:69], v53 offset0:46 offset1:47
	s_waitcnt vmcnt(8) lgkmcnt(4)
	v_pk_fma_f32 v[0:1], v[44:45], v[60:61], v[0:1] op_sel_hi:[0,1,1] neg_lo:[1,0,0] neg_hi:[1,0,0]
	s_waitcnt vmcnt(6) lgkmcnt(3)
	v_pk_fma_f32 v[24:25], v[44:45], v[66:67], v[24:25] op_sel_hi:[0,1,1] neg_lo:[1,0,0] neg_hi:[1,0,0]
	;; [unrolled: 2-line block ×5, first 2 shown]
.LBB94_182:
	s_or_b64 exec, exec, s[0:1]
	v_lshl_add_u32 v56, v59, 2, v53
	s_barrier
	s_waitcnt vmcnt(36)
	ds_write_b32 v56, v45
	s_waitcnt lgkmcnt(0)
	s_barrier
	ds_read_b32 v60, v53 offset:44
	s_cmp_lt_i32 s22, 13
	v_mov_b32_e32 v56, 11
	s_cbranch_scc1 .LBB94_185
; %bb.183:
	v_add3_u32 v61, v58, 0, 48
	v_mov_b32_e32 v56, 11
	s_mov_b32 s0, 12
.LBB94_184:                             ; =>This Inner Loop Header: Depth=1
	ds_read_b32 v62, v61
	v_mov_b32_e32 v63, s0
	s_add_i32 s0, s0, 1
	v_add_u32_e32 v61, 4, v61
	s_cmp_lg_u32 s22, s0
	s_waitcnt lgkmcnt(0)
	v_cmp_lt_f32_e64 vcc, |v60|, |v62|
	s_nop 1
	v_cndmask_b32_e32 v60, v60, v62, vcc
	v_cndmask_b32_e32 v56, v56, v63, vcc
	s_cbranch_scc1 .LBB94_184
.LBB94_185:
	s_waitcnt lgkmcnt(0)
	v_cmp_eq_f32_e32 vcc, 0, v60
	s_and_saveexec_b64 s[0:1], vcc
	s_xor_b64 s[0:1], exec, s[0:1]
; %bb.186:
	v_cmp_ne_u32_e32 vcc, 0, v55
	s_nop 1
	v_cndmask_b32_e32 v55, 12, v55, vcc
; %bb.187:
	s_andn2_saveexec_b64 s[0:1], s[0:1]
	s_cbranch_execz .LBB94_189
; %bb.188:
	v_div_scale_f32 v61, s[2:3], v60, v60, 1.0
	v_rcp_f32_e32 v62, v61
	v_div_scale_f32 v63, vcc, 1.0, v60, 1.0
	v_fma_f32 v64, -v61, v62, 1.0
	v_fmac_f32_e32 v62, v64, v62
	v_mul_f32_e32 v64, v63, v62
	v_fma_f32 v65, -v61, v64, v63
	v_fmac_f32_e32 v64, v65, v62
	v_fma_f32 v61, -v61, v64, v63
	v_div_fmas_f32 v61, v61, v62, v64
	v_div_fixup_f32 v60, v61, v60, 1.0
.LBB94_189:
	s_or_b64 exec, exec, s[0:1]
	v_cmp_ne_u32_e32 vcc, v59, v56
	s_and_saveexec_b64 s[0:1], vcc
	s_xor_b64 s[0:1], exec, s[0:1]
	s_cbranch_execz .LBB94_195
; %bb.190:
	v_cmp_eq_u32_e32 vcc, 11, v59
	s_and_saveexec_b64 s[2:3], vcc
	s_cbranch_execz .LBB94_194
; %bb.191:
	v_cmp_ne_u32_e32 vcc, 11, v56
	s_xor_b64 s[12:13], s[20:21], -1
	s_and_b64 s[14:15], s[12:13], vcc
	s_and_saveexec_b64 s[12:13], s[14:15]
	s_cbranch_execz .LBB94_193
; %bb.192:
	v_ashrrev_i32_e32 v57, 31, v56
	v_lshl_add_u64 v[62:63], v[56:57], 2, v[4:5]
	global_load_dword v57, v[62:63], off
	global_load_dword v59, v[4:5], off offset:44
	s_waitcnt vmcnt(1)
	global_store_dword v[4:5], v57, off offset:44
	s_waitcnt vmcnt(1)
	global_store_dword v[62:63], v59, off
.LBB94_193:
	s_or_b64 exec, exec, s[12:13]
	v_mov_b32_e32 v57, v56
	v_mov_b32_e32 v59, v56
.LBB94_194:
	s_or_b64 exec, exec, s[2:3]
.LBB94_195:
	s_andn2_saveexec_b64 s[0:1], s[0:1]
	s_cbranch_execz .LBB94_197
; %bb.196:
	v_mov_b32_e32 v59, 11
	s_waitcnt vmcnt(34)
	ds_write2_b32 v53, v36, v37 offset0:12 offset1:13
	s_waitcnt vmcnt(32)
	ds_write2_b32 v53, v26, v27 offset0:14 offset1:15
	;; [unrolled: 2-line block ×18, first 2 shown]
.LBB94_197:
	s_or_b64 exec, exec, s[0:1]
	v_cmp_lt_i32_e32 vcc, 11, v59
	s_waitcnt lgkmcnt(0)
	s_barrier
	s_and_saveexec_b64 s[0:1], vcc
	s_cbranch_execz .LBB94_199
; %bb.198:
	ds_read2_b32 v[62:63], v53 offset0:12 offset1:13
	ds_read2_b32 v[64:65], v53 offset0:14 offset1:15
	;; [unrolled: 1-line block ×3, first 2 shown]
	v_mul_f32_e32 v56, v60, v45
	ds_read2_b32 v[60:61], v53 offset0:18 offset1:19
	s_waitcnt vmcnt(34) lgkmcnt(3)
	v_pk_fma_f32 v[36:37], v[56:57], v[62:63], v[36:37] op_sel_hi:[0,1,1] neg_lo:[1,0,0] neg_hi:[1,0,0]
	s_waitcnt vmcnt(32) lgkmcnt(2)
	v_pk_fma_f32 v[26:27], v[56:57], v[64:65], v[26:27] op_sel_hi:[0,1,1] neg_lo:[1,0,0] neg_hi:[1,0,0]
	;; [unrolled: 2-line block ×3, first 2 shown]
	ds_read2_b32 v[62:63], v53 offset0:20 offset1:21
	ds_read2_b32 v[64:65], v53 offset0:22 offset1:23
	;; [unrolled: 1-line block ×3, first 2 shown]
	s_waitcnt vmcnt(28) lgkmcnt(3)
	v_pk_fma_f32 v[38:39], v[56:57], v[60:61], v[38:39] op_sel_hi:[0,1,1] neg_lo:[1,0,0] neg_hi:[1,0,0]
	ds_read2_b32 v[60:61], v53 offset0:26 offset1:27
	s_waitcnt vmcnt(26) lgkmcnt(3)
	v_pk_fma_f32 v[28:29], v[56:57], v[62:63], v[28:29] op_sel_hi:[0,1,1] neg_lo:[1,0,0] neg_hi:[1,0,0]
	s_waitcnt vmcnt(24) lgkmcnt(2)
	v_pk_fma_f32 v[18:19], v[56:57], v[64:65], v[18:19] op_sel_hi:[0,1,1] neg_lo:[1,0,0] neg_hi:[1,0,0]
	;; [unrolled: 2-line block ×3, first 2 shown]
	ds_read2_b32 v[62:63], v53 offset0:28 offset1:29
	ds_read2_b32 v[64:65], v53 offset0:30 offset1:31
	;; [unrolled: 1-line block ×3, first 2 shown]
	s_waitcnt vmcnt(20) lgkmcnt(3)
	v_pk_fma_f32 v[30:31], v[56:57], v[60:61], v[30:31] op_sel_hi:[0,1,1] neg_lo:[1,0,0] neg_hi:[1,0,0]
	ds_read2_b32 v[60:61], v53 offset0:34 offset1:35
	s_waitcnt vmcnt(18) lgkmcnt(3)
	v_pk_fma_f32 v[20:21], v[56:57], v[62:63], v[20:21] op_sel_hi:[0,1,1] neg_lo:[1,0,0] neg_hi:[1,0,0]
	ds_read2_b32 v[62:63], v53 offset0:36 offset1:37
	s_waitcnt vmcnt(16) lgkmcnt(3)
	v_pk_fma_f32 v[12:13], v[56:57], v[64:65], v[12:13] op_sel_hi:[0,1,1] neg_lo:[1,0,0] neg_hi:[1,0,0]
	s_waitcnt vmcnt(14) lgkmcnt(2)
	v_pk_fma_f32 v[32:33], v[56:57], v[66:67], v[32:33] op_sel_hi:[0,1,1] neg_lo:[1,0,0] neg_hi:[1,0,0]
	;; [unrolled: 2-line block ×3, first 2 shown]
	ds_read2_b32 v[60:61], v53 offset0:38 offset1:39
	ds_read2_b32 v[64:65], v53 offset0:40 offset1:41
	ds_read2_b32 v[66:67], v53 offset0:42 offset1:43
	s_waitcnt vmcnt(10) lgkmcnt(3)
	v_pk_fma_f32 v[14:15], v[56:57], v[62:63], v[14:15] op_sel_hi:[0,1,1] neg_lo:[1,0,0] neg_hi:[1,0,0]
	ds_read2_b32 v[62:63], v53 offset0:44 offset1:45
	ds_read2_b32 v[68:69], v53 offset0:46 offset1:47
	s_waitcnt vmcnt(8) lgkmcnt(4)
	v_pk_fma_f32 v[0:1], v[56:57], v[60:61], v[0:1] op_sel_hi:[0,1,1] neg_lo:[1,0,0] neg_hi:[1,0,0]
	s_waitcnt vmcnt(6) lgkmcnt(3)
	v_pk_fma_f32 v[24:25], v[56:57], v[64:65], v[24:25] op_sel_hi:[0,1,1] neg_lo:[1,0,0] neg_hi:[1,0,0]
	s_waitcnt vmcnt(4) lgkmcnt(2)
	v_pk_fma_f32 v[16:17], v[56:57], v[66:67], v[16:17] op_sel_hi:[0,1,1] neg_lo:[1,0,0] neg_hi:[1,0,0]
	s_waitcnt vmcnt(2) lgkmcnt(1)
	v_pk_fma_f32 v[8:9], v[56:57], v[62:63], v[8:9] op_sel_hi:[0,1,1] neg_lo:[1,0,0] neg_hi:[1,0,0]
	s_waitcnt vmcnt(0) lgkmcnt(0)
	v_pk_fma_f32 v[10:11], v[56:57], v[68:69], v[10:11] op_sel_hi:[0,1,1] neg_lo:[1,0,0] neg_hi:[1,0,0]
	v_mov_b32_e32 v45, v56
.LBB94_199:
	s_or_b64 exec, exec, s[0:1]
	v_lshl_add_u32 v56, v59, 2, v53
	s_barrier
	s_waitcnt vmcnt(35)
	ds_write_b32 v56, v36
	s_waitcnt lgkmcnt(0)
	s_barrier
	ds_read_b32 v60, v53 offset:48
	s_cmp_lt_i32 s22, 14
	v_mov_b32_e32 v56, 12
	s_cbranch_scc1 .LBB94_202
; %bb.200:
	v_add3_u32 v61, v58, 0, 52
	v_mov_b32_e32 v56, 12
	s_mov_b32 s0, 13
.LBB94_201:                             ; =>This Inner Loop Header: Depth=1
	ds_read_b32 v62, v61
	v_mov_b32_e32 v63, s0
	s_add_i32 s0, s0, 1
	v_add_u32_e32 v61, 4, v61
	s_cmp_lg_u32 s22, s0
	s_waitcnt lgkmcnt(0)
	v_cmp_lt_f32_e64 vcc, |v60|, |v62|
	s_nop 1
	v_cndmask_b32_e32 v60, v60, v62, vcc
	v_cndmask_b32_e32 v56, v56, v63, vcc
	s_cbranch_scc1 .LBB94_201
.LBB94_202:
	s_waitcnt lgkmcnt(0)
	v_cmp_eq_f32_e32 vcc, 0, v60
	s_and_saveexec_b64 s[0:1], vcc
	s_xor_b64 s[0:1], exec, s[0:1]
; %bb.203:
	v_cmp_ne_u32_e32 vcc, 0, v55
	s_nop 1
	v_cndmask_b32_e32 v55, 13, v55, vcc
; %bb.204:
	s_andn2_saveexec_b64 s[0:1], s[0:1]
	s_cbranch_execz .LBB94_206
; %bb.205:
	v_div_scale_f32 v61, s[2:3], v60, v60, 1.0
	v_rcp_f32_e32 v62, v61
	v_div_scale_f32 v63, vcc, 1.0, v60, 1.0
	v_fma_f32 v64, -v61, v62, 1.0
	v_fmac_f32_e32 v62, v64, v62
	v_mul_f32_e32 v64, v63, v62
	v_fma_f32 v65, -v61, v64, v63
	v_fmac_f32_e32 v64, v65, v62
	v_fma_f32 v61, -v61, v64, v63
	v_div_fmas_f32 v61, v61, v62, v64
	v_div_fixup_f32 v60, v61, v60, 1.0
.LBB94_206:
	s_or_b64 exec, exec, s[0:1]
	v_cmp_ne_u32_e32 vcc, v59, v56
	s_and_saveexec_b64 s[0:1], vcc
	s_xor_b64 s[0:1], exec, s[0:1]
	s_cbranch_execz .LBB94_212
; %bb.207:
	v_cmp_eq_u32_e32 vcc, 12, v59
	s_and_saveexec_b64 s[2:3], vcc
	s_cbranch_execz .LBB94_211
; %bb.208:
	v_cmp_ne_u32_e32 vcc, 12, v56
	s_xor_b64 s[12:13], s[20:21], -1
	s_and_b64 s[14:15], s[12:13], vcc
	s_and_saveexec_b64 s[12:13], s[14:15]
	s_cbranch_execz .LBB94_210
; %bb.209:
	v_ashrrev_i32_e32 v57, 31, v56
	v_lshl_add_u64 v[62:63], v[56:57], 2, v[4:5]
	global_load_dword v57, v[62:63], off
	global_load_dword v59, v[4:5], off offset:48
	s_waitcnt vmcnt(1)
	global_store_dword v[4:5], v57, off offset:48
	s_waitcnt vmcnt(1)
	global_store_dword v[62:63], v59, off
.LBB94_210:
	s_or_b64 exec, exec, s[12:13]
	v_mov_b32_e32 v57, v56
	v_mov_b32_e32 v59, v56
.LBB94_211:
	s_or_b64 exec, exec, s[2:3]
.LBB94_212:
	s_andn2_saveexec_b64 s[0:1], s[0:1]
	s_cbranch_execz .LBB94_214
; %bb.213:
	s_waitcnt vmcnt(32)
	v_pk_mov_b32 v[62:63], v[36:37], v[26:27] op_sel:[1,0]
	ds_write2_b32 v53, v62, v63 offset0:13 offset1:14
	s_waitcnt vmcnt(30)
	v_pk_mov_b32 v[62:63], v[26:27], v[46:47] op_sel:[1,0]
	ds_write2_b32 v53, v62, v63 offset0:15 offset1:16
	;; [unrolled: 3-line block ×16, first 2 shown]
	s_waitcnt vmcnt(0)
	v_pk_mov_b32 v[62:63], v[8:9], v[10:11] op_sel:[1,0]
	v_mov_b32_e32 v59, 12
	ds_write2_b32 v53, v62, v63 offset0:45 offset1:46
	ds_write_b32 v53, v11 offset:188
.LBB94_214:
	s_or_b64 exec, exec, s[0:1]
	v_cmp_lt_i32_e32 vcc, 12, v59
	s_waitcnt lgkmcnt(0)
	s_barrier
	s_and_saveexec_b64 s[0:1], vcc
	s_cbranch_execz .LBB94_216
; %bb.215:
	ds_read_b32 v56, v53 offset:52
	ds_read2_b32 v[62:63], v53 offset0:14 offset1:15
	ds_read2_b32 v[64:65], v53 offset0:16 offset1:17
	v_mul_f32_e32 v36, v60, v36
	ds_read2_b32 v[60:61], v53 offset0:18 offset1:19
	s_waitcnt vmcnt(34) lgkmcnt(3)
	v_fma_f32 v37, -v36, v56, v37
	s_waitcnt vmcnt(32) lgkmcnt(2)
	v_pk_fma_f32 v[26:27], v[36:37], v[62:63], v[26:27] op_sel_hi:[0,1,1] neg_lo:[1,0,0] neg_hi:[1,0,0]
	s_waitcnt vmcnt(30) lgkmcnt(1)
	v_pk_fma_f32 v[46:47], v[36:37], v[64:65], v[46:47] op_sel_hi:[0,1,1] neg_lo:[1,0,0] neg_hi:[1,0,0]
	ds_read2_b32 v[62:63], v53 offset0:20 offset1:21
	ds_read2_b32 v[64:65], v53 offset0:22 offset1:23
	;; [unrolled: 1-line block ×3, first 2 shown]
	s_waitcnt vmcnt(28) lgkmcnt(3)
	v_pk_fma_f32 v[38:39], v[36:37], v[60:61], v[38:39] op_sel_hi:[0,1,1] neg_lo:[1,0,0] neg_hi:[1,0,0]
	ds_read2_b32 v[60:61], v53 offset0:26 offset1:27
	s_waitcnt vmcnt(26) lgkmcnt(3)
	v_pk_fma_f32 v[28:29], v[36:37], v[62:63], v[28:29] op_sel_hi:[0,1,1] neg_lo:[1,0,0] neg_hi:[1,0,0]
	s_waitcnt vmcnt(24) lgkmcnt(2)
	v_pk_fma_f32 v[18:19], v[36:37], v[64:65], v[18:19] op_sel_hi:[0,1,1] neg_lo:[1,0,0] neg_hi:[1,0,0]
	;; [unrolled: 2-line block ×3, first 2 shown]
	ds_read2_b32 v[62:63], v53 offset0:28 offset1:29
	ds_read2_b32 v[64:65], v53 offset0:30 offset1:31
	;; [unrolled: 1-line block ×3, first 2 shown]
	s_waitcnt vmcnt(20) lgkmcnt(3)
	v_pk_fma_f32 v[30:31], v[36:37], v[60:61], v[30:31] op_sel_hi:[0,1,1] neg_lo:[1,0,0] neg_hi:[1,0,0]
	ds_read2_b32 v[60:61], v53 offset0:34 offset1:35
	s_waitcnt vmcnt(18) lgkmcnt(3)
	v_pk_fma_f32 v[20:21], v[36:37], v[62:63], v[20:21] op_sel_hi:[0,1,1] neg_lo:[1,0,0] neg_hi:[1,0,0]
	ds_read2_b32 v[62:63], v53 offset0:36 offset1:37
	s_waitcnt vmcnt(16) lgkmcnt(3)
	v_pk_fma_f32 v[12:13], v[36:37], v[64:65], v[12:13] op_sel_hi:[0,1,1] neg_lo:[1,0,0] neg_hi:[1,0,0]
	s_waitcnt vmcnt(14) lgkmcnt(2)
	v_pk_fma_f32 v[32:33], v[36:37], v[66:67], v[32:33] op_sel_hi:[0,1,1] neg_lo:[1,0,0] neg_hi:[1,0,0]
	;; [unrolled: 2-line block ×3, first 2 shown]
	ds_read2_b32 v[60:61], v53 offset0:38 offset1:39
	ds_read2_b32 v[64:65], v53 offset0:40 offset1:41
	;; [unrolled: 1-line block ×3, first 2 shown]
	s_waitcnt vmcnt(10) lgkmcnt(3)
	v_pk_fma_f32 v[14:15], v[36:37], v[62:63], v[14:15] op_sel_hi:[0,1,1] neg_lo:[1,0,0] neg_hi:[1,0,0]
	ds_read2_b32 v[62:63], v53 offset0:44 offset1:45
	ds_read2_b32 v[68:69], v53 offset0:46 offset1:47
	s_waitcnt vmcnt(8) lgkmcnt(4)
	v_pk_fma_f32 v[0:1], v[36:37], v[60:61], v[0:1] op_sel_hi:[0,1,1] neg_lo:[1,0,0] neg_hi:[1,0,0]
	s_waitcnt vmcnt(6) lgkmcnt(3)
	v_pk_fma_f32 v[24:25], v[36:37], v[64:65], v[24:25] op_sel_hi:[0,1,1] neg_lo:[1,0,0] neg_hi:[1,0,0]
	;; [unrolled: 2-line block ×5, first 2 shown]
.LBB94_216:
	s_or_b64 exec, exec, s[0:1]
	v_lshl_add_u32 v56, v59, 2, v53
	s_barrier
	s_waitcnt vmcnt(34)
	ds_write_b32 v56, v37
	s_waitcnt lgkmcnt(0)
	s_barrier
	ds_read_b32 v60, v53 offset:52
	s_cmp_lt_i32 s22, 15
	v_mov_b32_e32 v56, 13
	s_cbranch_scc1 .LBB94_219
; %bb.217:
	v_add3_u32 v61, v58, 0, 56
	v_mov_b32_e32 v56, 13
	s_mov_b32 s0, 14
.LBB94_218:                             ; =>This Inner Loop Header: Depth=1
	ds_read_b32 v62, v61
	v_mov_b32_e32 v63, s0
	s_add_i32 s0, s0, 1
	v_add_u32_e32 v61, 4, v61
	s_cmp_lg_u32 s22, s0
	s_waitcnt lgkmcnt(0)
	v_cmp_lt_f32_e64 vcc, |v60|, |v62|
	s_nop 1
	v_cndmask_b32_e32 v60, v60, v62, vcc
	v_cndmask_b32_e32 v56, v56, v63, vcc
	s_cbranch_scc1 .LBB94_218
.LBB94_219:
	s_waitcnt lgkmcnt(0)
	v_cmp_eq_f32_e32 vcc, 0, v60
	s_and_saveexec_b64 s[0:1], vcc
	s_xor_b64 s[0:1], exec, s[0:1]
; %bb.220:
	v_cmp_ne_u32_e32 vcc, 0, v55
	s_nop 1
	v_cndmask_b32_e32 v55, 14, v55, vcc
; %bb.221:
	s_andn2_saveexec_b64 s[0:1], s[0:1]
	s_cbranch_execz .LBB94_223
; %bb.222:
	v_div_scale_f32 v61, s[2:3], v60, v60, 1.0
	v_rcp_f32_e32 v62, v61
	v_div_scale_f32 v63, vcc, 1.0, v60, 1.0
	v_fma_f32 v64, -v61, v62, 1.0
	v_fmac_f32_e32 v62, v64, v62
	v_mul_f32_e32 v64, v63, v62
	v_fma_f32 v65, -v61, v64, v63
	v_fmac_f32_e32 v64, v65, v62
	v_fma_f32 v61, -v61, v64, v63
	v_div_fmas_f32 v61, v61, v62, v64
	v_div_fixup_f32 v60, v61, v60, 1.0
.LBB94_223:
	s_or_b64 exec, exec, s[0:1]
	v_cmp_ne_u32_e32 vcc, v59, v56
	s_and_saveexec_b64 s[0:1], vcc
	s_xor_b64 s[0:1], exec, s[0:1]
	s_cbranch_execz .LBB94_229
; %bb.224:
	v_cmp_eq_u32_e32 vcc, 13, v59
	s_and_saveexec_b64 s[2:3], vcc
	s_cbranch_execz .LBB94_228
; %bb.225:
	v_cmp_ne_u32_e32 vcc, 13, v56
	s_xor_b64 s[12:13], s[20:21], -1
	s_and_b64 s[14:15], s[12:13], vcc
	s_and_saveexec_b64 s[12:13], s[14:15]
	s_cbranch_execz .LBB94_227
; %bb.226:
	v_ashrrev_i32_e32 v57, 31, v56
	v_lshl_add_u64 v[62:63], v[56:57], 2, v[4:5]
	global_load_dword v57, v[62:63], off
	global_load_dword v59, v[4:5], off offset:52
	s_waitcnt vmcnt(1)
	global_store_dword v[4:5], v57, off offset:52
	s_waitcnt vmcnt(1)
	global_store_dword v[62:63], v59, off
.LBB94_227:
	s_or_b64 exec, exec, s[12:13]
	v_mov_b32_e32 v57, v56
	v_mov_b32_e32 v59, v56
.LBB94_228:
	s_or_b64 exec, exec, s[2:3]
.LBB94_229:
	s_andn2_saveexec_b64 s[0:1], s[0:1]
	s_cbranch_execz .LBB94_231
; %bb.230:
	v_mov_b32_e32 v59, 13
	s_waitcnt vmcnt(32)
	ds_write2_b32 v53, v26, v27 offset0:14 offset1:15
	s_waitcnt vmcnt(30)
	ds_write2_b32 v53, v46, v47 offset0:16 offset1:17
	;; [unrolled: 2-line block ×17, first 2 shown]
.LBB94_231:
	s_or_b64 exec, exec, s[0:1]
	v_cmp_lt_i32_e32 vcc, 13, v59
	s_waitcnt lgkmcnt(0)
	s_barrier
	s_and_saveexec_b64 s[0:1], vcc
	s_cbranch_execz .LBB94_233
; %bb.232:
	ds_read2_b32 v[62:63], v53 offset0:14 offset1:15
	ds_read2_b32 v[64:65], v53 offset0:16 offset1:17
	ds_read2_b32 v[66:67], v53 offset0:18 offset1:19
	v_mul_f32_e32 v56, v60, v37
	ds_read2_b32 v[60:61], v53 offset0:20 offset1:21
	s_waitcnt vmcnt(32) lgkmcnt(3)
	v_pk_fma_f32 v[26:27], v[56:57], v[62:63], v[26:27] op_sel_hi:[0,1,1] neg_lo:[1,0,0] neg_hi:[1,0,0]
	s_waitcnt vmcnt(30) lgkmcnt(2)
	v_pk_fma_f32 v[46:47], v[56:57], v[64:65], v[46:47] op_sel_hi:[0,1,1] neg_lo:[1,0,0] neg_hi:[1,0,0]
	;; [unrolled: 2-line block ×3, first 2 shown]
	ds_read2_b32 v[62:63], v53 offset0:22 offset1:23
	ds_read2_b32 v[64:65], v53 offset0:24 offset1:25
	;; [unrolled: 1-line block ×3, first 2 shown]
	s_waitcnt vmcnt(26) lgkmcnt(3)
	v_pk_fma_f32 v[28:29], v[56:57], v[60:61], v[28:29] op_sel_hi:[0,1,1] neg_lo:[1,0,0] neg_hi:[1,0,0]
	ds_read2_b32 v[60:61], v53 offset0:28 offset1:29
	s_waitcnt vmcnt(24) lgkmcnt(3)
	v_pk_fma_f32 v[18:19], v[56:57], v[62:63], v[18:19] op_sel_hi:[0,1,1] neg_lo:[1,0,0] neg_hi:[1,0,0]
	s_waitcnt vmcnt(22) lgkmcnt(2)
	v_pk_fma_f32 v[40:41], v[56:57], v[64:65], v[40:41] op_sel_hi:[0,1,1] neg_lo:[1,0,0] neg_hi:[1,0,0]
	;; [unrolled: 2-line block ×3, first 2 shown]
	ds_read2_b32 v[62:63], v53 offset0:30 offset1:31
	ds_read2_b32 v[64:65], v53 offset0:32 offset1:33
	ds_read2_b32 v[66:67], v53 offset0:34 offset1:35
	ds_read2_b32 v[68:69], v53 offset0:36 offset1:37
	s_waitcnt vmcnt(18) lgkmcnt(4)
	v_pk_fma_f32 v[20:21], v[56:57], v[60:61], v[20:21] op_sel_hi:[0,1,1] neg_lo:[1,0,0] neg_hi:[1,0,0]
	s_waitcnt vmcnt(16) lgkmcnt(3)
	v_pk_fma_f32 v[12:13], v[56:57], v[62:63], v[12:13] op_sel_hi:[0,1,1] neg_lo:[1,0,0] neg_hi:[1,0,0]
	;; [unrolled: 2-line block ×5, first 2 shown]
	ds_read2_b32 v[60:61], v53 offset0:38 offset1:39
	ds_read2_b32 v[62:63], v53 offset0:40 offset1:41
	;; [unrolled: 1-line block ×5, first 2 shown]
	s_waitcnt vmcnt(8) lgkmcnt(4)
	v_pk_fma_f32 v[0:1], v[56:57], v[60:61], v[0:1] op_sel_hi:[0,1,1] neg_lo:[1,0,0] neg_hi:[1,0,0]
	s_waitcnt vmcnt(6) lgkmcnt(3)
	v_pk_fma_f32 v[24:25], v[56:57], v[62:63], v[24:25] op_sel_hi:[0,1,1] neg_lo:[1,0,0] neg_hi:[1,0,0]
	s_waitcnt vmcnt(4) lgkmcnt(2)
	v_pk_fma_f32 v[16:17], v[56:57], v[64:65], v[16:17] op_sel_hi:[0,1,1] neg_lo:[1,0,0] neg_hi:[1,0,0]
	s_waitcnt vmcnt(2) lgkmcnt(1)
	v_pk_fma_f32 v[8:9], v[56:57], v[66:67], v[8:9] op_sel_hi:[0,1,1] neg_lo:[1,0,0] neg_hi:[1,0,0]
	s_waitcnt vmcnt(0) lgkmcnt(0)
	v_pk_fma_f32 v[10:11], v[56:57], v[68:69], v[10:11] op_sel_hi:[0,1,1] neg_lo:[1,0,0] neg_hi:[1,0,0]
	v_mov_b32_e32 v37, v56
.LBB94_233:
	s_or_b64 exec, exec, s[0:1]
	v_lshl_add_u32 v56, v59, 2, v53
	s_barrier
	s_waitcnt vmcnt(33)
	ds_write_b32 v56, v26
	s_waitcnt lgkmcnt(0)
	s_barrier
	ds_read_b32 v60, v53 offset:56
	s_cmp_lt_i32 s22, 16
	v_mov_b32_e32 v56, 14
	s_cbranch_scc1 .LBB94_236
; %bb.234:
	v_add3_u32 v61, v58, 0, 60
	v_mov_b32_e32 v56, 14
	s_mov_b32 s0, 15
.LBB94_235:                             ; =>This Inner Loop Header: Depth=1
	ds_read_b32 v62, v61
	v_mov_b32_e32 v63, s0
	s_add_i32 s0, s0, 1
	v_add_u32_e32 v61, 4, v61
	s_cmp_lg_u32 s22, s0
	s_waitcnt lgkmcnt(0)
	v_cmp_lt_f32_e64 vcc, |v60|, |v62|
	s_nop 1
	v_cndmask_b32_e32 v60, v60, v62, vcc
	v_cndmask_b32_e32 v56, v56, v63, vcc
	s_cbranch_scc1 .LBB94_235
.LBB94_236:
	s_waitcnt lgkmcnt(0)
	v_cmp_eq_f32_e32 vcc, 0, v60
	s_and_saveexec_b64 s[0:1], vcc
	s_xor_b64 s[0:1], exec, s[0:1]
; %bb.237:
	v_cmp_ne_u32_e32 vcc, 0, v55
	s_nop 1
	v_cndmask_b32_e32 v55, 15, v55, vcc
; %bb.238:
	s_andn2_saveexec_b64 s[0:1], s[0:1]
	s_cbranch_execz .LBB94_240
; %bb.239:
	v_div_scale_f32 v61, s[2:3], v60, v60, 1.0
	v_rcp_f32_e32 v62, v61
	v_div_scale_f32 v63, vcc, 1.0, v60, 1.0
	v_fma_f32 v64, -v61, v62, 1.0
	v_fmac_f32_e32 v62, v64, v62
	v_mul_f32_e32 v64, v63, v62
	v_fma_f32 v65, -v61, v64, v63
	v_fmac_f32_e32 v64, v65, v62
	v_fma_f32 v61, -v61, v64, v63
	v_div_fmas_f32 v61, v61, v62, v64
	v_div_fixup_f32 v60, v61, v60, 1.0
.LBB94_240:
	s_or_b64 exec, exec, s[0:1]
	v_cmp_ne_u32_e32 vcc, v59, v56
	s_and_saveexec_b64 s[0:1], vcc
	s_xor_b64 s[0:1], exec, s[0:1]
	s_cbranch_execz .LBB94_246
; %bb.241:
	v_cmp_eq_u32_e32 vcc, 14, v59
	s_and_saveexec_b64 s[2:3], vcc
	s_cbranch_execz .LBB94_245
; %bb.242:
	v_cmp_ne_u32_e32 vcc, 14, v56
	s_xor_b64 s[12:13], s[20:21], -1
	s_and_b64 s[14:15], s[12:13], vcc
	s_and_saveexec_b64 s[12:13], s[14:15]
	s_cbranch_execz .LBB94_244
; %bb.243:
	v_ashrrev_i32_e32 v57, 31, v56
	v_lshl_add_u64 v[62:63], v[56:57], 2, v[4:5]
	global_load_dword v57, v[62:63], off
	global_load_dword v59, v[4:5], off offset:56
	s_waitcnt vmcnt(1)
	global_store_dword v[4:5], v57, off offset:56
	s_waitcnt vmcnt(1)
	global_store_dword v[62:63], v59, off
.LBB94_244:
	s_or_b64 exec, exec, s[12:13]
	v_mov_b32_e32 v57, v56
	v_mov_b32_e32 v59, v56
.LBB94_245:
	s_or_b64 exec, exec, s[2:3]
.LBB94_246:
	s_andn2_saveexec_b64 s[0:1], s[0:1]
	s_cbranch_execz .LBB94_248
; %bb.247:
	s_waitcnt vmcnt(30)
	v_pk_mov_b32 v[62:63], v[26:27], v[46:47] op_sel:[1,0]
	ds_write2_b32 v53, v62, v63 offset0:15 offset1:16
	s_waitcnt vmcnt(28)
	v_pk_mov_b32 v[62:63], v[46:47], v[38:39] op_sel:[1,0]
	ds_write2_b32 v53, v62, v63 offset0:17 offset1:18
	;; [unrolled: 3-line block ×15, first 2 shown]
	s_waitcnt vmcnt(0)
	v_pk_mov_b32 v[62:63], v[8:9], v[10:11] op_sel:[1,0]
	v_mov_b32_e32 v59, 14
	ds_write2_b32 v53, v62, v63 offset0:45 offset1:46
	ds_write_b32 v53, v11 offset:188
.LBB94_248:
	s_or_b64 exec, exec, s[0:1]
	v_cmp_lt_i32_e32 vcc, 14, v59
	s_waitcnt lgkmcnt(0)
	s_barrier
	s_and_saveexec_b64 s[0:1], vcc
	s_cbranch_execz .LBB94_250
; %bb.249:
	ds_read_b32 v56, v53 offset:60
	ds_read2_b32 v[62:63], v53 offset0:16 offset1:17
	ds_read2_b32 v[64:65], v53 offset0:18 offset1:19
	v_mul_f32_e32 v26, v60, v26
	ds_read2_b32 v[60:61], v53 offset0:20 offset1:21
	s_waitcnt vmcnt(32) lgkmcnt(3)
	v_fma_f32 v27, -v26, v56, v27
	s_waitcnt vmcnt(30) lgkmcnt(2)
	v_pk_fma_f32 v[46:47], v[26:27], v[62:63], v[46:47] op_sel_hi:[0,1,1] neg_lo:[1,0,0] neg_hi:[1,0,0]
	s_waitcnt vmcnt(28) lgkmcnt(1)
	v_pk_fma_f32 v[38:39], v[26:27], v[64:65], v[38:39] op_sel_hi:[0,1,1] neg_lo:[1,0,0] neg_hi:[1,0,0]
	ds_read2_b32 v[62:63], v53 offset0:22 offset1:23
	ds_read2_b32 v[64:65], v53 offset0:24 offset1:25
	ds_read2_b32 v[66:67], v53 offset0:26 offset1:27
	s_waitcnt vmcnt(26) lgkmcnt(3)
	v_pk_fma_f32 v[28:29], v[26:27], v[60:61], v[28:29] op_sel_hi:[0,1,1] neg_lo:[1,0,0] neg_hi:[1,0,0]
	ds_read2_b32 v[60:61], v53 offset0:28 offset1:29
	s_waitcnt vmcnt(24) lgkmcnt(3)
	v_pk_fma_f32 v[18:19], v[26:27], v[62:63], v[18:19] op_sel_hi:[0,1,1] neg_lo:[1,0,0] neg_hi:[1,0,0]
	s_waitcnt vmcnt(22) lgkmcnt(2)
	v_pk_fma_f32 v[40:41], v[26:27], v[64:65], v[40:41] op_sel_hi:[0,1,1] neg_lo:[1,0,0] neg_hi:[1,0,0]
	;; [unrolled: 2-line block ×3, first 2 shown]
	ds_read2_b32 v[62:63], v53 offset0:30 offset1:31
	ds_read2_b32 v[64:65], v53 offset0:32 offset1:33
	;; [unrolled: 1-line block ×4, first 2 shown]
	s_waitcnt vmcnt(18) lgkmcnt(4)
	v_pk_fma_f32 v[20:21], v[26:27], v[60:61], v[20:21] op_sel_hi:[0,1,1] neg_lo:[1,0,0] neg_hi:[1,0,0]
	s_waitcnt vmcnt(16) lgkmcnt(3)
	v_pk_fma_f32 v[12:13], v[26:27], v[62:63], v[12:13] op_sel_hi:[0,1,1] neg_lo:[1,0,0] neg_hi:[1,0,0]
	;; [unrolled: 2-line block ×5, first 2 shown]
	ds_read2_b32 v[60:61], v53 offset0:38 offset1:39
	ds_read2_b32 v[62:63], v53 offset0:40 offset1:41
	;; [unrolled: 1-line block ×5, first 2 shown]
	s_waitcnt vmcnt(8) lgkmcnt(4)
	v_pk_fma_f32 v[0:1], v[26:27], v[60:61], v[0:1] op_sel_hi:[0,1,1] neg_lo:[1,0,0] neg_hi:[1,0,0]
	s_waitcnt vmcnt(6) lgkmcnt(3)
	v_pk_fma_f32 v[24:25], v[26:27], v[62:63], v[24:25] op_sel_hi:[0,1,1] neg_lo:[1,0,0] neg_hi:[1,0,0]
	;; [unrolled: 2-line block ×5, first 2 shown]
.LBB94_250:
	s_or_b64 exec, exec, s[0:1]
	v_lshl_add_u32 v56, v59, 2, v53
	s_barrier
	s_waitcnt vmcnt(32)
	ds_write_b32 v56, v27
	s_waitcnt lgkmcnt(0)
	s_barrier
	ds_read_b32 v60, v53 offset:60
	s_cmp_lt_i32 s22, 17
	v_mov_b32_e32 v56, 15
	s_cbranch_scc1 .LBB94_253
; %bb.251:
	v_add3_u32 v58, v58, 0, 64
	v_mov_b32_e32 v56, 15
	s_mov_b32 s0, 16
.LBB94_252:                             ; =>This Inner Loop Header: Depth=1
	ds_read_b32 v61, v58
	v_mov_b32_e32 v62, s0
	s_add_i32 s0, s0, 1
	v_add_u32_e32 v58, 4, v58
	s_cmp_lg_u32 s22, s0
	s_waitcnt lgkmcnt(0)
	v_cmp_lt_f32_e64 vcc, |v60|, |v61|
	s_nop 1
	v_cndmask_b32_e32 v60, v60, v61, vcc
	v_cndmask_b32_e32 v56, v56, v62, vcc
	s_cbranch_scc1 .LBB94_252
.LBB94_253:
	s_waitcnt lgkmcnt(0)
	v_cmp_eq_f32_e32 vcc, 0, v60
	s_and_saveexec_b64 s[0:1], vcc
	s_xor_b64 s[0:1], exec, s[0:1]
; %bb.254:
	v_cmp_ne_u32_e32 vcc, 0, v55
	s_nop 1
	v_cndmask_b32_e32 v55, 16, v55, vcc
; %bb.255:
	s_andn2_saveexec_b64 s[0:1], s[0:1]
	s_cbranch_execz .LBB94_257
; %bb.256:
	v_div_scale_f32 v58, s[2:3], v60, v60, 1.0
	v_rcp_f32_e32 v61, v58
	v_div_scale_f32 v62, vcc, 1.0, v60, 1.0
	v_fma_f32 v63, -v58, v61, 1.0
	v_fmac_f32_e32 v61, v63, v61
	v_mul_f32_e32 v63, v62, v61
	v_fma_f32 v64, -v58, v63, v62
	v_fmac_f32_e32 v63, v64, v61
	v_fma_f32 v58, -v58, v63, v62
	v_div_fmas_f32 v58, v58, v61, v63
	v_div_fixup_f32 v60, v58, v60, 1.0
.LBB94_257:
	s_or_b64 exec, exec, s[0:1]
	v_cmp_ne_u32_e32 vcc, v59, v56
	s_and_saveexec_b64 s[0:1], vcc
	s_xor_b64 s[0:1], exec, s[0:1]
	s_cbranch_execz .LBB94_263
; %bb.258:
	v_cmp_eq_u32_e32 vcc, 15, v59
	s_and_saveexec_b64 s[2:3], vcc
	s_cbranch_execz .LBB94_262
; %bb.259:
	v_cmp_ne_u32_e32 vcc, 15, v56
	s_xor_b64 s[12:13], s[20:21], -1
	s_and_b64 s[14:15], s[12:13], vcc
	s_and_saveexec_b64 s[12:13], s[14:15]
	s_cbranch_execz .LBB94_261
; %bb.260:
	v_ashrrev_i32_e32 v57, 31, v56
	v_lshl_add_u64 v[58:59], v[56:57], 2, v[4:5]
	global_load_dword v57, v[58:59], off
	global_load_dword v61, v[4:5], off offset:60
	s_waitcnt vmcnt(1)
	global_store_dword v[4:5], v57, off offset:60
	s_waitcnt vmcnt(1)
	global_store_dword v[58:59], v61, off
.LBB94_261:
	s_or_b64 exec, exec, s[12:13]
	v_mov_b32_e32 v57, v56
	v_mov_b32_e32 v59, v56
.LBB94_262:
	s_or_b64 exec, exec, s[2:3]
.LBB94_263:
	s_andn2_saveexec_b64 s[0:1], s[0:1]
	s_cbranch_execz .LBB94_265
; %bb.264:
	v_mov_b32_e32 v59, 15
	s_waitcnt vmcnt(30)
	ds_write2_b32 v53, v46, v47 offset0:16 offset1:17
	s_waitcnt vmcnt(28)
	ds_write2_b32 v53, v38, v39 offset0:18 offset1:19
	;; [unrolled: 2-line block ×16, first 2 shown]
.LBB94_265:
	s_or_b64 exec, exec, s[0:1]
	v_cmp_lt_i32_e32 vcc, 15, v59
	s_waitcnt lgkmcnt(0)
	s_barrier
	s_and_saveexec_b64 s[0:1], vcc
	s_cbranch_execz .LBB94_267
; %bb.266:
	ds_read2_b32 v[62:63], v53 offset0:16 offset1:17
	ds_read2_b32 v[64:65], v53 offset0:18 offset1:19
	;; [unrolled: 1-line block ×3, first 2 shown]
	v_mul_f32_e32 v56, v60, v27
	ds_read2_b32 v[60:61], v53 offset0:22 offset1:23
	s_waitcnt vmcnt(30) lgkmcnt(3)
	v_pk_fma_f32 v[46:47], v[56:57], v[62:63], v[46:47] op_sel_hi:[0,1,1] neg_lo:[1,0,0] neg_hi:[1,0,0]
	s_waitcnt vmcnt(28) lgkmcnt(2)
	v_pk_fma_f32 v[38:39], v[56:57], v[64:65], v[38:39] op_sel_hi:[0,1,1] neg_lo:[1,0,0] neg_hi:[1,0,0]
	;; [unrolled: 2-line block ×3, first 2 shown]
	ds_read2_b32 v[62:63], v53 offset0:24 offset1:25
	ds_read2_b32 v[64:65], v53 offset0:26 offset1:27
	;; [unrolled: 1-line block ×3, first 2 shown]
	s_waitcnt vmcnt(24) lgkmcnt(3)
	v_pk_fma_f32 v[18:19], v[56:57], v[60:61], v[18:19] op_sel_hi:[0,1,1] neg_lo:[1,0,0] neg_hi:[1,0,0]
	ds_read2_b32 v[60:61], v53 offset0:30 offset1:31
	s_waitcnt vmcnt(22) lgkmcnt(3)
	v_pk_fma_f32 v[40:41], v[56:57], v[62:63], v[40:41] op_sel_hi:[0,1,1] neg_lo:[1,0,0] neg_hi:[1,0,0]
	s_waitcnt vmcnt(20) lgkmcnt(2)
	v_pk_fma_f32 v[30:31], v[56:57], v[64:65], v[30:31] op_sel_hi:[0,1,1] neg_lo:[1,0,0] neg_hi:[1,0,0]
	;; [unrolled: 2-line block ×3, first 2 shown]
	ds_read2_b32 v[62:63], v53 offset0:32 offset1:33
	ds_read2_b32 v[64:65], v53 offset0:34 offset1:35
	;; [unrolled: 1-line block ×3, first 2 shown]
	s_waitcnt vmcnt(16) lgkmcnt(3)
	v_pk_fma_f32 v[12:13], v[56:57], v[60:61], v[12:13] op_sel_hi:[0,1,1] neg_lo:[1,0,0] neg_hi:[1,0,0]
	ds_read2_b32 v[60:61], v53 offset0:38 offset1:39
	s_waitcnt vmcnt(14) lgkmcnt(3)
	v_pk_fma_f32 v[32:33], v[56:57], v[62:63], v[32:33] op_sel_hi:[0,1,1] neg_lo:[1,0,0] neg_hi:[1,0,0]
	s_waitcnt vmcnt(12) lgkmcnt(2)
	v_pk_fma_f32 v[22:23], v[56:57], v[64:65], v[22:23] op_sel_hi:[0,1,1] neg_lo:[1,0,0] neg_hi:[1,0,0]
	;; [unrolled: 2-line block ×3, first 2 shown]
	ds_read2_b32 v[62:63], v53 offset0:40 offset1:41
	ds_read2_b32 v[64:65], v53 offset0:42 offset1:43
	;; [unrolled: 1-line block ×4, first 2 shown]
	s_waitcnt vmcnt(8) lgkmcnt(4)
	v_pk_fma_f32 v[0:1], v[56:57], v[60:61], v[0:1] op_sel_hi:[0,1,1] neg_lo:[1,0,0] neg_hi:[1,0,0]
	s_waitcnt vmcnt(6) lgkmcnt(3)
	v_pk_fma_f32 v[24:25], v[56:57], v[62:63], v[24:25] op_sel_hi:[0,1,1] neg_lo:[1,0,0] neg_hi:[1,0,0]
	s_waitcnt vmcnt(4) lgkmcnt(2)
	v_pk_fma_f32 v[16:17], v[56:57], v[64:65], v[16:17] op_sel_hi:[0,1,1] neg_lo:[1,0,0] neg_hi:[1,0,0]
	s_waitcnt vmcnt(2) lgkmcnt(1)
	v_pk_fma_f32 v[8:9], v[56:57], v[66:67], v[8:9] op_sel_hi:[0,1,1] neg_lo:[1,0,0] neg_hi:[1,0,0]
	s_waitcnt vmcnt(0) lgkmcnt(0)
	v_pk_fma_f32 v[10:11], v[56:57], v[68:69], v[10:11] op_sel_hi:[0,1,1] neg_lo:[1,0,0] neg_hi:[1,0,0]
	v_mov_b32_e32 v27, v56
.LBB94_267:
	s_or_b64 exec, exec, s[0:1]
	v_lshl_add_u32 v56, v59, 2, v53
	s_barrier
	s_waitcnt vmcnt(31)
	ds_write_b32 v56, v46
	s_waitcnt lgkmcnt(0)
	s_barrier
	ds_read_b32 v58, v53 offset:64
	s_cmp_lt_i32 s22, 18
	v_mov_b32_e32 v56, 16
	s_cbranch_scc1 .LBB94_270
; %bb.268:
	v_add_u32_e32 v60, 0x44, v53
	v_mov_b32_e32 v56, 16
	s_mov_b32 s0, 17
.LBB94_269:                             ; =>This Inner Loop Header: Depth=1
	ds_read_b32 v61, v60
	v_mov_b32_e32 v62, s0
	s_add_i32 s0, s0, 1
	v_add_u32_e32 v60, 4, v60
	s_cmp_lg_u32 s22, s0
	s_waitcnt lgkmcnt(0)
	v_cmp_lt_f32_e64 vcc, |v58|, |v61|
	s_nop 1
	v_cndmask_b32_e32 v58, v58, v61, vcc
	v_cndmask_b32_e32 v56, v56, v62, vcc
	s_cbranch_scc1 .LBB94_269
.LBB94_270:
	s_waitcnt lgkmcnt(0)
	v_cmp_eq_f32_e32 vcc, 0, v58
	s_and_saveexec_b64 s[0:1], vcc
	s_xor_b64 s[0:1], exec, s[0:1]
; %bb.271:
	v_cmp_ne_u32_e32 vcc, 0, v55
	s_nop 1
	v_cndmask_b32_e32 v55, 17, v55, vcc
; %bb.272:
	s_andn2_saveexec_b64 s[0:1], s[0:1]
	s_cbranch_execz .LBB94_274
; %bb.273:
	v_div_scale_f32 v60, s[2:3], v58, v58, 1.0
	v_rcp_f32_e32 v61, v60
	v_div_scale_f32 v62, vcc, 1.0, v58, 1.0
	v_fma_f32 v63, -v60, v61, 1.0
	v_fmac_f32_e32 v61, v63, v61
	v_mul_f32_e32 v63, v62, v61
	v_fma_f32 v64, -v60, v63, v62
	v_fmac_f32_e32 v63, v64, v61
	v_fma_f32 v60, -v60, v63, v62
	v_div_fmas_f32 v60, v60, v61, v63
	v_div_fixup_f32 v58, v60, v58, 1.0
.LBB94_274:
	s_or_b64 exec, exec, s[0:1]
	v_cmp_ne_u32_e32 vcc, v59, v56
	s_and_saveexec_b64 s[0:1], vcc
	s_xor_b64 s[0:1], exec, s[0:1]
	s_cbranch_execz .LBB94_280
; %bb.275:
	v_cmp_eq_u32_e32 vcc, 16, v59
	s_and_saveexec_b64 s[2:3], vcc
	s_cbranch_execz .LBB94_279
; %bb.276:
	v_cmp_ne_u32_e32 vcc, 16, v56
	s_xor_b64 s[12:13], s[20:21], -1
	s_and_b64 s[14:15], s[12:13], vcc
	s_and_saveexec_b64 s[12:13], s[14:15]
	s_cbranch_execz .LBB94_278
; %bb.277:
	v_ashrrev_i32_e32 v57, 31, v56
	v_lshl_add_u64 v[60:61], v[56:57], 2, v[4:5]
	global_load_dword v57, v[60:61], off
	global_load_dword v59, v[4:5], off offset:64
	s_waitcnt vmcnt(1)
	global_store_dword v[4:5], v57, off offset:64
	s_waitcnt vmcnt(1)
	global_store_dword v[60:61], v59, off
.LBB94_278:
	s_or_b64 exec, exec, s[12:13]
	v_mov_b32_e32 v57, v56
	v_mov_b32_e32 v59, v56
.LBB94_279:
	s_or_b64 exec, exec, s[2:3]
.LBB94_280:
	s_andn2_saveexec_b64 s[0:1], s[0:1]
	s_cbranch_execz .LBB94_282
; %bb.281:
	s_waitcnt vmcnt(28)
	v_pk_mov_b32 v[60:61], v[46:47], v[38:39] op_sel:[1,0]
	ds_write2_b32 v53, v60, v61 offset0:17 offset1:18
	s_waitcnt vmcnt(26)
	v_pk_mov_b32 v[60:61], v[38:39], v[28:29] op_sel:[1,0]
	ds_write2_b32 v53, v60, v61 offset0:19 offset1:20
	s_waitcnt vmcnt(24)
	v_pk_mov_b32 v[60:61], v[28:29], v[18:19] op_sel:[1,0]
	ds_write2_b32 v53, v60, v61 offset0:21 offset1:22
	s_waitcnt vmcnt(22)
	v_pk_mov_b32 v[60:61], v[18:19], v[40:41] op_sel:[1,0]
	ds_write2_b32 v53, v60, v61 offset0:23 offset1:24
	s_waitcnt vmcnt(20)
	v_pk_mov_b32 v[60:61], v[40:41], v[30:31] op_sel:[1,0]
	ds_write2_b32 v53, v60, v61 offset0:25 offset1:26
	s_waitcnt vmcnt(18)
	v_pk_mov_b32 v[60:61], v[30:31], v[20:21] op_sel:[1,0]
	ds_write2_b32 v53, v60, v61 offset0:27 offset1:28
	s_waitcnt vmcnt(16)
	v_pk_mov_b32 v[60:61], v[20:21], v[12:13] op_sel:[1,0]
	ds_write2_b32 v53, v60, v61 offset0:29 offset1:30
	s_waitcnt vmcnt(14)
	v_pk_mov_b32 v[60:61], v[12:13], v[32:33] op_sel:[1,0]
	ds_write2_b32 v53, v60, v61 offset0:31 offset1:32
	s_waitcnt vmcnt(12)
	v_pk_mov_b32 v[60:61], v[32:33], v[22:23] op_sel:[1,0]
	ds_write2_b32 v53, v60, v61 offset0:33 offset1:34
	s_waitcnt vmcnt(10)
	v_pk_mov_b32 v[60:61], v[22:23], v[14:15] op_sel:[1,0]
	ds_write2_b32 v53, v60, v61 offset0:35 offset1:36
	s_waitcnt vmcnt(8)
	v_pk_mov_b32 v[60:61], v[14:15], v[0:1] op_sel:[1,0]
	ds_write2_b32 v53, v60, v61 offset0:37 offset1:38
	s_waitcnt vmcnt(6)
	v_pk_mov_b32 v[60:61], v[0:1], v[24:25] op_sel:[1,0]
	ds_write2_b32 v53, v60, v61 offset0:39 offset1:40
	s_waitcnt vmcnt(4)
	v_pk_mov_b32 v[60:61], v[24:25], v[16:17] op_sel:[1,0]
	ds_write2_b32 v53, v60, v61 offset0:41 offset1:42
	s_waitcnt vmcnt(2)
	v_pk_mov_b32 v[60:61], v[16:17], v[8:9] op_sel:[1,0]
	ds_write2_b32 v53, v60, v61 offset0:43 offset1:44
	s_waitcnt vmcnt(0)
	v_pk_mov_b32 v[60:61], v[8:9], v[10:11] op_sel:[1,0]
	v_mov_b32_e32 v59, 16
	ds_write2_b32 v53, v60, v61 offset0:45 offset1:46
	ds_write_b32 v53, v11 offset:188
.LBB94_282:
	s_or_b64 exec, exec, s[0:1]
	v_cmp_lt_i32_e32 vcc, 16, v59
	s_waitcnt lgkmcnt(0)
	s_barrier
	s_and_saveexec_b64 s[0:1], vcc
	s_cbranch_execz .LBB94_284
; %bb.283:
	ds_read_b32 v56, v53 offset:68
	ds_read2_b32 v[60:61], v53 offset0:18 offset1:19
	ds_read2_b32 v[62:63], v53 offset0:20 offset1:21
	v_mul_f32_e32 v46, v58, v46
	ds_read2_b32 v[64:65], v53 offset0:22 offset1:23
	s_waitcnt vmcnt(30) lgkmcnt(3)
	v_fma_f32 v47, -v46, v56, v47
	s_waitcnt vmcnt(28) lgkmcnt(2)
	v_pk_fma_f32 v[38:39], v[46:47], v[60:61], v[38:39] op_sel_hi:[0,1,1] neg_lo:[1,0,0] neg_hi:[1,0,0]
	s_waitcnt vmcnt(26) lgkmcnt(1)
	v_pk_fma_f32 v[28:29], v[46:47], v[62:63], v[28:29] op_sel_hi:[0,1,1] neg_lo:[1,0,0] neg_hi:[1,0,0]
	ds_read2_b32 v[60:61], v53 offset0:24 offset1:25
	ds_read2_b32 v[62:63], v53 offset0:26 offset1:27
	;; [unrolled: 1-line block ×3, first 2 shown]
	s_waitcnt vmcnt(24) lgkmcnt(3)
	v_pk_fma_f32 v[18:19], v[46:47], v[64:65], v[18:19] op_sel_hi:[0,1,1] neg_lo:[1,0,0] neg_hi:[1,0,0]
	ds_read2_b32 v[64:65], v53 offset0:30 offset1:31
	s_waitcnt vmcnt(22) lgkmcnt(3)
	v_pk_fma_f32 v[40:41], v[46:47], v[60:61], v[40:41] op_sel_hi:[0,1,1] neg_lo:[1,0,0] neg_hi:[1,0,0]
	s_waitcnt vmcnt(20) lgkmcnt(2)
	v_pk_fma_f32 v[30:31], v[46:47], v[62:63], v[30:31] op_sel_hi:[0,1,1] neg_lo:[1,0,0] neg_hi:[1,0,0]
	;; [unrolled: 2-line block ×3, first 2 shown]
	ds_read2_b32 v[60:61], v53 offset0:32 offset1:33
	ds_read2_b32 v[62:63], v53 offset0:34 offset1:35
	;; [unrolled: 1-line block ×3, first 2 shown]
	s_waitcnt vmcnt(16) lgkmcnt(3)
	v_pk_fma_f32 v[12:13], v[46:47], v[64:65], v[12:13] op_sel_hi:[0,1,1] neg_lo:[1,0,0] neg_hi:[1,0,0]
	ds_read2_b32 v[64:65], v53 offset0:38 offset1:39
	s_waitcnt vmcnt(14) lgkmcnt(3)
	v_pk_fma_f32 v[32:33], v[46:47], v[60:61], v[32:33] op_sel_hi:[0,1,1] neg_lo:[1,0,0] neg_hi:[1,0,0]
	s_waitcnt vmcnt(12) lgkmcnt(2)
	v_pk_fma_f32 v[22:23], v[46:47], v[62:63], v[22:23] op_sel_hi:[0,1,1] neg_lo:[1,0,0] neg_hi:[1,0,0]
	;; [unrolled: 2-line block ×3, first 2 shown]
	ds_read2_b32 v[60:61], v53 offset0:40 offset1:41
	ds_read2_b32 v[62:63], v53 offset0:42 offset1:43
	;; [unrolled: 1-line block ×4, first 2 shown]
	s_waitcnt vmcnt(8) lgkmcnt(4)
	v_pk_fma_f32 v[0:1], v[46:47], v[64:65], v[0:1] op_sel_hi:[0,1,1] neg_lo:[1,0,0] neg_hi:[1,0,0]
	s_waitcnt vmcnt(6) lgkmcnt(3)
	v_pk_fma_f32 v[24:25], v[46:47], v[60:61], v[24:25] op_sel_hi:[0,1,1] neg_lo:[1,0,0] neg_hi:[1,0,0]
	s_waitcnt vmcnt(4) lgkmcnt(2)
	v_pk_fma_f32 v[16:17], v[46:47], v[62:63], v[16:17] op_sel_hi:[0,1,1] neg_lo:[1,0,0] neg_hi:[1,0,0]
	s_waitcnt vmcnt(2) lgkmcnt(1)
	v_pk_fma_f32 v[8:9], v[46:47], v[66:67], v[8:9] op_sel_hi:[0,1,1] neg_lo:[1,0,0] neg_hi:[1,0,0]
	s_waitcnt vmcnt(0) lgkmcnt(0)
	v_pk_fma_f32 v[10:11], v[46:47], v[68:69], v[10:11] op_sel_hi:[0,1,1] neg_lo:[1,0,0] neg_hi:[1,0,0]
.LBB94_284:
	s_or_b64 exec, exec, s[0:1]
	v_lshl_add_u32 v56, v59, 2, v53
	s_barrier
	s_waitcnt vmcnt(30)
	ds_write_b32 v56, v47
	s_waitcnt lgkmcnt(0)
	s_barrier
	ds_read_b32 v58, v53 offset:68
	s_cmp_lt_i32 s22, 19
	v_mov_b32_e32 v56, 17
	s_cbranch_scc1 .LBB94_287
; %bb.285:
	v_add_u32_e32 v60, 0x48, v53
	v_mov_b32_e32 v56, 17
	s_mov_b32 s0, 18
.LBB94_286:                             ; =>This Inner Loop Header: Depth=1
	ds_read_b32 v61, v60
	v_mov_b32_e32 v62, s0
	s_add_i32 s0, s0, 1
	v_add_u32_e32 v60, 4, v60
	s_cmp_lg_u32 s22, s0
	s_waitcnt lgkmcnt(0)
	v_cmp_lt_f32_e64 vcc, |v58|, |v61|
	s_nop 1
	v_cndmask_b32_e32 v58, v58, v61, vcc
	v_cndmask_b32_e32 v56, v56, v62, vcc
	s_cbranch_scc1 .LBB94_286
.LBB94_287:
	s_waitcnt lgkmcnt(0)
	v_cmp_eq_f32_e32 vcc, 0, v58
	s_and_saveexec_b64 s[0:1], vcc
	s_xor_b64 s[0:1], exec, s[0:1]
; %bb.288:
	v_cmp_ne_u32_e32 vcc, 0, v55
	s_nop 1
	v_cndmask_b32_e32 v55, 18, v55, vcc
; %bb.289:
	s_andn2_saveexec_b64 s[0:1], s[0:1]
	s_cbranch_execz .LBB94_291
; %bb.290:
	v_div_scale_f32 v60, s[2:3], v58, v58, 1.0
	v_rcp_f32_e32 v61, v60
	v_div_scale_f32 v62, vcc, 1.0, v58, 1.0
	v_fma_f32 v63, -v60, v61, 1.0
	v_fmac_f32_e32 v61, v63, v61
	v_mul_f32_e32 v63, v62, v61
	v_fma_f32 v64, -v60, v63, v62
	v_fmac_f32_e32 v63, v64, v61
	v_fma_f32 v60, -v60, v63, v62
	v_div_fmas_f32 v60, v60, v61, v63
	v_div_fixup_f32 v58, v60, v58, 1.0
.LBB94_291:
	s_or_b64 exec, exec, s[0:1]
	v_cmp_ne_u32_e32 vcc, v59, v56
	s_and_saveexec_b64 s[0:1], vcc
	s_xor_b64 s[0:1], exec, s[0:1]
	s_cbranch_execz .LBB94_297
; %bb.292:
	v_cmp_eq_u32_e32 vcc, 17, v59
	s_and_saveexec_b64 s[2:3], vcc
	s_cbranch_execz .LBB94_296
; %bb.293:
	v_cmp_ne_u32_e32 vcc, 17, v56
	s_xor_b64 s[12:13], s[20:21], -1
	s_and_b64 s[14:15], s[12:13], vcc
	s_and_saveexec_b64 s[12:13], s[14:15]
	s_cbranch_execz .LBB94_295
; %bb.294:
	v_ashrrev_i32_e32 v57, 31, v56
	v_lshl_add_u64 v[60:61], v[56:57], 2, v[4:5]
	global_load_dword v57, v[60:61], off
	global_load_dword v59, v[4:5], off offset:68
	s_waitcnt vmcnt(1)
	global_store_dword v[4:5], v57, off offset:68
	s_waitcnt vmcnt(1)
	global_store_dword v[60:61], v59, off
.LBB94_295:
	s_or_b64 exec, exec, s[12:13]
	v_mov_b32_e32 v57, v56
	v_mov_b32_e32 v59, v56
.LBB94_296:
	s_or_b64 exec, exec, s[2:3]
.LBB94_297:
	s_andn2_saveexec_b64 s[0:1], s[0:1]
	s_cbranch_execz .LBB94_299
; %bb.298:
	v_mov_b32_e32 v59, 17
	s_waitcnt vmcnt(28)
	ds_write2_b32 v53, v38, v39 offset0:18 offset1:19
	s_waitcnt vmcnt(26)
	ds_write2_b32 v53, v28, v29 offset0:20 offset1:21
	;; [unrolled: 2-line block ×15, first 2 shown]
.LBB94_299:
	s_or_b64 exec, exec, s[0:1]
	v_cmp_lt_i32_e32 vcc, 17, v59
	s_waitcnt lgkmcnt(0)
	s_barrier
	s_and_saveexec_b64 s[0:1], vcc
	s_cbranch_execz .LBB94_301
; %bb.300:
	ds_read2_b32 v[60:61], v53 offset0:18 offset1:19
	ds_read2_b32 v[62:63], v53 offset0:20 offset1:21
	;; [unrolled: 1-line block ×3, first 2 shown]
	v_mul_f32_e32 v56, v58, v47
	ds_read2_b32 v[66:67], v53 offset0:24 offset1:25
	s_waitcnt vmcnt(28) lgkmcnt(3)
	v_pk_fma_f32 v[38:39], v[56:57], v[60:61], v[38:39] op_sel_hi:[0,1,1] neg_lo:[1,0,0] neg_hi:[1,0,0]
	s_waitcnt vmcnt(26) lgkmcnt(2)
	v_pk_fma_f32 v[28:29], v[56:57], v[62:63], v[28:29] op_sel_hi:[0,1,1] neg_lo:[1,0,0] neg_hi:[1,0,0]
	;; [unrolled: 2-line block ×3, first 2 shown]
	ds_read2_b32 v[60:61], v53 offset0:26 offset1:27
	ds_read2_b32 v[62:63], v53 offset0:28 offset1:29
	;; [unrolled: 1-line block ×3, first 2 shown]
	s_waitcnt vmcnt(22) lgkmcnt(3)
	v_pk_fma_f32 v[40:41], v[56:57], v[66:67], v[40:41] op_sel_hi:[0,1,1] neg_lo:[1,0,0] neg_hi:[1,0,0]
	ds_read2_b32 v[66:67], v53 offset0:32 offset1:33
	s_waitcnt vmcnt(20) lgkmcnt(3)
	v_pk_fma_f32 v[30:31], v[56:57], v[60:61], v[30:31] op_sel_hi:[0,1,1] neg_lo:[1,0,0] neg_hi:[1,0,0]
	s_waitcnt vmcnt(18) lgkmcnt(2)
	v_pk_fma_f32 v[20:21], v[56:57], v[62:63], v[20:21] op_sel_hi:[0,1,1] neg_lo:[1,0,0] neg_hi:[1,0,0]
	ds_read2_b32 v[60:61], v53 offset0:34 offset1:35
	ds_read2_b32 v[62:63], v53 offset0:36 offset1:37
	s_waitcnt vmcnt(16) lgkmcnt(3)
	v_pk_fma_f32 v[12:13], v[56:57], v[64:65], v[12:13] op_sel_hi:[0,1,1] neg_lo:[1,0,0] neg_hi:[1,0,0]
	s_waitcnt vmcnt(14) lgkmcnt(2)
	v_pk_fma_f32 v[32:33], v[56:57], v[66:67], v[32:33] op_sel_hi:[0,1,1] neg_lo:[1,0,0] neg_hi:[1,0,0]
	ds_read2_b32 v[64:65], v53 offset0:38 offset1:39
	;; [unrolled: 6-line block ×3, first 2 shown]
	ds_read2_b32 v[62:63], v53 offset0:44 offset1:45
	ds_read2_b32 v[68:69], v53 offset0:46 offset1:47
	s_waitcnt vmcnt(8) lgkmcnt(4)
	v_pk_fma_f32 v[0:1], v[56:57], v[64:65], v[0:1] op_sel_hi:[0,1,1] neg_lo:[1,0,0] neg_hi:[1,0,0]
	s_waitcnt vmcnt(6) lgkmcnt(3)
	v_pk_fma_f32 v[24:25], v[56:57], v[66:67], v[24:25] op_sel_hi:[0,1,1] neg_lo:[1,0,0] neg_hi:[1,0,0]
	;; [unrolled: 2-line block ×5, first 2 shown]
	v_mov_b32_e32 v47, v56
.LBB94_301:
	s_or_b64 exec, exec, s[0:1]
	v_lshl_add_u32 v56, v59, 2, v53
	s_barrier
	s_waitcnt vmcnt(29)
	ds_write_b32 v56, v38
	s_waitcnt lgkmcnt(0)
	s_barrier
	ds_read_b32 v58, v53 offset:72
	s_cmp_lt_i32 s22, 20
	v_mov_b32_e32 v56, 18
	s_cbranch_scc1 .LBB94_304
; %bb.302:
	v_add_u32_e32 v60, 0x4c, v53
	v_mov_b32_e32 v56, 18
	s_mov_b32 s0, 19
.LBB94_303:                             ; =>This Inner Loop Header: Depth=1
	ds_read_b32 v61, v60
	v_mov_b32_e32 v62, s0
	s_add_i32 s0, s0, 1
	v_add_u32_e32 v60, 4, v60
	s_cmp_lg_u32 s22, s0
	s_waitcnt lgkmcnt(0)
	v_cmp_lt_f32_e64 vcc, |v58|, |v61|
	s_nop 1
	v_cndmask_b32_e32 v58, v58, v61, vcc
	v_cndmask_b32_e32 v56, v56, v62, vcc
	s_cbranch_scc1 .LBB94_303
.LBB94_304:
	s_waitcnt lgkmcnt(0)
	v_cmp_eq_f32_e32 vcc, 0, v58
	s_and_saveexec_b64 s[0:1], vcc
	s_xor_b64 s[0:1], exec, s[0:1]
; %bb.305:
	v_cmp_ne_u32_e32 vcc, 0, v55
	s_nop 1
	v_cndmask_b32_e32 v55, 19, v55, vcc
; %bb.306:
	s_andn2_saveexec_b64 s[0:1], s[0:1]
	s_cbranch_execz .LBB94_308
; %bb.307:
	v_div_scale_f32 v60, s[2:3], v58, v58, 1.0
	v_rcp_f32_e32 v61, v60
	v_div_scale_f32 v62, vcc, 1.0, v58, 1.0
	v_fma_f32 v63, -v60, v61, 1.0
	v_fmac_f32_e32 v61, v63, v61
	v_mul_f32_e32 v63, v62, v61
	v_fma_f32 v64, -v60, v63, v62
	v_fmac_f32_e32 v63, v64, v61
	v_fma_f32 v60, -v60, v63, v62
	v_div_fmas_f32 v60, v60, v61, v63
	v_div_fixup_f32 v58, v60, v58, 1.0
.LBB94_308:
	s_or_b64 exec, exec, s[0:1]
	v_cmp_ne_u32_e32 vcc, v59, v56
	s_and_saveexec_b64 s[0:1], vcc
	s_xor_b64 s[0:1], exec, s[0:1]
	s_cbranch_execz .LBB94_314
; %bb.309:
	v_cmp_eq_u32_e32 vcc, 18, v59
	s_and_saveexec_b64 s[2:3], vcc
	s_cbranch_execz .LBB94_313
; %bb.310:
	v_cmp_ne_u32_e32 vcc, 18, v56
	s_xor_b64 s[12:13], s[20:21], -1
	s_and_b64 s[14:15], s[12:13], vcc
	s_and_saveexec_b64 s[12:13], s[14:15]
	s_cbranch_execz .LBB94_312
; %bb.311:
	v_ashrrev_i32_e32 v57, 31, v56
	v_lshl_add_u64 v[60:61], v[56:57], 2, v[4:5]
	global_load_dword v57, v[60:61], off
	global_load_dword v59, v[4:5], off offset:72
	s_waitcnt vmcnt(1)
	global_store_dword v[4:5], v57, off offset:72
	s_waitcnt vmcnt(1)
	global_store_dword v[60:61], v59, off
.LBB94_312:
	s_or_b64 exec, exec, s[12:13]
	v_mov_b32_e32 v57, v56
	v_mov_b32_e32 v59, v56
.LBB94_313:
	s_or_b64 exec, exec, s[2:3]
.LBB94_314:
	s_andn2_saveexec_b64 s[0:1], s[0:1]
	s_cbranch_execz .LBB94_316
; %bb.315:
	s_waitcnt vmcnt(26)
	v_pk_mov_b32 v[60:61], v[38:39], v[28:29] op_sel:[1,0]
	ds_write2_b32 v53, v60, v61 offset0:19 offset1:20
	s_waitcnt vmcnt(24)
	v_pk_mov_b32 v[60:61], v[28:29], v[18:19] op_sel:[1,0]
	ds_write2_b32 v53, v60, v61 offset0:21 offset1:22
	;; [unrolled: 3-line block ×13, first 2 shown]
	s_waitcnt vmcnt(0)
	v_pk_mov_b32 v[60:61], v[8:9], v[10:11] op_sel:[1,0]
	v_mov_b32_e32 v59, 18
	ds_write2_b32 v53, v60, v61 offset0:45 offset1:46
	ds_write_b32 v53, v11 offset:188
.LBB94_316:
	s_or_b64 exec, exec, s[0:1]
	v_cmp_lt_i32_e32 vcc, 18, v59
	s_waitcnt lgkmcnt(0)
	s_barrier
	s_and_saveexec_b64 s[0:1], vcc
	s_cbranch_execz .LBB94_318
; %bb.317:
	ds_read_b32 v56, v53 offset:76
	ds_read2_b32 v[60:61], v53 offset0:20 offset1:21
	ds_read2_b32 v[62:63], v53 offset0:22 offset1:23
	v_mul_f32_e32 v38, v58, v38
	ds_read2_b32 v[64:65], v53 offset0:24 offset1:25
	s_waitcnt vmcnt(28) lgkmcnt(3)
	v_fma_f32 v39, -v38, v56, v39
	s_waitcnt vmcnt(26) lgkmcnt(2)
	v_pk_fma_f32 v[28:29], v[38:39], v[60:61], v[28:29] op_sel_hi:[0,1,1] neg_lo:[1,0,0] neg_hi:[1,0,0]
	s_waitcnt vmcnt(24) lgkmcnt(1)
	v_pk_fma_f32 v[18:19], v[38:39], v[62:63], v[18:19] op_sel_hi:[0,1,1] neg_lo:[1,0,0] neg_hi:[1,0,0]
	ds_read2_b32 v[60:61], v53 offset0:26 offset1:27
	ds_read2_b32 v[62:63], v53 offset0:28 offset1:29
	ds_read2_b32 v[66:67], v53 offset0:30 offset1:31
	s_waitcnt vmcnt(22) lgkmcnt(3)
	v_pk_fma_f32 v[40:41], v[38:39], v[64:65], v[40:41] op_sel_hi:[0,1,1] neg_lo:[1,0,0] neg_hi:[1,0,0]
	ds_read2_b32 v[64:65], v53 offset0:32 offset1:33
	s_waitcnt vmcnt(20) lgkmcnt(3)
	v_pk_fma_f32 v[30:31], v[38:39], v[60:61], v[30:31] op_sel_hi:[0,1,1] neg_lo:[1,0,0] neg_hi:[1,0,0]
	s_waitcnt vmcnt(18) lgkmcnt(2)
	v_pk_fma_f32 v[20:21], v[38:39], v[62:63], v[20:21] op_sel_hi:[0,1,1] neg_lo:[1,0,0] neg_hi:[1,0,0]
	ds_read2_b32 v[60:61], v53 offset0:34 offset1:35
	ds_read2_b32 v[62:63], v53 offset0:36 offset1:37
	s_waitcnt vmcnt(16) lgkmcnt(3)
	v_pk_fma_f32 v[12:13], v[38:39], v[66:67], v[12:13] op_sel_hi:[0,1,1] neg_lo:[1,0,0] neg_hi:[1,0,0]
	s_waitcnt vmcnt(14) lgkmcnt(2)
	v_pk_fma_f32 v[32:33], v[38:39], v[64:65], v[32:33] op_sel_hi:[0,1,1] neg_lo:[1,0,0] neg_hi:[1,0,0]
	ds_read2_b32 v[64:65], v53 offset0:38 offset1:39
	;; [unrolled: 6-line block ×3, first 2 shown]
	ds_read2_b32 v[62:63], v53 offset0:44 offset1:45
	ds_read2_b32 v[68:69], v53 offset0:46 offset1:47
	s_waitcnt vmcnt(8) lgkmcnt(4)
	v_pk_fma_f32 v[0:1], v[38:39], v[64:65], v[0:1] op_sel_hi:[0,1,1] neg_lo:[1,0,0] neg_hi:[1,0,0]
	s_waitcnt vmcnt(6) lgkmcnt(3)
	v_pk_fma_f32 v[24:25], v[38:39], v[66:67], v[24:25] op_sel_hi:[0,1,1] neg_lo:[1,0,0] neg_hi:[1,0,0]
	;; [unrolled: 2-line block ×5, first 2 shown]
.LBB94_318:
	s_or_b64 exec, exec, s[0:1]
	v_lshl_add_u32 v56, v59, 2, v53
	s_barrier
	s_waitcnt vmcnt(28)
	ds_write_b32 v56, v39
	s_waitcnt lgkmcnt(0)
	s_barrier
	ds_read_b32 v58, v53 offset:76
	s_cmp_lt_i32 s22, 21
	v_mov_b32_e32 v56, 19
	s_cbranch_scc1 .LBB94_321
; %bb.319:
	v_add_u32_e32 v60, 0x50, v53
	v_mov_b32_e32 v56, 19
	s_mov_b32 s0, 20
.LBB94_320:                             ; =>This Inner Loop Header: Depth=1
	ds_read_b32 v61, v60
	v_mov_b32_e32 v62, s0
	s_add_i32 s0, s0, 1
	v_add_u32_e32 v60, 4, v60
	s_cmp_lg_u32 s22, s0
	s_waitcnt lgkmcnt(0)
	v_cmp_lt_f32_e64 vcc, |v58|, |v61|
	s_nop 1
	v_cndmask_b32_e32 v58, v58, v61, vcc
	v_cndmask_b32_e32 v56, v56, v62, vcc
	s_cbranch_scc1 .LBB94_320
.LBB94_321:
	s_waitcnt lgkmcnt(0)
	v_cmp_eq_f32_e32 vcc, 0, v58
	s_and_saveexec_b64 s[0:1], vcc
	s_xor_b64 s[0:1], exec, s[0:1]
; %bb.322:
	v_cmp_ne_u32_e32 vcc, 0, v55
	s_nop 1
	v_cndmask_b32_e32 v55, 20, v55, vcc
; %bb.323:
	s_andn2_saveexec_b64 s[0:1], s[0:1]
	s_cbranch_execz .LBB94_325
; %bb.324:
	v_div_scale_f32 v60, s[2:3], v58, v58, 1.0
	v_rcp_f32_e32 v61, v60
	v_div_scale_f32 v62, vcc, 1.0, v58, 1.0
	v_fma_f32 v63, -v60, v61, 1.0
	v_fmac_f32_e32 v61, v63, v61
	v_mul_f32_e32 v63, v62, v61
	v_fma_f32 v64, -v60, v63, v62
	v_fmac_f32_e32 v63, v64, v61
	v_fma_f32 v60, -v60, v63, v62
	v_div_fmas_f32 v60, v60, v61, v63
	v_div_fixup_f32 v58, v60, v58, 1.0
.LBB94_325:
	s_or_b64 exec, exec, s[0:1]
	v_cmp_ne_u32_e32 vcc, v59, v56
	s_and_saveexec_b64 s[0:1], vcc
	s_xor_b64 s[0:1], exec, s[0:1]
	s_cbranch_execz .LBB94_331
; %bb.326:
	v_cmp_eq_u32_e32 vcc, 19, v59
	s_and_saveexec_b64 s[2:3], vcc
	s_cbranch_execz .LBB94_330
; %bb.327:
	v_cmp_ne_u32_e32 vcc, 19, v56
	s_xor_b64 s[12:13], s[20:21], -1
	s_and_b64 s[14:15], s[12:13], vcc
	s_and_saveexec_b64 s[12:13], s[14:15]
	s_cbranch_execz .LBB94_329
; %bb.328:
	v_ashrrev_i32_e32 v57, 31, v56
	v_lshl_add_u64 v[60:61], v[56:57], 2, v[4:5]
	global_load_dword v57, v[60:61], off
	global_load_dword v59, v[4:5], off offset:76
	s_waitcnt vmcnt(1)
	global_store_dword v[4:5], v57, off offset:76
	s_waitcnt vmcnt(1)
	global_store_dword v[60:61], v59, off
.LBB94_329:
	s_or_b64 exec, exec, s[12:13]
	v_mov_b32_e32 v57, v56
	v_mov_b32_e32 v59, v56
.LBB94_330:
	s_or_b64 exec, exec, s[2:3]
.LBB94_331:
	s_andn2_saveexec_b64 s[0:1], s[0:1]
	s_cbranch_execz .LBB94_333
; %bb.332:
	v_mov_b32_e32 v59, 19
	s_waitcnt vmcnt(26)
	ds_write2_b32 v53, v28, v29 offset0:20 offset1:21
	s_waitcnt vmcnt(24)
	ds_write2_b32 v53, v18, v19 offset0:22 offset1:23
	;; [unrolled: 2-line block ×14, first 2 shown]
.LBB94_333:
	s_or_b64 exec, exec, s[0:1]
	v_cmp_lt_i32_e32 vcc, 19, v59
	s_waitcnt lgkmcnt(0)
	s_barrier
	s_and_saveexec_b64 s[0:1], vcc
	s_cbranch_execz .LBB94_335
; %bb.334:
	ds_read2_b32 v[60:61], v53 offset0:20 offset1:21
	ds_read2_b32 v[62:63], v53 offset0:22 offset1:23
	;; [unrolled: 1-line block ×4, first 2 shown]
	v_mul_f32_e32 v56, v58, v39
	s_waitcnt vmcnt(26) lgkmcnt(3)
	v_pk_fma_f32 v[28:29], v[56:57], v[60:61], v[28:29] op_sel_hi:[0,1,1] neg_lo:[1,0,0] neg_hi:[1,0,0]
	s_waitcnt vmcnt(24) lgkmcnt(2)
	v_pk_fma_f32 v[18:19], v[56:57], v[62:63], v[18:19] op_sel_hi:[0,1,1] neg_lo:[1,0,0] neg_hi:[1,0,0]
	;; [unrolled: 2-line block ×3, first 2 shown]
	ds_read2_b32 v[60:61], v53 offset0:28 offset1:29
	ds_read2_b32 v[62:63], v53 offset0:30 offset1:31
	;; [unrolled: 1-line block ×3, first 2 shown]
	s_waitcnt vmcnt(20) lgkmcnt(3)
	v_pk_fma_f32 v[30:31], v[56:57], v[66:67], v[30:31] op_sel_hi:[0,1,1] neg_lo:[1,0,0] neg_hi:[1,0,0]
	ds_read2_b32 v[66:67], v53 offset0:34 offset1:35
	s_waitcnt vmcnt(18) lgkmcnt(3)
	v_pk_fma_f32 v[20:21], v[56:57], v[60:61], v[20:21] op_sel_hi:[0,1,1] neg_lo:[1,0,0] neg_hi:[1,0,0]
	ds_read2_b32 v[60:61], v53 offset0:36 offset1:37
	s_waitcnt vmcnt(16) lgkmcnt(3)
	v_pk_fma_f32 v[12:13], v[56:57], v[62:63], v[12:13] op_sel_hi:[0,1,1] neg_lo:[1,0,0] neg_hi:[1,0,0]
	s_waitcnt vmcnt(14) lgkmcnt(2)
	v_pk_fma_f32 v[32:33], v[56:57], v[64:65], v[32:33] op_sel_hi:[0,1,1] neg_lo:[1,0,0] neg_hi:[1,0,0]
	;; [unrolled: 2-line block ×3, first 2 shown]
	ds_read2_b32 v[62:63], v53 offset0:38 offset1:39
	ds_read2_b32 v[64:65], v53 offset0:40 offset1:41
	;; [unrolled: 1-line block ×3, first 2 shown]
	s_waitcnt vmcnt(10) lgkmcnt(3)
	v_pk_fma_f32 v[14:15], v[56:57], v[60:61], v[14:15] op_sel_hi:[0,1,1] neg_lo:[1,0,0] neg_hi:[1,0,0]
	ds_read2_b32 v[60:61], v53 offset0:44 offset1:45
	ds_read2_b32 v[68:69], v53 offset0:46 offset1:47
	s_waitcnt vmcnt(8) lgkmcnt(4)
	v_pk_fma_f32 v[0:1], v[56:57], v[62:63], v[0:1] op_sel_hi:[0,1,1] neg_lo:[1,0,0] neg_hi:[1,0,0]
	s_waitcnt vmcnt(6) lgkmcnt(3)
	v_pk_fma_f32 v[24:25], v[56:57], v[64:65], v[24:25] op_sel_hi:[0,1,1] neg_lo:[1,0,0] neg_hi:[1,0,0]
	;; [unrolled: 2-line block ×5, first 2 shown]
	v_mov_b32_e32 v39, v56
.LBB94_335:
	s_or_b64 exec, exec, s[0:1]
	v_lshl_add_u32 v56, v59, 2, v53
	s_barrier
	s_waitcnt vmcnt(27)
	ds_write_b32 v56, v28
	s_waitcnt lgkmcnt(0)
	s_barrier
	ds_read_b32 v58, v53 offset:80
	s_cmp_lt_i32 s22, 22
	v_mov_b32_e32 v56, 20
	s_cbranch_scc1 .LBB94_338
; %bb.336:
	v_add_u32_e32 v60, 0x54, v53
	v_mov_b32_e32 v56, 20
	s_mov_b32 s0, 21
.LBB94_337:                             ; =>This Inner Loop Header: Depth=1
	ds_read_b32 v61, v60
	v_mov_b32_e32 v62, s0
	s_add_i32 s0, s0, 1
	v_add_u32_e32 v60, 4, v60
	s_cmp_lg_u32 s22, s0
	s_waitcnt lgkmcnt(0)
	v_cmp_lt_f32_e64 vcc, |v58|, |v61|
	s_nop 1
	v_cndmask_b32_e32 v58, v58, v61, vcc
	v_cndmask_b32_e32 v56, v56, v62, vcc
	s_cbranch_scc1 .LBB94_337
.LBB94_338:
	s_waitcnt lgkmcnt(0)
	v_cmp_eq_f32_e32 vcc, 0, v58
	s_and_saveexec_b64 s[0:1], vcc
	s_xor_b64 s[0:1], exec, s[0:1]
; %bb.339:
	v_cmp_ne_u32_e32 vcc, 0, v55
	s_nop 1
	v_cndmask_b32_e32 v55, 21, v55, vcc
; %bb.340:
	s_andn2_saveexec_b64 s[0:1], s[0:1]
	s_cbranch_execz .LBB94_342
; %bb.341:
	v_div_scale_f32 v60, s[2:3], v58, v58, 1.0
	v_rcp_f32_e32 v61, v60
	v_div_scale_f32 v62, vcc, 1.0, v58, 1.0
	v_fma_f32 v63, -v60, v61, 1.0
	v_fmac_f32_e32 v61, v63, v61
	v_mul_f32_e32 v63, v62, v61
	v_fma_f32 v64, -v60, v63, v62
	v_fmac_f32_e32 v63, v64, v61
	v_fma_f32 v60, -v60, v63, v62
	v_div_fmas_f32 v60, v60, v61, v63
	v_div_fixup_f32 v58, v60, v58, 1.0
.LBB94_342:
	s_or_b64 exec, exec, s[0:1]
	v_cmp_ne_u32_e32 vcc, v59, v56
	s_and_saveexec_b64 s[0:1], vcc
	s_xor_b64 s[0:1], exec, s[0:1]
	s_cbranch_execz .LBB94_348
; %bb.343:
	v_cmp_eq_u32_e32 vcc, 20, v59
	s_and_saveexec_b64 s[2:3], vcc
	s_cbranch_execz .LBB94_347
; %bb.344:
	v_cmp_ne_u32_e32 vcc, 20, v56
	s_xor_b64 s[12:13], s[20:21], -1
	s_and_b64 s[14:15], s[12:13], vcc
	s_and_saveexec_b64 s[12:13], s[14:15]
	s_cbranch_execz .LBB94_346
; %bb.345:
	v_ashrrev_i32_e32 v57, 31, v56
	v_lshl_add_u64 v[60:61], v[56:57], 2, v[4:5]
	global_load_dword v57, v[60:61], off
	global_load_dword v59, v[4:5], off offset:80
	s_waitcnt vmcnt(1)
	global_store_dword v[4:5], v57, off offset:80
	s_waitcnt vmcnt(1)
	global_store_dword v[60:61], v59, off
.LBB94_346:
	s_or_b64 exec, exec, s[12:13]
	v_mov_b32_e32 v57, v56
	v_mov_b32_e32 v59, v56
.LBB94_347:
	s_or_b64 exec, exec, s[2:3]
.LBB94_348:
	s_andn2_saveexec_b64 s[0:1], s[0:1]
	s_cbranch_execz .LBB94_350
; %bb.349:
	s_waitcnt vmcnt(24)
	v_pk_mov_b32 v[60:61], v[28:29], v[18:19] op_sel:[1,0]
	ds_write2_b32 v53, v60, v61 offset0:21 offset1:22
	s_waitcnt vmcnt(22)
	v_pk_mov_b32 v[60:61], v[18:19], v[40:41] op_sel:[1,0]
	ds_write2_b32 v53, v60, v61 offset0:23 offset1:24
	;; [unrolled: 3-line block ×12, first 2 shown]
	s_waitcnt vmcnt(0)
	v_pk_mov_b32 v[60:61], v[8:9], v[10:11] op_sel:[1,0]
	v_mov_b32_e32 v59, 20
	ds_write2_b32 v53, v60, v61 offset0:45 offset1:46
	ds_write_b32 v53, v11 offset:188
.LBB94_350:
	s_or_b64 exec, exec, s[0:1]
	v_cmp_lt_i32_e32 vcc, 20, v59
	s_waitcnt lgkmcnt(0)
	s_barrier
	s_and_saveexec_b64 s[0:1], vcc
	s_cbranch_execz .LBB94_352
; %bb.351:
	ds_read_b32 v56, v53 offset:84
	ds_read2_b32 v[60:61], v53 offset0:22 offset1:23
	ds_read2_b32 v[62:63], v53 offset0:24 offset1:25
	v_mul_f32_e32 v28, v58, v28
	ds_read2_b32 v[64:65], v53 offset0:26 offset1:27
	s_waitcnt vmcnt(26) lgkmcnt(3)
	v_fma_f32 v29, -v28, v56, v29
	s_waitcnt vmcnt(24) lgkmcnt(2)
	v_pk_fma_f32 v[18:19], v[28:29], v[60:61], v[18:19] op_sel_hi:[0,1,1] neg_lo:[1,0,0] neg_hi:[1,0,0]
	s_waitcnt vmcnt(22) lgkmcnt(1)
	v_pk_fma_f32 v[40:41], v[28:29], v[62:63], v[40:41] op_sel_hi:[0,1,1] neg_lo:[1,0,0] neg_hi:[1,0,0]
	ds_read2_b32 v[60:61], v53 offset0:28 offset1:29
	ds_read2_b32 v[62:63], v53 offset0:30 offset1:31
	;; [unrolled: 1-line block ×3, first 2 shown]
	s_waitcnt vmcnt(20) lgkmcnt(3)
	v_pk_fma_f32 v[30:31], v[28:29], v[64:65], v[30:31] op_sel_hi:[0,1,1] neg_lo:[1,0,0] neg_hi:[1,0,0]
	ds_read2_b32 v[64:65], v53 offset0:34 offset1:35
	s_waitcnt vmcnt(18) lgkmcnt(3)
	v_pk_fma_f32 v[20:21], v[28:29], v[60:61], v[20:21] op_sel_hi:[0,1,1] neg_lo:[1,0,0] neg_hi:[1,0,0]
	ds_read2_b32 v[60:61], v53 offset0:36 offset1:37
	s_waitcnt vmcnt(16) lgkmcnt(3)
	v_pk_fma_f32 v[12:13], v[28:29], v[62:63], v[12:13] op_sel_hi:[0,1,1] neg_lo:[1,0,0] neg_hi:[1,0,0]
	s_waitcnt vmcnt(14) lgkmcnt(2)
	v_pk_fma_f32 v[32:33], v[28:29], v[66:67], v[32:33] op_sel_hi:[0,1,1] neg_lo:[1,0,0] neg_hi:[1,0,0]
	;; [unrolled: 2-line block ×3, first 2 shown]
	ds_read2_b32 v[62:63], v53 offset0:38 offset1:39
	ds_read2_b32 v[64:65], v53 offset0:40 offset1:41
	ds_read2_b32 v[66:67], v53 offset0:42 offset1:43
	s_waitcnt vmcnt(10) lgkmcnt(3)
	v_pk_fma_f32 v[14:15], v[28:29], v[60:61], v[14:15] op_sel_hi:[0,1,1] neg_lo:[1,0,0] neg_hi:[1,0,0]
	ds_read2_b32 v[60:61], v53 offset0:44 offset1:45
	ds_read2_b32 v[68:69], v53 offset0:46 offset1:47
	s_waitcnt vmcnt(8) lgkmcnt(4)
	v_pk_fma_f32 v[0:1], v[28:29], v[62:63], v[0:1] op_sel_hi:[0,1,1] neg_lo:[1,0,0] neg_hi:[1,0,0]
	s_waitcnt vmcnt(6) lgkmcnt(3)
	v_pk_fma_f32 v[24:25], v[28:29], v[64:65], v[24:25] op_sel_hi:[0,1,1] neg_lo:[1,0,0] neg_hi:[1,0,0]
	;; [unrolled: 2-line block ×5, first 2 shown]
.LBB94_352:
	s_or_b64 exec, exec, s[0:1]
	v_lshl_add_u32 v56, v59, 2, v53
	s_barrier
	s_waitcnt vmcnt(26)
	ds_write_b32 v56, v29
	s_waitcnt lgkmcnt(0)
	s_barrier
	ds_read_b32 v58, v53 offset:84
	s_cmp_lt_i32 s22, 23
	v_mov_b32_e32 v56, 21
	s_cbranch_scc1 .LBB94_355
; %bb.353:
	v_add_u32_e32 v60, 0x58, v53
	v_mov_b32_e32 v56, 21
	s_mov_b32 s0, 22
.LBB94_354:                             ; =>This Inner Loop Header: Depth=1
	ds_read_b32 v61, v60
	v_mov_b32_e32 v62, s0
	s_add_i32 s0, s0, 1
	v_add_u32_e32 v60, 4, v60
	s_cmp_lg_u32 s22, s0
	s_waitcnt lgkmcnt(0)
	v_cmp_lt_f32_e64 vcc, |v58|, |v61|
	s_nop 1
	v_cndmask_b32_e32 v58, v58, v61, vcc
	v_cndmask_b32_e32 v56, v56, v62, vcc
	s_cbranch_scc1 .LBB94_354
.LBB94_355:
	s_waitcnt lgkmcnt(0)
	v_cmp_eq_f32_e32 vcc, 0, v58
	s_and_saveexec_b64 s[0:1], vcc
	s_xor_b64 s[0:1], exec, s[0:1]
; %bb.356:
	v_cmp_ne_u32_e32 vcc, 0, v55
	s_nop 1
	v_cndmask_b32_e32 v55, 22, v55, vcc
; %bb.357:
	s_andn2_saveexec_b64 s[0:1], s[0:1]
	s_cbranch_execz .LBB94_359
; %bb.358:
	v_div_scale_f32 v60, s[2:3], v58, v58, 1.0
	v_rcp_f32_e32 v61, v60
	v_div_scale_f32 v62, vcc, 1.0, v58, 1.0
	v_fma_f32 v63, -v60, v61, 1.0
	v_fmac_f32_e32 v61, v63, v61
	v_mul_f32_e32 v63, v62, v61
	v_fma_f32 v64, -v60, v63, v62
	v_fmac_f32_e32 v63, v64, v61
	v_fma_f32 v60, -v60, v63, v62
	v_div_fmas_f32 v60, v60, v61, v63
	v_div_fixup_f32 v58, v60, v58, 1.0
.LBB94_359:
	s_or_b64 exec, exec, s[0:1]
	v_cmp_ne_u32_e32 vcc, v59, v56
	s_and_saveexec_b64 s[0:1], vcc
	s_xor_b64 s[0:1], exec, s[0:1]
	s_cbranch_execz .LBB94_365
; %bb.360:
	v_cmp_eq_u32_e32 vcc, 21, v59
	s_and_saveexec_b64 s[2:3], vcc
	s_cbranch_execz .LBB94_364
; %bb.361:
	v_cmp_ne_u32_e32 vcc, 21, v56
	s_xor_b64 s[12:13], s[20:21], -1
	s_and_b64 s[14:15], s[12:13], vcc
	s_and_saveexec_b64 s[12:13], s[14:15]
	s_cbranch_execz .LBB94_363
; %bb.362:
	v_ashrrev_i32_e32 v57, 31, v56
	v_lshl_add_u64 v[60:61], v[56:57], 2, v[4:5]
	global_load_dword v57, v[60:61], off
	global_load_dword v59, v[4:5], off offset:84
	s_waitcnt vmcnt(1)
	global_store_dword v[4:5], v57, off offset:84
	s_waitcnt vmcnt(1)
	global_store_dword v[60:61], v59, off
.LBB94_363:
	s_or_b64 exec, exec, s[12:13]
	v_mov_b32_e32 v57, v56
	v_mov_b32_e32 v59, v56
.LBB94_364:
	s_or_b64 exec, exec, s[2:3]
.LBB94_365:
	s_andn2_saveexec_b64 s[0:1], s[0:1]
	s_cbranch_execz .LBB94_367
; %bb.366:
	v_mov_b32_e32 v59, 21
	s_waitcnt vmcnt(24)
	ds_write2_b32 v53, v18, v19 offset0:22 offset1:23
	s_waitcnt vmcnt(22)
	ds_write2_b32 v53, v40, v41 offset0:24 offset1:25
	;; [unrolled: 2-line block ×13, first 2 shown]
.LBB94_367:
	s_or_b64 exec, exec, s[0:1]
	v_cmp_lt_i32_e32 vcc, 21, v59
	s_waitcnt lgkmcnt(0)
	s_barrier
	s_and_saveexec_b64 s[0:1], vcc
	s_cbranch_execz .LBB94_369
; %bb.368:
	ds_read2_b32 v[60:61], v53 offset0:22 offset1:23
	ds_read2_b32 v[62:63], v53 offset0:24 offset1:25
	;; [unrolled: 1-line block ×3, first 2 shown]
	v_mul_f32_e32 v56, v58, v29
	ds_read2_b32 v[66:67], v53 offset0:28 offset1:29
	s_waitcnt vmcnt(24) lgkmcnt(3)
	v_pk_fma_f32 v[18:19], v[56:57], v[60:61], v[18:19] op_sel_hi:[0,1,1] neg_lo:[1,0,0] neg_hi:[1,0,0]
	s_waitcnt vmcnt(22) lgkmcnt(2)
	v_pk_fma_f32 v[40:41], v[56:57], v[62:63], v[40:41] op_sel_hi:[0,1,1] neg_lo:[1,0,0] neg_hi:[1,0,0]
	;; [unrolled: 2-line block ×3, first 2 shown]
	ds_read2_b32 v[60:61], v53 offset0:30 offset1:31
	ds_read2_b32 v[62:63], v53 offset0:32 offset1:33
	;; [unrolled: 1-line block ×4, first 2 shown]
	s_waitcnt vmcnt(18) lgkmcnt(4)
	v_pk_fma_f32 v[20:21], v[56:57], v[66:67], v[20:21] op_sel_hi:[0,1,1] neg_lo:[1,0,0] neg_hi:[1,0,0]
	s_waitcnt vmcnt(16) lgkmcnt(3)
	v_pk_fma_f32 v[12:13], v[56:57], v[60:61], v[12:13] op_sel_hi:[0,1,1] neg_lo:[1,0,0] neg_hi:[1,0,0]
	s_waitcnt vmcnt(14) lgkmcnt(2)
	v_pk_fma_f32 v[32:33], v[56:57], v[62:63], v[32:33] op_sel_hi:[0,1,1] neg_lo:[1,0,0] neg_hi:[1,0,0]
	s_waitcnt vmcnt(12) lgkmcnt(1)
	v_pk_fma_f32 v[22:23], v[56:57], v[64:65], v[22:23] op_sel_hi:[0,1,1] neg_lo:[1,0,0] neg_hi:[1,0,0]
	s_waitcnt vmcnt(10) lgkmcnt(0)
	v_pk_fma_f32 v[14:15], v[56:57], v[68:69], v[14:15] op_sel_hi:[0,1,1] neg_lo:[1,0,0] neg_hi:[1,0,0]
	ds_read2_b32 v[60:61], v53 offset0:38 offset1:39
	ds_read2_b32 v[62:63], v53 offset0:40 offset1:41
	;; [unrolled: 1-line block ×5, first 2 shown]
	s_waitcnt vmcnt(8) lgkmcnt(4)
	v_pk_fma_f32 v[0:1], v[56:57], v[60:61], v[0:1] op_sel_hi:[0,1,1] neg_lo:[1,0,0] neg_hi:[1,0,0]
	s_waitcnt vmcnt(6) lgkmcnt(3)
	v_pk_fma_f32 v[24:25], v[56:57], v[62:63], v[24:25] op_sel_hi:[0,1,1] neg_lo:[1,0,0] neg_hi:[1,0,0]
	;; [unrolled: 2-line block ×5, first 2 shown]
	v_mov_b32_e32 v29, v56
.LBB94_369:
	s_or_b64 exec, exec, s[0:1]
	v_lshl_add_u32 v56, v59, 2, v53
	s_barrier
	s_waitcnt vmcnt(25)
	ds_write_b32 v56, v18
	s_waitcnt lgkmcnt(0)
	s_barrier
	ds_read_b32 v58, v53 offset:88
	s_cmp_lt_i32 s22, 24
	v_mov_b32_e32 v56, 22
	s_cbranch_scc1 .LBB94_372
; %bb.370:
	v_add_u32_e32 v60, 0x5c, v53
	v_mov_b32_e32 v56, 22
	s_mov_b32 s0, 23
.LBB94_371:                             ; =>This Inner Loop Header: Depth=1
	ds_read_b32 v61, v60
	v_mov_b32_e32 v62, s0
	s_add_i32 s0, s0, 1
	v_add_u32_e32 v60, 4, v60
	s_cmp_lg_u32 s22, s0
	s_waitcnt lgkmcnt(0)
	v_cmp_lt_f32_e64 vcc, |v58|, |v61|
	s_nop 1
	v_cndmask_b32_e32 v58, v58, v61, vcc
	v_cndmask_b32_e32 v56, v56, v62, vcc
	s_cbranch_scc1 .LBB94_371
.LBB94_372:
	s_waitcnt lgkmcnt(0)
	v_cmp_eq_f32_e32 vcc, 0, v58
	s_and_saveexec_b64 s[0:1], vcc
	s_xor_b64 s[0:1], exec, s[0:1]
; %bb.373:
	v_cmp_ne_u32_e32 vcc, 0, v55
	s_nop 1
	v_cndmask_b32_e32 v55, 23, v55, vcc
; %bb.374:
	s_andn2_saveexec_b64 s[0:1], s[0:1]
	s_cbranch_execz .LBB94_376
; %bb.375:
	v_div_scale_f32 v60, s[2:3], v58, v58, 1.0
	v_rcp_f32_e32 v61, v60
	v_div_scale_f32 v62, vcc, 1.0, v58, 1.0
	v_fma_f32 v63, -v60, v61, 1.0
	v_fmac_f32_e32 v61, v63, v61
	v_mul_f32_e32 v63, v62, v61
	v_fma_f32 v64, -v60, v63, v62
	v_fmac_f32_e32 v63, v64, v61
	v_fma_f32 v60, -v60, v63, v62
	v_div_fmas_f32 v60, v60, v61, v63
	v_div_fixup_f32 v58, v60, v58, 1.0
.LBB94_376:
	s_or_b64 exec, exec, s[0:1]
	v_cmp_ne_u32_e32 vcc, v59, v56
	s_and_saveexec_b64 s[0:1], vcc
	s_xor_b64 s[0:1], exec, s[0:1]
	s_cbranch_execz .LBB94_382
; %bb.377:
	v_cmp_eq_u32_e32 vcc, 22, v59
	s_and_saveexec_b64 s[2:3], vcc
	s_cbranch_execz .LBB94_381
; %bb.378:
	v_cmp_ne_u32_e32 vcc, 22, v56
	s_xor_b64 s[12:13], s[20:21], -1
	s_and_b64 s[14:15], s[12:13], vcc
	s_and_saveexec_b64 s[12:13], s[14:15]
	s_cbranch_execz .LBB94_380
; %bb.379:
	v_ashrrev_i32_e32 v57, 31, v56
	v_lshl_add_u64 v[60:61], v[56:57], 2, v[4:5]
	global_load_dword v57, v[60:61], off
	global_load_dword v59, v[4:5], off offset:88
	s_waitcnt vmcnt(1)
	global_store_dword v[4:5], v57, off offset:88
	s_waitcnt vmcnt(1)
	global_store_dword v[60:61], v59, off
.LBB94_380:
	s_or_b64 exec, exec, s[12:13]
	v_mov_b32_e32 v57, v56
	v_mov_b32_e32 v59, v56
.LBB94_381:
	s_or_b64 exec, exec, s[2:3]
.LBB94_382:
	s_andn2_saveexec_b64 s[0:1], s[0:1]
	s_cbranch_execz .LBB94_384
; %bb.383:
	s_waitcnt vmcnt(22)
	v_pk_mov_b32 v[60:61], v[18:19], v[40:41] op_sel:[1,0]
	ds_write2_b32 v53, v60, v61 offset0:23 offset1:24
	s_waitcnt vmcnt(20)
	v_pk_mov_b32 v[60:61], v[40:41], v[30:31] op_sel:[1,0]
	ds_write2_b32 v53, v60, v61 offset0:25 offset1:26
	;; [unrolled: 3-line block ×11, first 2 shown]
	s_waitcnt vmcnt(0)
	v_pk_mov_b32 v[60:61], v[8:9], v[10:11] op_sel:[1,0]
	v_mov_b32_e32 v59, 22
	ds_write2_b32 v53, v60, v61 offset0:45 offset1:46
	ds_write_b32 v53, v11 offset:188
.LBB94_384:
	s_or_b64 exec, exec, s[0:1]
	v_cmp_lt_i32_e32 vcc, 22, v59
	s_waitcnt lgkmcnt(0)
	s_barrier
	s_and_saveexec_b64 s[0:1], vcc
	s_cbranch_execz .LBB94_386
; %bb.385:
	ds_read_b32 v56, v53 offset:92
	ds_read2_b32 v[60:61], v53 offset0:24 offset1:25
	ds_read2_b32 v[62:63], v53 offset0:26 offset1:27
	v_mul_f32_e32 v18, v58, v18
	ds_read2_b32 v[64:65], v53 offset0:28 offset1:29
	s_waitcnt vmcnt(24) lgkmcnt(3)
	v_fma_f32 v19, -v18, v56, v19
	s_waitcnt vmcnt(22) lgkmcnt(2)
	v_pk_fma_f32 v[40:41], v[18:19], v[60:61], v[40:41] op_sel_hi:[0,1,1] neg_lo:[1,0,0] neg_hi:[1,0,0]
	s_waitcnt vmcnt(20) lgkmcnt(1)
	v_pk_fma_f32 v[30:31], v[18:19], v[62:63], v[30:31] op_sel_hi:[0,1,1] neg_lo:[1,0,0] neg_hi:[1,0,0]
	ds_read2_b32 v[60:61], v53 offset0:30 offset1:31
	ds_read2_b32 v[62:63], v53 offset0:32 offset1:33
	ds_read2_b32 v[66:67], v53 offset0:34 offset1:35
	ds_read2_b32 v[68:69], v53 offset0:36 offset1:37
	s_waitcnt vmcnt(18) lgkmcnt(4)
	v_pk_fma_f32 v[20:21], v[18:19], v[64:65], v[20:21] op_sel_hi:[0,1,1] neg_lo:[1,0,0] neg_hi:[1,0,0]
	s_waitcnt vmcnt(16) lgkmcnt(3)
	v_pk_fma_f32 v[12:13], v[18:19], v[60:61], v[12:13] op_sel_hi:[0,1,1] neg_lo:[1,0,0] neg_hi:[1,0,0]
	;; [unrolled: 2-line block ×5, first 2 shown]
	ds_read2_b32 v[60:61], v53 offset0:38 offset1:39
	ds_read2_b32 v[62:63], v53 offset0:40 offset1:41
	;; [unrolled: 1-line block ×5, first 2 shown]
	s_waitcnt vmcnt(8) lgkmcnt(4)
	v_pk_fma_f32 v[0:1], v[18:19], v[60:61], v[0:1] op_sel_hi:[0,1,1] neg_lo:[1,0,0] neg_hi:[1,0,0]
	s_waitcnt vmcnt(6) lgkmcnt(3)
	v_pk_fma_f32 v[24:25], v[18:19], v[62:63], v[24:25] op_sel_hi:[0,1,1] neg_lo:[1,0,0] neg_hi:[1,0,0]
	;; [unrolled: 2-line block ×5, first 2 shown]
.LBB94_386:
	s_or_b64 exec, exec, s[0:1]
	v_lshl_add_u32 v56, v59, 2, v53
	s_barrier
	s_waitcnt vmcnt(24)
	ds_write_b32 v56, v19
	s_waitcnt lgkmcnt(0)
	s_barrier
	ds_read_b32 v58, v53 offset:92
	s_cmp_lt_i32 s22, 25
	v_mov_b32_e32 v56, 23
	s_cbranch_scc1 .LBB94_389
; %bb.387:
	v_add_u32_e32 v60, 0x60, v53
	v_mov_b32_e32 v56, 23
	s_mov_b32 s0, 24
.LBB94_388:                             ; =>This Inner Loop Header: Depth=1
	ds_read_b32 v61, v60
	v_mov_b32_e32 v62, s0
	s_add_i32 s0, s0, 1
	v_add_u32_e32 v60, 4, v60
	s_cmp_lg_u32 s22, s0
	s_waitcnt lgkmcnt(0)
	v_cmp_lt_f32_e64 vcc, |v58|, |v61|
	s_nop 1
	v_cndmask_b32_e32 v58, v58, v61, vcc
	v_cndmask_b32_e32 v56, v56, v62, vcc
	s_cbranch_scc1 .LBB94_388
.LBB94_389:
	s_waitcnt lgkmcnt(0)
	v_cmp_eq_f32_e32 vcc, 0, v58
	s_and_saveexec_b64 s[0:1], vcc
	s_xor_b64 s[0:1], exec, s[0:1]
; %bb.390:
	v_cmp_ne_u32_e32 vcc, 0, v55
	s_nop 1
	v_cndmask_b32_e32 v55, 24, v55, vcc
; %bb.391:
	s_andn2_saveexec_b64 s[0:1], s[0:1]
	s_cbranch_execz .LBB94_393
; %bb.392:
	v_div_scale_f32 v60, s[2:3], v58, v58, 1.0
	v_rcp_f32_e32 v61, v60
	v_div_scale_f32 v62, vcc, 1.0, v58, 1.0
	v_fma_f32 v63, -v60, v61, 1.0
	v_fmac_f32_e32 v61, v63, v61
	v_mul_f32_e32 v63, v62, v61
	v_fma_f32 v64, -v60, v63, v62
	v_fmac_f32_e32 v63, v64, v61
	v_fma_f32 v60, -v60, v63, v62
	v_div_fmas_f32 v60, v60, v61, v63
	v_div_fixup_f32 v58, v60, v58, 1.0
.LBB94_393:
	s_or_b64 exec, exec, s[0:1]
	v_cmp_ne_u32_e32 vcc, v59, v56
	s_and_saveexec_b64 s[0:1], vcc
	s_xor_b64 s[0:1], exec, s[0:1]
	s_cbranch_execz .LBB94_399
; %bb.394:
	v_cmp_eq_u32_e32 vcc, 23, v59
	s_and_saveexec_b64 s[2:3], vcc
	s_cbranch_execz .LBB94_398
; %bb.395:
	v_cmp_ne_u32_e32 vcc, 23, v56
	s_xor_b64 s[12:13], s[20:21], -1
	s_and_b64 s[14:15], s[12:13], vcc
	s_and_saveexec_b64 s[12:13], s[14:15]
	s_cbranch_execz .LBB94_397
; %bb.396:
	v_ashrrev_i32_e32 v57, 31, v56
	v_lshl_add_u64 v[60:61], v[56:57], 2, v[4:5]
	global_load_dword v57, v[60:61], off
	global_load_dword v59, v[4:5], off offset:92
	s_waitcnt vmcnt(1)
	global_store_dword v[4:5], v57, off offset:92
	s_waitcnt vmcnt(1)
	global_store_dword v[60:61], v59, off
.LBB94_397:
	s_or_b64 exec, exec, s[12:13]
	v_mov_b32_e32 v57, v56
	v_mov_b32_e32 v59, v56
.LBB94_398:
	s_or_b64 exec, exec, s[2:3]
.LBB94_399:
	s_andn2_saveexec_b64 s[0:1], s[0:1]
	s_cbranch_execz .LBB94_401
; %bb.400:
	v_mov_b32_e32 v59, 23
	s_waitcnt vmcnt(22)
	ds_write2_b32 v53, v40, v41 offset0:24 offset1:25
	s_waitcnt vmcnt(20)
	ds_write2_b32 v53, v30, v31 offset0:26 offset1:27
	;; [unrolled: 2-line block ×12, first 2 shown]
.LBB94_401:
	s_or_b64 exec, exec, s[0:1]
	v_cmp_lt_i32_e32 vcc, 23, v59
	s_waitcnt lgkmcnt(0)
	s_barrier
	s_and_saveexec_b64 s[0:1], vcc
	s_cbranch_execz .LBB94_403
; %bb.402:
	ds_read2_b32 v[60:61], v53 offset0:24 offset1:25
	ds_read2_b32 v[62:63], v53 offset0:26 offset1:27
	;; [unrolled: 1-line block ×3, first 2 shown]
	v_mul_f32_e32 v56, v58, v19
	ds_read2_b32 v[66:67], v53 offset0:30 offset1:31
	s_waitcnt vmcnt(22) lgkmcnt(3)
	v_pk_fma_f32 v[40:41], v[56:57], v[60:61], v[40:41] op_sel_hi:[0,1,1] neg_lo:[1,0,0] neg_hi:[1,0,0]
	s_waitcnt vmcnt(20) lgkmcnt(2)
	v_pk_fma_f32 v[30:31], v[56:57], v[62:63], v[30:31] op_sel_hi:[0,1,1] neg_lo:[1,0,0] neg_hi:[1,0,0]
	;; [unrolled: 2-line block ×3, first 2 shown]
	ds_read2_b32 v[60:61], v53 offset0:32 offset1:33
	ds_read2_b32 v[62:63], v53 offset0:34 offset1:35
	;; [unrolled: 1-line block ×3, first 2 shown]
	s_waitcnt vmcnt(16) lgkmcnt(3)
	v_pk_fma_f32 v[12:13], v[56:57], v[66:67], v[12:13] op_sel_hi:[0,1,1] neg_lo:[1,0,0] neg_hi:[1,0,0]
	ds_read2_b32 v[66:67], v53 offset0:38 offset1:39
	s_waitcnt vmcnt(14) lgkmcnt(3)
	v_pk_fma_f32 v[32:33], v[56:57], v[60:61], v[32:33] op_sel_hi:[0,1,1] neg_lo:[1,0,0] neg_hi:[1,0,0]
	s_waitcnt vmcnt(12) lgkmcnt(2)
	v_pk_fma_f32 v[22:23], v[56:57], v[62:63], v[22:23] op_sel_hi:[0,1,1] neg_lo:[1,0,0] neg_hi:[1,0,0]
	;; [unrolled: 2-line block ×3, first 2 shown]
	ds_read2_b32 v[60:61], v53 offset0:40 offset1:41
	ds_read2_b32 v[62:63], v53 offset0:42 offset1:43
	;; [unrolled: 1-line block ×4, first 2 shown]
	s_waitcnt vmcnt(8) lgkmcnt(4)
	v_pk_fma_f32 v[0:1], v[56:57], v[66:67], v[0:1] op_sel_hi:[0,1,1] neg_lo:[1,0,0] neg_hi:[1,0,0]
	s_waitcnt vmcnt(6) lgkmcnt(3)
	v_pk_fma_f32 v[24:25], v[56:57], v[60:61], v[24:25] op_sel_hi:[0,1,1] neg_lo:[1,0,0] neg_hi:[1,0,0]
	s_waitcnt vmcnt(4) lgkmcnt(2)
	v_pk_fma_f32 v[16:17], v[56:57], v[62:63], v[16:17] op_sel_hi:[0,1,1] neg_lo:[1,0,0] neg_hi:[1,0,0]
	s_waitcnt vmcnt(2) lgkmcnt(1)
	v_pk_fma_f32 v[8:9], v[56:57], v[64:65], v[8:9] op_sel_hi:[0,1,1] neg_lo:[1,0,0] neg_hi:[1,0,0]
	s_waitcnt vmcnt(0) lgkmcnt(0)
	v_pk_fma_f32 v[10:11], v[56:57], v[68:69], v[10:11] op_sel_hi:[0,1,1] neg_lo:[1,0,0] neg_hi:[1,0,0]
	v_mov_b32_e32 v19, v56
.LBB94_403:
	s_or_b64 exec, exec, s[0:1]
	v_lshl_add_u32 v56, v59, 2, v53
	s_barrier
	s_waitcnt vmcnt(23)
	ds_write_b32 v56, v40
	s_waitcnt lgkmcnt(0)
	s_barrier
	ds_read_b32 v58, v53 offset:96
	s_cmp_lt_i32 s22, 26
	v_mov_b32_e32 v56, 24
	s_cbranch_scc1 .LBB94_406
; %bb.404:
	v_add_u32_e32 v60, 0x64, v53
	v_mov_b32_e32 v56, 24
	s_mov_b32 s0, 25
.LBB94_405:                             ; =>This Inner Loop Header: Depth=1
	ds_read_b32 v61, v60
	v_mov_b32_e32 v62, s0
	s_add_i32 s0, s0, 1
	v_add_u32_e32 v60, 4, v60
	s_cmp_lg_u32 s22, s0
	s_waitcnt lgkmcnt(0)
	v_cmp_lt_f32_e64 vcc, |v58|, |v61|
	s_nop 1
	v_cndmask_b32_e32 v58, v58, v61, vcc
	v_cndmask_b32_e32 v56, v56, v62, vcc
	s_cbranch_scc1 .LBB94_405
.LBB94_406:
	s_waitcnt lgkmcnt(0)
	v_cmp_eq_f32_e32 vcc, 0, v58
	s_and_saveexec_b64 s[0:1], vcc
	s_xor_b64 s[0:1], exec, s[0:1]
; %bb.407:
	v_cmp_ne_u32_e32 vcc, 0, v55
	s_nop 1
	v_cndmask_b32_e32 v55, 25, v55, vcc
; %bb.408:
	s_andn2_saveexec_b64 s[0:1], s[0:1]
	s_cbranch_execz .LBB94_410
; %bb.409:
	v_div_scale_f32 v60, s[2:3], v58, v58, 1.0
	v_rcp_f32_e32 v61, v60
	v_div_scale_f32 v62, vcc, 1.0, v58, 1.0
	v_fma_f32 v63, -v60, v61, 1.0
	v_fmac_f32_e32 v61, v63, v61
	v_mul_f32_e32 v63, v62, v61
	v_fma_f32 v64, -v60, v63, v62
	v_fmac_f32_e32 v63, v64, v61
	v_fma_f32 v60, -v60, v63, v62
	v_div_fmas_f32 v60, v60, v61, v63
	v_div_fixup_f32 v58, v60, v58, 1.0
.LBB94_410:
	s_or_b64 exec, exec, s[0:1]
	v_cmp_ne_u32_e32 vcc, v59, v56
	s_and_saveexec_b64 s[0:1], vcc
	s_xor_b64 s[0:1], exec, s[0:1]
	s_cbranch_execz .LBB94_416
; %bb.411:
	v_cmp_eq_u32_e32 vcc, 24, v59
	s_and_saveexec_b64 s[2:3], vcc
	s_cbranch_execz .LBB94_415
; %bb.412:
	v_cmp_ne_u32_e32 vcc, 24, v56
	s_xor_b64 s[12:13], s[20:21], -1
	s_and_b64 s[14:15], s[12:13], vcc
	s_and_saveexec_b64 s[12:13], s[14:15]
	s_cbranch_execz .LBB94_414
; %bb.413:
	v_ashrrev_i32_e32 v57, 31, v56
	v_lshl_add_u64 v[60:61], v[56:57], 2, v[4:5]
	global_load_dword v57, v[60:61], off
	global_load_dword v59, v[4:5], off offset:96
	s_waitcnt vmcnt(1)
	global_store_dword v[4:5], v57, off offset:96
	s_waitcnt vmcnt(1)
	global_store_dword v[60:61], v59, off
.LBB94_414:
	s_or_b64 exec, exec, s[12:13]
	v_mov_b32_e32 v57, v56
	v_mov_b32_e32 v59, v56
.LBB94_415:
	s_or_b64 exec, exec, s[2:3]
.LBB94_416:
	s_andn2_saveexec_b64 s[0:1], s[0:1]
	s_cbranch_execz .LBB94_418
; %bb.417:
	s_waitcnt vmcnt(20)
	v_pk_mov_b32 v[60:61], v[40:41], v[30:31] op_sel:[1,0]
	ds_write2_b32 v53, v60, v61 offset0:25 offset1:26
	s_waitcnt vmcnt(18)
	v_pk_mov_b32 v[60:61], v[30:31], v[20:21] op_sel:[1,0]
	ds_write2_b32 v53, v60, v61 offset0:27 offset1:28
	;; [unrolled: 3-line block ×10, first 2 shown]
	s_waitcnt vmcnt(0)
	v_pk_mov_b32 v[60:61], v[8:9], v[10:11] op_sel:[1,0]
	v_mov_b32_e32 v59, 24
	ds_write2_b32 v53, v60, v61 offset0:45 offset1:46
	ds_write_b32 v53, v11 offset:188
.LBB94_418:
	s_or_b64 exec, exec, s[0:1]
	v_cmp_lt_i32_e32 vcc, 24, v59
	s_waitcnt lgkmcnt(0)
	s_barrier
	s_and_saveexec_b64 s[0:1], vcc
	s_cbranch_execz .LBB94_420
; %bb.419:
	ds_read_b32 v56, v53 offset:100
	ds_read2_b32 v[60:61], v53 offset0:26 offset1:27
	ds_read2_b32 v[62:63], v53 offset0:28 offset1:29
	v_mul_f32_e32 v40, v58, v40
	ds_read2_b32 v[64:65], v53 offset0:30 offset1:31
	s_waitcnt vmcnt(22) lgkmcnt(3)
	v_fma_f32 v41, -v40, v56, v41
	s_waitcnt vmcnt(20) lgkmcnt(2)
	v_pk_fma_f32 v[30:31], v[40:41], v[60:61], v[30:31] op_sel_hi:[0,1,1] neg_lo:[1,0,0] neg_hi:[1,0,0]
	s_waitcnt vmcnt(18) lgkmcnt(1)
	v_pk_fma_f32 v[20:21], v[40:41], v[62:63], v[20:21] op_sel_hi:[0,1,1] neg_lo:[1,0,0] neg_hi:[1,0,0]
	ds_read2_b32 v[60:61], v53 offset0:32 offset1:33
	ds_read2_b32 v[62:63], v53 offset0:34 offset1:35
	;; [unrolled: 1-line block ×3, first 2 shown]
	s_waitcnt vmcnt(16) lgkmcnt(3)
	v_pk_fma_f32 v[12:13], v[40:41], v[64:65], v[12:13] op_sel_hi:[0,1,1] neg_lo:[1,0,0] neg_hi:[1,0,0]
	ds_read2_b32 v[64:65], v53 offset0:38 offset1:39
	s_waitcnt vmcnt(14) lgkmcnt(3)
	v_pk_fma_f32 v[32:33], v[40:41], v[60:61], v[32:33] op_sel_hi:[0,1,1] neg_lo:[1,0,0] neg_hi:[1,0,0]
	s_waitcnt vmcnt(12) lgkmcnt(2)
	v_pk_fma_f32 v[22:23], v[40:41], v[62:63], v[22:23] op_sel_hi:[0,1,1] neg_lo:[1,0,0] neg_hi:[1,0,0]
	;; [unrolled: 2-line block ×3, first 2 shown]
	ds_read2_b32 v[60:61], v53 offset0:40 offset1:41
	ds_read2_b32 v[62:63], v53 offset0:42 offset1:43
	;; [unrolled: 1-line block ×4, first 2 shown]
	s_waitcnt vmcnt(8) lgkmcnt(4)
	v_pk_fma_f32 v[0:1], v[40:41], v[64:65], v[0:1] op_sel_hi:[0,1,1] neg_lo:[1,0,0] neg_hi:[1,0,0]
	s_waitcnt vmcnt(6) lgkmcnt(3)
	v_pk_fma_f32 v[24:25], v[40:41], v[60:61], v[24:25] op_sel_hi:[0,1,1] neg_lo:[1,0,0] neg_hi:[1,0,0]
	;; [unrolled: 2-line block ×5, first 2 shown]
.LBB94_420:
	s_or_b64 exec, exec, s[0:1]
	v_lshl_add_u32 v56, v59, 2, v53
	s_barrier
	s_waitcnt vmcnt(22)
	ds_write_b32 v56, v41
	s_waitcnt lgkmcnt(0)
	s_barrier
	ds_read_b32 v58, v53 offset:100
	s_cmp_lt_i32 s22, 27
	v_mov_b32_e32 v56, 25
	s_cbranch_scc1 .LBB94_423
; %bb.421:
	v_add_u32_e32 v60, 0x68, v53
	v_mov_b32_e32 v56, 25
	s_mov_b32 s0, 26
.LBB94_422:                             ; =>This Inner Loop Header: Depth=1
	ds_read_b32 v61, v60
	v_mov_b32_e32 v62, s0
	s_add_i32 s0, s0, 1
	v_add_u32_e32 v60, 4, v60
	s_cmp_lg_u32 s22, s0
	s_waitcnt lgkmcnt(0)
	v_cmp_lt_f32_e64 vcc, |v58|, |v61|
	s_nop 1
	v_cndmask_b32_e32 v58, v58, v61, vcc
	v_cndmask_b32_e32 v56, v56, v62, vcc
	s_cbranch_scc1 .LBB94_422
.LBB94_423:
	s_waitcnt lgkmcnt(0)
	v_cmp_eq_f32_e32 vcc, 0, v58
	s_and_saveexec_b64 s[0:1], vcc
	s_xor_b64 s[0:1], exec, s[0:1]
; %bb.424:
	v_cmp_ne_u32_e32 vcc, 0, v55
	s_nop 1
	v_cndmask_b32_e32 v55, 26, v55, vcc
; %bb.425:
	s_andn2_saveexec_b64 s[0:1], s[0:1]
	s_cbranch_execz .LBB94_427
; %bb.426:
	v_div_scale_f32 v60, s[2:3], v58, v58, 1.0
	v_rcp_f32_e32 v61, v60
	v_div_scale_f32 v62, vcc, 1.0, v58, 1.0
	v_fma_f32 v63, -v60, v61, 1.0
	v_fmac_f32_e32 v61, v63, v61
	v_mul_f32_e32 v63, v62, v61
	v_fma_f32 v64, -v60, v63, v62
	v_fmac_f32_e32 v63, v64, v61
	v_fma_f32 v60, -v60, v63, v62
	v_div_fmas_f32 v60, v60, v61, v63
	v_div_fixup_f32 v58, v60, v58, 1.0
.LBB94_427:
	s_or_b64 exec, exec, s[0:1]
	v_cmp_ne_u32_e32 vcc, v59, v56
	s_and_saveexec_b64 s[0:1], vcc
	s_xor_b64 s[0:1], exec, s[0:1]
	s_cbranch_execz .LBB94_433
; %bb.428:
	v_cmp_eq_u32_e32 vcc, 25, v59
	s_and_saveexec_b64 s[2:3], vcc
	s_cbranch_execz .LBB94_432
; %bb.429:
	v_cmp_ne_u32_e32 vcc, 25, v56
	s_xor_b64 s[12:13], s[20:21], -1
	s_and_b64 s[14:15], s[12:13], vcc
	s_and_saveexec_b64 s[12:13], s[14:15]
	s_cbranch_execz .LBB94_431
; %bb.430:
	v_ashrrev_i32_e32 v57, 31, v56
	v_lshl_add_u64 v[60:61], v[56:57], 2, v[4:5]
	global_load_dword v57, v[60:61], off
	global_load_dword v59, v[4:5], off offset:100
	s_waitcnt vmcnt(1)
	global_store_dword v[4:5], v57, off offset:100
	s_waitcnt vmcnt(1)
	global_store_dword v[60:61], v59, off
.LBB94_431:
	s_or_b64 exec, exec, s[12:13]
	v_mov_b32_e32 v57, v56
	v_mov_b32_e32 v59, v56
.LBB94_432:
	s_or_b64 exec, exec, s[2:3]
.LBB94_433:
	s_andn2_saveexec_b64 s[0:1], s[0:1]
	s_cbranch_execz .LBB94_435
; %bb.434:
	v_mov_b32_e32 v59, 25
	s_waitcnt vmcnt(20)
	ds_write2_b32 v53, v30, v31 offset0:26 offset1:27
	s_waitcnt vmcnt(18)
	ds_write2_b32 v53, v20, v21 offset0:28 offset1:29
	;; [unrolled: 2-line block ×11, first 2 shown]
.LBB94_435:
	s_or_b64 exec, exec, s[0:1]
	v_cmp_lt_i32_e32 vcc, 25, v59
	s_waitcnt lgkmcnt(0)
	s_barrier
	s_and_saveexec_b64 s[0:1], vcc
	s_cbranch_execz .LBB94_437
; %bb.436:
	ds_read2_b32 v[60:61], v53 offset0:26 offset1:27
	ds_read2_b32 v[62:63], v53 offset0:28 offset1:29
	;; [unrolled: 1-line block ×3, first 2 shown]
	v_mul_f32_e32 v56, v58, v41
	ds_read2_b32 v[66:67], v53 offset0:32 offset1:33
	s_waitcnt vmcnt(20) lgkmcnt(3)
	v_pk_fma_f32 v[30:31], v[56:57], v[60:61], v[30:31] op_sel_hi:[0,1,1] neg_lo:[1,0,0] neg_hi:[1,0,0]
	s_waitcnt vmcnt(18) lgkmcnt(2)
	v_pk_fma_f32 v[20:21], v[56:57], v[62:63], v[20:21] op_sel_hi:[0,1,1] neg_lo:[1,0,0] neg_hi:[1,0,0]
	ds_read2_b32 v[60:61], v53 offset0:34 offset1:35
	ds_read2_b32 v[62:63], v53 offset0:36 offset1:37
	s_waitcnt vmcnt(16) lgkmcnt(3)
	v_pk_fma_f32 v[12:13], v[56:57], v[64:65], v[12:13] op_sel_hi:[0,1,1] neg_lo:[1,0,0] neg_hi:[1,0,0]
	s_waitcnt vmcnt(14) lgkmcnt(2)
	v_pk_fma_f32 v[32:33], v[56:57], v[66:67], v[32:33] op_sel_hi:[0,1,1] neg_lo:[1,0,0] neg_hi:[1,0,0]
	ds_read2_b32 v[64:65], v53 offset0:38 offset1:39
	;; [unrolled: 6-line block ×3, first 2 shown]
	ds_read2_b32 v[62:63], v53 offset0:44 offset1:45
	ds_read2_b32 v[68:69], v53 offset0:46 offset1:47
	s_waitcnt vmcnt(8) lgkmcnt(4)
	v_pk_fma_f32 v[0:1], v[56:57], v[64:65], v[0:1] op_sel_hi:[0,1,1] neg_lo:[1,0,0] neg_hi:[1,0,0]
	s_waitcnt vmcnt(6) lgkmcnt(3)
	v_pk_fma_f32 v[24:25], v[56:57], v[66:67], v[24:25] op_sel_hi:[0,1,1] neg_lo:[1,0,0] neg_hi:[1,0,0]
	;; [unrolled: 2-line block ×5, first 2 shown]
	v_mov_b32_e32 v41, v56
.LBB94_437:
	s_or_b64 exec, exec, s[0:1]
	v_lshl_add_u32 v56, v59, 2, v53
	s_barrier
	s_waitcnt vmcnt(21)
	ds_write_b32 v56, v30
	s_waitcnt lgkmcnt(0)
	s_barrier
	ds_read_b32 v58, v53 offset:104
	s_cmp_lt_i32 s22, 28
	v_mov_b32_e32 v56, 26
	s_cbranch_scc1 .LBB94_440
; %bb.438:
	v_add_u32_e32 v60, 0x6c, v53
	v_mov_b32_e32 v56, 26
	s_mov_b32 s0, 27
.LBB94_439:                             ; =>This Inner Loop Header: Depth=1
	ds_read_b32 v61, v60
	v_mov_b32_e32 v62, s0
	s_add_i32 s0, s0, 1
	v_add_u32_e32 v60, 4, v60
	s_cmp_lg_u32 s22, s0
	s_waitcnt lgkmcnt(0)
	v_cmp_lt_f32_e64 vcc, |v58|, |v61|
	s_nop 1
	v_cndmask_b32_e32 v58, v58, v61, vcc
	v_cndmask_b32_e32 v56, v56, v62, vcc
	s_cbranch_scc1 .LBB94_439
.LBB94_440:
	s_waitcnt lgkmcnt(0)
	v_cmp_eq_f32_e32 vcc, 0, v58
	s_and_saveexec_b64 s[0:1], vcc
	s_xor_b64 s[0:1], exec, s[0:1]
; %bb.441:
	v_cmp_ne_u32_e32 vcc, 0, v55
	s_nop 1
	v_cndmask_b32_e32 v55, 27, v55, vcc
; %bb.442:
	s_andn2_saveexec_b64 s[0:1], s[0:1]
	s_cbranch_execz .LBB94_444
; %bb.443:
	v_div_scale_f32 v60, s[2:3], v58, v58, 1.0
	v_rcp_f32_e32 v61, v60
	v_div_scale_f32 v62, vcc, 1.0, v58, 1.0
	v_fma_f32 v63, -v60, v61, 1.0
	v_fmac_f32_e32 v61, v63, v61
	v_mul_f32_e32 v63, v62, v61
	v_fma_f32 v64, -v60, v63, v62
	v_fmac_f32_e32 v63, v64, v61
	v_fma_f32 v60, -v60, v63, v62
	v_div_fmas_f32 v60, v60, v61, v63
	v_div_fixup_f32 v58, v60, v58, 1.0
.LBB94_444:
	s_or_b64 exec, exec, s[0:1]
	v_cmp_ne_u32_e32 vcc, v59, v56
	s_and_saveexec_b64 s[0:1], vcc
	s_xor_b64 s[0:1], exec, s[0:1]
	s_cbranch_execz .LBB94_450
; %bb.445:
	v_cmp_eq_u32_e32 vcc, 26, v59
	s_and_saveexec_b64 s[2:3], vcc
	s_cbranch_execz .LBB94_449
; %bb.446:
	v_cmp_ne_u32_e32 vcc, 26, v56
	s_xor_b64 s[12:13], s[20:21], -1
	s_and_b64 s[14:15], s[12:13], vcc
	s_and_saveexec_b64 s[12:13], s[14:15]
	s_cbranch_execz .LBB94_448
; %bb.447:
	v_ashrrev_i32_e32 v57, 31, v56
	v_lshl_add_u64 v[60:61], v[56:57], 2, v[4:5]
	global_load_dword v57, v[60:61], off
	global_load_dword v59, v[4:5], off offset:104
	s_waitcnt vmcnt(1)
	global_store_dword v[4:5], v57, off offset:104
	s_waitcnt vmcnt(1)
	global_store_dword v[60:61], v59, off
.LBB94_448:
	s_or_b64 exec, exec, s[12:13]
	v_mov_b32_e32 v57, v56
	v_mov_b32_e32 v59, v56
.LBB94_449:
	s_or_b64 exec, exec, s[2:3]
.LBB94_450:
	s_andn2_saveexec_b64 s[0:1], s[0:1]
	s_cbranch_execz .LBB94_452
; %bb.451:
	s_waitcnt vmcnt(18)
	v_pk_mov_b32 v[60:61], v[30:31], v[20:21] op_sel:[1,0]
	ds_write2_b32 v53, v60, v61 offset0:27 offset1:28
	s_waitcnt vmcnt(16)
	v_pk_mov_b32 v[60:61], v[20:21], v[12:13] op_sel:[1,0]
	ds_write2_b32 v53, v60, v61 offset0:29 offset1:30
	;; [unrolled: 3-line block ×9, first 2 shown]
	s_waitcnt vmcnt(0)
	v_pk_mov_b32 v[60:61], v[8:9], v[10:11] op_sel:[1,0]
	v_mov_b32_e32 v59, 26
	ds_write2_b32 v53, v60, v61 offset0:45 offset1:46
	ds_write_b32 v53, v11 offset:188
.LBB94_452:
	s_or_b64 exec, exec, s[0:1]
	v_cmp_lt_i32_e32 vcc, 26, v59
	s_waitcnt lgkmcnt(0)
	s_barrier
	s_and_saveexec_b64 s[0:1], vcc
	s_cbranch_execz .LBB94_454
; %bb.453:
	ds_read_b32 v56, v53 offset:108
	ds_read2_b32 v[60:61], v53 offset0:28 offset1:29
	ds_read2_b32 v[62:63], v53 offset0:30 offset1:31
	v_mul_f32_e32 v30, v58, v30
	ds_read2_b32 v[64:65], v53 offset0:32 offset1:33
	s_waitcnt vmcnt(20) lgkmcnt(3)
	v_fma_f32 v31, -v30, v56, v31
	s_waitcnt vmcnt(18) lgkmcnt(2)
	v_pk_fma_f32 v[20:21], v[30:31], v[60:61], v[20:21] op_sel_hi:[0,1,1] neg_lo:[1,0,0] neg_hi:[1,0,0]
	s_waitcnt vmcnt(16) lgkmcnt(1)
	v_pk_fma_f32 v[12:13], v[30:31], v[62:63], v[12:13] op_sel_hi:[0,1,1] neg_lo:[1,0,0] neg_hi:[1,0,0]
	ds_read2_b32 v[60:61], v53 offset0:34 offset1:35
	ds_read2_b32 v[62:63], v53 offset0:36 offset1:37
	s_waitcnt vmcnt(14) lgkmcnt(2)
	v_pk_fma_f32 v[32:33], v[30:31], v[64:65], v[32:33] op_sel_hi:[0,1,1] neg_lo:[1,0,0] neg_hi:[1,0,0]
	ds_read2_b32 v[64:65], v53 offset0:38 offset1:39
	ds_read2_b32 v[66:67], v53 offset0:40 offset1:41
	s_waitcnt vmcnt(12) lgkmcnt(3)
	v_pk_fma_f32 v[22:23], v[30:31], v[60:61], v[22:23] op_sel_hi:[0,1,1] neg_lo:[1,0,0] neg_hi:[1,0,0]
	s_waitcnt vmcnt(10) lgkmcnt(2)
	v_pk_fma_f32 v[14:15], v[30:31], v[62:63], v[14:15] op_sel_hi:[0,1,1] neg_lo:[1,0,0] neg_hi:[1,0,0]
	ds_read2_b32 v[60:61], v53 offset0:42 offset1:43
	ds_read2_b32 v[62:63], v53 offset0:44 offset1:45
	;; [unrolled: 1-line block ×3, first 2 shown]
	s_waitcnt vmcnt(8) lgkmcnt(4)
	v_pk_fma_f32 v[0:1], v[30:31], v[64:65], v[0:1] op_sel_hi:[0,1,1] neg_lo:[1,0,0] neg_hi:[1,0,0]
	s_waitcnt vmcnt(6) lgkmcnt(3)
	v_pk_fma_f32 v[24:25], v[30:31], v[66:67], v[24:25] op_sel_hi:[0,1,1] neg_lo:[1,0,0] neg_hi:[1,0,0]
	;; [unrolled: 2-line block ×5, first 2 shown]
.LBB94_454:
	s_or_b64 exec, exec, s[0:1]
	v_lshl_add_u32 v56, v59, 2, v53
	s_barrier
	s_waitcnt vmcnt(20)
	ds_write_b32 v56, v31
	s_waitcnt lgkmcnt(0)
	s_barrier
	ds_read_b32 v58, v53 offset:108
	s_cmp_lt_i32 s22, 29
	v_mov_b32_e32 v56, 27
	s_cbranch_scc1 .LBB94_457
; %bb.455:
	v_add_u32_e32 v60, 0x70, v53
	v_mov_b32_e32 v56, 27
	s_mov_b32 s0, 28
.LBB94_456:                             ; =>This Inner Loop Header: Depth=1
	ds_read_b32 v61, v60
	v_mov_b32_e32 v62, s0
	s_add_i32 s0, s0, 1
	v_add_u32_e32 v60, 4, v60
	s_cmp_lg_u32 s22, s0
	s_waitcnt lgkmcnt(0)
	v_cmp_lt_f32_e64 vcc, |v58|, |v61|
	s_nop 1
	v_cndmask_b32_e32 v58, v58, v61, vcc
	v_cndmask_b32_e32 v56, v56, v62, vcc
	s_cbranch_scc1 .LBB94_456
.LBB94_457:
	s_waitcnt lgkmcnt(0)
	v_cmp_eq_f32_e32 vcc, 0, v58
	s_and_saveexec_b64 s[0:1], vcc
	s_xor_b64 s[0:1], exec, s[0:1]
; %bb.458:
	v_cmp_ne_u32_e32 vcc, 0, v55
	s_nop 1
	v_cndmask_b32_e32 v55, 28, v55, vcc
; %bb.459:
	s_andn2_saveexec_b64 s[0:1], s[0:1]
	s_cbranch_execz .LBB94_461
; %bb.460:
	v_div_scale_f32 v60, s[2:3], v58, v58, 1.0
	v_rcp_f32_e32 v61, v60
	v_div_scale_f32 v62, vcc, 1.0, v58, 1.0
	v_fma_f32 v63, -v60, v61, 1.0
	v_fmac_f32_e32 v61, v63, v61
	v_mul_f32_e32 v63, v62, v61
	v_fma_f32 v64, -v60, v63, v62
	v_fmac_f32_e32 v63, v64, v61
	v_fma_f32 v60, -v60, v63, v62
	v_div_fmas_f32 v60, v60, v61, v63
	v_div_fixup_f32 v58, v60, v58, 1.0
.LBB94_461:
	s_or_b64 exec, exec, s[0:1]
	v_cmp_ne_u32_e32 vcc, v59, v56
	s_and_saveexec_b64 s[0:1], vcc
	s_xor_b64 s[0:1], exec, s[0:1]
	s_cbranch_execz .LBB94_467
; %bb.462:
	v_cmp_eq_u32_e32 vcc, 27, v59
	s_and_saveexec_b64 s[2:3], vcc
	s_cbranch_execz .LBB94_466
; %bb.463:
	v_cmp_ne_u32_e32 vcc, 27, v56
	s_xor_b64 s[12:13], s[20:21], -1
	s_and_b64 s[14:15], s[12:13], vcc
	s_and_saveexec_b64 s[12:13], s[14:15]
	s_cbranch_execz .LBB94_465
; %bb.464:
	v_ashrrev_i32_e32 v57, 31, v56
	v_lshl_add_u64 v[60:61], v[56:57], 2, v[4:5]
	global_load_dword v57, v[60:61], off
	global_load_dword v59, v[4:5], off offset:108
	s_waitcnt vmcnt(1)
	global_store_dword v[4:5], v57, off offset:108
	s_waitcnt vmcnt(1)
	global_store_dword v[60:61], v59, off
.LBB94_465:
	s_or_b64 exec, exec, s[12:13]
	v_mov_b32_e32 v57, v56
	v_mov_b32_e32 v59, v56
.LBB94_466:
	s_or_b64 exec, exec, s[2:3]
.LBB94_467:
	s_andn2_saveexec_b64 s[0:1], s[0:1]
	s_cbranch_execz .LBB94_469
; %bb.468:
	v_mov_b32_e32 v59, 27
	s_waitcnt vmcnt(18)
	ds_write2_b32 v53, v20, v21 offset0:28 offset1:29
	s_waitcnt vmcnt(16)
	ds_write2_b32 v53, v12, v13 offset0:30 offset1:31
	;; [unrolled: 2-line block ×10, first 2 shown]
.LBB94_469:
	s_or_b64 exec, exec, s[0:1]
	v_cmp_lt_i32_e32 vcc, 27, v59
	s_waitcnt lgkmcnt(0)
	s_barrier
	s_and_saveexec_b64 s[0:1], vcc
	s_cbranch_execz .LBB94_471
; %bb.470:
	ds_read2_b32 v[60:61], v53 offset0:28 offset1:29
	ds_read2_b32 v[62:63], v53 offset0:30 offset1:31
	;; [unrolled: 1-line block ×3, first 2 shown]
	v_mul_f32_e32 v56, v58, v31
	ds_read2_b32 v[66:67], v53 offset0:34 offset1:35
	s_waitcnt vmcnt(18) lgkmcnt(3)
	v_pk_fma_f32 v[20:21], v[56:57], v[60:61], v[20:21] op_sel_hi:[0,1,1] neg_lo:[1,0,0] neg_hi:[1,0,0]
	ds_read2_b32 v[60:61], v53 offset0:36 offset1:37
	s_waitcnt vmcnt(16) lgkmcnt(3)
	v_pk_fma_f32 v[12:13], v[56:57], v[62:63], v[12:13] op_sel_hi:[0,1,1] neg_lo:[1,0,0] neg_hi:[1,0,0]
	s_waitcnt vmcnt(14) lgkmcnt(2)
	v_pk_fma_f32 v[32:33], v[56:57], v[64:65], v[32:33] op_sel_hi:[0,1,1] neg_lo:[1,0,0] neg_hi:[1,0,0]
	s_waitcnt vmcnt(12) lgkmcnt(1)
	v_pk_fma_f32 v[22:23], v[56:57], v[66:67], v[22:23] op_sel_hi:[0,1,1] neg_lo:[1,0,0] neg_hi:[1,0,0]
	ds_read2_b32 v[62:63], v53 offset0:38 offset1:39
	ds_read2_b32 v[64:65], v53 offset0:40 offset1:41
	;; [unrolled: 1-line block ×3, first 2 shown]
	s_waitcnt vmcnt(10) lgkmcnt(3)
	v_pk_fma_f32 v[14:15], v[56:57], v[60:61], v[14:15] op_sel_hi:[0,1,1] neg_lo:[1,0,0] neg_hi:[1,0,0]
	ds_read2_b32 v[60:61], v53 offset0:44 offset1:45
	ds_read2_b32 v[68:69], v53 offset0:46 offset1:47
	s_waitcnt vmcnt(8) lgkmcnt(4)
	v_pk_fma_f32 v[0:1], v[56:57], v[62:63], v[0:1] op_sel_hi:[0,1,1] neg_lo:[1,0,0] neg_hi:[1,0,0]
	s_waitcnt vmcnt(6) lgkmcnt(3)
	v_pk_fma_f32 v[24:25], v[56:57], v[64:65], v[24:25] op_sel_hi:[0,1,1] neg_lo:[1,0,0] neg_hi:[1,0,0]
	;; [unrolled: 2-line block ×5, first 2 shown]
	v_mov_b32_e32 v31, v56
.LBB94_471:
	s_or_b64 exec, exec, s[0:1]
	v_lshl_add_u32 v56, v59, 2, v53
	s_barrier
	s_waitcnt vmcnt(19)
	ds_write_b32 v56, v20
	s_waitcnt lgkmcnt(0)
	s_barrier
	ds_read_b32 v58, v53 offset:112
	s_cmp_lt_i32 s22, 30
	v_mov_b32_e32 v56, 28
	s_cbranch_scc1 .LBB94_474
; %bb.472:
	v_add_u32_e32 v60, 0x74, v53
	v_mov_b32_e32 v56, 28
	s_mov_b32 s0, 29
.LBB94_473:                             ; =>This Inner Loop Header: Depth=1
	ds_read_b32 v61, v60
	v_mov_b32_e32 v62, s0
	s_add_i32 s0, s0, 1
	v_add_u32_e32 v60, 4, v60
	s_cmp_lg_u32 s22, s0
	s_waitcnt lgkmcnt(0)
	v_cmp_lt_f32_e64 vcc, |v58|, |v61|
	s_nop 1
	v_cndmask_b32_e32 v58, v58, v61, vcc
	v_cndmask_b32_e32 v56, v56, v62, vcc
	s_cbranch_scc1 .LBB94_473
.LBB94_474:
	s_waitcnt lgkmcnt(0)
	v_cmp_eq_f32_e32 vcc, 0, v58
	s_and_saveexec_b64 s[0:1], vcc
	s_xor_b64 s[0:1], exec, s[0:1]
; %bb.475:
	v_cmp_ne_u32_e32 vcc, 0, v55
	s_nop 1
	v_cndmask_b32_e32 v55, 29, v55, vcc
; %bb.476:
	s_andn2_saveexec_b64 s[0:1], s[0:1]
	s_cbranch_execz .LBB94_478
; %bb.477:
	v_div_scale_f32 v60, s[2:3], v58, v58, 1.0
	v_rcp_f32_e32 v61, v60
	v_div_scale_f32 v62, vcc, 1.0, v58, 1.0
	v_fma_f32 v63, -v60, v61, 1.0
	v_fmac_f32_e32 v61, v63, v61
	v_mul_f32_e32 v63, v62, v61
	v_fma_f32 v64, -v60, v63, v62
	v_fmac_f32_e32 v63, v64, v61
	v_fma_f32 v60, -v60, v63, v62
	v_div_fmas_f32 v60, v60, v61, v63
	v_div_fixup_f32 v58, v60, v58, 1.0
.LBB94_478:
	s_or_b64 exec, exec, s[0:1]
	v_cmp_ne_u32_e32 vcc, v59, v56
	s_and_saveexec_b64 s[0:1], vcc
	s_xor_b64 s[0:1], exec, s[0:1]
	s_cbranch_execz .LBB94_484
; %bb.479:
	v_cmp_eq_u32_e32 vcc, 28, v59
	s_and_saveexec_b64 s[2:3], vcc
	s_cbranch_execz .LBB94_483
; %bb.480:
	v_cmp_ne_u32_e32 vcc, 28, v56
	s_xor_b64 s[12:13], s[20:21], -1
	s_and_b64 s[14:15], s[12:13], vcc
	s_and_saveexec_b64 s[12:13], s[14:15]
	s_cbranch_execz .LBB94_482
; %bb.481:
	v_ashrrev_i32_e32 v57, 31, v56
	v_lshl_add_u64 v[60:61], v[56:57], 2, v[4:5]
	global_load_dword v57, v[60:61], off
	global_load_dword v59, v[4:5], off offset:112
	s_waitcnt vmcnt(1)
	global_store_dword v[4:5], v57, off offset:112
	s_waitcnt vmcnt(1)
	global_store_dword v[60:61], v59, off
.LBB94_482:
	s_or_b64 exec, exec, s[12:13]
	v_mov_b32_e32 v57, v56
	v_mov_b32_e32 v59, v56
.LBB94_483:
	s_or_b64 exec, exec, s[2:3]
.LBB94_484:
	s_andn2_saveexec_b64 s[0:1], s[0:1]
	s_cbranch_execz .LBB94_486
; %bb.485:
	s_waitcnt vmcnt(16)
	v_pk_mov_b32 v[60:61], v[20:21], v[12:13] op_sel:[1,0]
	ds_write2_b32 v53, v60, v61 offset0:29 offset1:30
	s_waitcnt vmcnt(14)
	v_pk_mov_b32 v[60:61], v[12:13], v[32:33] op_sel:[1,0]
	ds_write2_b32 v53, v60, v61 offset0:31 offset1:32
	;; [unrolled: 3-line block ×8, first 2 shown]
	s_waitcnt vmcnt(0)
	v_pk_mov_b32 v[60:61], v[8:9], v[10:11] op_sel:[1,0]
	v_mov_b32_e32 v59, 28
	ds_write2_b32 v53, v60, v61 offset0:45 offset1:46
	ds_write_b32 v53, v11 offset:188
.LBB94_486:
	s_or_b64 exec, exec, s[0:1]
	v_cmp_lt_i32_e32 vcc, 28, v59
	s_waitcnt lgkmcnt(0)
	s_barrier
	s_and_saveexec_b64 s[0:1], vcc
	s_cbranch_execz .LBB94_488
; %bb.487:
	ds_read_b32 v56, v53 offset:116
	ds_read2_b32 v[60:61], v53 offset0:30 offset1:31
	ds_read2_b32 v[62:63], v53 offset0:32 offset1:33
	v_mul_f32_e32 v20, v58, v20
	ds_read2_b32 v[64:65], v53 offset0:34 offset1:35
	s_waitcnt vmcnt(18) lgkmcnt(3)
	v_fma_f32 v21, -v20, v56, v21
	s_waitcnt vmcnt(16) lgkmcnt(2)
	v_pk_fma_f32 v[12:13], v[20:21], v[60:61], v[12:13] op_sel_hi:[0,1,1] neg_lo:[1,0,0] neg_hi:[1,0,0]
	ds_read2_b32 v[60:61], v53 offset0:36 offset1:37
	s_waitcnt vmcnt(14) lgkmcnt(2)
	v_pk_fma_f32 v[32:33], v[20:21], v[62:63], v[32:33] op_sel_hi:[0,1,1] neg_lo:[1,0,0] neg_hi:[1,0,0]
	s_waitcnt vmcnt(12) lgkmcnt(1)
	v_pk_fma_f32 v[22:23], v[20:21], v[64:65], v[22:23] op_sel_hi:[0,1,1] neg_lo:[1,0,0] neg_hi:[1,0,0]
	ds_read2_b32 v[62:63], v53 offset0:38 offset1:39
	ds_read2_b32 v[64:65], v53 offset0:40 offset1:41
	;; [unrolled: 1-line block ×3, first 2 shown]
	s_waitcnt vmcnt(10) lgkmcnt(3)
	v_pk_fma_f32 v[14:15], v[20:21], v[60:61], v[14:15] op_sel_hi:[0,1,1] neg_lo:[1,0,0] neg_hi:[1,0,0]
	ds_read2_b32 v[60:61], v53 offset0:44 offset1:45
	ds_read2_b32 v[68:69], v53 offset0:46 offset1:47
	s_waitcnt vmcnt(8) lgkmcnt(4)
	v_pk_fma_f32 v[0:1], v[20:21], v[62:63], v[0:1] op_sel_hi:[0,1,1] neg_lo:[1,0,0] neg_hi:[1,0,0]
	s_waitcnt vmcnt(6) lgkmcnt(3)
	v_pk_fma_f32 v[24:25], v[20:21], v[64:65], v[24:25] op_sel_hi:[0,1,1] neg_lo:[1,0,0] neg_hi:[1,0,0]
	;; [unrolled: 2-line block ×5, first 2 shown]
.LBB94_488:
	s_or_b64 exec, exec, s[0:1]
	v_lshl_add_u32 v56, v59, 2, v53
	s_barrier
	s_waitcnt vmcnt(18)
	ds_write_b32 v56, v21
	s_waitcnt lgkmcnt(0)
	s_barrier
	ds_read_b32 v58, v53 offset:116
	s_cmp_lt_i32 s22, 31
	v_mov_b32_e32 v56, 29
	s_cbranch_scc1 .LBB94_491
; %bb.489:
	v_add_u32_e32 v60, 0x78, v53
	v_mov_b32_e32 v56, 29
	s_mov_b32 s0, 30
.LBB94_490:                             ; =>This Inner Loop Header: Depth=1
	ds_read_b32 v61, v60
	v_mov_b32_e32 v62, s0
	s_add_i32 s0, s0, 1
	v_add_u32_e32 v60, 4, v60
	s_cmp_lg_u32 s22, s0
	s_waitcnt lgkmcnt(0)
	v_cmp_lt_f32_e64 vcc, |v58|, |v61|
	s_nop 1
	v_cndmask_b32_e32 v58, v58, v61, vcc
	v_cndmask_b32_e32 v56, v56, v62, vcc
	s_cbranch_scc1 .LBB94_490
.LBB94_491:
	s_waitcnt lgkmcnt(0)
	v_cmp_eq_f32_e32 vcc, 0, v58
	s_and_saveexec_b64 s[0:1], vcc
	s_xor_b64 s[0:1], exec, s[0:1]
; %bb.492:
	v_cmp_ne_u32_e32 vcc, 0, v55
	s_nop 1
	v_cndmask_b32_e32 v55, 30, v55, vcc
; %bb.493:
	s_andn2_saveexec_b64 s[0:1], s[0:1]
	s_cbranch_execz .LBB94_495
; %bb.494:
	v_div_scale_f32 v60, s[2:3], v58, v58, 1.0
	v_rcp_f32_e32 v61, v60
	v_div_scale_f32 v62, vcc, 1.0, v58, 1.0
	v_fma_f32 v63, -v60, v61, 1.0
	v_fmac_f32_e32 v61, v63, v61
	v_mul_f32_e32 v63, v62, v61
	v_fma_f32 v64, -v60, v63, v62
	v_fmac_f32_e32 v63, v64, v61
	v_fma_f32 v60, -v60, v63, v62
	v_div_fmas_f32 v60, v60, v61, v63
	v_div_fixup_f32 v58, v60, v58, 1.0
.LBB94_495:
	s_or_b64 exec, exec, s[0:1]
	v_cmp_ne_u32_e32 vcc, v59, v56
	s_and_saveexec_b64 s[0:1], vcc
	s_xor_b64 s[0:1], exec, s[0:1]
	s_cbranch_execz .LBB94_501
; %bb.496:
	v_cmp_eq_u32_e32 vcc, 29, v59
	s_and_saveexec_b64 s[2:3], vcc
	s_cbranch_execz .LBB94_500
; %bb.497:
	v_cmp_ne_u32_e32 vcc, 29, v56
	s_xor_b64 s[12:13], s[20:21], -1
	s_and_b64 s[14:15], s[12:13], vcc
	s_and_saveexec_b64 s[12:13], s[14:15]
	s_cbranch_execz .LBB94_499
; %bb.498:
	v_ashrrev_i32_e32 v57, 31, v56
	v_lshl_add_u64 v[60:61], v[56:57], 2, v[4:5]
	global_load_dword v57, v[60:61], off
	global_load_dword v59, v[4:5], off offset:116
	s_waitcnt vmcnt(1)
	global_store_dword v[4:5], v57, off offset:116
	s_waitcnt vmcnt(1)
	global_store_dword v[60:61], v59, off
.LBB94_499:
	s_or_b64 exec, exec, s[12:13]
	v_mov_b32_e32 v57, v56
	v_mov_b32_e32 v59, v56
.LBB94_500:
	s_or_b64 exec, exec, s[2:3]
.LBB94_501:
	s_andn2_saveexec_b64 s[0:1], s[0:1]
	s_cbranch_execz .LBB94_503
; %bb.502:
	v_mov_b32_e32 v59, 29
	s_waitcnt vmcnt(16)
	ds_write2_b32 v53, v12, v13 offset0:30 offset1:31
	s_waitcnt vmcnt(14)
	ds_write2_b32 v53, v32, v33 offset0:32 offset1:33
	;; [unrolled: 2-line block ×9, first 2 shown]
.LBB94_503:
	s_or_b64 exec, exec, s[0:1]
	v_cmp_lt_i32_e32 vcc, 29, v59
	s_waitcnt lgkmcnt(0)
	s_barrier
	s_and_saveexec_b64 s[0:1], vcc
	s_cbranch_execz .LBB94_505
; %bb.504:
	ds_read2_b32 v[60:61], v53 offset0:30 offset1:31
	ds_read2_b32 v[62:63], v53 offset0:32 offset1:33
	;; [unrolled: 1-line block ×4, first 2 shown]
	v_mul_f32_e32 v56, v58, v21
	s_waitcnt vmcnt(16) lgkmcnt(3)
	v_pk_fma_f32 v[12:13], v[56:57], v[60:61], v[12:13] op_sel_hi:[0,1,1] neg_lo:[1,0,0] neg_hi:[1,0,0]
	s_waitcnt vmcnt(14) lgkmcnt(2)
	v_pk_fma_f32 v[32:33], v[56:57], v[62:63], v[32:33] op_sel_hi:[0,1,1] neg_lo:[1,0,0] neg_hi:[1,0,0]
	;; [unrolled: 2-line block ×4, first 2 shown]
	ds_read2_b32 v[60:61], v53 offset0:38 offset1:39
	ds_read2_b32 v[62:63], v53 offset0:40 offset1:41
	ds_read2_b32 v[64:65], v53 offset0:42 offset1:43
	ds_read2_b32 v[66:67], v53 offset0:44 offset1:45
	ds_read2_b32 v[68:69], v53 offset0:46 offset1:47
	s_waitcnt vmcnt(8) lgkmcnt(4)
	v_pk_fma_f32 v[0:1], v[56:57], v[60:61], v[0:1] op_sel_hi:[0,1,1] neg_lo:[1,0,0] neg_hi:[1,0,0]
	s_waitcnt vmcnt(6) lgkmcnt(3)
	v_pk_fma_f32 v[24:25], v[56:57], v[62:63], v[24:25] op_sel_hi:[0,1,1] neg_lo:[1,0,0] neg_hi:[1,0,0]
	;; [unrolled: 2-line block ×5, first 2 shown]
	v_mov_b32_e32 v21, v56
.LBB94_505:
	s_or_b64 exec, exec, s[0:1]
	v_lshl_add_u32 v56, v59, 2, v53
	s_barrier
	s_waitcnt vmcnt(17)
	ds_write_b32 v56, v12
	s_waitcnt lgkmcnt(0)
	s_barrier
	ds_read_b32 v58, v53 offset:120
	s_cmp_lt_i32 s22, 32
	v_mov_b32_e32 v56, 30
	s_cbranch_scc1 .LBB94_508
; %bb.506:
	v_add_u32_e32 v60, 0x7c, v53
	v_mov_b32_e32 v56, 30
	s_mov_b32 s0, 31
.LBB94_507:                             ; =>This Inner Loop Header: Depth=1
	ds_read_b32 v61, v60
	v_mov_b32_e32 v62, s0
	s_add_i32 s0, s0, 1
	v_add_u32_e32 v60, 4, v60
	s_cmp_lg_u32 s22, s0
	s_waitcnt lgkmcnt(0)
	v_cmp_lt_f32_e64 vcc, |v58|, |v61|
	s_nop 1
	v_cndmask_b32_e32 v58, v58, v61, vcc
	v_cndmask_b32_e32 v56, v56, v62, vcc
	s_cbranch_scc1 .LBB94_507
.LBB94_508:
	s_waitcnt lgkmcnt(0)
	v_cmp_eq_f32_e32 vcc, 0, v58
	s_and_saveexec_b64 s[0:1], vcc
	s_xor_b64 s[0:1], exec, s[0:1]
; %bb.509:
	v_cmp_ne_u32_e32 vcc, 0, v55
	s_nop 1
	v_cndmask_b32_e32 v55, 31, v55, vcc
; %bb.510:
	s_andn2_saveexec_b64 s[0:1], s[0:1]
	s_cbranch_execz .LBB94_512
; %bb.511:
	v_div_scale_f32 v60, s[2:3], v58, v58, 1.0
	v_rcp_f32_e32 v61, v60
	v_div_scale_f32 v62, vcc, 1.0, v58, 1.0
	v_fma_f32 v63, -v60, v61, 1.0
	v_fmac_f32_e32 v61, v63, v61
	v_mul_f32_e32 v63, v62, v61
	v_fma_f32 v64, -v60, v63, v62
	v_fmac_f32_e32 v63, v64, v61
	v_fma_f32 v60, -v60, v63, v62
	v_div_fmas_f32 v60, v60, v61, v63
	v_div_fixup_f32 v58, v60, v58, 1.0
.LBB94_512:
	s_or_b64 exec, exec, s[0:1]
	v_cmp_ne_u32_e32 vcc, v59, v56
	s_and_saveexec_b64 s[0:1], vcc
	s_xor_b64 s[0:1], exec, s[0:1]
	s_cbranch_execz .LBB94_518
; %bb.513:
	v_cmp_eq_u32_e32 vcc, 30, v59
	s_and_saveexec_b64 s[2:3], vcc
	s_cbranch_execz .LBB94_517
; %bb.514:
	v_cmp_ne_u32_e32 vcc, 30, v56
	s_xor_b64 s[12:13], s[20:21], -1
	s_and_b64 s[14:15], s[12:13], vcc
	s_and_saveexec_b64 s[12:13], s[14:15]
	s_cbranch_execz .LBB94_516
; %bb.515:
	v_ashrrev_i32_e32 v57, 31, v56
	v_lshl_add_u64 v[60:61], v[56:57], 2, v[4:5]
	global_load_dword v57, v[60:61], off
	global_load_dword v59, v[4:5], off offset:120
	s_waitcnt vmcnt(1)
	global_store_dword v[4:5], v57, off offset:120
	s_waitcnt vmcnt(1)
	global_store_dword v[60:61], v59, off
.LBB94_516:
	s_or_b64 exec, exec, s[12:13]
	v_mov_b32_e32 v57, v56
	v_mov_b32_e32 v59, v56
.LBB94_517:
	s_or_b64 exec, exec, s[2:3]
.LBB94_518:
	s_andn2_saveexec_b64 s[0:1], s[0:1]
	s_cbranch_execz .LBB94_520
; %bb.519:
	s_waitcnt vmcnt(14)
	v_pk_mov_b32 v[60:61], v[12:13], v[32:33] op_sel:[1,0]
	ds_write2_b32 v53, v60, v61 offset0:31 offset1:32
	s_waitcnt vmcnt(12)
	v_pk_mov_b32 v[60:61], v[32:33], v[22:23] op_sel:[1,0]
	ds_write2_b32 v53, v60, v61 offset0:33 offset1:34
	;; [unrolled: 3-line block ×7, first 2 shown]
	s_waitcnt vmcnt(0)
	v_pk_mov_b32 v[60:61], v[8:9], v[10:11] op_sel:[1,0]
	v_mov_b32_e32 v59, 30
	ds_write2_b32 v53, v60, v61 offset0:45 offset1:46
	ds_write_b32 v53, v11 offset:188
.LBB94_520:
	s_or_b64 exec, exec, s[0:1]
	v_cmp_lt_i32_e32 vcc, 30, v59
	s_waitcnt lgkmcnt(0)
	s_barrier
	s_and_saveexec_b64 s[0:1], vcc
	s_cbranch_execz .LBB94_522
; %bb.521:
	ds_read_b32 v56, v53 offset:124
	ds_read2_b32 v[60:61], v53 offset0:32 offset1:33
	ds_read2_b32 v[62:63], v53 offset0:34 offset1:35
	;; [unrolled: 1-line block ×3, first 2 shown]
	v_mul_f32_e32 v12, v58, v12
	s_waitcnt vmcnt(16) lgkmcnt(3)
	v_fma_f32 v13, -v12, v56, v13
	s_waitcnt vmcnt(14) lgkmcnt(2)
	v_pk_fma_f32 v[32:33], v[12:13], v[60:61], v[32:33] op_sel_hi:[0,1,1] neg_lo:[1,0,0] neg_hi:[1,0,0]
	s_waitcnt vmcnt(12) lgkmcnt(1)
	v_pk_fma_f32 v[22:23], v[12:13], v[62:63], v[22:23] op_sel_hi:[0,1,1] neg_lo:[1,0,0] neg_hi:[1,0,0]
	;; [unrolled: 2-line block ×3, first 2 shown]
	ds_read2_b32 v[60:61], v53 offset0:38 offset1:39
	ds_read2_b32 v[62:63], v53 offset0:40 offset1:41
	;; [unrolled: 1-line block ×5, first 2 shown]
	s_waitcnt vmcnt(8) lgkmcnt(4)
	v_pk_fma_f32 v[0:1], v[12:13], v[60:61], v[0:1] op_sel_hi:[0,1,1] neg_lo:[1,0,0] neg_hi:[1,0,0]
	s_waitcnt vmcnt(6) lgkmcnt(3)
	v_pk_fma_f32 v[24:25], v[12:13], v[62:63], v[24:25] op_sel_hi:[0,1,1] neg_lo:[1,0,0] neg_hi:[1,0,0]
	;; [unrolled: 2-line block ×5, first 2 shown]
.LBB94_522:
	s_or_b64 exec, exec, s[0:1]
	v_lshl_add_u32 v56, v59, 2, v53
	s_barrier
	s_waitcnt vmcnt(16)
	ds_write_b32 v56, v13
	s_waitcnt lgkmcnt(0)
	s_barrier
	ds_read_b32 v58, v53 offset:124
	s_cmp_lt_i32 s22, 33
	v_mov_b32_e32 v56, 31
	s_cbranch_scc1 .LBB94_525
; %bb.523:
	v_add_u32_e32 v60, 0x80, v53
	v_mov_b32_e32 v56, 31
	s_mov_b32 s0, 32
.LBB94_524:                             ; =>This Inner Loop Header: Depth=1
	ds_read_b32 v61, v60
	v_mov_b32_e32 v62, s0
	s_add_i32 s0, s0, 1
	v_add_u32_e32 v60, 4, v60
	s_cmp_lg_u32 s22, s0
	s_waitcnt lgkmcnt(0)
	v_cmp_lt_f32_e64 vcc, |v58|, |v61|
	s_nop 1
	v_cndmask_b32_e32 v58, v58, v61, vcc
	v_cndmask_b32_e32 v56, v56, v62, vcc
	s_cbranch_scc1 .LBB94_524
.LBB94_525:
	s_waitcnt lgkmcnt(0)
	v_cmp_eq_f32_e32 vcc, 0, v58
	s_and_saveexec_b64 s[0:1], vcc
	s_xor_b64 s[0:1], exec, s[0:1]
; %bb.526:
	v_cmp_ne_u32_e32 vcc, 0, v55
	s_nop 1
	v_cndmask_b32_e32 v55, 32, v55, vcc
; %bb.527:
	s_andn2_saveexec_b64 s[0:1], s[0:1]
	s_cbranch_execz .LBB94_529
; %bb.528:
	v_div_scale_f32 v60, s[2:3], v58, v58, 1.0
	v_rcp_f32_e32 v61, v60
	v_div_scale_f32 v62, vcc, 1.0, v58, 1.0
	v_fma_f32 v63, -v60, v61, 1.0
	v_fmac_f32_e32 v61, v63, v61
	v_mul_f32_e32 v63, v62, v61
	v_fma_f32 v64, -v60, v63, v62
	v_fmac_f32_e32 v63, v64, v61
	v_fma_f32 v60, -v60, v63, v62
	v_div_fmas_f32 v60, v60, v61, v63
	v_div_fixup_f32 v58, v60, v58, 1.0
.LBB94_529:
	s_or_b64 exec, exec, s[0:1]
	v_cmp_ne_u32_e32 vcc, v59, v56
	s_and_saveexec_b64 s[0:1], vcc
	s_xor_b64 s[0:1], exec, s[0:1]
	s_cbranch_execz .LBB94_535
; %bb.530:
	v_cmp_eq_u32_e32 vcc, 31, v59
	s_and_saveexec_b64 s[2:3], vcc
	s_cbranch_execz .LBB94_534
; %bb.531:
	v_cmp_ne_u32_e32 vcc, 31, v56
	s_xor_b64 s[12:13], s[20:21], -1
	s_and_b64 s[14:15], s[12:13], vcc
	s_and_saveexec_b64 s[12:13], s[14:15]
	s_cbranch_execz .LBB94_533
; %bb.532:
	v_ashrrev_i32_e32 v57, 31, v56
	v_lshl_add_u64 v[60:61], v[56:57], 2, v[4:5]
	global_load_dword v57, v[60:61], off
	global_load_dword v59, v[4:5], off offset:124
	s_waitcnt vmcnt(1)
	global_store_dword v[4:5], v57, off offset:124
	s_waitcnt vmcnt(1)
	global_store_dword v[60:61], v59, off
.LBB94_533:
	s_or_b64 exec, exec, s[12:13]
	v_mov_b32_e32 v57, v56
	v_mov_b32_e32 v59, v56
.LBB94_534:
	s_or_b64 exec, exec, s[2:3]
.LBB94_535:
	s_andn2_saveexec_b64 s[0:1], s[0:1]
	s_cbranch_execz .LBB94_537
; %bb.536:
	v_mov_b32_e32 v59, 31
	s_waitcnt vmcnt(14)
	ds_write2_b32 v53, v32, v33 offset0:32 offset1:33
	s_waitcnt vmcnt(12)
	ds_write2_b32 v53, v22, v23 offset0:34 offset1:35
	;; [unrolled: 2-line block ×8, first 2 shown]
.LBB94_537:
	s_or_b64 exec, exec, s[0:1]
	v_cmp_lt_i32_e32 vcc, 31, v59
	s_waitcnt lgkmcnt(0)
	s_barrier
	s_and_saveexec_b64 s[0:1], vcc
	s_cbranch_execz .LBB94_539
; %bb.538:
	ds_read2_b32 v[60:61], v53 offset0:32 offset1:33
	ds_read2_b32 v[62:63], v53 offset0:34 offset1:35
	;; [unrolled: 1-line block ×3, first 2 shown]
	v_mul_f32_e32 v56, v58, v13
	ds_read2_b32 v[66:67], v53 offset0:38 offset1:39
	s_waitcnt vmcnt(14) lgkmcnt(3)
	v_pk_fma_f32 v[32:33], v[56:57], v[60:61], v[32:33] op_sel_hi:[0,1,1] neg_lo:[1,0,0] neg_hi:[1,0,0]
	s_waitcnt vmcnt(12) lgkmcnt(2)
	v_pk_fma_f32 v[22:23], v[56:57], v[62:63], v[22:23] op_sel_hi:[0,1,1] neg_lo:[1,0,0] neg_hi:[1,0,0]
	;; [unrolled: 2-line block ×3, first 2 shown]
	ds_read2_b32 v[60:61], v53 offset0:40 offset1:41
	ds_read2_b32 v[62:63], v53 offset0:42 offset1:43
	;; [unrolled: 1-line block ×4, first 2 shown]
	s_waitcnt vmcnt(8) lgkmcnt(4)
	v_pk_fma_f32 v[0:1], v[56:57], v[66:67], v[0:1] op_sel_hi:[0,1,1] neg_lo:[1,0,0] neg_hi:[1,0,0]
	s_waitcnt vmcnt(6) lgkmcnt(3)
	v_pk_fma_f32 v[24:25], v[56:57], v[60:61], v[24:25] op_sel_hi:[0,1,1] neg_lo:[1,0,0] neg_hi:[1,0,0]
	;; [unrolled: 2-line block ×5, first 2 shown]
	v_mov_b32_e32 v13, v56
.LBB94_539:
	s_or_b64 exec, exec, s[0:1]
	v_lshl_add_u32 v56, v59, 2, v53
	s_barrier
	s_waitcnt vmcnt(15)
	ds_write_b32 v56, v32
	s_waitcnt lgkmcnt(0)
	s_barrier
	ds_read_b32 v58, v53 offset:128
	s_cmp_lt_i32 s22, 34
	v_mov_b32_e32 v56, 32
	s_cbranch_scc1 .LBB94_542
; %bb.540:
	v_add_u32_e32 v60, 0x84, v53
	v_mov_b32_e32 v56, 32
	s_mov_b32 s0, 33
.LBB94_541:                             ; =>This Inner Loop Header: Depth=1
	ds_read_b32 v61, v60
	v_mov_b32_e32 v62, s0
	s_add_i32 s0, s0, 1
	v_add_u32_e32 v60, 4, v60
	s_cmp_lg_u32 s22, s0
	s_waitcnt lgkmcnt(0)
	v_cmp_lt_f32_e64 vcc, |v58|, |v61|
	s_nop 1
	v_cndmask_b32_e32 v58, v58, v61, vcc
	v_cndmask_b32_e32 v56, v56, v62, vcc
	s_cbranch_scc1 .LBB94_541
.LBB94_542:
	s_waitcnt lgkmcnt(0)
	v_cmp_eq_f32_e32 vcc, 0, v58
	s_and_saveexec_b64 s[0:1], vcc
	s_xor_b64 s[0:1], exec, s[0:1]
; %bb.543:
	v_cmp_ne_u32_e32 vcc, 0, v55
	s_nop 1
	v_cndmask_b32_e32 v55, 33, v55, vcc
; %bb.544:
	s_andn2_saveexec_b64 s[0:1], s[0:1]
	s_cbranch_execz .LBB94_546
; %bb.545:
	v_div_scale_f32 v60, s[2:3], v58, v58, 1.0
	v_rcp_f32_e32 v61, v60
	v_div_scale_f32 v62, vcc, 1.0, v58, 1.0
	v_fma_f32 v63, -v60, v61, 1.0
	v_fmac_f32_e32 v61, v63, v61
	v_mul_f32_e32 v63, v62, v61
	v_fma_f32 v64, -v60, v63, v62
	v_fmac_f32_e32 v63, v64, v61
	v_fma_f32 v60, -v60, v63, v62
	v_div_fmas_f32 v60, v60, v61, v63
	v_div_fixup_f32 v58, v60, v58, 1.0
.LBB94_546:
	s_or_b64 exec, exec, s[0:1]
	v_cmp_ne_u32_e32 vcc, v59, v56
	s_and_saveexec_b64 s[0:1], vcc
	s_xor_b64 s[0:1], exec, s[0:1]
	s_cbranch_execz .LBB94_552
; %bb.547:
	v_cmp_eq_u32_e32 vcc, 32, v59
	s_and_saveexec_b64 s[2:3], vcc
	s_cbranch_execz .LBB94_551
; %bb.548:
	v_cmp_ne_u32_e32 vcc, 32, v56
	s_xor_b64 s[12:13], s[20:21], -1
	s_and_b64 s[14:15], s[12:13], vcc
	s_and_saveexec_b64 s[12:13], s[14:15]
	s_cbranch_execz .LBB94_550
; %bb.549:
	v_ashrrev_i32_e32 v57, 31, v56
	v_lshl_add_u64 v[60:61], v[56:57], 2, v[4:5]
	global_load_dword v57, v[60:61], off
	global_load_dword v59, v[4:5], off offset:128
	s_waitcnt vmcnt(1)
	global_store_dword v[4:5], v57, off offset:128
	s_waitcnt vmcnt(1)
	global_store_dword v[60:61], v59, off
.LBB94_550:
	s_or_b64 exec, exec, s[12:13]
	v_mov_b32_e32 v57, v56
	v_mov_b32_e32 v59, v56
.LBB94_551:
	s_or_b64 exec, exec, s[2:3]
.LBB94_552:
	s_andn2_saveexec_b64 s[0:1], s[0:1]
	s_cbranch_execz .LBB94_554
; %bb.553:
	s_waitcnt vmcnt(12)
	v_pk_mov_b32 v[60:61], v[32:33], v[22:23] op_sel:[1,0]
	ds_write2_b32 v53, v60, v61 offset0:33 offset1:34
	s_waitcnt vmcnt(10)
	v_pk_mov_b32 v[60:61], v[22:23], v[14:15] op_sel:[1,0]
	ds_write2_b32 v53, v60, v61 offset0:35 offset1:36
	s_waitcnt vmcnt(8)
	v_pk_mov_b32 v[60:61], v[14:15], v[0:1] op_sel:[1,0]
	ds_write2_b32 v53, v60, v61 offset0:37 offset1:38
	s_waitcnt vmcnt(6)
	v_pk_mov_b32 v[60:61], v[0:1], v[24:25] op_sel:[1,0]
	ds_write2_b32 v53, v60, v61 offset0:39 offset1:40
	s_waitcnt vmcnt(4)
	v_pk_mov_b32 v[60:61], v[24:25], v[16:17] op_sel:[1,0]
	ds_write2_b32 v53, v60, v61 offset0:41 offset1:42
	s_waitcnt vmcnt(2)
	v_pk_mov_b32 v[60:61], v[16:17], v[8:9] op_sel:[1,0]
	ds_write2_b32 v53, v60, v61 offset0:43 offset1:44
	s_waitcnt vmcnt(0)
	v_pk_mov_b32 v[60:61], v[8:9], v[10:11] op_sel:[1,0]
	v_mov_b32_e32 v59, 32
	ds_write2_b32 v53, v60, v61 offset0:45 offset1:46
	ds_write_b32 v53, v11 offset:188
.LBB94_554:
	s_or_b64 exec, exec, s[0:1]
	v_cmp_lt_i32_e32 vcc, 32, v59
	s_waitcnt lgkmcnt(0)
	s_barrier
	s_and_saveexec_b64 s[0:1], vcc
	s_cbranch_execz .LBB94_556
; %bb.555:
	ds_read_b32 v56, v53 offset:132
	ds_read2_b32 v[60:61], v53 offset0:34 offset1:35
	ds_read2_b32 v[62:63], v53 offset0:36 offset1:37
	v_mul_f32_e32 v32, v58, v32
	ds_read2_b32 v[64:65], v53 offset0:38 offset1:39
	s_waitcnt vmcnt(14) lgkmcnt(3)
	v_fma_f32 v33, -v32, v56, v33
	s_waitcnt vmcnt(12) lgkmcnt(2)
	v_pk_fma_f32 v[22:23], v[32:33], v[60:61], v[22:23] op_sel_hi:[0,1,1] neg_lo:[1,0,0] neg_hi:[1,0,0]
	s_waitcnt vmcnt(10) lgkmcnt(1)
	v_pk_fma_f32 v[14:15], v[32:33], v[62:63], v[14:15] op_sel_hi:[0,1,1] neg_lo:[1,0,0] neg_hi:[1,0,0]
	ds_read2_b32 v[60:61], v53 offset0:40 offset1:41
	ds_read2_b32 v[62:63], v53 offset0:42 offset1:43
	;; [unrolled: 1-line block ×4, first 2 shown]
	s_waitcnt vmcnt(8) lgkmcnt(4)
	v_pk_fma_f32 v[0:1], v[32:33], v[64:65], v[0:1] op_sel_hi:[0,1,1] neg_lo:[1,0,0] neg_hi:[1,0,0]
	s_waitcnt vmcnt(6) lgkmcnt(3)
	v_pk_fma_f32 v[24:25], v[32:33], v[60:61], v[24:25] op_sel_hi:[0,1,1] neg_lo:[1,0,0] neg_hi:[1,0,0]
	;; [unrolled: 2-line block ×5, first 2 shown]
.LBB94_556:
	s_or_b64 exec, exec, s[0:1]
	v_lshl_add_u32 v56, v59, 2, v53
	s_barrier
	s_waitcnt vmcnt(14)
	ds_write_b32 v56, v33
	s_waitcnt lgkmcnt(0)
	s_barrier
	ds_read_b32 v58, v53 offset:132
	s_cmp_lt_i32 s22, 35
	v_mov_b32_e32 v56, 33
	s_cbranch_scc1 .LBB94_559
; %bb.557:
	v_add_u32_e32 v60, 0x88, v53
	v_mov_b32_e32 v56, 33
	s_mov_b32 s0, 34
.LBB94_558:                             ; =>This Inner Loop Header: Depth=1
	ds_read_b32 v61, v60
	v_mov_b32_e32 v62, s0
	s_add_i32 s0, s0, 1
	v_add_u32_e32 v60, 4, v60
	s_cmp_lg_u32 s22, s0
	s_waitcnt lgkmcnt(0)
	v_cmp_lt_f32_e64 vcc, |v58|, |v61|
	s_nop 1
	v_cndmask_b32_e32 v58, v58, v61, vcc
	v_cndmask_b32_e32 v56, v56, v62, vcc
	s_cbranch_scc1 .LBB94_558
.LBB94_559:
	s_waitcnt lgkmcnt(0)
	v_cmp_eq_f32_e32 vcc, 0, v58
	s_and_saveexec_b64 s[0:1], vcc
	s_xor_b64 s[0:1], exec, s[0:1]
; %bb.560:
	v_cmp_ne_u32_e32 vcc, 0, v55
	s_nop 1
	v_cndmask_b32_e32 v55, 34, v55, vcc
; %bb.561:
	s_andn2_saveexec_b64 s[0:1], s[0:1]
	s_cbranch_execz .LBB94_563
; %bb.562:
	v_div_scale_f32 v60, s[2:3], v58, v58, 1.0
	v_rcp_f32_e32 v61, v60
	v_div_scale_f32 v62, vcc, 1.0, v58, 1.0
	v_fma_f32 v63, -v60, v61, 1.0
	v_fmac_f32_e32 v61, v63, v61
	v_mul_f32_e32 v63, v62, v61
	v_fma_f32 v64, -v60, v63, v62
	v_fmac_f32_e32 v63, v64, v61
	v_fma_f32 v60, -v60, v63, v62
	v_div_fmas_f32 v60, v60, v61, v63
	v_div_fixup_f32 v58, v60, v58, 1.0
.LBB94_563:
	s_or_b64 exec, exec, s[0:1]
	v_cmp_ne_u32_e32 vcc, v59, v56
	s_and_saveexec_b64 s[0:1], vcc
	s_xor_b64 s[0:1], exec, s[0:1]
	s_cbranch_execz .LBB94_569
; %bb.564:
	v_cmp_eq_u32_e32 vcc, 33, v59
	s_and_saveexec_b64 s[2:3], vcc
	s_cbranch_execz .LBB94_568
; %bb.565:
	v_cmp_ne_u32_e32 vcc, 33, v56
	s_xor_b64 s[12:13], s[20:21], -1
	s_and_b64 s[14:15], s[12:13], vcc
	s_and_saveexec_b64 s[12:13], s[14:15]
	s_cbranch_execz .LBB94_567
; %bb.566:
	v_ashrrev_i32_e32 v57, 31, v56
	v_lshl_add_u64 v[60:61], v[56:57], 2, v[4:5]
	global_load_dword v57, v[60:61], off
	global_load_dword v59, v[4:5], off offset:132
	s_waitcnt vmcnt(1)
	global_store_dword v[4:5], v57, off offset:132
	s_waitcnt vmcnt(1)
	global_store_dword v[60:61], v59, off
.LBB94_567:
	s_or_b64 exec, exec, s[12:13]
	v_mov_b32_e32 v57, v56
	v_mov_b32_e32 v59, v56
.LBB94_568:
	s_or_b64 exec, exec, s[2:3]
.LBB94_569:
	s_andn2_saveexec_b64 s[0:1], s[0:1]
	s_cbranch_execz .LBB94_571
; %bb.570:
	v_mov_b32_e32 v59, 33
	s_waitcnt vmcnt(12)
	ds_write2_b32 v53, v22, v23 offset0:34 offset1:35
	s_waitcnt vmcnt(10)
	ds_write2_b32 v53, v14, v15 offset0:36 offset1:37
	;; [unrolled: 2-line block ×7, first 2 shown]
.LBB94_571:
	s_or_b64 exec, exec, s[0:1]
	v_cmp_lt_i32_e32 vcc, 33, v59
	s_waitcnt lgkmcnt(0)
	s_barrier
	s_and_saveexec_b64 s[0:1], vcc
	s_cbranch_execz .LBB94_573
; %bb.572:
	ds_read2_b32 v[60:61], v53 offset0:34 offset1:35
	ds_read2_b32 v[62:63], v53 offset0:36 offset1:37
	v_mul_f32_e32 v56, v58, v33
	ds_read2_b32 v[64:65], v53 offset0:38 offset1:39
	ds_read2_b32 v[66:67], v53 offset0:40 offset1:41
	v_mov_b32_e32 v33, v56
	s_waitcnt vmcnt(12) lgkmcnt(3)
	v_pk_fma_f32 v[22:23], v[56:57], v[60:61], v[22:23] op_sel_hi:[0,1,1] neg_lo:[1,0,0] neg_hi:[1,0,0]
	s_waitcnt vmcnt(10) lgkmcnt(2)
	v_pk_fma_f32 v[14:15], v[56:57], v[62:63], v[14:15] op_sel_hi:[0,1,1] neg_lo:[1,0,0] neg_hi:[1,0,0]
	ds_read2_b32 v[60:61], v53 offset0:42 offset1:43
	ds_read2_b32 v[62:63], v53 offset0:44 offset1:45
	;; [unrolled: 1-line block ×3, first 2 shown]
	s_waitcnt vmcnt(8) lgkmcnt(4)
	v_pk_fma_f32 v[0:1], v[56:57], v[64:65], v[0:1] op_sel_hi:[0,1,1] neg_lo:[1,0,0] neg_hi:[1,0,0]
	s_waitcnt vmcnt(6) lgkmcnt(3)
	v_pk_fma_f32 v[24:25], v[56:57], v[66:67], v[24:25] op_sel_hi:[0,1,1] neg_lo:[1,0,0] neg_hi:[1,0,0]
	;; [unrolled: 2-line block ×5, first 2 shown]
.LBB94_573:
	s_or_b64 exec, exec, s[0:1]
	v_lshl_add_u32 v56, v59, 2, v53
	s_barrier
	s_waitcnt vmcnt(13)
	ds_write_b32 v56, v22
	s_waitcnt lgkmcnt(0)
	s_barrier
	ds_read_b32 v58, v53 offset:136
	s_cmp_lt_i32 s22, 36
	v_mov_b32_e32 v56, 34
	s_cbranch_scc1 .LBB94_576
; %bb.574:
	v_add_u32_e32 v60, 0x8c, v53
	v_mov_b32_e32 v56, 34
	s_mov_b32 s0, 35
.LBB94_575:                             ; =>This Inner Loop Header: Depth=1
	ds_read_b32 v61, v60
	v_mov_b32_e32 v62, s0
	s_add_i32 s0, s0, 1
	v_add_u32_e32 v60, 4, v60
	s_cmp_lg_u32 s22, s0
	s_waitcnt lgkmcnt(0)
	v_cmp_lt_f32_e64 vcc, |v58|, |v61|
	s_nop 1
	v_cndmask_b32_e32 v58, v58, v61, vcc
	v_cndmask_b32_e32 v56, v56, v62, vcc
	s_cbranch_scc1 .LBB94_575
.LBB94_576:
	s_waitcnt lgkmcnt(0)
	v_cmp_eq_f32_e32 vcc, 0, v58
	s_and_saveexec_b64 s[0:1], vcc
	s_xor_b64 s[0:1], exec, s[0:1]
; %bb.577:
	v_cmp_ne_u32_e32 vcc, 0, v55
	s_nop 1
	v_cndmask_b32_e32 v55, 35, v55, vcc
; %bb.578:
	s_andn2_saveexec_b64 s[0:1], s[0:1]
	s_cbranch_execz .LBB94_580
; %bb.579:
	v_div_scale_f32 v60, s[2:3], v58, v58, 1.0
	v_rcp_f32_e32 v61, v60
	v_div_scale_f32 v62, vcc, 1.0, v58, 1.0
	v_fma_f32 v63, -v60, v61, 1.0
	v_fmac_f32_e32 v61, v63, v61
	v_mul_f32_e32 v63, v62, v61
	v_fma_f32 v64, -v60, v63, v62
	v_fmac_f32_e32 v63, v64, v61
	v_fma_f32 v60, -v60, v63, v62
	v_div_fmas_f32 v60, v60, v61, v63
	v_div_fixup_f32 v58, v60, v58, 1.0
.LBB94_580:
	s_or_b64 exec, exec, s[0:1]
	v_cmp_ne_u32_e32 vcc, v59, v56
	s_and_saveexec_b64 s[0:1], vcc
	s_xor_b64 s[0:1], exec, s[0:1]
	s_cbranch_execz .LBB94_586
; %bb.581:
	v_cmp_eq_u32_e32 vcc, 34, v59
	s_and_saveexec_b64 s[2:3], vcc
	s_cbranch_execz .LBB94_585
; %bb.582:
	v_cmp_ne_u32_e32 vcc, 34, v56
	s_xor_b64 s[12:13], s[20:21], -1
	s_and_b64 s[14:15], s[12:13], vcc
	s_and_saveexec_b64 s[12:13], s[14:15]
	s_cbranch_execz .LBB94_584
; %bb.583:
	v_ashrrev_i32_e32 v57, 31, v56
	v_lshl_add_u64 v[60:61], v[56:57], 2, v[4:5]
	global_load_dword v57, v[60:61], off
	global_load_dword v59, v[4:5], off offset:136
	s_waitcnt vmcnt(1)
	global_store_dword v[4:5], v57, off offset:136
	s_waitcnt vmcnt(1)
	global_store_dword v[60:61], v59, off
.LBB94_584:
	s_or_b64 exec, exec, s[12:13]
	v_mov_b32_e32 v57, v56
	v_mov_b32_e32 v59, v56
.LBB94_585:
	s_or_b64 exec, exec, s[2:3]
.LBB94_586:
	s_andn2_saveexec_b64 s[0:1], s[0:1]
	s_cbranch_execz .LBB94_588
; %bb.587:
	s_waitcnt vmcnt(10)
	v_pk_mov_b32 v[60:61], v[22:23], v[14:15] op_sel:[1,0]
	ds_write2_b32 v53, v60, v61 offset0:35 offset1:36
	s_waitcnt vmcnt(8)
	v_pk_mov_b32 v[60:61], v[14:15], v[0:1] op_sel:[1,0]
	ds_write2_b32 v53, v60, v61 offset0:37 offset1:38
	;; [unrolled: 3-line block ×5, first 2 shown]
	s_waitcnt vmcnt(0)
	v_pk_mov_b32 v[60:61], v[8:9], v[10:11] op_sel:[1,0]
	v_mov_b32_e32 v59, 34
	ds_write2_b32 v53, v60, v61 offset0:45 offset1:46
	ds_write_b32 v53, v11 offset:188
.LBB94_588:
	s_or_b64 exec, exec, s[0:1]
	v_cmp_lt_i32_e32 vcc, 34, v59
	s_waitcnt lgkmcnt(0)
	s_barrier
	s_and_saveexec_b64 s[0:1], vcc
	s_cbranch_execz .LBB94_590
; %bb.589:
	ds_read_b32 v56, v53 offset:140
	ds_read2_b32 v[60:61], v53 offset0:36 offset1:37
	v_mul_f32_e32 v22, v58, v22
	ds_read2_b32 v[62:63], v53 offset0:38 offset1:39
	ds_read2_b32 v[64:65], v53 offset0:40 offset1:41
	s_waitcnt vmcnt(12) lgkmcnt(3)
	v_fma_f32 v23, -v22, v56, v23
	s_waitcnt vmcnt(10) lgkmcnt(2)
	v_pk_fma_f32 v[14:15], v[22:23], v[60:61], v[14:15] op_sel_hi:[0,1,1] neg_lo:[1,0,0] neg_hi:[1,0,0]
	ds_read2_b32 v[60:61], v53 offset0:42 offset1:43
	ds_read2_b32 v[66:67], v53 offset0:44 offset1:45
	;; [unrolled: 1-line block ×3, first 2 shown]
	s_waitcnt vmcnt(8) lgkmcnt(4)
	v_pk_fma_f32 v[0:1], v[22:23], v[62:63], v[0:1] op_sel_hi:[0,1,1] neg_lo:[1,0,0] neg_hi:[1,0,0]
	s_waitcnt vmcnt(6) lgkmcnt(3)
	v_pk_fma_f32 v[24:25], v[22:23], v[64:65], v[24:25] op_sel_hi:[0,1,1] neg_lo:[1,0,0] neg_hi:[1,0,0]
	;; [unrolled: 2-line block ×5, first 2 shown]
.LBB94_590:
	s_or_b64 exec, exec, s[0:1]
	v_lshl_add_u32 v56, v59, 2, v53
	s_barrier
	s_waitcnt vmcnt(12)
	ds_write_b32 v56, v23
	s_waitcnt lgkmcnt(0)
	s_barrier
	ds_read_b32 v58, v53 offset:140
	s_cmp_lt_i32 s22, 37
	v_mov_b32_e32 v56, 35
	s_cbranch_scc1 .LBB94_593
; %bb.591:
	v_add_u32_e32 v60, 0x90, v53
	v_mov_b32_e32 v56, 35
	s_mov_b32 s0, 36
.LBB94_592:                             ; =>This Inner Loop Header: Depth=1
	ds_read_b32 v61, v60
	v_mov_b32_e32 v62, s0
	s_add_i32 s0, s0, 1
	v_add_u32_e32 v60, 4, v60
	s_cmp_lg_u32 s22, s0
	s_waitcnt lgkmcnt(0)
	v_cmp_lt_f32_e64 vcc, |v58|, |v61|
	s_nop 1
	v_cndmask_b32_e32 v58, v58, v61, vcc
	v_cndmask_b32_e32 v56, v56, v62, vcc
	s_cbranch_scc1 .LBB94_592
.LBB94_593:
	s_waitcnt lgkmcnt(0)
	v_cmp_eq_f32_e32 vcc, 0, v58
	s_and_saveexec_b64 s[0:1], vcc
	s_xor_b64 s[0:1], exec, s[0:1]
; %bb.594:
	v_cmp_ne_u32_e32 vcc, 0, v55
	s_nop 1
	v_cndmask_b32_e32 v55, 36, v55, vcc
; %bb.595:
	s_andn2_saveexec_b64 s[0:1], s[0:1]
	s_cbranch_execz .LBB94_597
; %bb.596:
	v_div_scale_f32 v60, s[2:3], v58, v58, 1.0
	v_rcp_f32_e32 v61, v60
	v_div_scale_f32 v62, vcc, 1.0, v58, 1.0
	v_fma_f32 v63, -v60, v61, 1.0
	v_fmac_f32_e32 v61, v63, v61
	v_mul_f32_e32 v63, v62, v61
	v_fma_f32 v64, -v60, v63, v62
	v_fmac_f32_e32 v63, v64, v61
	v_fma_f32 v60, -v60, v63, v62
	v_div_fmas_f32 v60, v60, v61, v63
	v_div_fixup_f32 v58, v60, v58, 1.0
.LBB94_597:
	s_or_b64 exec, exec, s[0:1]
	v_cmp_ne_u32_e32 vcc, v59, v56
	s_and_saveexec_b64 s[0:1], vcc
	s_xor_b64 s[0:1], exec, s[0:1]
	s_cbranch_execz .LBB94_603
; %bb.598:
	v_cmp_eq_u32_e32 vcc, 35, v59
	s_and_saveexec_b64 s[2:3], vcc
	s_cbranch_execz .LBB94_602
; %bb.599:
	v_cmp_ne_u32_e32 vcc, 35, v56
	s_xor_b64 s[12:13], s[20:21], -1
	s_and_b64 s[14:15], s[12:13], vcc
	s_and_saveexec_b64 s[12:13], s[14:15]
	s_cbranch_execz .LBB94_601
; %bb.600:
	v_ashrrev_i32_e32 v57, 31, v56
	v_lshl_add_u64 v[60:61], v[56:57], 2, v[4:5]
	global_load_dword v57, v[60:61], off
	global_load_dword v59, v[4:5], off offset:140
	s_waitcnt vmcnt(1)
	global_store_dword v[4:5], v57, off offset:140
	s_waitcnt vmcnt(1)
	global_store_dword v[60:61], v59, off
.LBB94_601:
	s_or_b64 exec, exec, s[12:13]
	v_mov_b32_e32 v57, v56
	v_mov_b32_e32 v59, v56
.LBB94_602:
	s_or_b64 exec, exec, s[2:3]
.LBB94_603:
	s_andn2_saveexec_b64 s[0:1], s[0:1]
	s_cbranch_execz .LBB94_605
; %bb.604:
	v_mov_b32_e32 v59, 35
	s_waitcnt vmcnt(10)
	ds_write2_b32 v53, v14, v15 offset0:36 offset1:37
	s_waitcnt vmcnt(8)
	ds_write2_b32 v53, v0, v1 offset0:38 offset1:39
	;; [unrolled: 2-line block ×6, first 2 shown]
.LBB94_605:
	s_or_b64 exec, exec, s[0:1]
	v_cmp_lt_i32_e32 vcc, 35, v59
	s_waitcnt lgkmcnt(0)
	s_barrier
	s_and_saveexec_b64 s[0:1], vcc
	s_cbranch_execz .LBB94_607
; %bb.606:
	ds_read2_b32 v[60:61], v53 offset0:36 offset1:37
	v_mul_f32_e32 v56, v58, v23
	ds_read2_b32 v[62:63], v53 offset0:38 offset1:39
	ds_read2_b32 v[64:65], v53 offset0:40 offset1:41
	;; [unrolled: 1-line block ×3, first 2 shown]
	v_mov_b32_e32 v23, v56
	s_waitcnt vmcnt(8) lgkmcnt(2)
	v_pk_fma_f32 v[0:1], v[56:57], v[62:63], v[0:1] op_sel_hi:[0,1,1] neg_lo:[1,0,0] neg_hi:[1,0,0]
	v_pk_fma_f32 v[14:15], v[56:57], v[60:61], v[14:15] op_sel_hi:[0,1,1] neg_lo:[1,0,0] neg_hi:[1,0,0]
	ds_read2_b32 v[60:61], v53 offset0:44 offset1:45
	ds_read2_b32 v[68:69], v53 offset0:46 offset1:47
	s_waitcnt vmcnt(6) lgkmcnt(3)
	v_pk_fma_f32 v[24:25], v[56:57], v[64:65], v[24:25] op_sel_hi:[0,1,1] neg_lo:[1,0,0] neg_hi:[1,0,0]
	s_waitcnt vmcnt(4) lgkmcnt(2)
	v_pk_fma_f32 v[16:17], v[56:57], v[66:67], v[16:17] op_sel_hi:[0,1,1] neg_lo:[1,0,0] neg_hi:[1,0,0]
	;; [unrolled: 2-line block ×4, first 2 shown]
.LBB94_607:
	s_or_b64 exec, exec, s[0:1]
	v_lshl_add_u32 v56, v59, 2, v53
	s_barrier
	s_waitcnt vmcnt(11)
	ds_write_b32 v56, v14
	s_waitcnt lgkmcnt(0)
	s_barrier
	ds_read_b32 v58, v53 offset:144
	s_cmp_lt_i32 s22, 38
	v_mov_b32_e32 v56, 36
	s_cbranch_scc1 .LBB94_610
; %bb.608:
	v_add_u32_e32 v60, 0x94, v53
	v_mov_b32_e32 v56, 36
	s_mov_b32 s0, 37
.LBB94_609:                             ; =>This Inner Loop Header: Depth=1
	ds_read_b32 v61, v60
	v_mov_b32_e32 v62, s0
	s_add_i32 s0, s0, 1
	v_add_u32_e32 v60, 4, v60
	s_cmp_lg_u32 s22, s0
	s_waitcnt lgkmcnt(0)
	v_cmp_lt_f32_e64 vcc, |v58|, |v61|
	s_nop 1
	v_cndmask_b32_e32 v58, v58, v61, vcc
	v_cndmask_b32_e32 v56, v56, v62, vcc
	s_cbranch_scc1 .LBB94_609
.LBB94_610:
	s_waitcnt lgkmcnt(0)
	v_cmp_eq_f32_e32 vcc, 0, v58
	s_and_saveexec_b64 s[0:1], vcc
	s_xor_b64 s[0:1], exec, s[0:1]
; %bb.611:
	v_cmp_ne_u32_e32 vcc, 0, v55
	s_nop 1
	v_cndmask_b32_e32 v55, 37, v55, vcc
; %bb.612:
	s_andn2_saveexec_b64 s[0:1], s[0:1]
	s_cbranch_execz .LBB94_614
; %bb.613:
	v_div_scale_f32 v60, s[2:3], v58, v58, 1.0
	v_rcp_f32_e32 v61, v60
	v_div_scale_f32 v62, vcc, 1.0, v58, 1.0
	v_fma_f32 v63, -v60, v61, 1.0
	v_fmac_f32_e32 v61, v63, v61
	v_mul_f32_e32 v63, v62, v61
	v_fma_f32 v64, -v60, v63, v62
	v_fmac_f32_e32 v63, v64, v61
	v_fma_f32 v60, -v60, v63, v62
	v_div_fmas_f32 v60, v60, v61, v63
	v_div_fixup_f32 v58, v60, v58, 1.0
.LBB94_614:
	s_or_b64 exec, exec, s[0:1]
	v_cmp_ne_u32_e32 vcc, v59, v56
	s_and_saveexec_b64 s[0:1], vcc
	s_xor_b64 s[0:1], exec, s[0:1]
	s_cbranch_execz .LBB94_620
; %bb.615:
	v_cmp_eq_u32_e32 vcc, 36, v59
	s_and_saveexec_b64 s[2:3], vcc
	s_cbranch_execz .LBB94_619
; %bb.616:
	v_cmp_ne_u32_e32 vcc, 36, v56
	s_xor_b64 s[12:13], s[20:21], -1
	s_and_b64 s[14:15], s[12:13], vcc
	s_and_saveexec_b64 s[12:13], s[14:15]
	s_cbranch_execz .LBB94_618
; %bb.617:
	v_ashrrev_i32_e32 v57, 31, v56
	v_lshl_add_u64 v[60:61], v[56:57], 2, v[4:5]
	global_load_dword v57, v[60:61], off
	global_load_dword v59, v[4:5], off offset:144
	s_waitcnt vmcnt(1)
	global_store_dword v[4:5], v57, off offset:144
	s_waitcnt vmcnt(1)
	global_store_dword v[60:61], v59, off
.LBB94_618:
	s_or_b64 exec, exec, s[12:13]
	v_mov_b32_e32 v57, v56
	v_mov_b32_e32 v59, v56
.LBB94_619:
	s_or_b64 exec, exec, s[2:3]
.LBB94_620:
	s_andn2_saveexec_b64 s[0:1], s[0:1]
	s_cbranch_execz .LBB94_622
; %bb.621:
	s_waitcnt vmcnt(8)
	v_pk_mov_b32 v[60:61], v[14:15], v[0:1] op_sel:[1,0]
	ds_write2_b32 v53, v60, v61 offset0:37 offset1:38
	s_waitcnt vmcnt(6)
	v_pk_mov_b32 v[60:61], v[0:1], v[24:25] op_sel:[1,0]
	ds_write2_b32 v53, v60, v61 offset0:39 offset1:40
	;; [unrolled: 3-line block ×4, first 2 shown]
	s_waitcnt vmcnt(0)
	v_pk_mov_b32 v[60:61], v[8:9], v[10:11] op_sel:[1,0]
	v_mov_b32_e32 v59, 36
	ds_write2_b32 v53, v60, v61 offset0:45 offset1:46
	ds_write_b32 v53, v11 offset:188
.LBB94_622:
	s_or_b64 exec, exec, s[0:1]
	v_cmp_lt_i32_e32 vcc, 36, v59
	s_waitcnt lgkmcnt(0)
	s_barrier
	s_and_saveexec_b64 s[0:1], vcc
	s_cbranch_execz .LBB94_624
; %bb.623:
	ds_read_b32 v56, v53 offset:148
	ds_read2_b32 v[60:61], v53 offset0:38 offset1:39
	ds_read2_b32 v[62:63], v53 offset0:40 offset1:41
	;; [unrolled: 1-line block ×5, first 2 shown]
	v_mul_f32_e32 v14, v58, v14
	s_waitcnt vmcnt(10) lgkmcnt(5)
	v_fma_f32 v15, -v14, v56, v15
	s_waitcnt vmcnt(8) lgkmcnt(4)
	v_pk_fma_f32 v[0:1], v[14:15], v[60:61], v[0:1] op_sel_hi:[0,1,1] neg_lo:[1,0,0] neg_hi:[1,0,0]
	s_waitcnt vmcnt(6) lgkmcnt(3)
	v_pk_fma_f32 v[24:25], v[14:15], v[62:63], v[24:25] op_sel_hi:[0,1,1] neg_lo:[1,0,0] neg_hi:[1,0,0]
	s_waitcnt vmcnt(4) lgkmcnt(2)
	v_pk_fma_f32 v[16:17], v[14:15], v[64:65], v[16:17] op_sel_hi:[0,1,1] neg_lo:[1,0,0] neg_hi:[1,0,0]
	s_waitcnt vmcnt(2) lgkmcnt(1)
	v_pk_fma_f32 v[8:9], v[14:15], v[66:67], v[8:9] op_sel_hi:[0,1,1] neg_lo:[1,0,0] neg_hi:[1,0,0]
	s_waitcnt vmcnt(0) lgkmcnt(0)
	v_pk_fma_f32 v[10:11], v[14:15], v[68:69], v[10:11] op_sel_hi:[0,1,1] neg_lo:[1,0,0] neg_hi:[1,0,0]
.LBB94_624:
	s_or_b64 exec, exec, s[0:1]
	v_lshl_add_u32 v56, v59, 2, v53
	s_barrier
	s_waitcnt vmcnt(10)
	ds_write_b32 v56, v15
	s_waitcnt lgkmcnt(0)
	s_barrier
	ds_read_b32 v58, v53 offset:148
	s_cmp_lt_i32 s22, 39
	v_mov_b32_e32 v56, 37
	s_cbranch_scc1 .LBB94_627
; %bb.625:
	v_add_u32_e32 v60, 0x98, v53
	v_mov_b32_e32 v56, 37
	s_mov_b32 s0, 38
.LBB94_626:                             ; =>This Inner Loop Header: Depth=1
	ds_read_b32 v61, v60
	v_mov_b32_e32 v62, s0
	s_add_i32 s0, s0, 1
	v_add_u32_e32 v60, 4, v60
	s_cmp_lg_u32 s22, s0
	s_waitcnt lgkmcnt(0)
	v_cmp_lt_f32_e64 vcc, |v58|, |v61|
	s_nop 1
	v_cndmask_b32_e32 v58, v58, v61, vcc
	v_cndmask_b32_e32 v56, v56, v62, vcc
	s_cbranch_scc1 .LBB94_626
.LBB94_627:
	s_waitcnt lgkmcnt(0)
	v_cmp_eq_f32_e32 vcc, 0, v58
	s_and_saveexec_b64 s[0:1], vcc
	s_xor_b64 s[0:1], exec, s[0:1]
; %bb.628:
	v_cmp_ne_u32_e32 vcc, 0, v55
	s_nop 1
	v_cndmask_b32_e32 v55, 38, v55, vcc
; %bb.629:
	s_andn2_saveexec_b64 s[0:1], s[0:1]
	s_cbranch_execz .LBB94_631
; %bb.630:
	v_div_scale_f32 v60, s[2:3], v58, v58, 1.0
	v_rcp_f32_e32 v61, v60
	v_div_scale_f32 v62, vcc, 1.0, v58, 1.0
	v_fma_f32 v63, -v60, v61, 1.0
	v_fmac_f32_e32 v61, v63, v61
	v_mul_f32_e32 v63, v62, v61
	v_fma_f32 v64, -v60, v63, v62
	v_fmac_f32_e32 v63, v64, v61
	v_fma_f32 v60, -v60, v63, v62
	v_div_fmas_f32 v60, v60, v61, v63
	v_div_fixup_f32 v58, v60, v58, 1.0
.LBB94_631:
	s_or_b64 exec, exec, s[0:1]
	v_cmp_ne_u32_e32 vcc, v59, v56
	s_and_saveexec_b64 s[0:1], vcc
	s_xor_b64 s[0:1], exec, s[0:1]
	s_cbranch_execz .LBB94_637
; %bb.632:
	v_cmp_eq_u32_e32 vcc, 37, v59
	s_and_saveexec_b64 s[2:3], vcc
	s_cbranch_execz .LBB94_636
; %bb.633:
	v_cmp_ne_u32_e32 vcc, 37, v56
	s_xor_b64 s[12:13], s[20:21], -1
	s_and_b64 s[14:15], s[12:13], vcc
	s_and_saveexec_b64 s[12:13], s[14:15]
	s_cbranch_execz .LBB94_635
; %bb.634:
	v_ashrrev_i32_e32 v57, 31, v56
	v_lshl_add_u64 v[60:61], v[56:57], 2, v[4:5]
	global_load_dword v57, v[60:61], off
	global_load_dword v59, v[4:5], off offset:148
	s_waitcnt vmcnt(1)
	global_store_dword v[4:5], v57, off offset:148
	s_waitcnt vmcnt(1)
	global_store_dword v[60:61], v59, off
.LBB94_635:
	s_or_b64 exec, exec, s[12:13]
	v_mov_b32_e32 v57, v56
	v_mov_b32_e32 v59, v56
.LBB94_636:
	s_or_b64 exec, exec, s[2:3]
.LBB94_637:
	s_andn2_saveexec_b64 s[0:1], s[0:1]
	s_cbranch_execz .LBB94_639
; %bb.638:
	v_mov_b32_e32 v59, 37
	s_waitcnt vmcnt(8)
	ds_write2_b32 v53, v0, v1 offset0:38 offset1:39
	s_waitcnt vmcnt(6)
	ds_write2_b32 v53, v24, v25 offset0:40 offset1:41
	;; [unrolled: 2-line block ×5, first 2 shown]
.LBB94_639:
	s_or_b64 exec, exec, s[0:1]
	v_cmp_lt_i32_e32 vcc, 37, v59
	s_waitcnt lgkmcnt(0)
	s_barrier
	s_and_saveexec_b64 s[0:1], vcc
	s_cbranch_execz .LBB94_641
; %bb.640:
	ds_read2_b32 v[60:61], v53 offset0:38 offset1:39
	ds_read2_b32 v[62:63], v53 offset0:40 offset1:41
	;; [unrolled: 1-line block ×5, first 2 shown]
	v_mul_f32_e32 v56, v58, v15
	s_waitcnt vmcnt(8) lgkmcnt(4)
	v_pk_fma_f32 v[0:1], v[56:57], v[60:61], v[0:1] op_sel_hi:[0,1,1] neg_lo:[1,0,0] neg_hi:[1,0,0]
	s_waitcnt vmcnt(6) lgkmcnt(3)
	v_pk_fma_f32 v[24:25], v[56:57], v[62:63], v[24:25] op_sel_hi:[0,1,1] neg_lo:[1,0,0] neg_hi:[1,0,0]
	;; [unrolled: 2-line block ×5, first 2 shown]
	v_mov_b32_e32 v15, v56
.LBB94_641:
	s_or_b64 exec, exec, s[0:1]
	v_lshl_add_u32 v56, v59, 2, v53
	s_barrier
	s_waitcnt vmcnt(9)
	ds_write_b32 v56, v0
	s_waitcnt lgkmcnt(0)
	s_barrier
	ds_read_b32 v58, v53 offset:152
	s_cmp_lt_i32 s22, 40
	v_mov_b32_e32 v56, 38
	s_cbranch_scc1 .LBB94_644
; %bb.642:
	v_add_u32_e32 v60, 0x9c, v53
	v_mov_b32_e32 v56, 38
	s_mov_b32 s0, 39
.LBB94_643:                             ; =>This Inner Loop Header: Depth=1
	ds_read_b32 v61, v60
	v_mov_b32_e32 v62, s0
	s_add_i32 s0, s0, 1
	v_add_u32_e32 v60, 4, v60
	s_cmp_lg_u32 s22, s0
	s_waitcnt lgkmcnt(0)
	v_cmp_lt_f32_e64 vcc, |v58|, |v61|
	s_nop 1
	v_cndmask_b32_e32 v58, v58, v61, vcc
	v_cndmask_b32_e32 v56, v56, v62, vcc
	s_cbranch_scc1 .LBB94_643
.LBB94_644:
	s_waitcnt lgkmcnt(0)
	v_cmp_eq_f32_e32 vcc, 0, v58
	s_and_saveexec_b64 s[0:1], vcc
	s_xor_b64 s[0:1], exec, s[0:1]
; %bb.645:
	v_cmp_ne_u32_e32 vcc, 0, v55
	s_nop 1
	v_cndmask_b32_e32 v55, 39, v55, vcc
; %bb.646:
	s_andn2_saveexec_b64 s[0:1], s[0:1]
	s_cbranch_execz .LBB94_648
; %bb.647:
	v_div_scale_f32 v60, s[2:3], v58, v58, 1.0
	v_rcp_f32_e32 v61, v60
	v_div_scale_f32 v62, vcc, 1.0, v58, 1.0
	v_fma_f32 v63, -v60, v61, 1.0
	v_fmac_f32_e32 v61, v63, v61
	v_mul_f32_e32 v63, v62, v61
	v_fma_f32 v64, -v60, v63, v62
	v_fmac_f32_e32 v63, v64, v61
	v_fma_f32 v60, -v60, v63, v62
	v_div_fmas_f32 v60, v60, v61, v63
	v_div_fixup_f32 v58, v60, v58, 1.0
.LBB94_648:
	s_or_b64 exec, exec, s[0:1]
	v_cmp_ne_u32_e32 vcc, v59, v56
	s_and_saveexec_b64 s[0:1], vcc
	s_xor_b64 s[0:1], exec, s[0:1]
	s_cbranch_execz .LBB94_654
; %bb.649:
	v_cmp_eq_u32_e32 vcc, 38, v59
	s_and_saveexec_b64 s[2:3], vcc
	s_cbranch_execz .LBB94_653
; %bb.650:
	v_cmp_ne_u32_e32 vcc, 38, v56
	s_xor_b64 s[12:13], s[20:21], -1
	s_and_b64 s[14:15], s[12:13], vcc
	s_and_saveexec_b64 s[12:13], s[14:15]
	s_cbranch_execz .LBB94_652
; %bb.651:
	v_ashrrev_i32_e32 v57, 31, v56
	v_lshl_add_u64 v[60:61], v[56:57], 2, v[4:5]
	global_load_dword v57, v[60:61], off
	global_load_dword v59, v[4:5], off offset:152
	s_waitcnt vmcnt(1)
	global_store_dword v[4:5], v57, off offset:152
	s_waitcnt vmcnt(1)
	global_store_dword v[60:61], v59, off
.LBB94_652:
	s_or_b64 exec, exec, s[12:13]
	v_mov_b32_e32 v57, v56
	v_mov_b32_e32 v59, v56
.LBB94_653:
	s_or_b64 exec, exec, s[2:3]
.LBB94_654:
	s_andn2_saveexec_b64 s[0:1], s[0:1]
	s_cbranch_execz .LBB94_656
; %bb.655:
	s_waitcnt vmcnt(6)
	v_pk_mov_b32 v[60:61], v[0:1], v[24:25] op_sel:[1,0]
	ds_write2_b32 v53, v60, v61 offset0:39 offset1:40
	s_waitcnt vmcnt(4)
	v_pk_mov_b32 v[60:61], v[24:25], v[16:17] op_sel:[1,0]
	ds_write2_b32 v53, v60, v61 offset0:41 offset1:42
	;; [unrolled: 3-line block ×3, first 2 shown]
	s_waitcnt vmcnt(0)
	v_pk_mov_b32 v[60:61], v[8:9], v[10:11] op_sel:[1,0]
	v_mov_b32_e32 v59, 38
	ds_write2_b32 v53, v60, v61 offset0:45 offset1:46
	ds_write_b32 v53, v11 offset:188
.LBB94_656:
	s_or_b64 exec, exec, s[0:1]
	v_cmp_lt_i32_e32 vcc, 38, v59
	s_waitcnt lgkmcnt(0)
	s_barrier
	s_and_saveexec_b64 s[0:1], vcc
	s_cbranch_execz .LBB94_658
; %bb.657:
	ds_read_b32 v56, v53 offset:156
	ds_read2_b32 v[60:61], v53 offset0:40 offset1:41
	ds_read2_b32 v[62:63], v53 offset0:42 offset1:43
	;; [unrolled: 1-line block ×4, first 2 shown]
	v_mul_f32_e32 v0, v58, v0
	s_waitcnt vmcnt(8) lgkmcnt(4)
	v_fma_f32 v1, -v0, v56, v1
	s_waitcnt vmcnt(6) lgkmcnt(3)
	v_pk_fma_f32 v[24:25], v[0:1], v[60:61], v[24:25] op_sel_hi:[0,1,1] neg_lo:[1,0,0] neg_hi:[1,0,0]
	s_waitcnt vmcnt(4) lgkmcnt(2)
	v_pk_fma_f32 v[16:17], v[0:1], v[62:63], v[16:17] op_sel_hi:[0,1,1] neg_lo:[1,0,0] neg_hi:[1,0,0]
	;; [unrolled: 2-line block ×4, first 2 shown]
.LBB94_658:
	s_or_b64 exec, exec, s[0:1]
	v_lshl_add_u32 v56, v59, 2, v53
	s_barrier
	s_waitcnt vmcnt(8)
	ds_write_b32 v56, v1
	s_waitcnt lgkmcnt(0)
	s_barrier
	ds_read_b32 v58, v53 offset:156
	s_cmp_lt_i32 s22, 41
	v_mov_b32_e32 v56, 39
	s_cbranch_scc1 .LBB94_661
; %bb.659:
	v_add_u32_e32 v60, 0xa0, v53
	v_mov_b32_e32 v56, 39
	s_mov_b32 s0, 40
.LBB94_660:                             ; =>This Inner Loop Header: Depth=1
	ds_read_b32 v61, v60
	v_mov_b32_e32 v62, s0
	s_add_i32 s0, s0, 1
	v_add_u32_e32 v60, 4, v60
	s_cmp_lg_u32 s22, s0
	s_waitcnt lgkmcnt(0)
	v_cmp_lt_f32_e64 vcc, |v58|, |v61|
	s_nop 1
	v_cndmask_b32_e32 v58, v58, v61, vcc
	v_cndmask_b32_e32 v56, v56, v62, vcc
	s_cbranch_scc1 .LBB94_660
.LBB94_661:
	s_waitcnt lgkmcnt(0)
	v_cmp_eq_f32_e32 vcc, 0, v58
	s_and_saveexec_b64 s[0:1], vcc
	s_xor_b64 s[0:1], exec, s[0:1]
; %bb.662:
	v_cmp_ne_u32_e32 vcc, 0, v55
	s_nop 1
	v_cndmask_b32_e32 v55, 40, v55, vcc
; %bb.663:
	s_andn2_saveexec_b64 s[0:1], s[0:1]
	s_cbranch_execz .LBB94_665
; %bb.664:
	v_div_scale_f32 v60, s[2:3], v58, v58, 1.0
	v_rcp_f32_e32 v61, v60
	v_div_scale_f32 v62, vcc, 1.0, v58, 1.0
	v_fma_f32 v63, -v60, v61, 1.0
	v_fmac_f32_e32 v61, v63, v61
	v_mul_f32_e32 v63, v62, v61
	v_fma_f32 v64, -v60, v63, v62
	v_fmac_f32_e32 v63, v64, v61
	v_fma_f32 v60, -v60, v63, v62
	v_div_fmas_f32 v60, v60, v61, v63
	v_div_fixup_f32 v58, v60, v58, 1.0
.LBB94_665:
	s_or_b64 exec, exec, s[0:1]
	v_cmp_ne_u32_e32 vcc, v59, v56
	s_and_saveexec_b64 s[0:1], vcc
	s_xor_b64 s[0:1], exec, s[0:1]
	s_cbranch_execz .LBB94_671
; %bb.666:
	v_cmp_eq_u32_e32 vcc, 39, v59
	s_and_saveexec_b64 s[2:3], vcc
	s_cbranch_execz .LBB94_670
; %bb.667:
	v_cmp_ne_u32_e32 vcc, 39, v56
	s_xor_b64 s[12:13], s[20:21], -1
	s_and_b64 s[14:15], s[12:13], vcc
	s_and_saveexec_b64 s[12:13], s[14:15]
	s_cbranch_execz .LBB94_669
; %bb.668:
	v_ashrrev_i32_e32 v57, 31, v56
	v_lshl_add_u64 v[60:61], v[56:57], 2, v[4:5]
	global_load_dword v57, v[60:61], off
	global_load_dword v59, v[4:5], off offset:156
	s_waitcnt vmcnt(1)
	global_store_dword v[4:5], v57, off offset:156
	s_waitcnt vmcnt(1)
	global_store_dword v[60:61], v59, off
.LBB94_669:
	s_or_b64 exec, exec, s[12:13]
	v_mov_b32_e32 v57, v56
	v_mov_b32_e32 v59, v56
.LBB94_670:
	s_or_b64 exec, exec, s[2:3]
.LBB94_671:
	s_andn2_saveexec_b64 s[0:1], s[0:1]
	s_cbranch_execz .LBB94_673
; %bb.672:
	v_mov_b32_e32 v59, 39
	s_waitcnt vmcnt(6)
	ds_write2_b32 v53, v24, v25 offset0:40 offset1:41
	s_waitcnt vmcnt(4)
	ds_write2_b32 v53, v16, v17 offset0:42 offset1:43
	;; [unrolled: 2-line block ×4, first 2 shown]
.LBB94_673:
	s_or_b64 exec, exec, s[0:1]
	v_cmp_lt_i32_e32 vcc, 39, v59
	s_waitcnt lgkmcnt(0)
	s_barrier
	s_and_saveexec_b64 s[0:1], vcc
	s_cbranch_execz .LBB94_675
; %bb.674:
	ds_read2_b32 v[60:61], v53 offset0:40 offset1:41
	ds_read2_b32 v[62:63], v53 offset0:42 offset1:43
	;; [unrolled: 1-line block ×4, first 2 shown]
	v_mul_f32_e32 v56, v58, v1
	s_waitcnt vmcnt(6) lgkmcnt(3)
	v_pk_fma_f32 v[24:25], v[56:57], v[60:61], v[24:25] op_sel_hi:[0,1,1] neg_lo:[1,0,0] neg_hi:[1,0,0]
	s_waitcnt vmcnt(4) lgkmcnt(2)
	v_pk_fma_f32 v[16:17], v[56:57], v[62:63], v[16:17] op_sel_hi:[0,1,1] neg_lo:[1,0,0] neg_hi:[1,0,0]
	;; [unrolled: 2-line block ×4, first 2 shown]
	v_mov_b32_e32 v1, v56
.LBB94_675:
	s_or_b64 exec, exec, s[0:1]
	v_lshl_add_u32 v56, v59, 2, v53
	s_barrier
	s_waitcnt vmcnt(7)
	ds_write_b32 v56, v24
	s_waitcnt lgkmcnt(0)
	s_barrier
	ds_read_b32 v58, v53 offset:160
	s_cmp_lt_i32 s22, 42
	v_mov_b32_e32 v56, 40
	s_cbranch_scc1 .LBB94_678
; %bb.676:
	v_add_u32_e32 v60, 0xa4, v53
	v_mov_b32_e32 v56, 40
	s_mov_b32 s0, 41
.LBB94_677:                             ; =>This Inner Loop Header: Depth=1
	ds_read_b32 v61, v60
	v_mov_b32_e32 v62, s0
	s_add_i32 s0, s0, 1
	v_add_u32_e32 v60, 4, v60
	s_cmp_lg_u32 s22, s0
	s_waitcnt lgkmcnt(0)
	v_cmp_lt_f32_e64 vcc, |v58|, |v61|
	s_nop 1
	v_cndmask_b32_e32 v58, v58, v61, vcc
	v_cndmask_b32_e32 v56, v56, v62, vcc
	s_cbranch_scc1 .LBB94_677
.LBB94_678:
	s_waitcnt lgkmcnt(0)
	v_cmp_eq_f32_e32 vcc, 0, v58
	s_and_saveexec_b64 s[0:1], vcc
	s_xor_b64 s[0:1], exec, s[0:1]
; %bb.679:
	v_cmp_ne_u32_e32 vcc, 0, v55
	s_nop 1
	v_cndmask_b32_e32 v55, 41, v55, vcc
; %bb.680:
	s_andn2_saveexec_b64 s[0:1], s[0:1]
	s_cbranch_execz .LBB94_682
; %bb.681:
	v_div_scale_f32 v60, s[2:3], v58, v58, 1.0
	v_rcp_f32_e32 v61, v60
	v_div_scale_f32 v62, vcc, 1.0, v58, 1.0
	v_fma_f32 v63, -v60, v61, 1.0
	v_fmac_f32_e32 v61, v63, v61
	v_mul_f32_e32 v63, v62, v61
	v_fma_f32 v64, -v60, v63, v62
	v_fmac_f32_e32 v63, v64, v61
	v_fma_f32 v60, -v60, v63, v62
	v_div_fmas_f32 v60, v60, v61, v63
	v_div_fixup_f32 v58, v60, v58, 1.0
.LBB94_682:
	s_or_b64 exec, exec, s[0:1]
	v_cmp_ne_u32_e32 vcc, v59, v56
	s_and_saveexec_b64 s[0:1], vcc
	s_xor_b64 s[0:1], exec, s[0:1]
	s_cbranch_execz .LBB94_688
; %bb.683:
	v_cmp_eq_u32_e32 vcc, 40, v59
	s_and_saveexec_b64 s[2:3], vcc
	s_cbranch_execz .LBB94_687
; %bb.684:
	v_cmp_ne_u32_e32 vcc, 40, v56
	s_xor_b64 s[12:13], s[20:21], -1
	s_and_b64 s[14:15], s[12:13], vcc
	s_and_saveexec_b64 s[12:13], s[14:15]
	s_cbranch_execz .LBB94_686
; %bb.685:
	v_ashrrev_i32_e32 v57, 31, v56
	v_lshl_add_u64 v[60:61], v[56:57], 2, v[4:5]
	global_load_dword v57, v[60:61], off
	global_load_dword v59, v[4:5], off offset:160
	s_waitcnt vmcnt(1)
	global_store_dword v[4:5], v57, off offset:160
	s_waitcnt vmcnt(1)
	global_store_dword v[60:61], v59, off
.LBB94_686:
	s_or_b64 exec, exec, s[12:13]
	v_mov_b32_e32 v57, v56
	v_mov_b32_e32 v59, v56
.LBB94_687:
	s_or_b64 exec, exec, s[2:3]
.LBB94_688:
	s_andn2_saveexec_b64 s[0:1], s[0:1]
	s_cbranch_execz .LBB94_690
; %bb.689:
	s_waitcnt vmcnt(4)
	v_pk_mov_b32 v[60:61], v[24:25], v[16:17] op_sel:[1,0]
	ds_write2_b32 v53, v60, v61 offset0:41 offset1:42
	s_waitcnt vmcnt(2)
	v_pk_mov_b32 v[60:61], v[16:17], v[8:9] op_sel:[1,0]
	ds_write2_b32 v53, v60, v61 offset0:43 offset1:44
	s_waitcnt vmcnt(0)
	v_pk_mov_b32 v[60:61], v[8:9], v[10:11] op_sel:[1,0]
	v_mov_b32_e32 v59, 40
	ds_write2_b32 v53, v60, v61 offset0:45 offset1:46
	ds_write_b32 v53, v11 offset:188
.LBB94_690:
	s_or_b64 exec, exec, s[0:1]
	v_cmp_lt_i32_e32 vcc, 40, v59
	s_waitcnt lgkmcnt(0)
	s_barrier
	s_and_saveexec_b64 s[0:1], vcc
	s_cbranch_execz .LBB94_692
; %bb.691:
	ds_read_b32 v56, v53 offset:164
	ds_read2_b32 v[60:61], v53 offset0:42 offset1:43
	ds_read2_b32 v[62:63], v53 offset0:44 offset1:45
	ds_read2_b32 v[64:65], v53 offset0:46 offset1:47
	v_mul_f32_e32 v24, v58, v24
	s_waitcnt vmcnt(6) lgkmcnt(3)
	v_fma_f32 v25, -v24, v56, v25
	s_waitcnt vmcnt(4) lgkmcnt(2)
	v_pk_fma_f32 v[16:17], v[24:25], v[60:61], v[16:17] op_sel_hi:[0,1,1] neg_lo:[1,0,0] neg_hi:[1,0,0]
	s_waitcnt vmcnt(2) lgkmcnt(1)
	v_pk_fma_f32 v[8:9], v[24:25], v[62:63], v[8:9] op_sel_hi:[0,1,1] neg_lo:[1,0,0] neg_hi:[1,0,0]
	s_waitcnt vmcnt(0) lgkmcnt(0)
	v_pk_fma_f32 v[10:11], v[24:25], v[64:65], v[10:11] op_sel_hi:[0,1,1] neg_lo:[1,0,0] neg_hi:[1,0,0]
.LBB94_692:
	s_or_b64 exec, exec, s[0:1]
	v_lshl_add_u32 v56, v59, 2, v53
	s_barrier
	s_waitcnt vmcnt(6)
	ds_write_b32 v56, v25
	s_waitcnt lgkmcnt(0)
	s_barrier
	ds_read_b32 v58, v53 offset:164
	s_cmp_lt_i32 s22, 43
	v_mov_b32_e32 v56, 41
	s_cbranch_scc1 .LBB94_695
; %bb.693:
	v_add_u32_e32 v60, 0xa8, v53
	v_mov_b32_e32 v56, 41
	s_mov_b32 s0, 42
.LBB94_694:                             ; =>This Inner Loop Header: Depth=1
	ds_read_b32 v61, v60
	v_mov_b32_e32 v62, s0
	s_add_i32 s0, s0, 1
	v_add_u32_e32 v60, 4, v60
	s_cmp_lg_u32 s22, s0
	s_waitcnt lgkmcnt(0)
	v_cmp_lt_f32_e64 vcc, |v58|, |v61|
	s_nop 1
	v_cndmask_b32_e32 v58, v58, v61, vcc
	v_cndmask_b32_e32 v56, v56, v62, vcc
	s_cbranch_scc1 .LBB94_694
.LBB94_695:
	s_waitcnt lgkmcnt(0)
	v_cmp_eq_f32_e32 vcc, 0, v58
	s_and_saveexec_b64 s[0:1], vcc
	s_xor_b64 s[0:1], exec, s[0:1]
; %bb.696:
	v_cmp_ne_u32_e32 vcc, 0, v55
	s_nop 1
	v_cndmask_b32_e32 v55, 42, v55, vcc
; %bb.697:
	s_andn2_saveexec_b64 s[0:1], s[0:1]
	s_cbranch_execz .LBB94_699
; %bb.698:
	v_div_scale_f32 v60, s[2:3], v58, v58, 1.0
	v_rcp_f32_e32 v61, v60
	v_div_scale_f32 v62, vcc, 1.0, v58, 1.0
	v_fma_f32 v63, -v60, v61, 1.0
	v_fmac_f32_e32 v61, v63, v61
	v_mul_f32_e32 v63, v62, v61
	v_fma_f32 v64, -v60, v63, v62
	v_fmac_f32_e32 v63, v64, v61
	v_fma_f32 v60, -v60, v63, v62
	v_div_fmas_f32 v60, v60, v61, v63
	v_div_fixup_f32 v58, v60, v58, 1.0
.LBB94_699:
	s_or_b64 exec, exec, s[0:1]
	v_cmp_ne_u32_e32 vcc, v59, v56
	s_and_saveexec_b64 s[0:1], vcc
	s_xor_b64 s[0:1], exec, s[0:1]
	s_cbranch_execz .LBB94_705
; %bb.700:
	v_cmp_eq_u32_e32 vcc, 41, v59
	s_and_saveexec_b64 s[2:3], vcc
	s_cbranch_execz .LBB94_704
; %bb.701:
	v_cmp_ne_u32_e32 vcc, 41, v56
	s_xor_b64 s[12:13], s[20:21], -1
	s_and_b64 s[14:15], s[12:13], vcc
	s_and_saveexec_b64 s[12:13], s[14:15]
	s_cbranch_execz .LBB94_703
; %bb.702:
	v_ashrrev_i32_e32 v57, 31, v56
	v_lshl_add_u64 v[60:61], v[56:57], 2, v[4:5]
	global_load_dword v57, v[60:61], off
	global_load_dword v59, v[4:5], off offset:164
	s_waitcnt vmcnt(1)
	global_store_dword v[4:5], v57, off offset:164
	s_waitcnt vmcnt(1)
	global_store_dword v[60:61], v59, off
.LBB94_703:
	s_or_b64 exec, exec, s[12:13]
	v_mov_b32_e32 v57, v56
	v_mov_b32_e32 v59, v56
.LBB94_704:
	s_or_b64 exec, exec, s[2:3]
.LBB94_705:
	s_andn2_saveexec_b64 s[0:1], s[0:1]
	s_cbranch_execz .LBB94_707
; %bb.706:
	v_mov_b32_e32 v59, 41
	s_waitcnt vmcnt(4)
	ds_write2_b32 v53, v16, v17 offset0:42 offset1:43
	s_waitcnt vmcnt(2)
	ds_write2_b32 v53, v8, v9 offset0:44 offset1:45
	s_waitcnt vmcnt(0)
	ds_write2_b32 v53, v10, v11 offset0:46 offset1:47
.LBB94_707:
	s_or_b64 exec, exec, s[0:1]
	v_cmp_lt_i32_e32 vcc, 41, v59
	s_waitcnt lgkmcnt(0)
	s_barrier
	s_and_saveexec_b64 s[0:1], vcc
	s_cbranch_execz .LBB94_709
; %bb.708:
	ds_read2_b32 v[60:61], v53 offset0:42 offset1:43
	ds_read2_b32 v[62:63], v53 offset0:44 offset1:45
	;; [unrolled: 1-line block ×3, first 2 shown]
	v_mul_f32_e32 v56, v58, v25
	v_mov_b32_e32 v25, v56
	s_waitcnt vmcnt(4) lgkmcnt(2)
	v_pk_fma_f32 v[16:17], v[56:57], v[60:61], v[16:17] op_sel_hi:[0,1,1] neg_lo:[1,0,0] neg_hi:[1,0,0]
	s_waitcnt vmcnt(2) lgkmcnt(1)
	v_pk_fma_f32 v[8:9], v[56:57], v[62:63], v[8:9] op_sel_hi:[0,1,1] neg_lo:[1,0,0] neg_hi:[1,0,0]
	;; [unrolled: 2-line block ×3, first 2 shown]
.LBB94_709:
	s_or_b64 exec, exec, s[0:1]
	v_lshl_add_u32 v56, v59, 2, v53
	s_barrier
	s_waitcnt vmcnt(5)
	ds_write_b32 v56, v16
	s_waitcnt lgkmcnt(0)
	s_barrier
	ds_read_b32 v58, v53 offset:168
	s_cmp_lt_i32 s22, 44
	v_mov_b32_e32 v56, 42
	s_cbranch_scc1 .LBB94_712
; %bb.710:
	v_add_u32_e32 v60, 0xac, v53
	v_mov_b32_e32 v56, 42
	s_mov_b32 s0, 43
.LBB94_711:                             ; =>This Inner Loop Header: Depth=1
	ds_read_b32 v61, v60
	v_mov_b32_e32 v62, s0
	s_add_i32 s0, s0, 1
	v_add_u32_e32 v60, 4, v60
	s_cmp_lg_u32 s22, s0
	s_waitcnt lgkmcnt(0)
	v_cmp_lt_f32_e64 vcc, |v58|, |v61|
	s_nop 1
	v_cndmask_b32_e32 v58, v58, v61, vcc
	v_cndmask_b32_e32 v56, v56, v62, vcc
	s_cbranch_scc1 .LBB94_711
.LBB94_712:
	s_waitcnt lgkmcnt(0)
	v_cmp_eq_f32_e32 vcc, 0, v58
	s_and_saveexec_b64 s[0:1], vcc
	s_xor_b64 s[0:1], exec, s[0:1]
; %bb.713:
	v_cmp_ne_u32_e32 vcc, 0, v55
	s_nop 1
	v_cndmask_b32_e32 v55, 43, v55, vcc
; %bb.714:
	s_andn2_saveexec_b64 s[0:1], s[0:1]
	s_cbranch_execz .LBB94_716
; %bb.715:
	v_div_scale_f32 v60, s[2:3], v58, v58, 1.0
	v_rcp_f32_e32 v61, v60
	v_div_scale_f32 v62, vcc, 1.0, v58, 1.0
	v_fma_f32 v63, -v60, v61, 1.0
	v_fmac_f32_e32 v61, v63, v61
	v_mul_f32_e32 v63, v62, v61
	v_fma_f32 v64, -v60, v63, v62
	v_fmac_f32_e32 v63, v64, v61
	v_fma_f32 v60, -v60, v63, v62
	v_div_fmas_f32 v60, v60, v61, v63
	v_div_fixup_f32 v58, v60, v58, 1.0
.LBB94_716:
	s_or_b64 exec, exec, s[0:1]
	v_cmp_ne_u32_e32 vcc, v59, v56
	s_and_saveexec_b64 s[0:1], vcc
	s_xor_b64 s[0:1], exec, s[0:1]
	s_cbranch_execz .LBB94_722
; %bb.717:
	v_cmp_eq_u32_e32 vcc, 42, v59
	s_and_saveexec_b64 s[2:3], vcc
	s_cbranch_execz .LBB94_721
; %bb.718:
	v_cmp_ne_u32_e32 vcc, 42, v56
	s_xor_b64 s[12:13], s[20:21], -1
	s_and_b64 s[14:15], s[12:13], vcc
	s_and_saveexec_b64 s[12:13], s[14:15]
	s_cbranch_execz .LBB94_720
; %bb.719:
	v_ashrrev_i32_e32 v57, 31, v56
	v_lshl_add_u64 v[60:61], v[56:57], 2, v[4:5]
	global_load_dword v57, v[60:61], off
	global_load_dword v59, v[4:5], off offset:168
	s_waitcnt vmcnt(1)
	global_store_dword v[4:5], v57, off offset:168
	s_waitcnt vmcnt(1)
	global_store_dword v[60:61], v59, off
.LBB94_720:
	s_or_b64 exec, exec, s[12:13]
	v_mov_b32_e32 v57, v56
	v_mov_b32_e32 v59, v56
.LBB94_721:
	s_or_b64 exec, exec, s[2:3]
.LBB94_722:
	s_andn2_saveexec_b64 s[0:1], s[0:1]
	s_cbranch_execz .LBB94_724
; %bb.723:
	s_waitcnt vmcnt(2)
	v_pk_mov_b32 v[60:61], v[16:17], v[8:9] op_sel:[1,0]
	ds_write2_b32 v53, v60, v61 offset0:43 offset1:44
	s_waitcnt vmcnt(0)
	v_pk_mov_b32 v[60:61], v[8:9], v[10:11] op_sel:[1,0]
	v_mov_b32_e32 v59, 42
	ds_write2_b32 v53, v60, v61 offset0:45 offset1:46
	ds_write_b32 v53, v11 offset:188
.LBB94_724:
	s_or_b64 exec, exec, s[0:1]
	v_cmp_lt_i32_e32 vcc, 42, v59
	s_waitcnt lgkmcnt(0)
	s_barrier
	s_and_saveexec_b64 s[0:1], vcc
	s_cbranch_execz .LBB94_726
; %bb.725:
	ds_read_b32 v56, v53 offset:172
	ds_read2_b32 v[60:61], v53 offset0:44 offset1:45
	ds_read2_b32 v[62:63], v53 offset0:46 offset1:47
	v_mul_f32_e32 v16, v58, v16
	s_waitcnt vmcnt(4) lgkmcnt(2)
	v_fma_f32 v17, -v16, v56, v17
	s_waitcnt vmcnt(2) lgkmcnt(1)
	v_pk_fma_f32 v[8:9], v[16:17], v[60:61], v[8:9] op_sel_hi:[0,1,1] neg_lo:[1,0,0] neg_hi:[1,0,0]
	s_waitcnt vmcnt(0) lgkmcnt(0)
	v_pk_fma_f32 v[10:11], v[16:17], v[62:63], v[10:11] op_sel_hi:[0,1,1] neg_lo:[1,0,0] neg_hi:[1,0,0]
.LBB94_726:
	s_or_b64 exec, exec, s[0:1]
	v_lshl_add_u32 v56, v59, 2, v53
	s_barrier
	s_waitcnt vmcnt(4)
	ds_write_b32 v56, v17
	s_waitcnt lgkmcnt(0)
	s_barrier
	ds_read_b32 v58, v53 offset:172
	s_cmp_lt_i32 s22, 45
	v_mov_b32_e32 v56, 43
	s_cbranch_scc1 .LBB94_729
; %bb.727:
	v_add_u32_e32 v60, 0xb0, v53
	v_mov_b32_e32 v56, 43
	s_mov_b32 s0, 44
.LBB94_728:                             ; =>This Inner Loop Header: Depth=1
	ds_read_b32 v61, v60
	v_mov_b32_e32 v62, s0
	s_add_i32 s0, s0, 1
	v_add_u32_e32 v60, 4, v60
	s_cmp_lg_u32 s22, s0
	s_waitcnt lgkmcnt(0)
	v_cmp_lt_f32_e64 vcc, |v58|, |v61|
	s_nop 1
	v_cndmask_b32_e32 v58, v58, v61, vcc
	v_cndmask_b32_e32 v56, v56, v62, vcc
	s_cbranch_scc1 .LBB94_728
.LBB94_729:
	s_waitcnt lgkmcnt(0)
	v_cmp_eq_f32_e32 vcc, 0, v58
	s_and_saveexec_b64 s[0:1], vcc
	s_xor_b64 s[0:1], exec, s[0:1]
; %bb.730:
	v_cmp_ne_u32_e32 vcc, 0, v55
	s_nop 1
	v_cndmask_b32_e32 v55, 44, v55, vcc
; %bb.731:
	s_andn2_saveexec_b64 s[0:1], s[0:1]
	s_cbranch_execz .LBB94_733
; %bb.732:
	v_div_scale_f32 v60, s[2:3], v58, v58, 1.0
	v_rcp_f32_e32 v61, v60
	v_div_scale_f32 v62, vcc, 1.0, v58, 1.0
	v_fma_f32 v63, -v60, v61, 1.0
	v_fmac_f32_e32 v61, v63, v61
	v_mul_f32_e32 v63, v62, v61
	v_fma_f32 v64, -v60, v63, v62
	v_fmac_f32_e32 v63, v64, v61
	v_fma_f32 v60, -v60, v63, v62
	v_div_fmas_f32 v60, v60, v61, v63
	v_div_fixup_f32 v58, v60, v58, 1.0
.LBB94_733:
	s_or_b64 exec, exec, s[0:1]
	v_cmp_ne_u32_e32 vcc, v59, v56
	s_and_saveexec_b64 s[0:1], vcc
	s_xor_b64 s[0:1], exec, s[0:1]
	s_cbranch_execz .LBB94_739
; %bb.734:
	v_cmp_eq_u32_e32 vcc, 43, v59
	s_and_saveexec_b64 s[2:3], vcc
	s_cbranch_execz .LBB94_738
; %bb.735:
	v_cmp_ne_u32_e32 vcc, 43, v56
	s_xor_b64 s[12:13], s[20:21], -1
	s_and_b64 s[14:15], s[12:13], vcc
	s_and_saveexec_b64 s[12:13], s[14:15]
	s_cbranch_execz .LBB94_737
; %bb.736:
	v_ashrrev_i32_e32 v57, 31, v56
	v_lshl_add_u64 v[60:61], v[56:57], 2, v[4:5]
	global_load_dword v57, v[60:61], off
	global_load_dword v59, v[4:5], off offset:172
	s_waitcnt vmcnt(1)
	global_store_dword v[4:5], v57, off offset:172
	s_waitcnt vmcnt(1)
	global_store_dword v[60:61], v59, off
.LBB94_737:
	s_or_b64 exec, exec, s[12:13]
	v_mov_b32_e32 v57, v56
	v_mov_b32_e32 v59, v56
.LBB94_738:
	s_or_b64 exec, exec, s[2:3]
.LBB94_739:
	s_andn2_saveexec_b64 s[0:1], s[0:1]
	s_cbranch_execz .LBB94_741
; %bb.740:
	v_mov_b32_e32 v59, 43
	s_waitcnt vmcnt(2)
	ds_write2_b32 v53, v8, v9 offset0:44 offset1:45
	s_waitcnt vmcnt(0)
	ds_write2_b32 v53, v10, v11 offset0:46 offset1:47
.LBB94_741:
	s_or_b64 exec, exec, s[0:1]
	v_cmp_lt_i32_e32 vcc, 43, v59
	s_waitcnt lgkmcnt(0)
	s_barrier
	s_and_saveexec_b64 s[0:1], vcc
	s_cbranch_execz .LBB94_743
; %bb.742:
	ds_read2_b32 v[60:61], v53 offset0:44 offset1:45
	ds_read2_b32 v[62:63], v53 offset0:46 offset1:47
	v_mul_f32_e32 v56, v58, v17
	v_mov_b32_e32 v17, v56
	s_waitcnt vmcnt(2) lgkmcnt(1)
	v_pk_fma_f32 v[8:9], v[56:57], v[60:61], v[8:9] op_sel_hi:[0,1,1] neg_lo:[1,0,0] neg_hi:[1,0,0]
	s_waitcnt vmcnt(0) lgkmcnt(0)
	v_pk_fma_f32 v[10:11], v[56:57], v[62:63], v[10:11] op_sel_hi:[0,1,1] neg_lo:[1,0,0] neg_hi:[1,0,0]
.LBB94_743:
	s_or_b64 exec, exec, s[0:1]
	v_lshl_add_u32 v56, v59, 2, v53
	s_barrier
	s_waitcnt vmcnt(3)
	ds_write_b32 v56, v8
	s_waitcnt lgkmcnt(0)
	s_barrier
	ds_read_b32 v58, v53 offset:176
	s_cmp_lt_i32 s22, 46
	v_mov_b32_e32 v56, 44
	s_cbranch_scc1 .LBB94_746
; %bb.744:
	v_add_u32_e32 v60, 0xb4, v53
	v_mov_b32_e32 v56, 44
	s_mov_b32 s0, 45
.LBB94_745:                             ; =>This Inner Loop Header: Depth=1
	ds_read_b32 v61, v60
	v_mov_b32_e32 v62, s0
	s_add_i32 s0, s0, 1
	v_add_u32_e32 v60, 4, v60
	s_cmp_lg_u32 s22, s0
	s_waitcnt lgkmcnt(0)
	v_cmp_lt_f32_e64 vcc, |v58|, |v61|
	s_nop 1
	v_cndmask_b32_e32 v58, v58, v61, vcc
	v_cndmask_b32_e32 v56, v56, v62, vcc
	s_cbranch_scc1 .LBB94_745
.LBB94_746:
	s_waitcnt lgkmcnt(0)
	v_cmp_eq_f32_e32 vcc, 0, v58
	s_and_saveexec_b64 s[0:1], vcc
	s_xor_b64 s[0:1], exec, s[0:1]
; %bb.747:
	v_cmp_ne_u32_e32 vcc, 0, v55
	s_nop 1
	v_cndmask_b32_e32 v55, 45, v55, vcc
; %bb.748:
	s_andn2_saveexec_b64 s[0:1], s[0:1]
	s_cbranch_execz .LBB94_750
; %bb.749:
	v_div_scale_f32 v60, s[2:3], v58, v58, 1.0
	v_rcp_f32_e32 v61, v60
	v_div_scale_f32 v62, vcc, 1.0, v58, 1.0
	v_fma_f32 v63, -v60, v61, 1.0
	v_fmac_f32_e32 v61, v63, v61
	v_mul_f32_e32 v63, v62, v61
	v_fma_f32 v64, -v60, v63, v62
	v_fmac_f32_e32 v63, v64, v61
	v_fma_f32 v60, -v60, v63, v62
	v_div_fmas_f32 v60, v60, v61, v63
	v_div_fixup_f32 v58, v60, v58, 1.0
.LBB94_750:
	s_or_b64 exec, exec, s[0:1]
	v_cmp_ne_u32_e32 vcc, v59, v56
	s_and_saveexec_b64 s[0:1], vcc
	s_xor_b64 s[0:1], exec, s[0:1]
	s_cbranch_execz .LBB94_756
; %bb.751:
	v_cmp_eq_u32_e32 vcc, 44, v59
	s_and_saveexec_b64 s[2:3], vcc
	s_cbranch_execz .LBB94_755
; %bb.752:
	v_cmp_ne_u32_e32 vcc, 44, v56
	s_xor_b64 s[12:13], s[20:21], -1
	s_and_b64 s[14:15], s[12:13], vcc
	s_and_saveexec_b64 s[12:13], s[14:15]
	s_cbranch_execz .LBB94_754
; %bb.753:
	v_ashrrev_i32_e32 v57, 31, v56
	v_lshl_add_u64 v[60:61], v[56:57], 2, v[4:5]
	global_load_dword v57, v[60:61], off
	global_load_dword v59, v[4:5], off offset:176
	s_waitcnt vmcnt(1)
	global_store_dword v[4:5], v57, off offset:176
	s_waitcnt vmcnt(1)
	global_store_dword v[60:61], v59, off
.LBB94_754:
	s_or_b64 exec, exec, s[12:13]
	v_mov_b32_e32 v57, v56
	v_mov_b32_e32 v59, v56
.LBB94_755:
	s_or_b64 exec, exec, s[2:3]
.LBB94_756:
	s_andn2_saveexec_b64 s[0:1], s[0:1]
	s_cbranch_execz .LBB94_758
; %bb.757:
	s_waitcnt vmcnt(0)
	v_pk_mov_b32 v[60:61], v[8:9], v[10:11] op_sel:[1,0]
	v_mov_b32_e32 v59, 44
	ds_write2_b32 v53, v60, v61 offset0:45 offset1:46
	ds_write_b32 v53, v11 offset:188
.LBB94_758:
	s_or_b64 exec, exec, s[0:1]
	v_cmp_lt_i32_e32 vcc, 44, v59
	s_waitcnt lgkmcnt(0)
	s_barrier
	s_and_saveexec_b64 s[0:1], vcc
	s_cbranch_execz .LBB94_760
; %bb.759:
	ds_read_b32 v56, v53 offset:180
	ds_read2_b32 v[60:61], v53 offset0:46 offset1:47
	v_mul_f32_e32 v8, v58, v8
	s_waitcnt vmcnt(2) lgkmcnt(1)
	v_fma_f32 v9, -v8, v56, v9
	s_waitcnt vmcnt(0) lgkmcnt(0)
	v_pk_fma_f32 v[10:11], v[8:9], v[60:61], v[10:11] op_sel_hi:[0,1,1] neg_lo:[1,0,0] neg_hi:[1,0,0]
.LBB94_760:
	s_or_b64 exec, exec, s[0:1]
	v_lshl_add_u32 v56, v59, 2, v53
	s_barrier
	s_waitcnt vmcnt(2)
	ds_write_b32 v56, v9
	s_waitcnt lgkmcnt(0)
	s_barrier
	ds_read_b32 v58, v53 offset:180
	s_cmp_lt_i32 s22, 47
	v_mov_b32_e32 v56, 45
	s_cbranch_scc1 .LBB94_763
; %bb.761:
	v_add_u32_e32 v60, 0xb8, v53
	v_mov_b32_e32 v56, 45
	s_mov_b32 s0, 46
.LBB94_762:                             ; =>This Inner Loop Header: Depth=1
	ds_read_b32 v61, v60
	v_mov_b32_e32 v62, s0
	s_add_i32 s0, s0, 1
	v_add_u32_e32 v60, 4, v60
	s_cmp_lg_u32 s22, s0
	s_waitcnt lgkmcnt(0)
	v_cmp_lt_f32_e64 vcc, |v58|, |v61|
	s_nop 1
	v_cndmask_b32_e32 v58, v58, v61, vcc
	v_cndmask_b32_e32 v56, v56, v62, vcc
	s_cbranch_scc1 .LBB94_762
.LBB94_763:
	s_waitcnt lgkmcnt(0)
	v_cmp_eq_f32_e32 vcc, 0, v58
	s_and_saveexec_b64 s[0:1], vcc
	s_xor_b64 s[0:1], exec, s[0:1]
; %bb.764:
	v_cmp_ne_u32_e32 vcc, 0, v55
	s_nop 1
	v_cndmask_b32_e32 v55, 46, v55, vcc
; %bb.765:
	s_andn2_saveexec_b64 s[0:1], s[0:1]
	s_cbranch_execz .LBB94_767
; %bb.766:
	v_div_scale_f32 v60, s[2:3], v58, v58, 1.0
	v_rcp_f32_e32 v61, v60
	v_div_scale_f32 v62, vcc, 1.0, v58, 1.0
	v_fma_f32 v63, -v60, v61, 1.0
	v_fmac_f32_e32 v61, v63, v61
	v_mul_f32_e32 v63, v62, v61
	v_fma_f32 v64, -v60, v63, v62
	v_fmac_f32_e32 v63, v64, v61
	v_fma_f32 v60, -v60, v63, v62
	v_div_fmas_f32 v60, v60, v61, v63
	v_div_fixup_f32 v58, v60, v58, 1.0
.LBB94_767:
	s_or_b64 exec, exec, s[0:1]
	v_cmp_ne_u32_e32 vcc, v59, v56
	s_and_saveexec_b64 s[0:1], vcc
	s_xor_b64 s[0:1], exec, s[0:1]
	s_cbranch_execz .LBB94_773
; %bb.768:
	v_cmp_eq_u32_e32 vcc, 45, v59
	s_and_saveexec_b64 s[2:3], vcc
	s_cbranch_execz .LBB94_772
; %bb.769:
	v_cmp_ne_u32_e32 vcc, 45, v56
	s_xor_b64 s[12:13], s[20:21], -1
	s_and_b64 s[14:15], s[12:13], vcc
	s_and_saveexec_b64 s[12:13], s[14:15]
	s_cbranch_execz .LBB94_771
; %bb.770:
	v_ashrrev_i32_e32 v57, 31, v56
	v_lshl_add_u64 v[60:61], v[56:57], 2, v[4:5]
	global_load_dword v57, v[60:61], off
	global_load_dword v59, v[4:5], off offset:180
	s_waitcnt vmcnt(1)
	global_store_dword v[4:5], v57, off offset:180
	s_waitcnt vmcnt(1)
	global_store_dword v[60:61], v59, off
.LBB94_771:
	s_or_b64 exec, exec, s[12:13]
	v_mov_b32_e32 v57, v56
	v_mov_b32_e32 v59, v56
.LBB94_772:
	s_or_b64 exec, exec, s[2:3]
.LBB94_773:
	s_andn2_saveexec_b64 s[0:1], s[0:1]
	s_cbranch_execz .LBB94_775
; %bb.774:
	v_mov_b32_e32 v59, 45
	s_waitcnt vmcnt(0)
	ds_write2_b32 v53, v10, v11 offset0:46 offset1:47
.LBB94_775:
	s_or_b64 exec, exec, s[0:1]
	v_cmp_lt_i32_e32 vcc, 45, v59
	s_waitcnt lgkmcnt(0)
	s_barrier
	s_and_saveexec_b64 s[0:1], vcc
	s_cbranch_execz .LBB94_777
; %bb.776:
	ds_read2_b32 v[60:61], v53 offset0:46 offset1:47
	v_mul_f32_e32 v56, v58, v9
	v_mov_b32_e32 v9, v56
	s_waitcnt vmcnt(0) lgkmcnt(0)
	v_pk_fma_f32 v[10:11], v[56:57], v[60:61], v[10:11] op_sel_hi:[0,1,1] neg_lo:[1,0,0] neg_hi:[1,0,0]
.LBB94_777:
	s_or_b64 exec, exec, s[0:1]
	v_lshl_add_u32 v56, v59, 2, v53
	s_barrier
	s_waitcnt vmcnt(1)
	ds_write_b32 v56, v10
	s_waitcnt lgkmcnt(0)
	s_barrier
	ds_read_b32 v58, v53 offset:184
	s_cmp_lt_i32 s22, 48
	v_mov_b32_e32 v56, 46
	s_cbranch_scc1 .LBB94_780
; %bb.778:
	v_add_u32_e32 v60, 0xbc, v53
	v_mov_b32_e32 v56, 46
	s_mov_b32 s0, 47
.LBB94_779:                             ; =>This Inner Loop Header: Depth=1
	ds_read_b32 v61, v60
	v_mov_b32_e32 v62, s0
	s_add_i32 s0, s0, 1
	v_add_u32_e32 v60, 4, v60
	s_cmp_lg_u32 s22, s0
	s_waitcnt lgkmcnt(0)
	v_cmp_lt_f32_e64 vcc, |v58|, |v61|
	s_nop 1
	v_cndmask_b32_e32 v58, v58, v61, vcc
	v_cndmask_b32_e32 v56, v56, v62, vcc
	s_cbranch_scc1 .LBB94_779
.LBB94_780:
	s_waitcnt lgkmcnt(0)
	v_cmp_eq_f32_e32 vcc, 0, v58
	s_and_saveexec_b64 s[0:1], vcc
	s_xor_b64 s[0:1], exec, s[0:1]
; %bb.781:
	v_cmp_ne_u32_e32 vcc, 0, v55
	s_nop 1
	v_cndmask_b32_e32 v55, 47, v55, vcc
; %bb.782:
	s_andn2_saveexec_b64 s[0:1], s[0:1]
	s_cbranch_execz .LBB94_784
; %bb.783:
	v_div_scale_f32 v60, s[2:3], v58, v58, 1.0
	v_rcp_f32_e32 v61, v60
	v_div_scale_f32 v62, vcc, 1.0, v58, 1.0
	v_fma_f32 v63, -v60, v61, 1.0
	v_fmac_f32_e32 v61, v63, v61
	v_mul_f32_e32 v63, v62, v61
	v_fma_f32 v64, -v60, v63, v62
	v_fmac_f32_e32 v63, v64, v61
	v_fma_f32 v60, -v60, v63, v62
	v_div_fmas_f32 v60, v60, v61, v63
	v_div_fixup_f32 v58, v60, v58, 1.0
.LBB94_784:
	s_or_b64 exec, exec, s[0:1]
	v_cmp_ne_u32_e32 vcc, v59, v56
	s_and_saveexec_b64 s[0:1], vcc
	s_xor_b64 s[0:1], exec, s[0:1]
	s_cbranch_execz .LBB94_790
; %bb.785:
	v_cmp_eq_u32_e32 vcc, 46, v59
	s_and_saveexec_b64 s[2:3], vcc
	s_cbranch_execz .LBB94_789
; %bb.786:
	v_cmp_ne_u32_e32 vcc, 46, v56
	s_xor_b64 s[12:13], s[20:21], -1
	s_and_b64 s[14:15], s[12:13], vcc
	s_and_saveexec_b64 s[12:13], s[14:15]
	s_cbranch_execz .LBB94_788
; %bb.787:
	v_ashrrev_i32_e32 v57, 31, v56
	v_lshl_add_u64 v[60:61], v[56:57], 2, v[4:5]
	global_load_dword v57, v[60:61], off
	global_load_dword v59, v[4:5], off offset:184
	s_waitcnt vmcnt(1)
	global_store_dword v[4:5], v57, off offset:184
	s_waitcnt vmcnt(1)
	global_store_dword v[60:61], v59, off
.LBB94_788:
	s_or_b64 exec, exec, s[12:13]
	v_mov_b32_e32 v57, v56
	v_mov_b32_e32 v59, v56
.LBB94_789:
	s_or_b64 exec, exec, s[2:3]
.LBB94_790:
	s_andn2_saveexec_b64 s[0:1], s[0:1]
	s_cbranch_execz .LBB94_792
; %bb.791:
	v_mov_b32_e32 v59, 46
	s_waitcnt vmcnt(0)
	ds_write_b32 v53, v11 offset:188
.LBB94_792:
	s_or_b64 exec, exec, s[0:1]
	v_cmp_lt_i32_e32 vcc, 46, v59
	s_waitcnt lgkmcnt(0)
	s_barrier
	s_and_saveexec_b64 s[0:1], vcc
	s_cbranch_execz .LBB94_794
; %bb.793:
	ds_read_b32 v56, v53 offset:188
	v_mul_f32_e32 v10, v58, v10
	s_waitcnt vmcnt(0) lgkmcnt(0)
	v_fma_f32 v11, -v10, v56, v11
.LBB94_794:
	s_or_b64 exec, exec, s[0:1]
	v_lshl_add_u32 v56, v59, 2, v53
	s_barrier
	s_waitcnt vmcnt(0)
	ds_write_b32 v56, v11
	s_waitcnt lgkmcnt(0)
	s_barrier
	ds_read_b32 v60, v53 offset:188
	s_cmp_lt_i32 s22, 49
	v_mov_b32_e32 v56, 47
	s_cbranch_scc1 .LBB94_797
; %bb.795:
	v_add_u32_e32 v53, 0xc0, v53
	v_mov_b32_e32 v56, 47
	s_mov_b32 s0, 48
.LBB94_796:                             ; =>This Inner Loop Header: Depth=1
	ds_read_b32 v58, v53
	v_mov_b32_e32 v61, s0
	s_add_i32 s0, s0, 1
	v_add_u32_e32 v53, 4, v53
	s_cmp_lg_u32 s22, s0
	s_waitcnt lgkmcnt(0)
	v_cmp_lt_f32_e64 vcc, |v60|, |v58|
	s_nop 1
	v_cndmask_b32_e32 v60, v60, v58, vcc
	v_cndmask_b32_e32 v56, v56, v61, vcc
	s_cbranch_scc1 .LBB94_796
.LBB94_797:
	s_waitcnt lgkmcnt(0)
	v_cmp_eq_f32_e32 vcc, 0, v60
	s_and_saveexec_b64 s[0:1], vcc
	s_xor_b64 s[0:1], exec, s[0:1]
; %bb.798:
	v_cmp_ne_u32_e32 vcc, 0, v55
	s_nop 1
	v_cndmask_b32_e32 v55, 48, v55, vcc
; %bb.799:
	s_andn2_saveexec_b64 s[0:1], s[0:1]
	s_cbranch_execz .LBB94_801
; %bb.800:
	v_div_scale_f32 v53, s[2:3], v60, v60, 1.0
	v_rcp_f32_e32 v58, v53
	v_div_scale_f32 v61, vcc, 1.0, v60, 1.0
	v_fma_f32 v62, -v53, v58, 1.0
	v_fmac_f32_e32 v58, v62, v58
	v_mul_f32_e32 v62, v61, v58
	v_fma_f32 v63, -v53, v62, v61
	v_fmac_f32_e32 v62, v63, v58
	v_fma_f32 v53, -v53, v62, v61
	v_div_fmas_f32 v53, v53, v58, v62
	v_div_fixup_f32 v60, v53, v60, 1.0
.LBB94_801:
	s_or_b64 exec, exec, s[0:1]
	v_cmp_ne_u32_e32 vcc, v59, v56
	v_mov_b32_e32 v58, 47
	s_and_saveexec_b64 s[0:1], vcc
	s_cbranch_execz .LBB94_807
; %bb.802:
	v_cmp_eq_u32_e32 vcc, 47, v59
	s_and_saveexec_b64 s[2:3], vcc
	s_cbranch_execz .LBB94_806
; %bb.803:
	v_cmp_ne_u32_e32 vcc, 47, v56
	s_xor_b64 s[12:13], s[20:21], -1
	s_and_b64 s[14:15], s[12:13], vcc
	s_and_saveexec_b64 s[12:13], s[14:15]
	s_cbranch_execz .LBB94_805
; %bb.804:
	v_ashrrev_i32_e32 v57, 31, v56
	v_lshl_add_u64 v[58:59], v[56:57], 2, v[4:5]
	global_load_dword v53, v[58:59], off
	global_load_dword v57, v[4:5], off offset:188
	s_waitcnt vmcnt(1)
	global_store_dword v[4:5], v53, off offset:188
	s_waitcnt vmcnt(1)
	global_store_dword v[58:59], v57, off
.LBB94_805:
	s_or_b64 exec, exec, s[12:13]
	v_mov_b32_e32 v57, v56
	v_mov_b32_e32 v59, v56
.LBB94_806:
	s_or_b64 exec, exec, s[2:3]
	v_mov_b32_e32 v58, v59
.LBB94_807:
	s_or_b64 exec, exec, s[0:1]
	v_cmp_gt_i32_e32 vcc, 48, v58
	v_ashrrev_i32_e32 v59, 31, v58
	s_barrier
	s_barrier
	s_and_saveexec_b64 s[0:1], vcc
	s_cbranch_execz .LBB94_809
; %bb.808:
	v_mul_lo_u32 v53, s11, v2
	v_mul_lo_u32 v56, s10, v3
	v_mad_u64_u32 v[62:63], s[2:3], s10, v2, 0
	v_mov_b32_e32 v4, s6
	v_mov_b32_e32 v5, s7
	v_add3_u32 v63, v63, v56, v53
	v_lshl_add_u64 v[4:5], v[62:63], 2, v[4:5]
	v_lshl_add_u64 v[4:5], s[8:9], 2, v[4:5]
	;; [unrolled: 1-line block ×3, first 2 shown]
	v_add3_u32 v53, v57, s19, 1
	global_store_dword v[4:5], v53, off
.LBB94_809:
	s_or_b64 exec, exec, s[0:1]
	v_cmp_eq_u32_e32 vcc, 0, v58
	s_and_saveexec_b64 s[2:3], vcc
	s_cbranch_execz .LBB94_812
; %bb.810:
	v_mov_b32_e32 v4, s4
	v_mov_b32_e32 v5, s5
	v_lshl_add_u64 v[2:3], v[2:3], 2, v[4:5]
	global_load_dword v4, v[2:3], off
	v_cmp_ne_u32_e64 s[0:1], 0, v55
	s_waitcnt vmcnt(0)
	v_cmp_eq_u32_e32 vcc, 0, v4
	s_and_b64 s[0:1], vcc, s[0:1]
	s_and_b64 exec, exec, s[0:1]
	s_cbranch_execz .LBB94_812
; %bb.811:
	v_add_u32_e32 v4, s19, v55
	global_store_dword v[2:3], v4, off
.LBB94_812:
	s_or_b64 exec, exec, s[2:3]
	v_mul_f32_e32 v2, v60, v11
	v_cmp_lt_i32_e32 vcc, 47, v58
	s_nop 1
	v_cndmask_b32_e32 v11, v11, v2, vcc
	v_lshl_add_u64 v[2:3], v[58:59], 2, v[6:7]
	global_store_dword v[2:3], v54, off
	v_lshl_add_u64 v[2:3], s[16:17], 2, v[2:3]
	global_store_dword v[2:3], v52, off
	v_add_u32_e32 v2, s18, v58
	v_ashrrev_i32_e32 v3, 31, v2
	v_lshl_add_u64 v[4:5], v[2:3], 2, v[6:7]
	v_add_u32_e32 v2, s16, v2
	v_ashrrev_i32_e32 v3, 31, v2
	global_store_dword v[4:5], v48, off
	v_lshl_add_u64 v[4:5], v[2:3], 2, v[6:7]
	v_add_u32_e32 v2, s16, v2
	v_ashrrev_i32_e32 v3, 31, v2
	global_store_dword v[4:5], v49, off
	;; [unrolled: 4-line block ×37, first 2 shown]
	v_lshl_add_u64 v[4:5], v[2:3], 2, v[6:7]
	v_add_u32_e32 v0, s16, v2
	global_store_dword v[4:5], v1, off
	v_ashrrev_i32_e32 v1, 31, v0
	v_lshl_add_u64 v[2:3], v[0:1], 2, v[6:7]
	v_add_u32_e32 v0, s16, v0
	v_ashrrev_i32_e32 v1, 31, v0
	global_store_dword v[2:3], v24, off
	v_lshl_add_u64 v[2:3], v[0:1], 2, v[6:7]
	v_add_u32_e32 v0, s16, v0
	v_ashrrev_i32_e32 v1, 31, v0
	global_store_dword v[2:3], v25, off
	;; [unrolled: 4-line block ×6, first 2 shown]
	v_lshl_add_u64 v[2:3], v[0:1], 2, v[6:7]
	v_add_u32_e32 v0, s16, v0
	v_ashrrev_i32_e32 v1, 31, v0
	v_lshl_add_u64 v[0:1], v[0:1], 2, v[6:7]
	global_store_dword v[2:3], v10, off
	global_store_dword v[0:1], v11, off
.LBB94_813:
	s_endpgm
	.section	.rodata,"a",@progbits
	.p2align	6, 0x0
	.amdhsa_kernel _ZN9rocsolver6v33100L18getf2_small_kernelILi48EfiiPfEEvT1_T3_lS3_lPS3_llPT2_S3_S3_S5_l
		.amdhsa_group_segment_fixed_size 0
		.amdhsa_private_segment_fixed_size 0
		.amdhsa_kernarg_size 352
		.amdhsa_user_sgpr_count 2
		.amdhsa_user_sgpr_dispatch_ptr 0
		.amdhsa_user_sgpr_queue_ptr 0
		.amdhsa_user_sgpr_kernarg_segment_ptr 1
		.amdhsa_user_sgpr_dispatch_id 0
		.amdhsa_user_sgpr_kernarg_preload_length 0
		.amdhsa_user_sgpr_kernarg_preload_offset 0
		.amdhsa_user_sgpr_private_segment_size 0
		.amdhsa_uses_dynamic_stack 0
		.amdhsa_enable_private_segment 0
		.amdhsa_system_sgpr_workgroup_id_x 1
		.amdhsa_system_sgpr_workgroup_id_y 1
		.amdhsa_system_sgpr_workgroup_id_z 0
		.amdhsa_system_sgpr_workgroup_info 0
		.amdhsa_system_vgpr_workitem_id 1
		.amdhsa_next_free_vgpr 72
		.amdhsa_next_free_sgpr 26
		.amdhsa_accum_offset 72
		.amdhsa_reserve_vcc 1
		.amdhsa_float_round_mode_32 0
		.amdhsa_float_round_mode_16_64 0
		.amdhsa_float_denorm_mode_32 3
		.amdhsa_float_denorm_mode_16_64 3
		.amdhsa_dx10_clamp 1
		.amdhsa_ieee_mode 1
		.amdhsa_fp16_overflow 0
		.amdhsa_tg_split 0
		.amdhsa_exception_fp_ieee_invalid_op 0
		.amdhsa_exception_fp_denorm_src 0
		.amdhsa_exception_fp_ieee_div_zero 0
		.amdhsa_exception_fp_ieee_overflow 0
		.amdhsa_exception_fp_ieee_underflow 0
		.amdhsa_exception_fp_ieee_inexact 0
		.amdhsa_exception_int_div_zero 0
	.end_amdhsa_kernel
	.section	.text._ZN9rocsolver6v33100L18getf2_small_kernelILi48EfiiPfEEvT1_T3_lS3_lPS3_llPT2_S3_S3_S5_l,"axG",@progbits,_ZN9rocsolver6v33100L18getf2_small_kernelILi48EfiiPfEEvT1_T3_lS3_lPS3_llPT2_S3_S3_S5_l,comdat
.Lfunc_end94:
	.size	_ZN9rocsolver6v33100L18getf2_small_kernelILi48EfiiPfEEvT1_T3_lS3_lPS3_llPT2_S3_S3_S5_l, .Lfunc_end94-_ZN9rocsolver6v33100L18getf2_small_kernelILi48EfiiPfEEvT1_T3_lS3_lPS3_llPT2_S3_S3_S5_l
                                        ; -- End function
	.set _ZN9rocsolver6v33100L18getf2_small_kernelILi48EfiiPfEEvT1_T3_lS3_lPS3_llPT2_S3_S3_S5_l.num_vgpr, 72
	.set _ZN9rocsolver6v33100L18getf2_small_kernelILi48EfiiPfEEvT1_T3_lS3_lPS3_llPT2_S3_S3_S5_l.num_agpr, 0
	.set _ZN9rocsolver6v33100L18getf2_small_kernelILi48EfiiPfEEvT1_T3_lS3_lPS3_llPT2_S3_S3_S5_l.numbered_sgpr, 26
	.set _ZN9rocsolver6v33100L18getf2_small_kernelILi48EfiiPfEEvT1_T3_lS3_lPS3_llPT2_S3_S3_S5_l.num_named_barrier, 0
	.set _ZN9rocsolver6v33100L18getf2_small_kernelILi48EfiiPfEEvT1_T3_lS3_lPS3_llPT2_S3_S3_S5_l.private_seg_size, 0
	.set _ZN9rocsolver6v33100L18getf2_small_kernelILi48EfiiPfEEvT1_T3_lS3_lPS3_llPT2_S3_S3_S5_l.uses_vcc, 1
	.set _ZN9rocsolver6v33100L18getf2_small_kernelILi48EfiiPfEEvT1_T3_lS3_lPS3_llPT2_S3_S3_S5_l.uses_flat_scratch, 0
	.set _ZN9rocsolver6v33100L18getf2_small_kernelILi48EfiiPfEEvT1_T3_lS3_lPS3_llPT2_S3_S3_S5_l.has_dyn_sized_stack, 0
	.set _ZN9rocsolver6v33100L18getf2_small_kernelILi48EfiiPfEEvT1_T3_lS3_lPS3_llPT2_S3_S3_S5_l.has_recursion, 0
	.set _ZN9rocsolver6v33100L18getf2_small_kernelILi48EfiiPfEEvT1_T3_lS3_lPS3_llPT2_S3_S3_S5_l.has_indirect_call, 0
	.section	.AMDGPU.csdata,"",@progbits
; Kernel info:
; codeLenInByte = 41968
; TotalNumSgprs: 32
; NumVgprs: 72
; NumAgprs: 0
; TotalNumVgprs: 72
; ScratchSize: 0
; MemoryBound: 0
; FloatMode: 240
; IeeeMode: 1
; LDSByteSize: 0 bytes/workgroup (compile time only)
; SGPRBlocks: 3
; VGPRBlocks: 8
; NumSGPRsForWavesPerEU: 32
; NumVGPRsForWavesPerEU: 72
; AccumOffset: 72
; Occupancy: 7
; WaveLimiterHint : 0
; COMPUTE_PGM_RSRC2:SCRATCH_EN: 0
; COMPUTE_PGM_RSRC2:USER_SGPR: 2
; COMPUTE_PGM_RSRC2:TRAP_HANDLER: 0
; COMPUTE_PGM_RSRC2:TGID_X_EN: 1
; COMPUTE_PGM_RSRC2:TGID_Y_EN: 1
; COMPUTE_PGM_RSRC2:TGID_Z_EN: 0
; COMPUTE_PGM_RSRC2:TIDIG_COMP_CNT: 1
; COMPUTE_PGM_RSRC3_GFX90A:ACCUM_OFFSET: 17
; COMPUTE_PGM_RSRC3_GFX90A:TG_SPLIT: 0
	.section	.text._ZN9rocsolver6v33100L23getf2_npvt_small_kernelILi48EfiiPfEEvT1_T3_lS3_lPT2_S3_S3_,"axG",@progbits,_ZN9rocsolver6v33100L23getf2_npvt_small_kernelILi48EfiiPfEEvT1_T3_lS3_lPT2_S3_S3_,comdat
	.globl	_ZN9rocsolver6v33100L23getf2_npvt_small_kernelILi48EfiiPfEEvT1_T3_lS3_lPT2_S3_S3_ ; -- Begin function _ZN9rocsolver6v33100L23getf2_npvt_small_kernelILi48EfiiPfEEvT1_T3_lS3_lPT2_S3_S3_
	.p2align	8
	.type	_ZN9rocsolver6v33100L23getf2_npvt_small_kernelILi48EfiiPfEEvT1_T3_lS3_lPT2_S3_S3_,@function
_ZN9rocsolver6v33100L23getf2_npvt_small_kernelILi48EfiiPfEEvT1_T3_lS3_lPT2_S3_S3_: ; @_ZN9rocsolver6v33100L23getf2_npvt_small_kernelILi48EfiiPfEEvT1_T3_lS3_lPT2_S3_S3_
; %bb.0:
	s_load_dword s2, s[0:1], 0x44
	s_load_dwordx2 s[8:9], s[0:1], 0x30
	v_bfe_u32 v147, v0, 10, 10
	s_waitcnt lgkmcnt(0)
	s_lshr_b32 s10, s2, 16
	s_mul_i32 s3, s3, s10
	v_add_u32_e32 v24, s3, v147
	v_cmp_gt_i32_e32 vcc, s8, v24
	s_and_saveexec_b64 s[2:3], vcc
	s_cbranch_execz .LBB95_265
; %bb.1:
	s_load_dwordx4 s[12:15], s[0:1], 0x8
	s_load_dword s2, s[0:1], 0x18
	s_load_dwordx4 s[4:7], s[0:1], 0x20
	v_ashrrev_i32_e32 v25, 31, v24
	v_and_b32_e32 v145, 0x3ff, v0
	s_waitcnt lgkmcnt(0)
	v_mov_b32_e32 v0, s12
	v_mov_b32_e32 v1, s13
	v_mad_u64_u32 v[2:3], s[0:1], s4, v24, 0
	v_mul_lo_u32 v4, s5, v24
	v_mul_lo_u32 v5, s4, v25
	s_add_i32 s0, s2, s2
	v_add3_u32 v3, v3, v5, v4
	v_add_u32_e32 v4, s0, v145
	v_add_u32_e32 v6, s2, v4
	;; [unrolled: 1-line block ×44, first 2 shown]
	v_lshl_add_u64 v[0:1], v[2:3], 2, v[0:1]
	v_add_u32_e32 v96, s2, v92
	v_lshl_add_u64 v[94:95], s[14:15], 2, v[0:1]
	v_ashrrev_i32_e32 v5, 31, v4
	v_ashrrev_i32_e32 v7, 31, v6
	;; [unrolled: 1-line block ×45, first 2 shown]
	v_lshl_add_u64 v[2:3], v[4:5], 2, v[94:95]
	v_lshl_add_u64 v[4:5], v[6:7], 2, v[94:95]
	;; [unrolled: 1-line block ×45, first 2 shown]
	v_add_u32_e32 v96, s2, v96
	v_lshlrev_b32_e32 v0, 2, v145
	v_mov_b32_e32 v1, 0
	v_ashrrev_i32_e32 v97, 31, v96
	v_lshl_add_u64 v[0:1], v[94:95], 0, v[0:1]
	v_lshl_add_u64 v[94:95], v[96:97], 2, v[94:95]
	global_load_dword v132, v[14:15], off
	global_load_dword v133, v[16:17], off
	;; [unrolled: 1-line block ×40, first 2 shown]
	s_ashr_i32 s3, s2, 31
	v_lshl_add_u64 v[142:143], s[2:3], 2, v[0:1]
	global_load_dword v138, v[2:3], off
	global_load_dword v139, v[4:5], off
	;; [unrolled: 1-line block ×8, first 2 shown]
	s_mulk_i32 s10, 0xc0
	s_movk_i32 s0, 0xc0
	s_add_i32 s1, s10, 0
	v_mad_u32_u24 v149, v147, s0, 0
	v_lshl_add_u32 v147, v147, 2, s1
	v_cmp_ne_u32_e64 s[2:3], 0, v145
	v_cmp_eq_u32_e64 s[0:1], 0, v145
	s_and_saveexec_b64 s[4:5], s[0:1]
	s_cbranch_execz .LBB95_4
; %bb.2:
	s_waitcnt vmcnt(1)
	ds_write_b32 v147, v144
	s_waitcnt vmcnt(0)
	ds_write2_b32 v149, v146, v138 offset0:1 offset1:2
	ds_write2_b32 v149, v139, v140 offset0:3 offset1:4
	;; [unrolled: 1-line block ×23, first 2 shown]
	ds_write_b32 v149, v135 offset:188
	ds_read_b32 v148, v147
	s_waitcnt lgkmcnt(0)
	v_cmp_neq_f32_e32 vcc, 0, v148
	s_and_b64 exec, exec, vcc
	s_cbranch_execz .LBB95_4
; %bb.3:
	v_div_scale_f32 v150, s[10:11], v148, v148, 1.0
	v_rcp_f32_e32 v151, v150
	v_div_scale_f32 v152, vcc, 1.0, v148, 1.0
	v_fma_f32 v153, -v150, v151, 1.0
	v_fmac_f32_e32 v151, v153, v151
	v_mul_f32_e32 v153, v152, v151
	v_fma_f32 v154, -v150, v153, v152
	v_fmac_f32_e32 v153, v154, v151
	v_fma_f32 v150, -v150, v153, v152
	v_div_fmas_f32 v150, v150, v151, v153
	v_div_fixup_f32 v148, v150, v148, 1.0
	ds_write_b32 v147, v148
.LBB95_4:
	s_or_b64 exec, exec, s[4:5]
	s_waitcnt lgkmcnt(0)
	s_barrier
	ds_read_b32 v148, v147
	s_and_saveexec_b64 s[4:5], s[2:3]
	s_cbranch_execz .LBB95_6
; %bb.5:
	ds_read_b32 v158, v149 offset:4
	ds_read2_b64 v[150:153], v149 offset0:1 offset1:2
	s_waitcnt vmcnt(1) lgkmcnt(2)
	v_mul_f32_e32 v144, v148, v144
	ds_read2_b64 v[154:157], v149 offset0:3 offset1:4
	s_waitcnt vmcnt(0) lgkmcnt(2)
	v_fma_f32 v146, -v144, v158, v146
	ds_read2_b64 v[158:161], v149 offset0:5 offset1:6
	s_waitcnt lgkmcnt(2)
	v_pk_fma_f32 v[138:139], v[144:145], v[150:151], v[138:139] op_sel_hi:[0,1,1] neg_lo:[1,0,0] neg_hi:[1,0,0]
	v_pk_fma_f32 v[140:141], v[144:145], v[152:153], v[140:141] op_sel_hi:[0,1,1] neg_lo:[1,0,0] neg_hi:[1,0,0]
	s_waitcnt lgkmcnt(1)
	v_pk_fma_f32 v[136:137], v[144:145], v[154:155], v[136:137] op_sel_hi:[0,1,1] neg_lo:[1,0,0] neg_hi:[1,0,0]
	ds_read2_b64 v[150:153], v149 offset0:7 offset1:8
	v_pk_fma_f32 v[132:133], v[144:145], v[156:157], v[132:133] op_sel_hi:[0,1,1] neg_lo:[1,0,0] neg_hi:[1,0,0]
	s_waitcnt lgkmcnt(1)
	v_pk_fma_f32 v[112:113], v[144:145], v[158:159], v[112:113] op_sel_hi:[0,1,1] neg_lo:[1,0,0] neg_hi:[1,0,0]
	ds_read2_b64 v[154:157], v149 offset0:9 offset1:10
	v_pk_fma_f32 v[130:131], v[144:145], v[160:161], v[130:131] op_sel_hi:[0,1,1] neg_lo:[1,0,0] neg_hi:[1,0,0]
	ds_read2_b64 v[158:161], v149 offset0:11 offset1:12
	s_waitcnt lgkmcnt(2)
	v_pk_fma_f32 v[110:111], v[144:145], v[150:151], v[110:111] op_sel_hi:[0,1,1] neg_lo:[1,0,0] neg_hi:[1,0,0]
	v_pk_fma_f32 v[128:129], v[144:145], v[152:153], v[128:129] op_sel_hi:[0,1,1] neg_lo:[1,0,0] neg_hi:[1,0,0]
	s_waitcnt lgkmcnt(1)
	v_pk_fma_f32 v[108:109], v[144:145], v[154:155], v[108:109] op_sel_hi:[0,1,1] neg_lo:[1,0,0] neg_hi:[1,0,0]
	ds_read2_b64 v[150:153], v149 offset0:13 offset1:14
	v_pk_fma_f32 v[126:127], v[144:145], v[156:157], v[126:127] op_sel_hi:[0,1,1] neg_lo:[1,0,0] neg_hi:[1,0,0]
	s_waitcnt lgkmcnt(1)
	v_pk_fma_f32 v[106:107], v[144:145], v[158:159], v[106:107] op_sel_hi:[0,1,1] neg_lo:[1,0,0] neg_hi:[1,0,0]
	ds_read2_b64 v[154:157], v149 offset0:15 offset1:16
	v_pk_fma_f32 v[124:125], v[144:145], v[160:161], v[124:125] op_sel_hi:[0,1,1] neg_lo:[1,0,0] neg_hi:[1,0,0]
	ds_read2_b64 v[158:161], v149 offset0:17 offset1:18
	s_waitcnt lgkmcnt(2)
	v_pk_fma_f32 v[104:105], v[144:145], v[150:151], v[104:105] op_sel_hi:[0,1,1] neg_lo:[1,0,0] neg_hi:[1,0,0]
	v_pk_fma_f32 v[122:123], v[144:145], v[152:153], v[122:123] op_sel_hi:[0,1,1] neg_lo:[1,0,0] neg_hi:[1,0,0]
	s_waitcnt lgkmcnt(1)
	v_pk_fma_f32 v[102:103], v[144:145], v[154:155], v[102:103] op_sel_hi:[0,1,1] neg_lo:[1,0,0] neg_hi:[1,0,0]
	v_pk_fma_f32 v[120:121], v[144:145], v[156:157], v[120:121] op_sel_hi:[0,1,1] neg_lo:[1,0,0] neg_hi:[1,0,0]
	ds_read2_b64 v[150:153], v149 offset0:19 offset1:20
	ds_read2_b64 v[154:157], v149 offset0:21 offset1:22
	s_waitcnt lgkmcnt(2)
	v_pk_fma_f32 v[100:101], v[144:145], v[158:159], v[100:101] op_sel_hi:[0,1,1] neg_lo:[1,0,0] neg_hi:[1,0,0]
	ds_read_b64 v[158:159], v149 offset:184
	v_pk_fma_f32 v[118:119], v[144:145], v[160:161], v[118:119] op_sel_hi:[0,1,1] neg_lo:[1,0,0] neg_hi:[1,0,0]
	s_waitcnt lgkmcnt(2)
	v_pk_fma_f32 v[98:99], v[144:145], v[150:151], v[98:99] op_sel_hi:[0,1,1] neg_lo:[1,0,0] neg_hi:[1,0,0]
	v_pk_fma_f32 v[116:117], v[144:145], v[152:153], v[116:117] op_sel_hi:[0,1,1] neg_lo:[1,0,0] neg_hi:[1,0,0]
	s_waitcnt lgkmcnt(1)
	v_pk_fma_f32 v[96:97], v[144:145], v[154:155], v[96:97] op_sel_hi:[0,1,1] neg_lo:[1,0,0] neg_hi:[1,0,0]
	v_pk_fma_f32 v[114:115], v[144:145], v[156:157], v[114:115] op_sel_hi:[0,1,1] neg_lo:[1,0,0] neg_hi:[1,0,0]
	s_waitcnt lgkmcnt(0)
	v_pk_fma_f32 v[134:135], v[144:145], v[158:159], v[134:135] op_sel_hi:[0,1,1] neg_lo:[1,0,0] neg_hi:[1,0,0]
.LBB95_6:
	s_or_b64 exec, exec, s[4:5]
	v_cmp_eq_u32_e32 vcc, 1, v145
	s_waitcnt lgkmcnt(0)
	s_barrier
	s_and_saveexec_b64 s[2:3], vcc
	s_cbranch_execz .LBB95_9
; %bb.7:
	s_waitcnt vmcnt(0)
	ds_write_b32 v147, v146
	ds_write2_b64 v149, v[138:139], v[140:141] offset0:1 offset1:2
	ds_write2_b64 v149, v[136:137], v[132:133] offset0:3 offset1:4
	;; [unrolled: 1-line block ×11, first 2 shown]
	ds_write_b64 v149, v[134:135] offset:184
	ds_read_b32 v150, v147
	s_waitcnt lgkmcnt(0)
	v_cmp_neq_f32_e32 vcc, 0, v150
	s_and_b64 exec, exec, vcc
	s_cbranch_execz .LBB95_9
; %bb.8:
	v_div_scale_f32 v151, s[4:5], v150, v150, 1.0
	v_rcp_f32_e32 v152, v151
	v_div_scale_f32 v153, vcc, 1.0, v150, 1.0
	v_fma_f32 v154, -v151, v152, 1.0
	v_fmac_f32_e32 v152, v154, v152
	v_mul_f32_e32 v154, v153, v152
	v_fma_f32 v155, -v151, v154, v153
	v_fmac_f32_e32 v154, v155, v152
	v_fma_f32 v151, -v151, v154, v153
	v_div_fmas_f32 v151, v151, v152, v154
	v_div_fixup_f32 v150, v151, v150, 1.0
	ds_write_b32 v147, v150
.LBB95_9:
	s_or_b64 exec, exec, s[2:3]
	s_waitcnt lgkmcnt(0)
	s_barrier
	ds_read_b32 v150, v147
	v_cmp_lt_u32_e32 vcc, 1, v145
	s_and_saveexec_b64 s[2:3], vcc
	s_cbranch_execz .LBB95_11
; %bb.10:
	ds_read2_b64 v[152:155], v149 offset0:1 offset1:2
	ds_read2_b64 v[156:159], v149 offset0:3 offset1:4
	;; [unrolled: 1-line block ×3, first 2 shown]
	s_waitcnt vmcnt(0) lgkmcnt(3)
	v_mul_f32_e32 v146, v150, v146
	s_waitcnt lgkmcnt(2)
	v_pk_fma_f32 v[138:139], v[146:147], v[152:153], v[138:139] op_sel_hi:[0,1,1] neg_lo:[1,0,0] neg_hi:[1,0,0]
	v_pk_fma_f32 v[140:141], v[146:147], v[154:155], v[140:141] op_sel_hi:[0,1,1] neg_lo:[1,0,0] neg_hi:[1,0,0]
	s_waitcnt lgkmcnt(1)
	v_pk_fma_f32 v[136:137], v[146:147], v[156:157], v[136:137] op_sel_hi:[0,1,1] neg_lo:[1,0,0] neg_hi:[1,0,0]
	ds_read2_b64 v[152:155], v149 offset0:7 offset1:8
	v_pk_fma_f32 v[132:133], v[146:147], v[158:159], v[132:133] op_sel_hi:[0,1,1] neg_lo:[1,0,0] neg_hi:[1,0,0]
	s_waitcnt lgkmcnt(1)
	v_pk_fma_f32 v[112:113], v[146:147], v[160:161], v[112:113] op_sel_hi:[0,1,1] neg_lo:[1,0,0] neg_hi:[1,0,0]
	ds_read2_b64 v[156:159], v149 offset0:9 offset1:10
	v_pk_fma_f32 v[130:131], v[146:147], v[162:163], v[130:131] op_sel_hi:[0,1,1] neg_lo:[1,0,0] neg_hi:[1,0,0]
	ds_read2_b64 v[160:163], v149 offset0:11 offset1:12
	s_waitcnt lgkmcnt(2)
	v_pk_fma_f32 v[110:111], v[146:147], v[152:153], v[110:111] op_sel_hi:[0,1,1] neg_lo:[1,0,0] neg_hi:[1,0,0]
	v_pk_fma_f32 v[128:129], v[146:147], v[154:155], v[128:129] op_sel_hi:[0,1,1] neg_lo:[1,0,0] neg_hi:[1,0,0]
	s_waitcnt lgkmcnt(1)
	v_pk_fma_f32 v[108:109], v[146:147], v[156:157], v[108:109] op_sel_hi:[0,1,1] neg_lo:[1,0,0] neg_hi:[1,0,0]
	ds_read2_b64 v[152:155], v149 offset0:13 offset1:14
	v_pk_fma_f32 v[126:127], v[146:147], v[158:159], v[126:127] op_sel_hi:[0,1,1] neg_lo:[1,0,0] neg_hi:[1,0,0]
	s_waitcnt lgkmcnt(1)
	v_pk_fma_f32 v[106:107], v[146:147], v[160:161], v[106:107] op_sel_hi:[0,1,1] neg_lo:[1,0,0] neg_hi:[1,0,0]
	ds_read2_b64 v[156:159], v149 offset0:15 offset1:16
	v_pk_fma_f32 v[124:125], v[146:147], v[162:163], v[124:125] op_sel_hi:[0,1,1] neg_lo:[1,0,0] neg_hi:[1,0,0]
	ds_read2_b64 v[160:163], v149 offset0:17 offset1:18
	s_waitcnt lgkmcnt(2)
	v_pk_fma_f32 v[104:105], v[146:147], v[152:153], v[104:105] op_sel_hi:[0,1,1] neg_lo:[1,0,0] neg_hi:[1,0,0]
	v_pk_fma_f32 v[122:123], v[146:147], v[154:155], v[122:123] op_sel_hi:[0,1,1] neg_lo:[1,0,0] neg_hi:[1,0,0]
	s_waitcnt lgkmcnt(1)
	v_pk_fma_f32 v[102:103], v[146:147], v[156:157], v[102:103] op_sel_hi:[0,1,1] neg_lo:[1,0,0] neg_hi:[1,0,0]
	v_pk_fma_f32 v[120:121], v[146:147], v[158:159], v[120:121] op_sel_hi:[0,1,1] neg_lo:[1,0,0] neg_hi:[1,0,0]
	ds_read2_b64 v[152:155], v149 offset0:19 offset1:20
	s_waitcnt lgkmcnt(1)
	v_pk_fma_f32 v[100:101], v[146:147], v[160:161], v[100:101] op_sel_hi:[0,1,1] neg_lo:[1,0,0] neg_hi:[1,0,0]
	ds_read2_b64 v[156:159], v149 offset0:21 offset1:22
	ds_read_b64 v[160:161], v149 offset:184
	v_pk_fma_f32 v[118:119], v[146:147], v[162:163], v[118:119] op_sel_hi:[0,1,1] neg_lo:[1,0,0] neg_hi:[1,0,0]
	s_waitcnt lgkmcnt(2)
	v_pk_fma_f32 v[98:99], v[146:147], v[152:153], v[98:99] op_sel_hi:[0,1,1] neg_lo:[1,0,0] neg_hi:[1,0,0]
	v_pk_fma_f32 v[116:117], v[146:147], v[154:155], v[116:117] op_sel_hi:[0,1,1] neg_lo:[1,0,0] neg_hi:[1,0,0]
	s_waitcnt lgkmcnt(1)
	v_pk_fma_f32 v[96:97], v[146:147], v[156:157], v[96:97] op_sel_hi:[0,1,1] neg_lo:[1,0,0] neg_hi:[1,0,0]
	;; [unrolled: 3-line block ×3, first 2 shown]
.LBB95_11:
	s_or_b64 exec, exec, s[2:3]
	v_cmp_eq_u32_e32 vcc, 2, v145
	s_waitcnt lgkmcnt(0)
	s_barrier
	s_and_saveexec_b64 s[2:3], vcc
	s_cbranch_execz .LBB95_14
; %bb.12:
	s_waitcnt vmcnt(4)
	v_pk_mov_b32 v[152:153], v[138:139], v[140:141] op_sel:[1,0]
	ds_write_b32 v147, v138
	ds_write2_b32 v149, v152, v153 offset0:3 offset1:4
	s_waitcnt vmcnt(2)
	v_pk_mov_b32 v[152:153], v[140:141], v[136:137] op_sel:[1,0]
	ds_write2_b32 v149, v152, v153 offset0:5 offset1:6
	v_pk_mov_b32 v[152:153], v[136:137], v[132:133] op_sel:[1,0]
	ds_write2_b32 v149, v152, v153 offset0:7 offset1:8
	;; [unrolled: 2-line block ×21, first 2 shown]
	ds_write_b32 v149, v135 offset:188
	ds_read_b32 v151, v147
	s_waitcnt lgkmcnt(0)
	v_cmp_neq_f32_e32 vcc, 0, v151
	s_and_b64 exec, exec, vcc
	s_cbranch_execz .LBB95_14
; %bb.13:
	v_div_scale_f32 v152, s[4:5], v151, v151, 1.0
	v_rcp_f32_e32 v153, v152
	v_div_scale_f32 v154, vcc, 1.0, v151, 1.0
	v_fma_f32 v155, -v152, v153, 1.0
	v_fmac_f32_e32 v153, v155, v153
	v_mul_f32_e32 v155, v154, v153
	v_fma_f32 v156, -v152, v155, v154
	v_fmac_f32_e32 v155, v156, v153
	v_fma_f32 v152, -v152, v155, v154
	v_div_fmas_f32 v152, v152, v153, v155
	v_div_fixup_f32 v151, v152, v151, 1.0
	ds_write_b32 v147, v151
.LBB95_14:
	s_or_b64 exec, exec, s[2:3]
	s_waitcnt lgkmcnt(0)
	s_barrier
	ds_read_b32 v151, v147
	v_cmp_lt_u32_e32 vcc, 2, v145
	s_and_saveexec_b64 s[2:3], vcc
	s_cbranch_execz .LBB95_16
; %bb.15:
	ds_read_b32 v164, v149 offset:12
	ds_read2_b64 v[152:155], v149 offset0:2 offset1:3
	ds_read2_b64 v[156:159], v149 offset0:4 offset1:5
	;; [unrolled: 1-line block ×3, first 2 shown]
	s_waitcnt vmcnt(7) lgkmcnt(4)
	v_mul_f32_e32 v138, v151, v138
	s_waitcnt vmcnt(6) lgkmcnt(3)
	v_fma_f32 v139, -v138, v164, v139
	s_waitcnt vmcnt(4) lgkmcnt(2)
	v_pk_fma_f32 v[140:141], v[138:139], v[152:153], v[140:141] op_sel_hi:[0,1,1] neg_lo:[1,0,0] neg_hi:[1,0,0]
	s_waitcnt vmcnt(2)
	v_pk_fma_f32 v[136:137], v[138:139], v[154:155], v[136:137] op_sel_hi:[0,1,1] neg_lo:[1,0,0] neg_hi:[1,0,0]
	s_waitcnt lgkmcnt(1)
	v_pk_fma_f32 v[132:133], v[138:139], v[156:157], v[132:133] op_sel_hi:[0,1,1] neg_lo:[1,0,0] neg_hi:[1,0,0]
	ds_read2_b64 v[152:155], v149 offset0:8 offset1:9
	v_pk_fma_f32 v[112:113], v[138:139], v[158:159], v[112:113] op_sel_hi:[0,1,1] neg_lo:[1,0,0] neg_hi:[1,0,0]
	ds_read2_b64 v[156:159], v149 offset0:10 offset1:11
	s_waitcnt lgkmcnt(2)
	v_pk_fma_f32 v[130:131], v[138:139], v[160:161], v[130:131] op_sel_hi:[0,1,1] neg_lo:[1,0,0] neg_hi:[1,0,0]
	v_pk_fma_f32 v[110:111], v[138:139], v[162:163], v[110:111] op_sel_hi:[0,1,1] neg_lo:[1,0,0] neg_hi:[1,0,0]
	s_waitcnt lgkmcnt(1)
	v_pk_fma_f32 v[128:129], v[138:139], v[152:153], v[128:129] op_sel_hi:[0,1,1] neg_lo:[1,0,0] neg_hi:[1,0,0]
	ds_read2_b64 v[160:163], v149 offset0:12 offset1:13
	v_pk_fma_f32 v[108:109], v[138:139], v[154:155], v[108:109] op_sel_hi:[0,1,1] neg_lo:[1,0,0] neg_hi:[1,0,0]
	s_waitcnt lgkmcnt(1)
	v_pk_fma_f32 v[126:127], v[138:139], v[156:157], v[126:127] op_sel_hi:[0,1,1] neg_lo:[1,0,0] neg_hi:[1,0,0]
	ds_read2_b64 v[152:155], v149 offset0:14 offset1:15
	v_pk_fma_f32 v[106:107], v[138:139], v[158:159], v[106:107] op_sel_hi:[0,1,1] neg_lo:[1,0,0] neg_hi:[1,0,0]
	ds_read2_b64 v[156:159], v149 offset0:16 offset1:17
	s_waitcnt lgkmcnt(2)
	v_pk_fma_f32 v[124:125], v[138:139], v[160:161], v[124:125] op_sel_hi:[0,1,1] neg_lo:[1,0,0] neg_hi:[1,0,0]
	v_pk_fma_f32 v[104:105], v[138:139], v[162:163], v[104:105] op_sel_hi:[0,1,1] neg_lo:[1,0,0] neg_hi:[1,0,0]
	s_waitcnt lgkmcnt(1)
	v_pk_fma_f32 v[122:123], v[138:139], v[152:153], v[122:123] op_sel_hi:[0,1,1] neg_lo:[1,0,0] neg_hi:[1,0,0]
	v_pk_fma_f32 v[102:103], v[138:139], v[154:155], v[102:103] op_sel_hi:[0,1,1] neg_lo:[1,0,0] neg_hi:[1,0,0]
	ds_read2_b64 v[152:155], v149 offset0:18 offset1:19
	s_waitcnt lgkmcnt(1)
	v_pk_fma_f32 v[120:121], v[138:139], v[156:157], v[120:121] op_sel_hi:[0,1,1] neg_lo:[1,0,0] neg_hi:[1,0,0]
	ds_read2_b64 v[160:163], v149 offset0:20 offset1:21
	v_pk_fma_f32 v[100:101], v[138:139], v[158:159], v[100:101] op_sel_hi:[0,1,1] neg_lo:[1,0,0] neg_hi:[1,0,0]
	ds_read2_b64 v[156:159], v149 offset0:22 offset1:23
	s_waitcnt lgkmcnt(2)
	v_pk_fma_f32 v[118:119], v[138:139], v[152:153], v[118:119] op_sel_hi:[0,1,1] neg_lo:[1,0,0] neg_hi:[1,0,0]
	v_pk_fma_f32 v[98:99], v[138:139], v[154:155], v[98:99] op_sel_hi:[0,1,1] neg_lo:[1,0,0] neg_hi:[1,0,0]
	s_waitcnt lgkmcnt(1)
	v_pk_fma_f32 v[116:117], v[138:139], v[160:161], v[116:117] op_sel_hi:[0,1,1] neg_lo:[1,0,0] neg_hi:[1,0,0]
	v_pk_fma_f32 v[96:97], v[138:139], v[162:163], v[96:97] op_sel_hi:[0,1,1] neg_lo:[1,0,0] neg_hi:[1,0,0]
	;; [unrolled: 3-line block ×3, first 2 shown]
.LBB95_16:
	s_or_b64 exec, exec, s[2:3]
	v_cmp_eq_u32_e32 vcc, 3, v145
	s_waitcnt lgkmcnt(0)
	s_barrier
	s_and_saveexec_b64 s[2:3], vcc
	s_cbranch_execz .LBB95_19
; %bb.17:
	s_waitcnt vmcnt(5)
	v_mov_b32_e32 v152, v140
	s_waitcnt vmcnt(4)
	v_mov_b32_e32 v153, v141
	;; [unrolled: 2-line block ×4, first 2 shown]
	ds_write_b32 v147, v139
	ds_write2_b64 v149, v[152:153], v[154:155] offset0:2 offset1:3
	v_mov_b32_e32 v152, v132
	v_mov_b32_e32 v153, v133
	v_mov_b32_e32 v154, v112
	v_mov_b32_e32 v155, v113
	ds_write2_b64 v149, v[152:153], v[154:155] offset0:4 offset1:5
	v_mov_b32_e32 v152, v130
	v_mov_b32_e32 v153, v131
	v_mov_b32_e32 v154, v110
	v_mov_b32_e32 v155, v111
	;; [unrolled: 5-line block ×9, first 2 shown]
	ds_write2_b64 v149, v[152:153], v[154:155] offset0:20 offset1:21
	v_mov_b32_e32 v152, v114
	v_mov_b32_e32 v153, v115
	ds_write2_b64 v149, v[152:153], v[134:135] offset0:22 offset1:23
	ds_read_b32 v152, v147
	s_waitcnt lgkmcnt(0)
	v_cmp_neq_f32_e32 vcc, 0, v152
	s_and_b64 exec, exec, vcc
	s_cbranch_execz .LBB95_19
; %bb.18:
	v_div_scale_f32 v153, s[4:5], v152, v152, 1.0
	v_rcp_f32_e32 v154, v153
	v_div_scale_f32 v155, vcc, 1.0, v152, 1.0
	v_fma_f32 v156, -v153, v154, 1.0
	v_fmac_f32_e32 v154, v156, v154
	v_mul_f32_e32 v156, v155, v154
	v_fma_f32 v157, -v153, v156, v155
	v_fmac_f32_e32 v156, v157, v154
	v_fma_f32 v153, -v153, v156, v155
	v_div_fmas_f32 v153, v153, v154, v156
	v_div_fixup_f32 v152, v153, v152, 1.0
	ds_write_b32 v147, v152
.LBB95_19:
	s_or_b64 exec, exec, s[2:3]
	s_waitcnt lgkmcnt(0)
	s_barrier
	ds_read_b32 v152, v147
	v_cmp_lt_u32_e32 vcc, 3, v145
	s_and_saveexec_b64 s[2:3], vcc
	s_cbranch_execz .LBB95_21
; %bb.20:
	ds_read2_b64 v[154:157], v149 offset0:2 offset1:3
	ds_read2_b64 v[158:161], v149 offset0:4 offset1:5
	s_waitcnt vmcnt(6) lgkmcnt(2)
	v_mul_f32_e32 v166, v152, v139
	ds_read2_b64 v[162:165], v149 offset0:6 offset1:7
	v_mov_b32_e32 v139, v166
	s_waitcnt vmcnt(4) lgkmcnt(2)
	v_pk_fma_f32 v[140:141], v[166:167], v[154:155], v[140:141] op_sel_hi:[0,1,1] neg_lo:[1,0,0] neg_hi:[1,0,0]
	s_waitcnt vmcnt(2)
	v_pk_fma_f32 v[136:137], v[166:167], v[156:157], v[136:137] op_sel_hi:[0,1,1] neg_lo:[1,0,0] neg_hi:[1,0,0]
	s_waitcnt lgkmcnt(1)
	v_pk_fma_f32 v[132:133], v[166:167], v[158:159], v[132:133] op_sel_hi:[0,1,1] neg_lo:[1,0,0] neg_hi:[1,0,0]
	ds_read2_b64 v[154:157], v149 offset0:8 offset1:9
	v_pk_fma_f32 v[112:113], v[166:167], v[160:161], v[112:113] op_sel_hi:[0,1,1] neg_lo:[1,0,0] neg_hi:[1,0,0]
	ds_read2_b64 v[158:161], v149 offset0:10 offset1:11
	s_waitcnt lgkmcnt(2)
	v_pk_fma_f32 v[130:131], v[166:167], v[162:163], v[130:131] op_sel_hi:[0,1,1] neg_lo:[1,0,0] neg_hi:[1,0,0]
	v_pk_fma_f32 v[110:111], v[166:167], v[164:165], v[110:111] op_sel_hi:[0,1,1] neg_lo:[1,0,0] neg_hi:[1,0,0]
	s_waitcnt lgkmcnt(1)
	v_pk_fma_f32 v[128:129], v[166:167], v[154:155], v[128:129] op_sel_hi:[0,1,1] neg_lo:[1,0,0] neg_hi:[1,0,0]
	ds_read2_b64 v[162:165], v149 offset0:12 offset1:13
	v_pk_fma_f32 v[108:109], v[166:167], v[156:157], v[108:109] op_sel_hi:[0,1,1] neg_lo:[1,0,0] neg_hi:[1,0,0]
	s_waitcnt lgkmcnt(1)
	v_pk_fma_f32 v[126:127], v[166:167], v[158:159], v[126:127] op_sel_hi:[0,1,1] neg_lo:[1,0,0] neg_hi:[1,0,0]
	ds_read2_b64 v[154:157], v149 offset0:14 offset1:15
	v_pk_fma_f32 v[106:107], v[166:167], v[160:161], v[106:107] op_sel_hi:[0,1,1] neg_lo:[1,0,0] neg_hi:[1,0,0]
	ds_read2_b64 v[158:161], v149 offset0:16 offset1:17
	s_waitcnt lgkmcnt(2)
	v_pk_fma_f32 v[124:125], v[166:167], v[162:163], v[124:125] op_sel_hi:[0,1,1] neg_lo:[1,0,0] neg_hi:[1,0,0]
	v_pk_fma_f32 v[104:105], v[166:167], v[164:165], v[104:105] op_sel_hi:[0,1,1] neg_lo:[1,0,0] neg_hi:[1,0,0]
	s_waitcnt lgkmcnt(1)
	v_pk_fma_f32 v[122:123], v[166:167], v[154:155], v[122:123] op_sel_hi:[0,1,1] neg_lo:[1,0,0] neg_hi:[1,0,0]
	v_pk_fma_f32 v[102:103], v[166:167], v[156:157], v[102:103] op_sel_hi:[0,1,1] neg_lo:[1,0,0] neg_hi:[1,0,0]
	ds_read2_b64 v[154:157], v149 offset0:18 offset1:19
	ds_read2_b64 v[162:165], v149 offset0:20 offset1:21
	s_waitcnt lgkmcnt(2)
	v_pk_fma_f32 v[120:121], v[166:167], v[158:159], v[120:121] op_sel_hi:[0,1,1] neg_lo:[1,0,0] neg_hi:[1,0,0]
	v_pk_fma_f32 v[100:101], v[166:167], v[160:161], v[100:101] op_sel_hi:[0,1,1] neg_lo:[1,0,0] neg_hi:[1,0,0]
	ds_read2_b64 v[158:161], v149 offset0:22 offset1:23
	s_waitcnt lgkmcnt(2)
	v_pk_fma_f32 v[118:119], v[166:167], v[154:155], v[118:119] op_sel_hi:[0,1,1] neg_lo:[1,0,0] neg_hi:[1,0,0]
	v_pk_fma_f32 v[98:99], v[166:167], v[156:157], v[98:99] op_sel_hi:[0,1,1] neg_lo:[1,0,0] neg_hi:[1,0,0]
	s_waitcnt lgkmcnt(1)
	v_pk_fma_f32 v[116:117], v[166:167], v[162:163], v[116:117] op_sel_hi:[0,1,1] neg_lo:[1,0,0] neg_hi:[1,0,0]
	v_pk_fma_f32 v[96:97], v[166:167], v[164:165], v[96:97] op_sel_hi:[0,1,1] neg_lo:[1,0,0] neg_hi:[1,0,0]
	;; [unrolled: 3-line block ×3, first 2 shown]
.LBB95_21:
	s_or_b64 exec, exec, s[2:3]
	v_cmp_eq_u32_e32 vcc, 4, v145
	s_waitcnt lgkmcnt(0)
	s_barrier
	s_and_saveexec_b64 s[2:3], vcc
	s_cbranch_execz .LBB95_24
; %bb.22:
	s_waitcnt vmcnt(2)
	v_pk_mov_b32 v[154:155], v[140:141], v[136:137] op_sel:[1,0]
	ds_write_b32 v147, v140
	ds_write2_b32 v149, v154, v155 offset0:5 offset1:6
	v_pk_mov_b32 v[154:155], v[136:137], v[132:133] op_sel:[1,0]
	ds_write2_b32 v149, v154, v155 offset0:7 offset1:8
	v_pk_mov_b32 v[154:155], v[132:133], v[112:113] op_sel:[1,0]
	;; [unrolled: 2-line block ×20, first 2 shown]
	ds_write2_b32 v149, v154, v155 offset0:45 offset1:46
	ds_write_b32 v149, v135 offset:188
	ds_read_b32 v153, v147
	s_waitcnt lgkmcnt(0)
	v_cmp_neq_f32_e32 vcc, 0, v153
	s_and_b64 exec, exec, vcc
	s_cbranch_execz .LBB95_24
; %bb.23:
	v_div_scale_f32 v154, s[4:5], v153, v153, 1.0
	v_rcp_f32_e32 v155, v154
	v_div_scale_f32 v156, vcc, 1.0, v153, 1.0
	v_fma_f32 v157, -v154, v155, 1.0
	v_fmac_f32_e32 v155, v157, v155
	v_mul_f32_e32 v157, v156, v155
	v_fma_f32 v158, -v154, v157, v156
	v_fmac_f32_e32 v157, v158, v155
	v_fma_f32 v154, -v154, v157, v156
	v_div_fmas_f32 v154, v154, v155, v157
	v_div_fixup_f32 v153, v154, v153, 1.0
	ds_write_b32 v147, v153
.LBB95_24:
	s_or_b64 exec, exec, s[2:3]
	s_waitcnt lgkmcnt(0)
	s_barrier
	ds_read_b32 v153, v147
	v_cmp_lt_u32_e32 vcc, 4, v145
	s_and_saveexec_b64 s[2:3], vcc
	s_cbranch_execz .LBB95_26
; %bb.25:
	ds_read_b32 v166, v149 offset:20
	ds_read2_b64 v[154:157], v149 offset0:3 offset1:4
	ds_read2_b64 v[158:161], v149 offset0:5 offset1:6
	;; [unrolled: 1-line block ×3, first 2 shown]
	s_waitcnt vmcnt(5) lgkmcnt(4)
	v_mul_f32_e32 v140, v153, v140
	s_waitcnt vmcnt(4) lgkmcnt(3)
	v_fma_f32 v141, -v140, v166, v141
	s_waitcnt vmcnt(2) lgkmcnt(2)
	v_pk_fma_f32 v[136:137], v[140:141], v[154:155], v[136:137] op_sel_hi:[0,1,1] neg_lo:[1,0,0] neg_hi:[1,0,0]
	v_pk_fma_f32 v[132:133], v[140:141], v[156:157], v[132:133] op_sel_hi:[0,1,1] neg_lo:[1,0,0] neg_hi:[1,0,0]
	s_waitcnt lgkmcnt(1)
	v_pk_fma_f32 v[112:113], v[140:141], v[158:159], v[112:113] op_sel_hi:[0,1,1] neg_lo:[1,0,0] neg_hi:[1,0,0]
	ds_read2_b64 v[154:157], v149 offset0:9 offset1:10
	v_pk_fma_f32 v[130:131], v[140:141], v[160:161], v[130:131] op_sel_hi:[0,1,1] neg_lo:[1,0,0] neg_hi:[1,0,0]
	ds_read2_b64 v[158:161], v149 offset0:11 offset1:12
	s_waitcnt lgkmcnt(2)
	v_pk_fma_f32 v[110:111], v[140:141], v[162:163], v[110:111] op_sel_hi:[0,1,1] neg_lo:[1,0,0] neg_hi:[1,0,0]
	v_pk_fma_f32 v[128:129], v[140:141], v[164:165], v[128:129] op_sel_hi:[0,1,1] neg_lo:[1,0,0] neg_hi:[1,0,0]
	s_waitcnt lgkmcnt(1)
	v_pk_fma_f32 v[108:109], v[140:141], v[154:155], v[108:109] op_sel_hi:[0,1,1] neg_lo:[1,0,0] neg_hi:[1,0,0]
	ds_read2_b64 v[162:165], v149 offset0:13 offset1:14
	v_pk_fma_f32 v[126:127], v[140:141], v[156:157], v[126:127] op_sel_hi:[0,1,1] neg_lo:[1,0,0] neg_hi:[1,0,0]
	s_waitcnt lgkmcnt(1)
	v_pk_fma_f32 v[106:107], v[140:141], v[158:159], v[106:107] op_sel_hi:[0,1,1] neg_lo:[1,0,0] neg_hi:[1,0,0]
	ds_read2_b64 v[154:157], v149 offset0:15 offset1:16
	v_pk_fma_f32 v[124:125], v[140:141], v[160:161], v[124:125] op_sel_hi:[0,1,1] neg_lo:[1,0,0] neg_hi:[1,0,0]
	ds_read2_b64 v[158:161], v149 offset0:17 offset1:18
	s_waitcnt lgkmcnt(2)
	v_pk_fma_f32 v[104:105], v[140:141], v[162:163], v[104:105] op_sel_hi:[0,1,1] neg_lo:[1,0,0] neg_hi:[1,0,0]
	v_pk_fma_f32 v[122:123], v[140:141], v[164:165], v[122:123] op_sel_hi:[0,1,1] neg_lo:[1,0,0] neg_hi:[1,0,0]
	s_waitcnt lgkmcnt(1)
	v_pk_fma_f32 v[102:103], v[140:141], v[154:155], v[102:103] op_sel_hi:[0,1,1] neg_lo:[1,0,0] neg_hi:[1,0,0]
	v_pk_fma_f32 v[120:121], v[140:141], v[156:157], v[120:121] op_sel_hi:[0,1,1] neg_lo:[1,0,0] neg_hi:[1,0,0]
	ds_read2_b64 v[154:157], v149 offset0:19 offset1:20
	s_waitcnt lgkmcnt(1)
	v_pk_fma_f32 v[100:101], v[140:141], v[158:159], v[100:101] op_sel_hi:[0,1,1] neg_lo:[1,0,0] neg_hi:[1,0,0]
	ds_read2_b64 v[162:165], v149 offset0:21 offset1:22
	ds_read_b64 v[158:159], v149 offset:184
	v_pk_fma_f32 v[118:119], v[140:141], v[160:161], v[118:119] op_sel_hi:[0,1,1] neg_lo:[1,0,0] neg_hi:[1,0,0]
	s_waitcnt lgkmcnt(2)
	v_pk_fma_f32 v[98:99], v[140:141], v[154:155], v[98:99] op_sel_hi:[0,1,1] neg_lo:[1,0,0] neg_hi:[1,0,0]
	v_pk_fma_f32 v[116:117], v[140:141], v[156:157], v[116:117] op_sel_hi:[0,1,1] neg_lo:[1,0,0] neg_hi:[1,0,0]
	s_waitcnt lgkmcnt(1)
	v_pk_fma_f32 v[96:97], v[140:141], v[162:163], v[96:97] op_sel_hi:[0,1,1] neg_lo:[1,0,0] neg_hi:[1,0,0]
	;; [unrolled: 3-line block ×3, first 2 shown]
.LBB95_26:
	s_or_b64 exec, exec, s[2:3]
	v_cmp_ne_u32_e32 vcc, 5, v145
	s_waitcnt lgkmcnt(0)
	s_barrier
	s_and_saveexec_b64 s[2:3], vcc
	s_xor_b64 s[2:3], exec, s[2:3]
	s_andn2_saveexec_b64 s[2:3], s[2:3]
	s_cbranch_execz .LBB95_30
; %bb.27:
	s_waitcnt vmcnt(4)
	ds_write_b32 v147, v141
	s_waitcnt vmcnt(2)
	ds_write2_b64 v149, v[136:137], v[132:133] offset0:3 offset1:4
	ds_write2_b64 v149, v[112:113], v[130:131] offset0:5 offset1:6
	ds_write2_b64 v149, v[110:111], v[128:129] offset0:7 offset1:8
	ds_write2_b64 v149, v[108:109], v[126:127] offset0:9 offset1:10
	ds_write2_b64 v149, v[106:107], v[124:125] offset0:11 offset1:12
	ds_write2_b64 v149, v[104:105], v[122:123] offset0:13 offset1:14
	ds_write2_b64 v149, v[102:103], v[120:121] offset0:15 offset1:16
	ds_write2_b64 v149, v[100:101], v[118:119] offset0:17 offset1:18
	ds_write2_b64 v149, v[98:99], v[116:117] offset0:19 offset1:20
	ds_write2_b64 v149, v[96:97], v[114:115] offset0:21 offset1:22
	ds_write_b64 v149, v[134:135] offset:184
	ds_read_b32 v154, v147
	s_waitcnt lgkmcnt(0)
	v_cmp_neq_f32_e32 vcc, 0, v154
	s_and_saveexec_b64 s[4:5], vcc
	s_cbranch_execz .LBB95_29
; %bb.28:
	v_div_scale_f32 v155, s[10:11], v154, v154, 1.0
	v_rcp_f32_e32 v156, v155
	v_div_scale_f32 v157, vcc, 1.0, v154, 1.0
	v_fma_f32 v158, -v155, v156, 1.0
	v_fmac_f32_e32 v156, v158, v156
	v_mul_f32_e32 v158, v157, v156
	v_fma_f32 v159, -v155, v158, v157
	v_fmac_f32_e32 v158, v159, v156
	v_fma_f32 v155, -v155, v158, v157
	v_div_fmas_f32 v155, v155, v156, v158
	v_div_fixup_f32 v154, v155, v154, 1.0
	ds_write_b32 v147, v154
.LBB95_29:
	s_or_b64 exec, exec, s[4:5]
.LBB95_30:
	s_or_b64 exec, exec, s[2:3]
	s_waitcnt lgkmcnt(0)
	s_barrier
	ds_read_b32 v154, v147
	v_cmp_lt_u32_e32 vcc, 5, v145
	s_and_saveexec_b64 s[2:3], vcc
	s_cbranch_execz .LBB95_32
; %bb.31:
	ds_read2_b64 v[156:159], v149 offset0:3 offset1:4
	ds_read2_b64 v[160:163], v149 offset0:5 offset1:6
	s_waitcnt vmcnt(4) lgkmcnt(2)
	v_mul_f32_e32 v168, v154, v141
	ds_read2_b64 v[164:167], v149 offset0:7 offset1:8
	v_mov_b32_e32 v141, v168
	s_waitcnt vmcnt(2) lgkmcnt(2)
	v_pk_fma_f32 v[136:137], v[168:169], v[156:157], v[136:137] op_sel_hi:[0,1,1] neg_lo:[1,0,0] neg_hi:[1,0,0]
	v_pk_fma_f32 v[132:133], v[168:169], v[158:159], v[132:133] op_sel_hi:[0,1,1] neg_lo:[1,0,0] neg_hi:[1,0,0]
	s_waitcnt lgkmcnt(1)
	v_pk_fma_f32 v[112:113], v[168:169], v[160:161], v[112:113] op_sel_hi:[0,1,1] neg_lo:[1,0,0] neg_hi:[1,0,0]
	ds_read2_b64 v[156:159], v149 offset0:9 offset1:10
	v_pk_fma_f32 v[130:131], v[168:169], v[162:163], v[130:131] op_sel_hi:[0,1,1] neg_lo:[1,0,0] neg_hi:[1,0,0]
	ds_read2_b64 v[160:163], v149 offset0:11 offset1:12
	s_waitcnt lgkmcnt(2)
	v_pk_fma_f32 v[110:111], v[168:169], v[164:165], v[110:111] op_sel_hi:[0,1,1] neg_lo:[1,0,0] neg_hi:[1,0,0]
	v_pk_fma_f32 v[128:129], v[168:169], v[166:167], v[128:129] op_sel_hi:[0,1,1] neg_lo:[1,0,0] neg_hi:[1,0,0]
	s_waitcnt lgkmcnt(1)
	v_pk_fma_f32 v[108:109], v[168:169], v[156:157], v[108:109] op_sel_hi:[0,1,1] neg_lo:[1,0,0] neg_hi:[1,0,0]
	ds_read2_b64 v[164:167], v149 offset0:13 offset1:14
	v_pk_fma_f32 v[126:127], v[168:169], v[158:159], v[126:127] op_sel_hi:[0,1,1] neg_lo:[1,0,0] neg_hi:[1,0,0]
	s_waitcnt lgkmcnt(1)
	v_pk_fma_f32 v[106:107], v[168:169], v[160:161], v[106:107] op_sel_hi:[0,1,1] neg_lo:[1,0,0] neg_hi:[1,0,0]
	ds_read2_b64 v[156:159], v149 offset0:15 offset1:16
	v_pk_fma_f32 v[124:125], v[168:169], v[162:163], v[124:125] op_sel_hi:[0,1,1] neg_lo:[1,0,0] neg_hi:[1,0,0]
	ds_read2_b64 v[160:163], v149 offset0:17 offset1:18
	s_waitcnt lgkmcnt(2)
	v_pk_fma_f32 v[104:105], v[168:169], v[164:165], v[104:105] op_sel_hi:[0,1,1] neg_lo:[1,0,0] neg_hi:[1,0,0]
	v_pk_fma_f32 v[122:123], v[168:169], v[166:167], v[122:123] op_sel_hi:[0,1,1] neg_lo:[1,0,0] neg_hi:[1,0,0]
	s_waitcnt lgkmcnt(1)
	v_pk_fma_f32 v[102:103], v[168:169], v[156:157], v[102:103] op_sel_hi:[0,1,1] neg_lo:[1,0,0] neg_hi:[1,0,0]
	v_pk_fma_f32 v[120:121], v[168:169], v[158:159], v[120:121] op_sel_hi:[0,1,1] neg_lo:[1,0,0] neg_hi:[1,0,0]
	ds_read2_b64 v[156:159], v149 offset0:19 offset1:20
	ds_read2_b64 v[164:167], v149 offset0:21 offset1:22
	s_waitcnt lgkmcnt(2)
	v_pk_fma_f32 v[100:101], v[168:169], v[160:161], v[100:101] op_sel_hi:[0,1,1] neg_lo:[1,0,0] neg_hi:[1,0,0]
	ds_read_b64 v[160:161], v149 offset:184
	v_pk_fma_f32 v[118:119], v[168:169], v[162:163], v[118:119] op_sel_hi:[0,1,1] neg_lo:[1,0,0] neg_hi:[1,0,0]
	s_waitcnt lgkmcnt(2)
	v_pk_fma_f32 v[98:99], v[168:169], v[156:157], v[98:99] op_sel_hi:[0,1,1] neg_lo:[1,0,0] neg_hi:[1,0,0]
	v_pk_fma_f32 v[116:117], v[168:169], v[158:159], v[116:117] op_sel_hi:[0,1,1] neg_lo:[1,0,0] neg_hi:[1,0,0]
	s_waitcnt lgkmcnt(1)
	v_pk_fma_f32 v[96:97], v[168:169], v[164:165], v[96:97] op_sel_hi:[0,1,1] neg_lo:[1,0,0] neg_hi:[1,0,0]
	;; [unrolled: 3-line block ×3, first 2 shown]
.LBB95_32:
	s_or_b64 exec, exec, s[2:3]
	v_cmp_eq_u32_e32 vcc, 6, v145
	s_waitcnt lgkmcnt(0)
	s_barrier
	s_and_saveexec_b64 s[2:3], vcc
	s_cbranch_execz .LBB95_35
; %bb.33:
	s_waitcnt vmcnt(2)
	v_pk_mov_b32 v[156:157], v[136:137], v[132:133] op_sel:[1,0]
	ds_write_b32 v147, v136
	ds_write2_b32 v149, v156, v157 offset0:7 offset1:8
	v_pk_mov_b32 v[156:157], v[132:133], v[112:113] op_sel:[1,0]
	ds_write2_b32 v149, v156, v157 offset0:9 offset1:10
	v_pk_mov_b32 v[156:157], v[112:113], v[130:131] op_sel:[1,0]
	;; [unrolled: 2-line block ×19, first 2 shown]
	ds_write2_b32 v149, v156, v157 offset0:45 offset1:46
	ds_write_b32 v149, v135 offset:188
	ds_read_b32 v155, v147
	s_waitcnt lgkmcnt(0)
	v_cmp_neq_f32_e32 vcc, 0, v155
	s_and_b64 exec, exec, vcc
	s_cbranch_execz .LBB95_35
; %bb.34:
	v_div_scale_f32 v156, s[4:5], v155, v155, 1.0
	v_rcp_f32_e32 v157, v156
	v_div_scale_f32 v158, vcc, 1.0, v155, 1.0
	v_fma_f32 v159, -v156, v157, 1.0
	v_fmac_f32_e32 v157, v159, v157
	v_mul_f32_e32 v159, v158, v157
	v_fma_f32 v160, -v156, v159, v158
	v_fmac_f32_e32 v159, v160, v157
	v_fma_f32 v156, -v156, v159, v158
	v_div_fmas_f32 v156, v156, v157, v159
	v_div_fixup_f32 v155, v156, v155, 1.0
	ds_write_b32 v147, v155
.LBB95_35:
	s_or_b64 exec, exec, s[2:3]
	s_waitcnt lgkmcnt(0)
	s_barrier
	ds_read_b32 v155, v147
	v_cmp_lt_u32_e32 vcc, 6, v145
	s_and_saveexec_b64 s[2:3], vcc
	s_cbranch_execz .LBB95_37
; %bb.36:
	ds_read_b32 v156, v149 offset:28
	s_waitcnt vmcnt(3) lgkmcnt(1)
	v_mul_f32_e32 v136, v155, v136
	s_waitcnt vmcnt(2) lgkmcnt(0)
	v_fma_f32 v137, -v136, v156, v137
	ds_read2_b64 v[156:159], v149 offset0:4 offset1:5
	s_waitcnt lgkmcnt(0)
	v_pk_fma_f32 v[132:133], v[136:137], v[156:157], v[132:133] op_sel_hi:[0,1,1] neg_lo:[1,0,0] neg_hi:[1,0,0]
	v_pk_fma_f32 v[112:113], v[136:137], v[158:159], v[112:113] op_sel_hi:[0,1,1] neg_lo:[1,0,0] neg_hi:[1,0,0]
	ds_read2_b64 v[156:159], v149 offset0:6 offset1:7
	s_waitcnt lgkmcnt(0)
	v_pk_fma_f32 v[130:131], v[136:137], v[156:157], v[130:131] op_sel_hi:[0,1,1] neg_lo:[1,0,0] neg_hi:[1,0,0]
	v_pk_fma_f32 v[110:111], v[136:137], v[158:159], v[110:111] op_sel_hi:[0,1,1] neg_lo:[1,0,0] neg_hi:[1,0,0]
	;; [unrolled: 4-line block ×10, first 2 shown]
.LBB95_37:
	s_or_b64 exec, exec, s[2:3]
	v_cmp_ne_u32_e32 vcc, 7, v145
	s_waitcnt lgkmcnt(0)
	s_barrier
	s_and_saveexec_b64 s[2:3], vcc
	s_xor_b64 s[2:3], exec, s[2:3]
	s_andn2_saveexec_b64 s[2:3], s[2:3]
	s_cbranch_execz .LBB95_41
; %bb.38:
	s_waitcnt vmcnt(47)
	v_mov_b32_e32 v156, v132
	s_waitcnt vmcnt(46)
	v_mov_b32_e32 v157, v133
	;; [unrolled: 2-line block ×4, first 2 shown]
	s_waitcnt vmcnt(2)
	ds_write_b32 v147, v137
	ds_write2_b64 v149, v[156:157], v[158:159] offset0:4 offset1:5
	v_mov_b32_e32 v156, v130
	v_mov_b32_e32 v157, v131
	v_mov_b32_e32 v158, v110
	v_mov_b32_e32 v159, v111
	ds_write2_b64 v149, v[156:157], v[158:159] offset0:6 offset1:7
	v_mov_b32_e32 v156, v128
	v_mov_b32_e32 v157, v129
	v_mov_b32_e32 v158, v108
	v_mov_b32_e32 v159, v109
	;; [unrolled: 5-line block ×8, first 2 shown]
	ds_write2_b64 v149, v[156:157], v[158:159] offset0:20 offset1:21
	v_mov_b32_e32 v156, v114
	v_mov_b32_e32 v157, v115
	ds_write2_b64 v149, v[156:157], v[134:135] offset0:22 offset1:23
	ds_read_b32 v156, v147
	s_waitcnt lgkmcnt(0)
	v_cmp_neq_f32_e32 vcc, 0, v156
	s_and_saveexec_b64 s[4:5], vcc
	s_cbranch_execz .LBB95_40
; %bb.39:
	v_div_scale_f32 v157, s[10:11], v156, v156, 1.0
	v_rcp_f32_e32 v158, v157
	v_div_scale_f32 v159, vcc, 1.0, v156, 1.0
	v_fma_f32 v160, -v157, v158, 1.0
	v_fmac_f32_e32 v158, v160, v158
	v_mul_f32_e32 v160, v159, v158
	v_fma_f32 v161, -v157, v160, v159
	v_fmac_f32_e32 v160, v161, v158
	v_fma_f32 v157, -v157, v160, v159
	v_div_fmas_f32 v157, v157, v158, v160
	v_div_fixup_f32 v156, v157, v156, 1.0
	ds_write_b32 v147, v156
.LBB95_40:
	s_or_b64 exec, exec, s[4:5]
.LBB95_41:
	s_or_b64 exec, exec, s[2:3]
	s_waitcnt lgkmcnt(0)
	s_barrier
	ds_read_b32 v156, v147
	v_cmp_lt_u32_e32 vcc, 7, v145
	s_and_saveexec_b64 s[2:3], vcc
	s_cbranch_execz .LBB95_43
; %bb.42:
	ds_read2_b64 v[158:161], v149 offset0:4 offset1:5
	s_waitcnt vmcnt(2) lgkmcnt(1)
	v_mul_f32_e32 v162, v156, v137
	v_mov_b32_e32 v137, v162
	s_waitcnt lgkmcnt(0)
	v_pk_fma_f32 v[132:133], v[162:163], v[158:159], v[132:133] op_sel_hi:[0,1,1] neg_lo:[1,0,0] neg_hi:[1,0,0]
	v_pk_fma_f32 v[112:113], v[162:163], v[160:161], v[112:113] op_sel_hi:[0,1,1] neg_lo:[1,0,0] neg_hi:[1,0,0]
	ds_read2_b64 v[158:161], v149 offset0:6 offset1:7
	s_waitcnt lgkmcnt(0)
	v_pk_fma_f32 v[130:131], v[162:163], v[158:159], v[130:131] op_sel_hi:[0,1,1] neg_lo:[1,0,0] neg_hi:[1,0,0]
	v_pk_fma_f32 v[110:111], v[162:163], v[160:161], v[110:111] op_sel_hi:[0,1,1] neg_lo:[1,0,0] neg_hi:[1,0,0]
	ds_read2_b64 v[158:161], v149 offset0:8 offset1:9
	;; [unrolled: 4-line block ×9, first 2 shown]
	s_waitcnt lgkmcnt(0)
	v_pk_fma_f32 v[114:115], v[162:163], v[158:159], v[114:115] op_sel_hi:[0,1,1] neg_lo:[1,0,0] neg_hi:[1,0,0]
	v_pk_fma_f32 v[134:135], v[162:163], v[160:161], v[134:135] op_sel_hi:[0,1,1] neg_lo:[1,0,0] neg_hi:[1,0,0]
.LBB95_43:
	s_or_b64 exec, exec, s[2:3]
	v_cmp_eq_u32_e32 vcc, 8, v145
	s_waitcnt lgkmcnt(0)
	s_barrier
	s_and_saveexec_b64 s[2:3], vcc
	s_cbranch_execz .LBB95_46
; %bb.44:
	s_waitcnt vmcnt(44)
	v_pk_mov_b32 v[158:159], v[132:133], v[112:113] op_sel:[1,0]
	ds_write_b32 v147, v132
	ds_write2_b32 v149, v158, v159 offset0:9 offset1:10
	s_waitcnt vmcnt(42)
	v_pk_mov_b32 v[158:159], v[112:113], v[130:131] op_sel:[1,0]
	ds_write2_b32 v149, v158, v159 offset0:11 offset1:12
	s_waitcnt vmcnt(40)
	v_pk_mov_b32 v[158:159], v[130:131], v[110:111] op_sel:[1,0]
	;; [unrolled: 3-line block ×18, first 2 shown]
	ds_write2_b32 v149, v158, v159 offset0:45 offset1:46
	ds_write_b32 v149, v135 offset:188
	ds_read_b32 v157, v147
	s_waitcnt lgkmcnt(0)
	v_cmp_neq_f32_e32 vcc, 0, v157
	s_and_b64 exec, exec, vcc
	s_cbranch_execz .LBB95_46
; %bb.45:
	v_div_scale_f32 v158, s[4:5], v157, v157, 1.0
	v_rcp_f32_e32 v159, v158
	v_div_scale_f32 v160, vcc, 1.0, v157, 1.0
	v_fma_f32 v161, -v158, v159, 1.0
	v_fmac_f32_e32 v159, v161, v159
	v_mul_f32_e32 v161, v160, v159
	v_fma_f32 v162, -v158, v161, v160
	v_fmac_f32_e32 v161, v162, v159
	v_fma_f32 v158, -v158, v161, v160
	v_div_fmas_f32 v158, v158, v159, v161
	v_div_fixup_f32 v157, v158, v157, 1.0
	ds_write_b32 v147, v157
.LBB95_46:
	s_or_b64 exec, exec, s[2:3]
	s_waitcnt lgkmcnt(0)
	s_barrier
	ds_read_b32 v157, v147
	v_cmp_lt_u32_e32 vcc, 8, v145
	s_and_saveexec_b64 s[2:3], vcc
	s_cbranch_execz .LBB95_48
; %bb.47:
	ds_read_b32 v158, v149 offset:36
	s_waitcnt vmcnt(47) lgkmcnt(1)
	v_mul_f32_e32 v132, v157, v132
	s_waitcnt vmcnt(46) lgkmcnt(0)
	v_fma_f32 v133, -v132, v158, v133
	ds_read2_b64 v[158:161], v149 offset0:5 offset1:6
	s_waitcnt vmcnt(44) lgkmcnt(0)
	v_pk_fma_f32 v[112:113], v[132:133], v[158:159], v[112:113] op_sel_hi:[0,1,1] neg_lo:[1,0,0] neg_hi:[1,0,0]
	s_waitcnt vmcnt(42)
	v_pk_fma_f32 v[130:131], v[132:133], v[160:161], v[130:131] op_sel_hi:[0,1,1] neg_lo:[1,0,0] neg_hi:[1,0,0]
	ds_read2_b64 v[158:161], v149 offset0:7 offset1:8
	s_waitcnt vmcnt(40) lgkmcnt(0)
	v_pk_fma_f32 v[110:111], v[132:133], v[158:159], v[110:111] op_sel_hi:[0,1,1] neg_lo:[1,0,0] neg_hi:[1,0,0]
	s_waitcnt vmcnt(38)
	v_pk_fma_f32 v[128:129], v[132:133], v[160:161], v[128:129] op_sel_hi:[0,1,1] neg_lo:[1,0,0] neg_hi:[1,0,0]
	;; [unrolled: 5-line block ×8, first 2 shown]
	ds_read2_b64 v[158:161], v149 offset0:21 offset1:22
	s_waitcnt vmcnt(12) lgkmcnt(0)
	v_pk_fma_f32 v[96:97], v[132:133], v[158:159], v[96:97] op_sel_hi:[0,1,1] neg_lo:[1,0,0] neg_hi:[1,0,0]
	ds_read_b64 v[158:159], v149 offset:184
	s_waitcnt vmcnt(10)
	v_pk_fma_f32 v[114:115], v[132:133], v[160:161], v[114:115] op_sel_hi:[0,1,1] neg_lo:[1,0,0] neg_hi:[1,0,0]
	s_waitcnt vmcnt(8) lgkmcnt(0)
	v_pk_fma_f32 v[134:135], v[132:133], v[158:159], v[134:135] op_sel_hi:[0,1,1] neg_lo:[1,0,0] neg_hi:[1,0,0]
.LBB95_48:
	s_or_b64 exec, exec, s[2:3]
	v_cmp_ne_u32_e32 vcc, 9, v145
	s_waitcnt lgkmcnt(0)
	s_barrier
	s_and_saveexec_b64 s[2:3], vcc
	s_xor_b64 s[2:3], exec, s[2:3]
	s_andn2_saveexec_b64 s[2:3], s[2:3]
	s_cbranch_execz .LBB95_52
; %bb.49:
	s_waitcnt vmcnt(46)
	ds_write_b32 v147, v133
	s_waitcnt vmcnt(42)
	ds_write2_b64 v149, v[112:113], v[130:131] offset0:5 offset1:6
	s_waitcnt vmcnt(38)
	ds_write2_b64 v149, v[110:111], v[128:129] offset0:7 offset1:8
	;; [unrolled: 2-line block ×9, first 2 shown]
	s_waitcnt vmcnt(8)
	ds_write_b64 v149, v[134:135] offset:184
	ds_read_b32 v158, v147
	s_waitcnt lgkmcnt(0)
	v_cmp_neq_f32_e32 vcc, 0, v158
	s_and_saveexec_b64 s[4:5], vcc
	s_cbranch_execz .LBB95_51
; %bb.50:
	v_div_scale_f32 v159, s[10:11], v158, v158, 1.0
	v_rcp_f32_e32 v160, v159
	v_div_scale_f32 v161, vcc, 1.0, v158, 1.0
	v_fma_f32 v162, -v159, v160, 1.0
	v_fmac_f32_e32 v160, v162, v160
	v_mul_f32_e32 v162, v161, v160
	v_fma_f32 v163, -v159, v162, v161
	v_fmac_f32_e32 v162, v163, v160
	v_fma_f32 v159, -v159, v162, v161
	v_div_fmas_f32 v159, v159, v160, v162
	v_div_fixup_f32 v158, v159, v158, 1.0
	ds_write_b32 v147, v158
.LBB95_51:
	s_or_b64 exec, exec, s[4:5]
.LBB95_52:
	s_or_b64 exec, exec, s[2:3]
	s_waitcnt lgkmcnt(0)
	s_barrier
	ds_read_b32 v158, v147
	v_cmp_lt_u32_e32 vcc, 9, v145
	s_and_saveexec_b64 s[2:3], vcc
	s_cbranch_execz .LBB95_54
; %bb.53:
	ds_read2_b64 v[160:163], v149 offset0:5 offset1:6
	s_waitcnt vmcnt(46) lgkmcnt(1)
	v_mul_f32_e32 v164, v158, v133
	v_mov_b32_e32 v133, v164
	s_waitcnt vmcnt(44) lgkmcnt(0)
	v_pk_fma_f32 v[112:113], v[164:165], v[160:161], v[112:113] op_sel_hi:[0,1,1] neg_lo:[1,0,0] neg_hi:[1,0,0]
	s_waitcnt vmcnt(42)
	v_pk_fma_f32 v[130:131], v[164:165], v[162:163], v[130:131] op_sel_hi:[0,1,1] neg_lo:[1,0,0] neg_hi:[1,0,0]
	ds_read2_b64 v[160:163], v149 offset0:7 offset1:8
	s_waitcnt vmcnt(40) lgkmcnt(0)
	v_pk_fma_f32 v[110:111], v[164:165], v[160:161], v[110:111] op_sel_hi:[0,1,1] neg_lo:[1,0,0] neg_hi:[1,0,0]
	s_waitcnt vmcnt(38)
	v_pk_fma_f32 v[128:129], v[164:165], v[162:163], v[128:129] op_sel_hi:[0,1,1] neg_lo:[1,0,0] neg_hi:[1,0,0]
	ds_read2_b64 v[160:163], v149 offset0:9 offset1:10
	;; [unrolled: 5-line block ×8, first 2 shown]
	s_waitcnt vmcnt(12) lgkmcnt(0)
	v_pk_fma_f32 v[96:97], v[164:165], v[160:161], v[96:97] op_sel_hi:[0,1,1] neg_lo:[1,0,0] neg_hi:[1,0,0]
	ds_read_b64 v[160:161], v149 offset:184
	s_waitcnt vmcnt(10)
	v_pk_fma_f32 v[114:115], v[164:165], v[162:163], v[114:115] op_sel_hi:[0,1,1] neg_lo:[1,0,0] neg_hi:[1,0,0]
	s_waitcnt vmcnt(8) lgkmcnt(0)
	v_pk_fma_f32 v[134:135], v[164:165], v[160:161], v[134:135] op_sel_hi:[0,1,1] neg_lo:[1,0,0] neg_hi:[1,0,0]
.LBB95_54:
	s_or_b64 exec, exec, s[2:3]
	v_cmp_eq_u32_e32 vcc, 10, v145
	s_waitcnt lgkmcnt(0)
	s_barrier
	s_and_saveexec_b64 s[2:3], vcc
	s_cbranch_execz .LBB95_57
; %bb.55:
	s_waitcnt vmcnt(42)
	v_pk_mov_b32 v[160:161], v[112:113], v[130:131] op_sel:[1,0]
	ds_write_b32 v147, v112
	ds_write2_b32 v149, v160, v161 offset0:11 offset1:12
	s_waitcnt vmcnt(40)
	v_pk_mov_b32 v[160:161], v[130:131], v[110:111] op_sel:[1,0]
	ds_write2_b32 v149, v160, v161 offset0:13 offset1:14
	s_waitcnt vmcnt(38)
	v_pk_mov_b32 v[160:161], v[110:111], v[128:129] op_sel:[1,0]
	;; [unrolled: 3-line block ×17, first 2 shown]
	ds_write2_b32 v149, v160, v161 offset0:45 offset1:46
	ds_write_b32 v149, v135 offset:188
	ds_read_b32 v159, v147
	s_waitcnt lgkmcnt(0)
	v_cmp_neq_f32_e32 vcc, 0, v159
	s_and_b64 exec, exec, vcc
	s_cbranch_execz .LBB95_57
; %bb.56:
	v_div_scale_f32 v160, s[4:5], v159, v159, 1.0
	v_rcp_f32_e32 v161, v160
	v_div_scale_f32 v162, vcc, 1.0, v159, 1.0
	v_fma_f32 v163, -v160, v161, 1.0
	v_fmac_f32_e32 v161, v163, v161
	v_mul_f32_e32 v163, v162, v161
	v_fma_f32 v164, -v160, v163, v162
	v_fmac_f32_e32 v163, v164, v161
	v_fma_f32 v160, -v160, v163, v162
	v_div_fmas_f32 v160, v160, v161, v163
	v_div_fixup_f32 v159, v160, v159, 1.0
	ds_write_b32 v147, v159
.LBB95_57:
	s_or_b64 exec, exec, s[2:3]
	s_waitcnt lgkmcnt(0)
	s_barrier
	ds_read_b32 v159, v147
	v_cmp_lt_u32_e32 vcc, 10, v145
	s_and_saveexec_b64 s[2:3], vcc
	s_cbranch_execz .LBB95_59
; %bb.58:
	ds_read_b32 v160, v149 offset:44
	s_waitcnt vmcnt(45) lgkmcnt(1)
	v_mul_f32_e32 v112, v159, v112
	s_waitcnt vmcnt(44) lgkmcnt(0)
	v_fma_f32 v113, -v112, v160, v113
	ds_read2_b64 v[160:163], v149 offset0:6 offset1:7
	s_waitcnt vmcnt(42) lgkmcnt(0)
	v_pk_fma_f32 v[130:131], v[112:113], v[160:161], v[130:131] op_sel_hi:[0,1,1] neg_lo:[1,0,0] neg_hi:[1,0,0]
	s_waitcnt vmcnt(40)
	v_pk_fma_f32 v[110:111], v[112:113], v[162:163], v[110:111] op_sel_hi:[0,1,1] neg_lo:[1,0,0] neg_hi:[1,0,0]
	ds_read2_b64 v[160:163], v149 offset0:8 offset1:9
	s_waitcnt vmcnt(38) lgkmcnt(0)
	v_pk_fma_f32 v[128:129], v[112:113], v[160:161], v[128:129] op_sel_hi:[0,1,1] neg_lo:[1,0,0] neg_hi:[1,0,0]
	s_waitcnt vmcnt(36)
	v_pk_fma_f32 v[108:109], v[112:113], v[162:163], v[108:109] op_sel_hi:[0,1,1] neg_lo:[1,0,0] neg_hi:[1,0,0]
	;; [unrolled: 5-line block ×9, first 2 shown]
.LBB95_59:
	s_or_b64 exec, exec, s[2:3]
	v_cmp_ne_u32_e32 vcc, 11, v145
	s_waitcnt lgkmcnt(0)
	s_barrier
	s_and_saveexec_b64 s[2:3], vcc
	s_xor_b64 s[2:3], exec, s[2:3]
	s_andn2_saveexec_b64 s[2:3], s[2:3]
	s_cbranch_execz .LBB95_63
; %bb.60:
	s_waitcnt vmcnt(43)
	v_mov_b32_e32 v160, v130
	s_waitcnt vmcnt(42)
	v_mov_b32_e32 v161, v131
	;; [unrolled: 2-line block ×4, first 2 shown]
	ds_write_b32 v147, v113
	ds_write2_b64 v149, v[160:161], v[162:163] offset0:6 offset1:7
	s_waitcnt vmcnt(39)
	v_mov_b32_e32 v160, v128
	s_waitcnt vmcnt(38)
	v_mov_b32_e32 v161, v129
	s_waitcnt vmcnt(37)
	v_mov_b32_e32 v162, v108
	s_waitcnt vmcnt(36)
	v_mov_b32_e32 v163, v109
	ds_write2_b64 v149, v[160:161], v[162:163] offset0:8 offset1:9
	s_waitcnt vmcnt(35)
	v_mov_b32_e32 v160, v126
	s_waitcnt vmcnt(34)
	v_mov_b32_e32 v161, v127
	s_waitcnt vmcnt(33)
	v_mov_b32_e32 v162, v106
	s_waitcnt vmcnt(32)
	v_mov_b32_e32 v163, v107
	;; [unrolled: 9-line block ×7, first 2 shown]
	ds_write2_b64 v149, v[160:161], v[162:163] offset0:20 offset1:21
	s_waitcnt vmcnt(11)
	v_mov_b32_e32 v160, v114
	s_waitcnt vmcnt(10)
	v_mov_b32_e32 v161, v115
	s_waitcnt vmcnt(8)
	ds_write2_b64 v149, v[160:161], v[134:135] offset0:22 offset1:23
	ds_read_b32 v160, v147
	s_waitcnt lgkmcnt(0)
	v_cmp_neq_f32_e32 vcc, 0, v160
	s_and_saveexec_b64 s[4:5], vcc
	s_cbranch_execz .LBB95_62
; %bb.61:
	v_div_scale_f32 v161, s[10:11], v160, v160, 1.0
	v_rcp_f32_e32 v162, v161
	v_div_scale_f32 v163, vcc, 1.0, v160, 1.0
	v_fma_f32 v164, -v161, v162, 1.0
	v_fmac_f32_e32 v162, v164, v162
	v_mul_f32_e32 v164, v163, v162
	v_fma_f32 v165, -v161, v164, v163
	v_fmac_f32_e32 v164, v165, v162
	v_fma_f32 v161, -v161, v164, v163
	v_div_fmas_f32 v161, v161, v162, v164
	v_div_fixup_f32 v160, v161, v160, 1.0
	ds_write_b32 v147, v160
.LBB95_62:
	s_or_b64 exec, exec, s[4:5]
.LBB95_63:
	s_or_b64 exec, exec, s[2:3]
	s_waitcnt lgkmcnt(0)
	s_barrier
	ds_read_b32 v160, v147
	v_cmp_lt_u32_e32 vcc, 11, v145
	s_and_saveexec_b64 s[2:3], vcc
	s_cbranch_execz .LBB95_65
; %bb.64:
	ds_read2_b64 v[162:165], v149 offset0:6 offset1:7
	s_waitcnt vmcnt(44) lgkmcnt(1)
	v_mul_f32_e32 v166, v160, v113
	v_mov_b32_e32 v113, v166
	s_waitcnt vmcnt(42) lgkmcnt(0)
	v_pk_fma_f32 v[130:131], v[166:167], v[162:163], v[130:131] op_sel_hi:[0,1,1] neg_lo:[1,0,0] neg_hi:[1,0,0]
	s_waitcnt vmcnt(40)
	v_pk_fma_f32 v[110:111], v[166:167], v[164:165], v[110:111] op_sel_hi:[0,1,1] neg_lo:[1,0,0] neg_hi:[1,0,0]
	ds_read2_b64 v[162:165], v149 offset0:8 offset1:9
	s_waitcnt vmcnt(38) lgkmcnt(0)
	v_pk_fma_f32 v[128:129], v[166:167], v[162:163], v[128:129] op_sel_hi:[0,1,1] neg_lo:[1,0,0] neg_hi:[1,0,0]
	s_waitcnt vmcnt(36)
	v_pk_fma_f32 v[108:109], v[166:167], v[164:165], v[108:109] op_sel_hi:[0,1,1] neg_lo:[1,0,0] neg_hi:[1,0,0]
	ds_read2_b64 v[162:165], v149 offset0:10 offset1:11
	;; [unrolled: 5-line block ×8, first 2 shown]
	s_waitcnt vmcnt(10) lgkmcnt(0)
	v_pk_fma_f32 v[114:115], v[166:167], v[162:163], v[114:115] op_sel_hi:[0,1,1] neg_lo:[1,0,0] neg_hi:[1,0,0]
	s_waitcnt vmcnt(8)
	v_pk_fma_f32 v[134:135], v[166:167], v[164:165], v[134:135] op_sel_hi:[0,1,1] neg_lo:[1,0,0] neg_hi:[1,0,0]
.LBB95_65:
	s_or_b64 exec, exec, s[2:3]
	v_cmp_eq_u32_e32 vcc, 12, v145
	s_waitcnt lgkmcnt(0)
	s_barrier
	s_and_saveexec_b64 s[2:3], vcc
	s_cbranch_execz .LBB95_68
; %bb.66:
	s_waitcnt vmcnt(40)
	v_pk_mov_b32 v[162:163], v[130:131], v[110:111] op_sel:[1,0]
	ds_write_b32 v147, v130
	ds_write2_b32 v149, v162, v163 offset0:13 offset1:14
	s_waitcnt vmcnt(38)
	v_pk_mov_b32 v[162:163], v[110:111], v[128:129] op_sel:[1,0]
	ds_write2_b32 v149, v162, v163 offset0:15 offset1:16
	s_waitcnt vmcnt(36)
	v_pk_mov_b32 v[162:163], v[128:129], v[108:109] op_sel:[1,0]
	;; [unrolled: 3-line block ×16, first 2 shown]
	ds_write2_b32 v149, v162, v163 offset0:45 offset1:46
	ds_write_b32 v149, v135 offset:188
	ds_read_b32 v161, v147
	s_waitcnt lgkmcnt(0)
	v_cmp_neq_f32_e32 vcc, 0, v161
	s_and_b64 exec, exec, vcc
	s_cbranch_execz .LBB95_68
; %bb.67:
	v_div_scale_f32 v162, s[4:5], v161, v161, 1.0
	v_rcp_f32_e32 v163, v162
	v_div_scale_f32 v164, vcc, 1.0, v161, 1.0
	v_fma_f32 v165, -v162, v163, 1.0
	v_fmac_f32_e32 v163, v165, v163
	v_mul_f32_e32 v165, v164, v163
	v_fma_f32 v166, -v162, v165, v164
	v_fmac_f32_e32 v165, v166, v163
	v_fma_f32 v162, -v162, v165, v164
	v_div_fmas_f32 v162, v162, v163, v165
	v_div_fixup_f32 v161, v162, v161, 1.0
	ds_write_b32 v147, v161
.LBB95_68:
	s_or_b64 exec, exec, s[2:3]
	s_waitcnt lgkmcnt(0)
	s_barrier
	ds_read_b32 v161, v147
	v_cmp_lt_u32_e32 vcc, 12, v145
	s_and_saveexec_b64 s[2:3], vcc
	s_cbranch_execz .LBB95_70
; %bb.69:
	ds_read_b32 v162, v149 offset:52
	s_waitcnt vmcnt(43) lgkmcnt(1)
	v_mul_f32_e32 v130, v161, v130
	s_waitcnt vmcnt(42) lgkmcnt(0)
	v_fma_f32 v131, -v130, v162, v131
	ds_read2_b64 v[162:165], v149 offset0:7 offset1:8
	s_waitcnt vmcnt(40) lgkmcnt(0)
	v_pk_fma_f32 v[110:111], v[130:131], v[162:163], v[110:111] op_sel_hi:[0,1,1] neg_lo:[1,0,0] neg_hi:[1,0,0]
	s_waitcnt vmcnt(38)
	v_pk_fma_f32 v[128:129], v[130:131], v[164:165], v[128:129] op_sel_hi:[0,1,1] neg_lo:[1,0,0] neg_hi:[1,0,0]
	ds_read2_b64 v[162:165], v149 offset0:9 offset1:10
	s_waitcnt vmcnt(36) lgkmcnt(0)
	v_pk_fma_f32 v[108:109], v[130:131], v[162:163], v[108:109] op_sel_hi:[0,1,1] neg_lo:[1,0,0] neg_hi:[1,0,0]
	s_waitcnt vmcnt(34)
	v_pk_fma_f32 v[126:127], v[130:131], v[164:165], v[126:127] op_sel_hi:[0,1,1] neg_lo:[1,0,0] neg_hi:[1,0,0]
	;; [unrolled: 5-line block ×7, first 2 shown]
	ds_read2_b64 v[162:165], v149 offset0:21 offset1:22
	s_waitcnt vmcnt(12) lgkmcnt(0)
	v_pk_fma_f32 v[96:97], v[130:131], v[162:163], v[96:97] op_sel_hi:[0,1,1] neg_lo:[1,0,0] neg_hi:[1,0,0]
	ds_read_b64 v[162:163], v149 offset:184
	s_waitcnt vmcnt(10)
	v_pk_fma_f32 v[114:115], v[130:131], v[164:165], v[114:115] op_sel_hi:[0,1,1] neg_lo:[1,0,0] neg_hi:[1,0,0]
	s_waitcnt vmcnt(8) lgkmcnt(0)
	v_pk_fma_f32 v[134:135], v[130:131], v[162:163], v[134:135] op_sel_hi:[0,1,1] neg_lo:[1,0,0] neg_hi:[1,0,0]
.LBB95_70:
	s_or_b64 exec, exec, s[2:3]
	v_cmp_ne_u32_e32 vcc, 13, v145
	s_waitcnt lgkmcnt(0)
	s_barrier
	s_and_saveexec_b64 s[2:3], vcc
	s_xor_b64 s[2:3], exec, s[2:3]
	s_andn2_saveexec_b64 s[2:3], s[2:3]
	s_cbranch_execz .LBB95_74
; %bb.71:
	s_waitcnt vmcnt(42)
	ds_write_b32 v147, v131
	s_waitcnt vmcnt(38)
	ds_write2_b64 v149, v[110:111], v[128:129] offset0:7 offset1:8
	s_waitcnt vmcnt(34)
	ds_write2_b64 v149, v[108:109], v[126:127] offset0:9 offset1:10
	;; [unrolled: 2-line block ×8, first 2 shown]
	s_waitcnt vmcnt(8)
	ds_write_b64 v149, v[134:135] offset:184
	ds_read_b32 v162, v147
	s_waitcnt lgkmcnt(0)
	v_cmp_neq_f32_e32 vcc, 0, v162
	s_and_saveexec_b64 s[4:5], vcc
	s_cbranch_execz .LBB95_73
; %bb.72:
	v_div_scale_f32 v163, s[10:11], v162, v162, 1.0
	v_rcp_f32_e32 v164, v163
	v_div_scale_f32 v165, vcc, 1.0, v162, 1.0
	v_fma_f32 v166, -v163, v164, 1.0
	v_fmac_f32_e32 v164, v166, v164
	v_mul_f32_e32 v166, v165, v164
	v_fma_f32 v167, -v163, v166, v165
	v_fmac_f32_e32 v166, v167, v164
	v_fma_f32 v163, -v163, v166, v165
	v_div_fmas_f32 v163, v163, v164, v166
	v_div_fixup_f32 v162, v163, v162, 1.0
	ds_write_b32 v147, v162
.LBB95_73:
	s_or_b64 exec, exec, s[4:5]
.LBB95_74:
	s_or_b64 exec, exec, s[2:3]
	s_waitcnt lgkmcnt(0)
	s_barrier
	ds_read_b32 v162, v147
	v_cmp_lt_u32_e32 vcc, 13, v145
	s_and_saveexec_b64 s[2:3], vcc
	s_cbranch_execz .LBB95_76
; %bb.75:
	ds_read2_b64 v[164:167], v149 offset0:7 offset1:8
	s_waitcnt vmcnt(42) lgkmcnt(1)
	v_mul_f32_e32 v168, v162, v131
	v_mov_b32_e32 v131, v168
	s_waitcnt vmcnt(40) lgkmcnt(0)
	v_pk_fma_f32 v[110:111], v[168:169], v[164:165], v[110:111] op_sel_hi:[0,1,1] neg_lo:[1,0,0] neg_hi:[1,0,0]
	s_waitcnt vmcnt(38)
	v_pk_fma_f32 v[128:129], v[168:169], v[166:167], v[128:129] op_sel_hi:[0,1,1] neg_lo:[1,0,0] neg_hi:[1,0,0]
	ds_read2_b64 v[164:167], v149 offset0:9 offset1:10
	s_waitcnt vmcnt(36) lgkmcnt(0)
	v_pk_fma_f32 v[108:109], v[168:169], v[164:165], v[108:109] op_sel_hi:[0,1,1] neg_lo:[1,0,0] neg_hi:[1,0,0]
	s_waitcnt vmcnt(34)
	v_pk_fma_f32 v[126:127], v[168:169], v[166:167], v[126:127] op_sel_hi:[0,1,1] neg_lo:[1,0,0] neg_hi:[1,0,0]
	ds_read2_b64 v[164:167], v149 offset0:11 offset1:12
	;; [unrolled: 5-line block ×7, first 2 shown]
	s_waitcnt vmcnt(12) lgkmcnt(0)
	v_pk_fma_f32 v[96:97], v[168:169], v[164:165], v[96:97] op_sel_hi:[0,1,1] neg_lo:[1,0,0] neg_hi:[1,0,0]
	ds_read_b64 v[164:165], v149 offset:184
	s_waitcnt vmcnt(10)
	v_pk_fma_f32 v[114:115], v[168:169], v[166:167], v[114:115] op_sel_hi:[0,1,1] neg_lo:[1,0,0] neg_hi:[1,0,0]
	s_waitcnt vmcnt(8) lgkmcnt(0)
	v_pk_fma_f32 v[134:135], v[168:169], v[164:165], v[134:135] op_sel_hi:[0,1,1] neg_lo:[1,0,0] neg_hi:[1,0,0]
.LBB95_76:
	s_or_b64 exec, exec, s[2:3]
	v_cmp_eq_u32_e32 vcc, 14, v145
	s_waitcnt lgkmcnt(0)
	s_barrier
	s_and_saveexec_b64 s[2:3], vcc
	s_cbranch_execz .LBB95_79
; %bb.77:
	s_waitcnt vmcnt(38)
	v_pk_mov_b32 v[164:165], v[110:111], v[128:129] op_sel:[1,0]
	ds_write_b32 v147, v110
	ds_write2_b32 v149, v164, v165 offset0:15 offset1:16
	s_waitcnt vmcnt(36)
	v_pk_mov_b32 v[164:165], v[128:129], v[108:109] op_sel:[1,0]
	ds_write2_b32 v149, v164, v165 offset0:17 offset1:18
	s_waitcnt vmcnt(34)
	v_pk_mov_b32 v[164:165], v[108:109], v[126:127] op_sel:[1,0]
	;; [unrolled: 3-line block ×15, first 2 shown]
	ds_write2_b32 v149, v164, v165 offset0:45 offset1:46
	ds_write_b32 v149, v135 offset:188
	ds_read_b32 v163, v147
	s_waitcnt lgkmcnt(0)
	v_cmp_neq_f32_e32 vcc, 0, v163
	s_and_b64 exec, exec, vcc
	s_cbranch_execz .LBB95_79
; %bb.78:
	v_div_scale_f32 v164, s[4:5], v163, v163, 1.0
	v_rcp_f32_e32 v165, v164
	v_div_scale_f32 v166, vcc, 1.0, v163, 1.0
	v_fma_f32 v167, -v164, v165, 1.0
	v_fmac_f32_e32 v165, v167, v165
	v_mul_f32_e32 v167, v166, v165
	v_fma_f32 v168, -v164, v167, v166
	v_fmac_f32_e32 v167, v168, v165
	v_fma_f32 v164, -v164, v167, v166
	v_div_fmas_f32 v164, v164, v165, v167
	v_div_fixup_f32 v163, v164, v163, 1.0
	ds_write_b32 v147, v163
.LBB95_79:
	s_or_b64 exec, exec, s[2:3]
	s_waitcnt lgkmcnt(0)
	s_barrier
	ds_read_b32 v163, v147
	v_cmp_lt_u32_e32 vcc, 14, v145
	s_and_saveexec_b64 s[2:3], vcc
	s_cbranch_execz .LBB95_81
; %bb.80:
	ds_read_b32 v176, v149 offset:60
	ds_read2_b64 v[164:167], v149 offset0:8 offset1:9
	ds_read2_b64 v[168:171], v149 offset0:10 offset1:11
	;; [unrolled: 1-line block ×3, first 2 shown]
	s_waitcnt vmcnt(41) lgkmcnt(4)
	v_mul_f32_e32 v110, v163, v110
	s_waitcnt vmcnt(40) lgkmcnt(3)
	v_fma_f32 v111, -v110, v176, v111
	s_waitcnt vmcnt(38) lgkmcnt(2)
	v_pk_fma_f32 v[128:129], v[110:111], v[164:165], v[128:129] op_sel_hi:[0,1,1] neg_lo:[1,0,0] neg_hi:[1,0,0]
	s_waitcnt vmcnt(36)
	v_pk_fma_f32 v[108:109], v[110:111], v[166:167], v[108:109] op_sel_hi:[0,1,1] neg_lo:[1,0,0] neg_hi:[1,0,0]
	s_waitcnt vmcnt(34) lgkmcnt(1)
	v_pk_fma_f32 v[126:127], v[110:111], v[168:169], v[126:127] op_sel_hi:[0,1,1] neg_lo:[1,0,0] neg_hi:[1,0,0]
	ds_read2_b64 v[164:167], v149 offset0:14 offset1:15
	s_waitcnt vmcnt(32)
	v_pk_fma_f32 v[106:107], v[110:111], v[170:171], v[106:107] op_sel_hi:[0,1,1] neg_lo:[1,0,0] neg_hi:[1,0,0]
	ds_read2_b64 v[168:171], v149 offset0:16 offset1:17
	s_waitcnt vmcnt(30) lgkmcnt(2)
	v_pk_fma_f32 v[124:125], v[110:111], v[172:173], v[124:125] op_sel_hi:[0,1,1] neg_lo:[1,0,0] neg_hi:[1,0,0]
	s_waitcnt vmcnt(28)
	v_pk_fma_f32 v[104:105], v[110:111], v[174:175], v[104:105] op_sel_hi:[0,1,1] neg_lo:[1,0,0] neg_hi:[1,0,0]
	s_waitcnt vmcnt(26) lgkmcnt(1)
	v_pk_fma_f32 v[122:123], v[110:111], v[164:165], v[122:123] op_sel_hi:[0,1,1] neg_lo:[1,0,0] neg_hi:[1,0,0]
	s_waitcnt vmcnt(24)
	v_pk_fma_f32 v[102:103], v[110:111], v[166:167], v[102:103] op_sel_hi:[0,1,1] neg_lo:[1,0,0] neg_hi:[1,0,0]
	ds_read2_b64 v[164:167], v149 offset0:18 offset1:19
	ds_read2_b64 v[172:175], v149 offset0:20 offset1:21
	s_waitcnt vmcnt(22) lgkmcnt(2)
	v_pk_fma_f32 v[120:121], v[110:111], v[168:169], v[120:121] op_sel_hi:[0,1,1] neg_lo:[1,0,0] neg_hi:[1,0,0]
	s_waitcnt vmcnt(20)
	v_pk_fma_f32 v[100:101], v[110:111], v[170:171], v[100:101] op_sel_hi:[0,1,1] neg_lo:[1,0,0] neg_hi:[1,0,0]
	ds_read2_b64 v[168:171], v149 offset0:22 offset1:23
	s_waitcnt vmcnt(18) lgkmcnt(2)
	v_pk_fma_f32 v[118:119], v[110:111], v[164:165], v[118:119] op_sel_hi:[0,1,1] neg_lo:[1,0,0] neg_hi:[1,0,0]
	s_waitcnt vmcnt(16)
	v_pk_fma_f32 v[98:99], v[110:111], v[166:167], v[98:99] op_sel_hi:[0,1,1] neg_lo:[1,0,0] neg_hi:[1,0,0]
	s_waitcnt vmcnt(14) lgkmcnt(1)
	v_pk_fma_f32 v[116:117], v[110:111], v[172:173], v[116:117] op_sel_hi:[0,1,1] neg_lo:[1,0,0] neg_hi:[1,0,0]
	s_waitcnt vmcnt(12)
	v_pk_fma_f32 v[96:97], v[110:111], v[174:175], v[96:97] op_sel_hi:[0,1,1] neg_lo:[1,0,0] neg_hi:[1,0,0]
	s_waitcnt vmcnt(10) lgkmcnt(0)
	v_pk_fma_f32 v[114:115], v[110:111], v[168:169], v[114:115] op_sel_hi:[0,1,1] neg_lo:[1,0,0] neg_hi:[1,0,0]
	s_waitcnt vmcnt(8)
	v_pk_fma_f32 v[134:135], v[110:111], v[170:171], v[134:135] op_sel_hi:[0,1,1] neg_lo:[1,0,0] neg_hi:[1,0,0]
.LBB95_81:
	s_or_b64 exec, exec, s[2:3]
	v_cmp_ne_u32_e32 vcc, 15, v145
	s_waitcnt lgkmcnt(0)
	s_barrier
	s_and_saveexec_b64 s[2:3], vcc
	s_xor_b64 s[2:3], exec, s[2:3]
	s_andn2_saveexec_b64 s[2:3], s[2:3]
	s_cbranch_execz .LBB95_85
; %bb.82:
	s_waitcnt vmcnt(39)
	v_mov_b32_e32 v164, v128
	s_waitcnt vmcnt(38)
	v_mov_b32_e32 v165, v129
	;; [unrolled: 2-line block ×4, first 2 shown]
	ds_write_b32 v147, v111
	ds_write2_b64 v149, v[164:165], v[166:167] offset0:8 offset1:9
	s_waitcnt vmcnt(35)
	v_mov_b32_e32 v164, v126
	s_waitcnt vmcnt(34)
	v_mov_b32_e32 v165, v127
	s_waitcnt vmcnt(33)
	v_mov_b32_e32 v166, v106
	s_waitcnt vmcnt(32)
	v_mov_b32_e32 v167, v107
	ds_write2_b64 v149, v[164:165], v[166:167] offset0:10 offset1:11
	s_waitcnt vmcnt(31)
	v_mov_b32_e32 v164, v124
	s_waitcnt vmcnt(30)
	v_mov_b32_e32 v165, v125
	s_waitcnt vmcnt(29)
	v_mov_b32_e32 v166, v104
	s_waitcnt vmcnt(28)
	v_mov_b32_e32 v167, v105
	;; [unrolled: 9-line block ×6, first 2 shown]
	ds_write2_b64 v149, v[164:165], v[166:167] offset0:20 offset1:21
	s_waitcnt vmcnt(11)
	v_mov_b32_e32 v164, v114
	s_waitcnt vmcnt(10)
	v_mov_b32_e32 v165, v115
	s_waitcnt vmcnt(8)
	ds_write2_b64 v149, v[164:165], v[134:135] offset0:22 offset1:23
	ds_read_b32 v164, v147
	s_waitcnt lgkmcnt(0)
	v_cmp_neq_f32_e32 vcc, 0, v164
	s_and_saveexec_b64 s[4:5], vcc
	s_cbranch_execz .LBB95_84
; %bb.83:
	v_div_scale_f32 v165, s[10:11], v164, v164, 1.0
	v_rcp_f32_e32 v166, v165
	v_div_scale_f32 v167, vcc, 1.0, v164, 1.0
	v_fma_f32 v168, -v165, v166, 1.0
	v_fmac_f32_e32 v166, v168, v166
	v_mul_f32_e32 v168, v167, v166
	v_fma_f32 v169, -v165, v168, v167
	v_fmac_f32_e32 v168, v169, v166
	v_fma_f32 v165, -v165, v168, v167
	v_div_fmas_f32 v165, v165, v166, v168
	v_div_fixup_f32 v164, v165, v164, 1.0
	ds_write_b32 v147, v164
.LBB95_84:
	s_or_b64 exec, exec, s[4:5]
.LBB95_85:
	s_or_b64 exec, exec, s[2:3]
	s_waitcnt lgkmcnt(0)
	s_barrier
	ds_read_b32 v164, v147
	v_cmp_lt_u32_e32 vcc, 15, v145
	s_and_saveexec_b64 s[2:3], vcc
	s_cbranch_execz .LBB95_87
; %bb.86:
	ds_read2_b64 v[166:169], v149 offset0:8 offset1:9
	ds_read2_b64 v[170:173], v149 offset0:10 offset1:11
	s_waitcnt vmcnt(40) lgkmcnt(2)
	v_mul_f32_e32 v178, v164, v111
	ds_read2_b64 v[174:177], v149 offset0:12 offset1:13
	v_mov_b32_e32 v111, v178
	s_waitcnt vmcnt(38) lgkmcnt(2)
	v_pk_fma_f32 v[128:129], v[178:179], v[166:167], v[128:129] op_sel_hi:[0,1,1] neg_lo:[1,0,0] neg_hi:[1,0,0]
	s_waitcnt vmcnt(36)
	v_pk_fma_f32 v[108:109], v[178:179], v[168:169], v[108:109] op_sel_hi:[0,1,1] neg_lo:[1,0,0] neg_hi:[1,0,0]
	s_waitcnt vmcnt(34) lgkmcnt(1)
	v_pk_fma_f32 v[126:127], v[178:179], v[170:171], v[126:127] op_sel_hi:[0,1,1] neg_lo:[1,0,0] neg_hi:[1,0,0]
	ds_read2_b64 v[166:169], v149 offset0:14 offset1:15
	s_waitcnt vmcnt(32)
	v_pk_fma_f32 v[106:107], v[178:179], v[172:173], v[106:107] op_sel_hi:[0,1,1] neg_lo:[1,0,0] neg_hi:[1,0,0]
	ds_read2_b64 v[170:173], v149 offset0:16 offset1:17
	s_waitcnt vmcnt(30) lgkmcnt(2)
	v_pk_fma_f32 v[124:125], v[178:179], v[174:175], v[124:125] op_sel_hi:[0,1,1] neg_lo:[1,0,0] neg_hi:[1,0,0]
	s_waitcnt vmcnt(28)
	v_pk_fma_f32 v[104:105], v[178:179], v[176:177], v[104:105] op_sel_hi:[0,1,1] neg_lo:[1,0,0] neg_hi:[1,0,0]
	s_waitcnt vmcnt(26) lgkmcnt(1)
	v_pk_fma_f32 v[122:123], v[178:179], v[166:167], v[122:123] op_sel_hi:[0,1,1] neg_lo:[1,0,0] neg_hi:[1,0,0]
	s_waitcnt vmcnt(24)
	v_pk_fma_f32 v[102:103], v[178:179], v[168:169], v[102:103] op_sel_hi:[0,1,1] neg_lo:[1,0,0] neg_hi:[1,0,0]
	ds_read2_b64 v[166:169], v149 offset0:18 offset1:19
	s_waitcnt vmcnt(22) lgkmcnt(1)
	v_pk_fma_f32 v[120:121], v[178:179], v[170:171], v[120:121] op_sel_hi:[0,1,1] neg_lo:[1,0,0] neg_hi:[1,0,0]
	ds_read2_b64 v[174:177], v149 offset0:20 offset1:21
	s_waitcnt vmcnt(20)
	v_pk_fma_f32 v[100:101], v[178:179], v[172:173], v[100:101] op_sel_hi:[0,1,1] neg_lo:[1,0,0] neg_hi:[1,0,0]
	ds_read2_b64 v[170:173], v149 offset0:22 offset1:23
	s_waitcnt vmcnt(18) lgkmcnt(2)
	v_pk_fma_f32 v[118:119], v[178:179], v[166:167], v[118:119] op_sel_hi:[0,1,1] neg_lo:[1,0,0] neg_hi:[1,0,0]
	s_waitcnt vmcnt(16)
	v_pk_fma_f32 v[98:99], v[178:179], v[168:169], v[98:99] op_sel_hi:[0,1,1] neg_lo:[1,0,0] neg_hi:[1,0,0]
	s_waitcnt vmcnt(14) lgkmcnt(1)
	v_pk_fma_f32 v[116:117], v[178:179], v[174:175], v[116:117] op_sel_hi:[0,1,1] neg_lo:[1,0,0] neg_hi:[1,0,0]
	s_waitcnt vmcnt(12)
	v_pk_fma_f32 v[96:97], v[178:179], v[176:177], v[96:97] op_sel_hi:[0,1,1] neg_lo:[1,0,0] neg_hi:[1,0,0]
	;; [unrolled: 4-line block ×3, first 2 shown]
.LBB95_87:
	s_or_b64 exec, exec, s[2:3]
	v_cmp_eq_u32_e32 vcc, 16, v145
	s_waitcnt lgkmcnt(0)
	s_barrier
	s_and_saveexec_b64 s[2:3], vcc
	s_cbranch_execz .LBB95_90
; %bb.88:
	s_waitcnt vmcnt(36)
	v_pk_mov_b32 v[166:167], v[128:129], v[108:109] op_sel:[1,0]
	ds_write_b32 v147, v128
	ds_write2_b32 v149, v166, v167 offset0:17 offset1:18
	s_waitcnt vmcnt(34)
	v_pk_mov_b32 v[166:167], v[108:109], v[126:127] op_sel:[1,0]
	ds_write2_b32 v149, v166, v167 offset0:19 offset1:20
	s_waitcnt vmcnt(32)
	v_pk_mov_b32 v[166:167], v[126:127], v[106:107] op_sel:[1,0]
	;; [unrolled: 3-line block ×14, first 2 shown]
	ds_write2_b32 v149, v166, v167 offset0:45 offset1:46
	ds_write_b32 v149, v135 offset:188
	ds_read_b32 v165, v147
	s_waitcnt lgkmcnt(0)
	v_cmp_neq_f32_e32 vcc, 0, v165
	s_and_b64 exec, exec, vcc
	s_cbranch_execz .LBB95_90
; %bb.89:
	v_div_scale_f32 v166, s[4:5], v165, v165, 1.0
	v_rcp_f32_e32 v167, v166
	v_div_scale_f32 v168, vcc, 1.0, v165, 1.0
	v_fma_f32 v169, -v166, v167, 1.0
	v_fmac_f32_e32 v167, v169, v167
	v_mul_f32_e32 v169, v168, v167
	v_fma_f32 v170, -v166, v169, v168
	v_fmac_f32_e32 v169, v170, v167
	v_fma_f32 v166, -v166, v169, v168
	v_div_fmas_f32 v166, v166, v167, v169
	v_div_fixup_f32 v165, v166, v165, 1.0
	ds_write_b32 v147, v165
.LBB95_90:
	s_or_b64 exec, exec, s[2:3]
	s_waitcnt lgkmcnt(0)
	s_barrier
	ds_read_b32 v165, v147
	v_cmp_lt_u32_e32 vcc, 16, v145
	s_and_saveexec_b64 s[2:3], vcc
	s_cbranch_execz .LBB95_92
; %bb.91:
	ds_read_b32 v178, v149 offset:68
	ds_read2_b64 v[166:169], v149 offset0:9 offset1:10
	ds_read2_b64 v[170:173], v149 offset0:11 offset1:12
	;; [unrolled: 1-line block ×3, first 2 shown]
	s_waitcnt vmcnt(39) lgkmcnt(4)
	v_mul_f32_e32 v128, v165, v128
	s_waitcnt vmcnt(38) lgkmcnt(3)
	v_fma_f32 v129, -v128, v178, v129
	s_waitcnt vmcnt(36) lgkmcnt(2)
	v_pk_fma_f32 v[108:109], v[128:129], v[166:167], v[108:109] op_sel_hi:[0,1,1] neg_lo:[1,0,0] neg_hi:[1,0,0]
	s_waitcnt vmcnt(34)
	v_pk_fma_f32 v[126:127], v[128:129], v[168:169], v[126:127] op_sel_hi:[0,1,1] neg_lo:[1,0,0] neg_hi:[1,0,0]
	s_waitcnt vmcnt(32) lgkmcnt(1)
	v_pk_fma_f32 v[106:107], v[128:129], v[170:171], v[106:107] op_sel_hi:[0,1,1] neg_lo:[1,0,0] neg_hi:[1,0,0]
	ds_read2_b64 v[166:169], v149 offset0:15 offset1:16
	s_waitcnt vmcnt(30)
	v_pk_fma_f32 v[124:125], v[128:129], v[172:173], v[124:125] op_sel_hi:[0,1,1] neg_lo:[1,0,0] neg_hi:[1,0,0]
	ds_read2_b64 v[170:173], v149 offset0:17 offset1:18
	s_waitcnt vmcnt(28) lgkmcnt(2)
	v_pk_fma_f32 v[104:105], v[128:129], v[174:175], v[104:105] op_sel_hi:[0,1,1] neg_lo:[1,0,0] neg_hi:[1,0,0]
	s_waitcnt vmcnt(26)
	v_pk_fma_f32 v[122:123], v[128:129], v[176:177], v[122:123] op_sel_hi:[0,1,1] neg_lo:[1,0,0] neg_hi:[1,0,0]
	s_waitcnt vmcnt(24) lgkmcnt(1)
	v_pk_fma_f32 v[102:103], v[128:129], v[166:167], v[102:103] op_sel_hi:[0,1,1] neg_lo:[1,0,0] neg_hi:[1,0,0]
	s_waitcnt vmcnt(22)
	v_pk_fma_f32 v[120:121], v[128:129], v[168:169], v[120:121] op_sel_hi:[0,1,1] neg_lo:[1,0,0] neg_hi:[1,0,0]
	ds_read2_b64 v[166:169], v149 offset0:19 offset1:20
	ds_read2_b64 v[174:177], v149 offset0:21 offset1:22
	s_waitcnt vmcnt(20) lgkmcnt(2)
	v_pk_fma_f32 v[100:101], v[128:129], v[170:171], v[100:101] op_sel_hi:[0,1,1] neg_lo:[1,0,0] neg_hi:[1,0,0]
	ds_read_b64 v[170:171], v149 offset:184
	s_waitcnt vmcnt(18)
	v_pk_fma_f32 v[118:119], v[128:129], v[172:173], v[118:119] op_sel_hi:[0,1,1] neg_lo:[1,0,0] neg_hi:[1,0,0]
	s_waitcnt vmcnt(16) lgkmcnt(2)
	v_pk_fma_f32 v[98:99], v[128:129], v[166:167], v[98:99] op_sel_hi:[0,1,1] neg_lo:[1,0,0] neg_hi:[1,0,0]
	s_waitcnt vmcnt(14)
	v_pk_fma_f32 v[116:117], v[128:129], v[168:169], v[116:117] op_sel_hi:[0,1,1] neg_lo:[1,0,0] neg_hi:[1,0,0]
	s_waitcnt vmcnt(12) lgkmcnt(1)
	v_pk_fma_f32 v[96:97], v[128:129], v[174:175], v[96:97] op_sel_hi:[0,1,1] neg_lo:[1,0,0] neg_hi:[1,0,0]
	;; [unrolled: 4-line block ×3, first 2 shown]
.LBB95_92:
	s_or_b64 exec, exec, s[2:3]
	v_cmp_ne_u32_e32 vcc, 17, v145
	s_waitcnt lgkmcnt(0)
	s_barrier
	s_and_saveexec_b64 s[2:3], vcc
	s_xor_b64 s[2:3], exec, s[2:3]
	s_andn2_saveexec_b64 s[2:3], s[2:3]
	s_cbranch_execz .LBB95_96
; %bb.93:
	s_waitcnt vmcnt(38)
	ds_write_b32 v147, v129
	s_waitcnt vmcnt(34)
	ds_write2_b64 v149, v[108:109], v[126:127] offset0:9 offset1:10
	s_waitcnt vmcnt(30)
	ds_write2_b64 v149, v[106:107], v[124:125] offset0:11 offset1:12
	;; [unrolled: 2-line block ×7, first 2 shown]
	s_waitcnt vmcnt(8)
	ds_write_b64 v149, v[134:135] offset:184
	ds_read_b32 v166, v147
	s_waitcnt lgkmcnt(0)
	v_cmp_neq_f32_e32 vcc, 0, v166
	s_and_saveexec_b64 s[4:5], vcc
	s_cbranch_execz .LBB95_95
; %bb.94:
	v_div_scale_f32 v167, s[10:11], v166, v166, 1.0
	v_rcp_f32_e32 v168, v167
	v_div_scale_f32 v169, vcc, 1.0, v166, 1.0
	v_fma_f32 v170, -v167, v168, 1.0
	v_fmac_f32_e32 v168, v170, v168
	v_mul_f32_e32 v170, v169, v168
	v_fma_f32 v171, -v167, v170, v169
	v_fmac_f32_e32 v170, v171, v168
	v_fma_f32 v167, -v167, v170, v169
	v_div_fmas_f32 v167, v167, v168, v170
	v_div_fixup_f32 v166, v167, v166, 1.0
	ds_write_b32 v147, v166
.LBB95_95:
	s_or_b64 exec, exec, s[4:5]
.LBB95_96:
	s_or_b64 exec, exec, s[2:3]
	s_waitcnt lgkmcnt(0)
	s_barrier
	ds_read_b32 v166, v147
	v_cmp_lt_u32_e32 vcc, 17, v145
	s_and_saveexec_b64 s[2:3], vcc
	s_cbranch_execz .LBB95_98
; %bb.97:
	ds_read2_b64 v[168:171], v149 offset0:9 offset1:10
	ds_read2_b64 v[172:175], v149 offset0:11 offset1:12
	s_waitcnt vmcnt(38) lgkmcnt(2)
	v_mul_f32_e32 v180, v166, v129
	ds_read2_b64 v[176:179], v149 offset0:13 offset1:14
	v_mov_b32_e32 v129, v180
	s_waitcnt vmcnt(36) lgkmcnt(2)
	v_pk_fma_f32 v[108:109], v[180:181], v[168:169], v[108:109] op_sel_hi:[0,1,1] neg_lo:[1,0,0] neg_hi:[1,0,0]
	s_waitcnt vmcnt(34)
	v_pk_fma_f32 v[126:127], v[180:181], v[170:171], v[126:127] op_sel_hi:[0,1,1] neg_lo:[1,0,0] neg_hi:[1,0,0]
	s_waitcnt vmcnt(32) lgkmcnt(1)
	v_pk_fma_f32 v[106:107], v[180:181], v[172:173], v[106:107] op_sel_hi:[0,1,1] neg_lo:[1,0,0] neg_hi:[1,0,0]
	ds_read2_b64 v[168:171], v149 offset0:15 offset1:16
	s_waitcnt vmcnt(30)
	v_pk_fma_f32 v[124:125], v[180:181], v[174:175], v[124:125] op_sel_hi:[0,1,1] neg_lo:[1,0,0] neg_hi:[1,0,0]
	ds_read2_b64 v[172:175], v149 offset0:17 offset1:18
	s_waitcnt vmcnt(28) lgkmcnt(2)
	v_pk_fma_f32 v[104:105], v[180:181], v[176:177], v[104:105] op_sel_hi:[0,1,1] neg_lo:[1,0,0] neg_hi:[1,0,0]
	s_waitcnt vmcnt(26)
	v_pk_fma_f32 v[122:123], v[180:181], v[178:179], v[122:123] op_sel_hi:[0,1,1] neg_lo:[1,0,0] neg_hi:[1,0,0]
	s_waitcnt vmcnt(24) lgkmcnt(1)
	v_pk_fma_f32 v[102:103], v[180:181], v[168:169], v[102:103] op_sel_hi:[0,1,1] neg_lo:[1,0,0] neg_hi:[1,0,0]
	s_waitcnt vmcnt(22)
	v_pk_fma_f32 v[120:121], v[180:181], v[170:171], v[120:121] op_sel_hi:[0,1,1] neg_lo:[1,0,0] neg_hi:[1,0,0]
	ds_read2_b64 v[168:171], v149 offset0:19 offset1:20
	s_waitcnt vmcnt(20) lgkmcnt(1)
	v_pk_fma_f32 v[100:101], v[180:181], v[172:173], v[100:101] op_sel_hi:[0,1,1] neg_lo:[1,0,0] neg_hi:[1,0,0]
	ds_read2_b64 v[176:179], v149 offset0:21 offset1:22
	ds_read_b64 v[172:173], v149 offset:184
	s_waitcnt vmcnt(18)
	v_pk_fma_f32 v[118:119], v[180:181], v[174:175], v[118:119] op_sel_hi:[0,1,1] neg_lo:[1,0,0] neg_hi:[1,0,0]
	s_waitcnt vmcnt(16) lgkmcnt(2)
	v_pk_fma_f32 v[98:99], v[180:181], v[168:169], v[98:99] op_sel_hi:[0,1,1] neg_lo:[1,0,0] neg_hi:[1,0,0]
	s_waitcnt vmcnt(14)
	v_pk_fma_f32 v[116:117], v[180:181], v[170:171], v[116:117] op_sel_hi:[0,1,1] neg_lo:[1,0,0] neg_hi:[1,0,0]
	s_waitcnt vmcnt(12) lgkmcnt(1)
	v_pk_fma_f32 v[96:97], v[180:181], v[176:177], v[96:97] op_sel_hi:[0,1,1] neg_lo:[1,0,0] neg_hi:[1,0,0]
	;; [unrolled: 4-line block ×3, first 2 shown]
.LBB95_98:
	s_or_b64 exec, exec, s[2:3]
	v_cmp_eq_u32_e32 vcc, 18, v145
	s_waitcnt lgkmcnt(0)
	s_barrier
	s_and_saveexec_b64 s[2:3], vcc
	s_cbranch_execz .LBB95_101
; %bb.99:
	s_waitcnt vmcnt(34)
	v_pk_mov_b32 v[168:169], v[108:109], v[126:127] op_sel:[1,0]
	ds_write_b32 v147, v108
	ds_write2_b32 v149, v168, v169 offset0:19 offset1:20
	s_waitcnt vmcnt(32)
	v_pk_mov_b32 v[168:169], v[126:127], v[106:107] op_sel:[1,0]
	ds_write2_b32 v149, v168, v169 offset0:21 offset1:22
	s_waitcnt vmcnt(30)
	v_pk_mov_b32 v[168:169], v[106:107], v[124:125] op_sel:[1,0]
	;; [unrolled: 3-line block ×13, first 2 shown]
	ds_write2_b32 v149, v168, v169 offset0:45 offset1:46
	ds_write_b32 v149, v135 offset:188
	ds_read_b32 v167, v147
	s_waitcnt lgkmcnt(0)
	v_cmp_neq_f32_e32 vcc, 0, v167
	s_and_b64 exec, exec, vcc
	s_cbranch_execz .LBB95_101
; %bb.100:
	v_div_scale_f32 v168, s[4:5], v167, v167, 1.0
	v_rcp_f32_e32 v169, v168
	v_div_scale_f32 v170, vcc, 1.0, v167, 1.0
	v_fma_f32 v171, -v168, v169, 1.0
	v_fmac_f32_e32 v169, v171, v169
	v_mul_f32_e32 v171, v170, v169
	v_fma_f32 v172, -v168, v171, v170
	v_fmac_f32_e32 v171, v172, v169
	v_fma_f32 v168, -v168, v171, v170
	v_div_fmas_f32 v168, v168, v169, v171
	v_div_fixup_f32 v167, v168, v167, 1.0
	ds_write_b32 v147, v167
.LBB95_101:
	s_or_b64 exec, exec, s[2:3]
	s_waitcnt lgkmcnt(0)
	s_barrier
	ds_read_b32 v167, v147
	v_cmp_lt_u32_e32 vcc, 18, v145
	s_and_saveexec_b64 s[2:3], vcc
	s_cbranch_execz .LBB95_103
; %bb.102:
	ds_read_b32 v180, v149 offset:76
	ds_read2_b64 v[168:171], v149 offset0:10 offset1:11
	s_waitcnt vmcnt(37) lgkmcnt(2)
	v_mul_f32_e32 v108, v167, v108
	ds_read2_b64 v[172:175], v149 offset0:12 offset1:13
	ds_read2_b64 v[176:179], v149 offset0:14 offset1:15
	s_waitcnt vmcnt(36) lgkmcnt(3)
	v_fma_f32 v109, -v108, v180, v109
	s_waitcnt vmcnt(34) lgkmcnt(2)
	v_pk_fma_f32 v[126:127], v[108:109], v[168:169], v[126:127] op_sel_hi:[0,1,1] neg_lo:[1,0,0] neg_hi:[1,0,0]
	s_waitcnt vmcnt(32)
	v_pk_fma_f32 v[106:107], v[108:109], v[170:171], v[106:107] op_sel_hi:[0,1,1] neg_lo:[1,0,0] neg_hi:[1,0,0]
	ds_read2_b64 v[168:171], v149 offset0:16 offset1:17
	s_waitcnt vmcnt(30) lgkmcnt(2)
	v_pk_fma_f32 v[124:125], v[108:109], v[172:173], v[124:125] op_sel_hi:[0,1,1] neg_lo:[1,0,0] neg_hi:[1,0,0]
	s_waitcnt vmcnt(28)
	v_pk_fma_f32 v[104:105], v[108:109], v[174:175], v[104:105] op_sel_hi:[0,1,1] neg_lo:[1,0,0] neg_hi:[1,0,0]
	s_waitcnt vmcnt(26) lgkmcnt(1)
	v_pk_fma_f32 v[122:123], v[108:109], v[176:177], v[122:123] op_sel_hi:[0,1,1] neg_lo:[1,0,0] neg_hi:[1,0,0]
	s_waitcnt vmcnt(24)
	v_pk_fma_f32 v[102:103], v[108:109], v[178:179], v[102:103] op_sel_hi:[0,1,1] neg_lo:[1,0,0] neg_hi:[1,0,0]
	ds_read2_b64 v[172:175], v149 offset0:18 offset1:19
	s_waitcnt vmcnt(22) lgkmcnt(1)
	v_pk_fma_f32 v[120:121], v[108:109], v[168:169], v[120:121] op_sel_hi:[0,1,1] neg_lo:[1,0,0] neg_hi:[1,0,0]
	ds_read2_b64 v[176:179], v149 offset0:20 offset1:21
	s_waitcnt vmcnt(20)
	v_pk_fma_f32 v[100:101], v[108:109], v[170:171], v[100:101] op_sel_hi:[0,1,1] neg_lo:[1,0,0] neg_hi:[1,0,0]
	ds_read2_b64 v[168:171], v149 offset0:22 offset1:23
	s_waitcnt vmcnt(18) lgkmcnt(2)
	v_pk_fma_f32 v[118:119], v[108:109], v[172:173], v[118:119] op_sel_hi:[0,1,1] neg_lo:[1,0,0] neg_hi:[1,0,0]
	s_waitcnt vmcnt(16)
	v_pk_fma_f32 v[98:99], v[108:109], v[174:175], v[98:99] op_sel_hi:[0,1,1] neg_lo:[1,0,0] neg_hi:[1,0,0]
	s_waitcnt vmcnt(14) lgkmcnt(1)
	v_pk_fma_f32 v[116:117], v[108:109], v[176:177], v[116:117] op_sel_hi:[0,1,1] neg_lo:[1,0,0] neg_hi:[1,0,0]
	s_waitcnt vmcnt(12)
	v_pk_fma_f32 v[96:97], v[108:109], v[178:179], v[96:97] op_sel_hi:[0,1,1] neg_lo:[1,0,0] neg_hi:[1,0,0]
	;; [unrolled: 4-line block ×3, first 2 shown]
.LBB95_103:
	s_or_b64 exec, exec, s[2:3]
	v_cmp_ne_u32_e32 vcc, 19, v145
	s_waitcnt lgkmcnt(0)
	s_barrier
	s_and_saveexec_b64 s[2:3], vcc
	s_xor_b64 s[2:3], exec, s[2:3]
	s_andn2_saveexec_b64 s[2:3], s[2:3]
	s_cbranch_execz .LBB95_107
; %bb.104:
	s_waitcnt vmcnt(35)
	v_mov_b32_e32 v168, v126
	s_waitcnt vmcnt(34)
	v_mov_b32_e32 v169, v127
	s_waitcnt vmcnt(33)
	v_mov_b32_e32 v170, v106
	s_waitcnt vmcnt(32)
	v_mov_b32_e32 v171, v107
	ds_write_b32 v147, v109
	ds_write2_b64 v149, v[168:169], v[170:171] offset0:10 offset1:11
	s_waitcnt vmcnt(31)
	v_mov_b32_e32 v168, v124
	s_waitcnt vmcnt(30)
	v_mov_b32_e32 v169, v125
	s_waitcnt vmcnt(29)
	v_mov_b32_e32 v170, v104
	s_waitcnt vmcnt(28)
	v_mov_b32_e32 v171, v105
	ds_write2_b64 v149, v[168:169], v[170:171] offset0:12 offset1:13
	s_waitcnt vmcnt(27)
	v_mov_b32_e32 v168, v122
	s_waitcnt vmcnt(26)
	v_mov_b32_e32 v169, v123
	s_waitcnt vmcnt(25)
	v_mov_b32_e32 v170, v102
	s_waitcnt vmcnt(24)
	v_mov_b32_e32 v171, v103
	;; [unrolled: 9-line block ×5, first 2 shown]
	ds_write2_b64 v149, v[168:169], v[170:171] offset0:20 offset1:21
	s_waitcnt vmcnt(11)
	v_mov_b32_e32 v168, v114
	s_waitcnt vmcnt(10)
	v_mov_b32_e32 v169, v115
	s_waitcnt vmcnt(8)
	ds_write2_b64 v149, v[168:169], v[134:135] offset0:22 offset1:23
	ds_read_b32 v168, v147
	s_waitcnt lgkmcnt(0)
	v_cmp_neq_f32_e32 vcc, 0, v168
	s_and_saveexec_b64 s[4:5], vcc
	s_cbranch_execz .LBB95_106
; %bb.105:
	v_div_scale_f32 v169, s[10:11], v168, v168, 1.0
	v_rcp_f32_e32 v170, v169
	v_div_scale_f32 v171, vcc, 1.0, v168, 1.0
	v_fma_f32 v172, -v169, v170, 1.0
	v_fmac_f32_e32 v170, v172, v170
	v_mul_f32_e32 v172, v171, v170
	v_fma_f32 v173, -v169, v172, v171
	v_fmac_f32_e32 v172, v173, v170
	v_fma_f32 v169, -v169, v172, v171
	v_div_fmas_f32 v169, v169, v170, v172
	v_div_fixup_f32 v168, v169, v168, 1.0
	ds_write_b32 v147, v168
.LBB95_106:
	s_or_b64 exec, exec, s[4:5]
.LBB95_107:
	s_or_b64 exec, exec, s[2:3]
	s_waitcnt lgkmcnt(0)
	s_barrier
	ds_read_b32 v168, v147
	v_cmp_lt_u32_e32 vcc, 19, v145
	s_and_saveexec_b64 s[2:3], vcc
	s_cbranch_execz .LBB95_109
; %bb.108:
	ds_read2_b64 v[170:173], v149 offset0:10 offset1:11
	ds_read2_b64 v[174:177], v149 offset0:12 offset1:13
	s_waitcnt vmcnt(36) lgkmcnt(2)
	v_mul_f32_e32 v182, v168, v109
	ds_read2_b64 v[178:181], v149 offset0:14 offset1:15
	v_mov_b32_e32 v109, v182
	s_waitcnt vmcnt(34) lgkmcnt(2)
	v_pk_fma_f32 v[126:127], v[182:183], v[170:171], v[126:127] op_sel_hi:[0,1,1] neg_lo:[1,0,0] neg_hi:[1,0,0]
	s_waitcnt vmcnt(32)
	v_pk_fma_f32 v[106:107], v[182:183], v[172:173], v[106:107] op_sel_hi:[0,1,1] neg_lo:[1,0,0] neg_hi:[1,0,0]
	ds_read2_b64 v[170:173], v149 offset0:16 offset1:17
	s_waitcnt vmcnt(30) lgkmcnt(2)
	v_pk_fma_f32 v[124:125], v[182:183], v[174:175], v[124:125] op_sel_hi:[0,1,1] neg_lo:[1,0,0] neg_hi:[1,0,0]
	s_waitcnt vmcnt(28)
	v_pk_fma_f32 v[104:105], v[182:183], v[176:177], v[104:105] op_sel_hi:[0,1,1] neg_lo:[1,0,0] neg_hi:[1,0,0]
	s_waitcnt vmcnt(26) lgkmcnt(1)
	v_pk_fma_f32 v[122:123], v[182:183], v[178:179], v[122:123] op_sel_hi:[0,1,1] neg_lo:[1,0,0] neg_hi:[1,0,0]
	s_waitcnt vmcnt(24)
	v_pk_fma_f32 v[102:103], v[182:183], v[180:181], v[102:103] op_sel_hi:[0,1,1] neg_lo:[1,0,0] neg_hi:[1,0,0]
	ds_read2_b64 v[174:177], v149 offset0:18 offset1:19
	ds_read2_b64 v[178:181], v149 offset0:20 offset1:21
	s_waitcnt vmcnt(22) lgkmcnt(2)
	v_pk_fma_f32 v[120:121], v[182:183], v[170:171], v[120:121] op_sel_hi:[0,1,1] neg_lo:[1,0,0] neg_hi:[1,0,0]
	s_waitcnt vmcnt(20)
	v_pk_fma_f32 v[100:101], v[182:183], v[172:173], v[100:101] op_sel_hi:[0,1,1] neg_lo:[1,0,0] neg_hi:[1,0,0]
	ds_read2_b64 v[170:173], v149 offset0:22 offset1:23
	s_waitcnt vmcnt(18) lgkmcnt(2)
	v_pk_fma_f32 v[118:119], v[182:183], v[174:175], v[118:119] op_sel_hi:[0,1,1] neg_lo:[1,0,0] neg_hi:[1,0,0]
	s_waitcnt vmcnt(16)
	v_pk_fma_f32 v[98:99], v[182:183], v[176:177], v[98:99] op_sel_hi:[0,1,1] neg_lo:[1,0,0] neg_hi:[1,0,0]
	s_waitcnt vmcnt(14) lgkmcnt(1)
	v_pk_fma_f32 v[116:117], v[182:183], v[178:179], v[116:117] op_sel_hi:[0,1,1] neg_lo:[1,0,0] neg_hi:[1,0,0]
	s_waitcnt vmcnt(12)
	v_pk_fma_f32 v[96:97], v[182:183], v[180:181], v[96:97] op_sel_hi:[0,1,1] neg_lo:[1,0,0] neg_hi:[1,0,0]
	;; [unrolled: 4-line block ×3, first 2 shown]
.LBB95_109:
	s_or_b64 exec, exec, s[2:3]
	v_cmp_eq_u32_e32 vcc, 20, v145
	s_waitcnt lgkmcnt(0)
	s_barrier
	s_and_saveexec_b64 s[2:3], vcc
	s_cbranch_execz .LBB95_112
; %bb.110:
	s_waitcnt vmcnt(32)
	v_pk_mov_b32 v[170:171], v[126:127], v[106:107] op_sel:[1,0]
	ds_write_b32 v147, v126
	ds_write2_b32 v149, v170, v171 offset0:21 offset1:22
	s_waitcnt vmcnt(30)
	v_pk_mov_b32 v[170:171], v[106:107], v[124:125] op_sel:[1,0]
	ds_write2_b32 v149, v170, v171 offset0:23 offset1:24
	s_waitcnt vmcnt(28)
	v_pk_mov_b32 v[170:171], v[124:125], v[104:105] op_sel:[1,0]
	;; [unrolled: 3-line block ×12, first 2 shown]
	ds_write2_b32 v149, v170, v171 offset0:45 offset1:46
	ds_write_b32 v149, v135 offset:188
	ds_read_b32 v169, v147
	s_waitcnt lgkmcnt(0)
	v_cmp_neq_f32_e32 vcc, 0, v169
	s_and_b64 exec, exec, vcc
	s_cbranch_execz .LBB95_112
; %bb.111:
	v_div_scale_f32 v170, s[4:5], v169, v169, 1.0
	v_rcp_f32_e32 v171, v170
	v_div_scale_f32 v172, vcc, 1.0, v169, 1.0
	v_fma_f32 v173, -v170, v171, 1.0
	v_fmac_f32_e32 v171, v173, v171
	v_mul_f32_e32 v173, v172, v171
	v_fma_f32 v174, -v170, v173, v172
	v_fmac_f32_e32 v173, v174, v171
	v_fma_f32 v170, -v170, v173, v172
	v_div_fmas_f32 v170, v170, v171, v173
	v_div_fixup_f32 v169, v170, v169, 1.0
	ds_write_b32 v147, v169
.LBB95_112:
	s_or_b64 exec, exec, s[2:3]
	s_waitcnt lgkmcnt(0)
	s_barrier
	ds_read_b32 v169, v147
	v_cmp_lt_u32_e32 vcc, 20, v145
	s_and_saveexec_b64 s[2:3], vcc
	s_cbranch_execz .LBB95_114
; %bb.113:
	ds_read_b32 v182, v149 offset:84
	ds_read2_b64 v[170:173], v149 offset0:11 offset1:12
	s_waitcnt vmcnt(35) lgkmcnt(2)
	v_mul_f32_e32 v126, v169, v126
	ds_read2_b64 v[174:177], v149 offset0:13 offset1:14
	ds_read2_b64 v[178:181], v149 offset0:15 offset1:16
	s_waitcnt vmcnt(34) lgkmcnt(3)
	v_fma_f32 v127, -v126, v182, v127
	s_waitcnt vmcnt(32) lgkmcnt(2)
	v_pk_fma_f32 v[106:107], v[126:127], v[170:171], v[106:107] op_sel_hi:[0,1,1] neg_lo:[1,0,0] neg_hi:[1,0,0]
	s_waitcnt vmcnt(30)
	v_pk_fma_f32 v[124:125], v[126:127], v[172:173], v[124:125] op_sel_hi:[0,1,1] neg_lo:[1,0,0] neg_hi:[1,0,0]
	ds_read2_b64 v[170:173], v149 offset0:17 offset1:18
	s_waitcnt vmcnt(28) lgkmcnt(2)
	v_pk_fma_f32 v[104:105], v[126:127], v[174:175], v[104:105] op_sel_hi:[0,1,1] neg_lo:[1,0,0] neg_hi:[1,0,0]
	s_waitcnt vmcnt(26)
	v_pk_fma_f32 v[122:123], v[126:127], v[176:177], v[122:123] op_sel_hi:[0,1,1] neg_lo:[1,0,0] neg_hi:[1,0,0]
	s_waitcnt vmcnt(24) lgkmcnt(1)
	v_pk_fma_f32 v[102:103], v[126:127], v[178:179], v[102:103] op_sel_hi:[0,1,1] neg_lo:[1,0,0] neg_hi:[1,0,0]
	s_waitcnt vmcnt(22)
	v_pk_fma_f32 v[120:121], v[126:127], v[180:181], v[120:121] op_sel_hi:[0,1,1] neg_lo:[1,0,0] neg_hi:[1,0,0]
	ds_read2_b64 v[174:177], v149 offset0:19 offset1:20
	s_waitcnt vmcnt(20) lgkmcnt(1)
	v_pk_fma_f32 v[100:101], v[126:127], v[170:171], v[100:101] op_sel_hi:[0,1,1] neg_lo:[1,0,0] neg_hi:[1,0,0]
	ds_read2_b64 v[178:181], v149 offset0:21 offset1:22
	ds_read_b64 v[170:171], v149 offset:184
	s_waitcnt vmcnt(18)
	v_pk_fma_f32 v[118:119], v[126:127], v[172:173], v[118:119] op_sel_hi:[0,1,1] neg_lo:[1,0,0] neg_hi:[1,0,0]
	s_waitcnt vmcnt(16) lgkmcnt(2)
	v_pk_fma_f32 v[98:99], v[126:127], v[174:175], v[98:99] op_sel_hi:[0,1,1] neg_lo:[1,0,0] neg_hi:[1,0,0]
	s_waitcnt vmcnt(14)
	v_pk_fma_f32 v[116:117], v[126:127], v[176:177], v[116:117] op_sel_hi:[0,1,1] neg_lo:[1,0,0] neg_hi:[1,0,0]
	s_waitcnt vmcnt(12) lgkmcnt(1)
	v_pk_fma_f32 v[96:97], v[126:127], v[178:179], v[96:97] op_sel_hi:[0,1,1] neg_lo:[1,0,0] neg_hi:[1,0,0]
	;; [unrolled: 4-line block ×3, first 2 shown]
.LBB95_114:
	s_or_b64 exec, exec, s[2:3]
	v_cmp_ne_u32_e32 vcc, 21, v145
	s_waitcnt lgkmcnt(0)
	s_barrier
	s_and_saveexec_b64 s[2:3], vcc
	s_xor_b64 s[2:3], exec, s[2:3]
	s_andn2_saveexec_b64 s[2:3], s[2:3]
	s_cbranch_execz .LBB95_118
; %bb.115:
	s_waitcnt vmcnt(34)
	ds_write_b32 v147, v127
	s_waitcnt vmcnt(30)
	ds_write2_b64 v149, v[106:107], v[124:125] offset0:11 offset1:12
	s_waitcnt vmcnt(26)
	ds_write2_b64 v149, v[104:105], v[122:123] offset0:13 offset1:14
	;; [unrolled: 2-line block ×6, first 2 shown]
	s_waitcnt vmcnt(8)
	ds_write_b64 v149, v[134:135] offset:184
	ds_read_b32 v170, v147
	s_waitcnt lgkmcnt(0)
	v_cmp_neq_f32_e32 vcc, 0, v170
	s_and_saveexec_b64 s[4:5], vcc
	s_cbranch_execz .LBB95_117
; %bb.116:
	v_div_scale_f32 v171, s[10:11], v170, v170, 1.0
	v_rcp_f32_e32 v172, v171
	v_div_scale_f32 v173, vcc, 1.0, v170, 1.0
	v_fma_f32 v174, -v171, v172, 1.0
	v_fmac_f32_e32 v172, v174, v172
	v_mul_f32_e32 v174, v173, v172
	v_fma_f32 v175, -v171, v174, v173
	v_fmac_f32_e32 v174, v175, v172
	v_fma_f32 v171, -v171, v174, v173
	v_div_fmas_f32 v171, v171, v172, v174
	v_div_fixup_f32 v170, v171, v170, 1.0
	ds_write_b32 v147, v170
.LBB95_117:
	s_or_b64 exec, exec, s[4:5]
.LBB95_118:
	s_or_b64 exec, exec, s[2:3]
	s_waitcnt lgkmcnt(0)
	s_barrier
	ds_read_b32 v170, v147
	v_cmp_lt_u32_e32 vcc, 21, v145
	s_and_saveexec_b64 s[2:3], vcc
	s_cbranch_execz .LBB95_120
; %bb.119:
	ds_read2_b64 v[172:175], v149 offset0:11 offset1:12
	ds_read2_b64 v[176:179], v149 offset0:13 offset1:14
	s_waitcnt vmcnt(34) lgkmcnt(2)
	v_mul_f32_e32 v184, v170, v127
	ds_read2_b64 v[180:183], v149 offset0:15 offset1:16
	v_mov_b32_e32 v127, v184
	s_waitcnt vmcnt(32) lgkmcnt(2)
	v_pk_fma_f32 v[106:107], v[184:185], v[172:173], v[106:107] op_sel_hi:[0,1,1] neg_lo:[1,0,0] neg_hi:[1,0,0]
	s_waitcnt vmcnt(30)
	v_pk_fma_f32 v[124:125], v[184:185], v[174:175], v[124:125] op_sel_hi:[0,1,1] neg_lo:[1,0,0] neg_hi:[1,0,0]
	ds_read2_b64 v[172:175], v149 offset0:17 offset1:18
	s_waitcnt vmcnt(28) lgkmcnt(2)
	v_pk_fma_f32 v[104:105], v[184:185], v[176:177], v[104:105] op_sel_hi:[0,1,1] neg_lo:[1,0,0] neg_hi:[1,0,0]
	s_waitcnt vmcnt(26)
	v_pk_fma_f32 v[122:123], v[184:185], v[178:179], v[122:123] op_sel_hi:[0,1,1] neg_lo:[1,0,0] neg_hi:[1,0,0]
	s_waitcnt vmcnt(24) lgkmcnt(1)
	v_pk_fma_f32 v[102:103], v[184:185], v[180:181], v[102:103] op_sel_hi:[0,1,1] neg_lo:[1,0,0] neg_hi:[1,0,0]
	s_waitcnt vmcnt(22)
	v_pk_fma_f32 v[120:121], v[184:185], v[182:183], v[120:121] op_sel_hi:[0,1,1] neg_lo:[1,0,0] neg_hi:[1,0,0]
	ds_read2_b64 v[176:179], v149 offset0:19 offset1:20
	ds_read2_b64 v[180:183], v149 offset0:21 offset1:22
	s_waitcnt vmcnt(20) lgkmcnt(2)
	v_pk_fma_f32 v[100:101], v[184:185], v[172:173], v[100:101] op_sel_hi:[0,1,1] neg_lo:[1,0,0] neg_hi:[1,0,0]
	ds_read_b64 v[172:173], v149 offset:184
	s_waitcnt vmcnt(18)
	v_pk_fma_f32 v[118:119], v[184:185], v[174:175], v[118:119] op_sel_hi:[0,1,1] neg_lo:[1,0,0] neg_hi:[1,0,0]
	s_waitcnt vmcnt(16) lgkmcnt(2)
	v_pk_fma_f32 v[98:99], v[184:185], v[176:177], v[98:99] op_sel_hi:[0,1,1] neg_lo:[1,0,0] neg_hi:[1,0,0]
	s_waitcnt vmcnt(14)
	v_pk_fma_f32 v[116:117], v[184:185], v[178:179], v[116:117] op_sel_hi:[0,1,1] neg_lo:[1,0,0] neg_hi:[1,0,0]
	s_waitcnt vmcnt(12) lgkmcnt(1)
	v_pk_fma_f32 v[96:97], v[184:185], v[180:181], v[96:97] op_sel_hi:[0,1,1] neg_lo:[1,0,0] neg_hi:[1,0,0]
	;; [unrolled: 4-line block ×3, first 2 shown]
.LBB95_120:
	s_or_b64 exec, exec, s[2:3]
	v_cmp_eq_u32_e32 vcc, 22, v145
	s_waitcnt lgkmcnt(0)
	s_barrier
	s_and_saveexec_b64 s[2:3], vcc
	s_cbranch_execz .LBB95_123
; %bb.121:
	s_waitcnt vmcnt(30)
	v_pk_mov_b32 v[172:173], v[106:107], v[124:125] op_sel:[1,0]
	ds_write_b32 v147, v106
	ds_write2_b32 v149, v172, v173 offset0:23 offset1:24
	s_waitcnt vmcnt(28)
	v_pk_mov_b32 v[172:173], v[124:125], v[104:105] op_sel:[1,0]
	ds_write2_b32 v149, v172, v173 offset0:25 offset1:26
	s_waitcnt vmcnt(26)
	v_pk_mov_b32 v[172:173], v[104:105], v[122:123] op_sel:[1,0]
	;; [unrolled: 3-line block ×11, first 2 shown]
	ds_write2_b32 v149, v172, v173 offset0:45 offset1:46
	ds_write_b32 v149, v135 offset:188
	ds_read_b32 v171, v147
	s_waitcnt lgkmcnt(0)
	v_cmp_neq_f32_e32 vcc, 0, v171
	s_and_b64 exec, exec, vcc
	s_cbranch_execz .LBB95_123
; %bb.122:
	v_div_scale_f32 v172, s[4:5], v171, v171, 1.0
	v_rcp_f32_e32 v173, v172
	v_div_scale_f32 v174, vcc, 1.0, v171, 1.0
	v_fma_f32 v175, -v172, v173, 1.0
	v_fmac_f32_e32 v173, v175, v173
	v_mul_f32_e32 v175, v174, v173
	v_fma_f32 v176, -v172, v175, v174
	v_fmac_f32_e32 v175, v176, v173
	v_fma_f32 v172, -v172, v175, v174
	v_div_fmas_f32 v172, v172, v173, v175
	v_div_fixup_f32 v171, v172, v171, 1.0
	ds_write_b32 v147, v171
.LBB95_123:
	s_or_b64 exec, exec, s[2:3]
	s_waitcnt lgkmcnt(0)
	s_barrier
	ds_read_b32 v171, v147
	v_cmp_lt_u32_e32 vcc, 22, v145
	s_and_saveexec_b64 s[2:3], vcc
	s_cbranch_execz .LBB95_125
; %bb.124:
	ds_read_b32 v184, v149 offset:92
	ds_read2_b64 v[172:175], v149 offset0:12 offset1:13
	ds_read2_b64 v[176:179], v149 offset0:14 offset1:15
	;; [unrolled: 1-line block ×3, first 2 shown]
	s_waitcnt vmcnt(33) lgkmcnt(4)
	v_mul_f32_e32 v106, v171, v106
	s_waitcnt vmcnt(32) lgkmcnt(3)
	v_fma_f32 v107, -v106, v184, v107
	s_waitcnt vmcnt(30) lgkmcnt(2)
	v_pk_fma_f32 v[124:125], v[106:107], v[172:173], v[124:125] op_sel_hi:[0,1,1] neg_lo:[1,0,0] neg_hi:[1,0,0]
	s_waitcnt vmcnt(28)
	v_pk_fma_f32 v[104:105], v[106:107], v[174:175], v[104:105] op_sel_hi:[0,1,1] neg_lo:[1,0,0] neg_hi:[1,0,0]
	s_waitcnt vmcnt(26) lgkmcnt(1)
	v_pk_fma_f32 v[122:123], v[106:107], v[176:177], v[122:123] op_sel_hi:[0,1,1] neg_lo:[1,0,0] neg_hi:[1,0,0]
	s_waitcnt vmcnt(24)
	v_pk_fma_f32 v[102:103], v[106:107], v[178:179], v[102:103] op_sel_hi:[0,1,1] neg_lo:[1,0,0] neg_hi:[1,0,0]
	ds_read2_b64 v[172:175], v149 offset0:18 offset1:19
	ds_read2_b64 v[176:179], v149 offset0:20 offset1:21
	s_waitcnt vmcnt(22) lgkmcnt(2)
	v_pk_fma_f32 v[120:121], v[106:107], v[180:181], v[120:121] op_sel_hi:[0,1,1] neg_lo:[1,0,0] neg_hi:[1,0,0]
	s_waitcnt vmcnt(20)
	v_pk_fma_f32 v[100:101], v[106:107], v[182:183], v[100:101] op_sel_hi:[0,1,1] neg_lo:[1,0,0] neg_hi:[1,0,0]
	ds_read2_b64 v[180:183], v149 offset0:22 offset1:23
	s_waitcnt vmcnt(18) lgkmcnt(2)
	v_pk_fma_f32 v[118:119], v[106:107], v[172:173], v[118:119] op_sel_hi:[0,1,1] neg_lo:[1,0,0] neg_hi:[1,0,0]
	s_waitcnt vmcnt(16)
	v_pk_fma_f32 v[98:99], v[106:107], v[174:175], v[98:99] op_sel_hi:[0,1,1] neg_lo:[1,0,0] neg_hi:[1,0,0]
	s_waitcnt vmcnt(14) lgkmcnt(1)
	v_pk_fma_f32 v[116:117], v[106:107], v[176:177], v[116:117] op_sel_hi:[0,1,1] neg_lo:[1,0,0] neg_hi:[1,0,0]
	s_waitcnt vmcnt(12)
	v_pk_fma_f32 v[96:97], v[106:107], v[178:179], v[96:97] op_sel_hi:[0,1,1] neg_lo:[1,0,0] neg_hi:[1,0,0]
	;; [unrolled: 4-line block ×3, first 2 shown]
.LBB95_125:
	s_or_b64 exec, exec, s[2:3]
	v_cmp_ne_u32_e32 vcc, 23, v145
	s_waitcnt lgkmcnt(0)
	s_barrier
	s_and_saveexec_b64 s[2:3], vcc
	s_xor_b64 s[2:3], exec, s[2:3]
	s_andn2_saveexec_b64 s[2:3], s[2:3]
	s_cbranch_execz .LBB95_129
; %bb.126:
	s_waitcnt vmcnt(31)
	v_mov_b32_e32 v172, v124
	s_waitcnt vmcnt(30)
	v_mov_b32_e32 v173, v125
	;; [unrolled: 2-line block ×4, first 2 shown]
	ds_write_b32 v147, v107
	ds_write2_b64 v149, v[172:173], v[174:175] offset0:12 offset1:13
	s_waitcnt vmcnt(27)
	v_mov_b32_e32 v172, v122
	s_waitcnt vmcnt(26)
	v_mov_b32_e32 v173, v123
	s_waitcnt vmcnt(25)
	v_mov_b32_e32 v174, v102
	s_waitcnt vmcnt(24)
	v_mov_b32_e32 v175, v103
	ds_write2_b64 v149, v[172:173], v[174:175] offset0:14 offset1:15
	s_waitcnt vmcnt(23)
	v_mov_b32_e32 v172, v120
	s_waitcnt vmcnt(22)
	v_mov_b32_e32 v173, v121
	s_waitcnt vmcnt(21)
	v_mov_b32_e32 v174, v100
	s_waitcnt vmcnt(20)
	v_mov_b32_e32 v175, v101
	;; [unrolled: 9-line block ×4, first 2 shown]
	ds_write2_b64 v149, v[172:173], v[174:175] offset0:20 offset1:21
	s_waitcnt vmcnt(11)
	v_mov_b32_e32 v172, v114
	s_waitcnt vmcnt(10)
	v_mov_b32_e32 v173, v115
	s_waitcnt vmcnt(8)
	ds_write2_b64 v149, v[172:173], v[134:135] offset0:22 offset1:23
	ds_read_b32 v172, v147
	s_waitcnt lgkmcnt(0)
	v_cmp_neq_f32_e32 vcc, 0, v172
	s_and_saveexec_b64 s[4:5], vcc
	s_cbranch_execz .LBB95_128
; %bb.127:
	v_div_scale_f32 v173, s[10:11], v172, v172, 1.0
	v_rcp_f32_e32 v174, v173
	v_div_scale_f32 v175, vcc, 1.0, v172, 1.0
	v_fma_f32 v176, -v173, v174, 1.0
	v_fmac_f32_e32 v174, v176, v174
	v_mul_f32_e32 v176, v175, v174
	v_fma_f32 v177, -v173, v176, v175
	v_fmac_f32_e32 v176, v177, v174
	v_fma_f32 v173, -v173, v176, v175
	v_div_fmas_f32 v173, v173, v174, v176
	v_div_fixup_f32 v172, v173, v172, 1.0
	ds_write_b32 v147, v172
.LBB95_128:
	s_or_b64 exec, exec, s[4:5]
.LBB95_129:
	s_or_b64 exec, exec, s[2:3]
	s_waitcnt lgkmcnt(0)
	s_barrier
	ds_read_b32 v172, v147
	v_cmp_lt_u32_e32 vcc, 23, v145
	s_and_saveexec_b64 s[2:3], vcc
	s_cbranch_execz .LBB95_131
; %bb.130:
	ds_read2_b64 v[174:177], v149 offset0:12 offset1:13
	ds_read2_b64 v[178:181], v149 offset0:14 offset1:15
	;; [unrolled: 1-line block ×3, first 2 shown]
	s_waitcnt vmcnt(32) lgkmcnt(3)
	v_mul_f32_e32 v186, v172, v107
	v_mov_b32_e32 v107, v186
	s_waitcnt vmcnt(30) lgkmcnt(2)
	v_pk_fma_f32 v[124:125], v[186:187], v[174:175], v[124:125] op_sel_hi:[0,1,1] neg_lo:[1,0,0] neg_hi:[1,0,0]
	s_waitcnt vmcnt(28)
	v_pk_fma_f32 v[104:105], v[186:187], v[176:177], v[104:105] op_sel_hi:[0,1,1] neg_lo:[1,0,0] neg_hi:[1,0,0]
	s_waitcnt vmcnt(26) lgkmcnt(1)
	v_pk_fma_f32 v[122:123], v[186:187], v[178:179], v[122:123] op_sel_hi:[0,1,1] neg_lo:[1,0,0] neg_hi:[1,0,0]
	s_waitcnt vmcnt(24)
	v_pk_fma_f32 v[102:103], v[186:187], v[180:181], v[102:103] op_sel_hi:[0,1,1] neg_lo:[1,0,0] neg_hi:[1,0,0]
	ds_read2_b64 v[174:177], v149 offset0:18 offset1:19
	s_waitcnt vmcnt(22) lgkmcnt(1)
	v_pk_fma_f32 v[120:121], v[186:187], v[182:183], v[120:121] op_sel_hi:[0,1,1] neg_lo:[1,0,0] neg_hi:[1,0,0]
	ds_read2_b64 v[178:181], v149 offset0:20 offset1:21
	s_waitcnt vmcnt(20)
	v_pk_fma_f32 v[100:101], v[186:187], v[184:185], v[100:101] op_sel_hi:[0,1,1] neg_lo:[1,0,0] neg_hi:[1,0,0]
	ds_read2_b64 v[182:185], v149 offset0:22 offset1:23
	s_waitcnt vmcnt(18) lgkmcnt(2)
	v_pk_fma_f32 v[118:119], v[186:187], v[174:175], v[118:119] op_sel_hi:[0,1,1] neg_lo:[1,0,0] neg_hi:[1,0,0]
	s_waitcnt vmcnt(16)
	v_pk_fma_f32 v[98:99], v[186:187], v[176:177], v[98:99] op_sel_hi:[0,1,1] neg_lo:[1,0,0] neg_hi:[1,0,0]
	s_waitcnt vmcnt(14) lgkmcnt(1)
	v_pk_fma_f32 v[116:117], v[186:187], v[178:179], v[116:117] op_sel_hi:[0,1,1] neg_lo:[1,0,0] neg_hi:[1,0,0]
	s_waitcnt vmcnt(12)
	v_pk_fma_f32 v[96:97], v[186:187], v[180:181], v[96:97] op_sel_hi:[0,1,1] neg_lo:[1,0,0] neg_hi:[1,0,0]
	;; [unrolled: 4-line block ×3, first 2 shown]
.LBB95_131:
	s_or_b64 exec, exec, s[2:3]
	v_cmp_eq_u32_e32 vcc, 24, v145
	s_waitcnt lgkmcnt(0)
	s_barrier
	s_and_saveexec_b64 s[2:3], vcc
	s_cbranch_execz .LBB95_134
; %bb.132:
	s_waitcnt vmcnt(28)
	v_pk_mov_b32 v[174:175], v[124:125], v[104:105] op_sel:[1,0]
	ds_write_b32 v147, v124
	ds_write2_b32 v149, v174, v175 offset0:25 offset1:26
	s_waitcnt vmcnt(26)
	v_pk_mov_b32 v[174:175], v[104:105], v[122:123] op_sel:[1,0]
	ds_write2_b32 v149, v174, v175 offset0:27 offset1:28
	s_waitcnt vmcnt(24)
	v_pk_mov_b32 v[174:175], v[122:123], v[102:103] op_sel:[1,0]
	;; [unrolled: 3-line block ×10, first 2 shown]
	ds_write2_b32 v149, v174, v175 offset0:45 offset1:46
	ds_write_b32 v149, v135 offset:188
	ds_read_b32 v173, v147
	s_waitcnt lgkmcnt(0)
	v_cmp_neq_f32_e32 vcc, 0, v173
	s_and_b64 exec, exec, vcc
	s_cbranch_execz .LBB95_134
; %bb.133:
	v_div_scale_f32 v174, s[4:5], v173, v173, 1.0
	v_rcp_f32_e32 v175, v174
	v_div_scale_f32 v176, vcc, 1.0, v173, 1.0
	v_fma_f32 v177, -v174, v175, 1.0
	v_fmac_f32_e32 v175, v177, v175
	v_mul_f32_e32 v177, v176, v175
	v_fma_f32 v178, -v174, v177, v176
	v_fmac_f32_e32 v177, v178, v175
	v_fma_f32 v174, -v174, v177, v176
	v_div_fmas_f32 v174, v174, v175, v177
	v_div_fixup_f32 v173, v174, v173, 1.0
	ds_write_b32 v147, v173
.LBB95_134:
	s_or_b64 exec, exec, s[2:3]
	s_waitcnt lgkmcnt(0)
	s_barrier
	ds_read_b32 v173, v147
	v_cmp_lt_u32_e32 vcc, 24, v145
	s_and_saveexec_b64 s[2:3], vcc
	s_cbranch_execz .LBB95_136
; %bb.135:
	ds_read_b32 v186, v149 offset:100
	ds_read2_b64 v[174:177], v149 offset0:13 offset1:14
	ds_read2_b64 v[178:181], v149 offset0:15 offset1:16
	;; [unrolled: 1-line block ×3, first 2 shown]
	s_waitcnt vmcnt(31) lgkmcnt(4)
	v_mul_f32_e32 v124, v173, v124
	s_waitcnt vmcnt(30) lgkmcnt(3)
	v_fma_f32 v125, -v124, v186, v125
	s_waitcnt vmcnt(28) lgkmcnt(2)
	v_pk_fma_f32 v[104:105], v[124:125], v[174:175], v[104:105] op_sel_hi:[0,1,1] neg_lo:[1,0,0] neg_hi:[1,0,0]
	s_waitcnt vmcnt(26)
	v_pk_fma_f32 v[122:123], v[124:125], v[176:177], v[122:123] op_sel_hi:[0,1,1] neg_lo:[1,0,0] neg_hi:[1,0,0]
	s_waitcnt vmcnt(24) lgkmcnt(1)
	v_pk_fma_f32 v[102:103], v[124:125], v[178:179], v[102:103] op_sel_hi:[0,1,1] neg_lo:[1,0,0] neg_hi:[1,0,0]
	s_waitcnt vmcnt(22)
	v_pk_fma_f32 v[120:121], v[124:125], v[180:181], v[120:121] op_sel_hi:[0,1,1] neg_lo:[1,0,0] neg_hi:[1,0,0]
	ds_read2_b64 v[174:177], v149 offset0:19 offset1:20
	ds_read2_b64 v[178:181], v149 offset0:21 offset1:22
	s_waitcnt vmcnt(20) lgkmcnt(2)
	v_pk_fma_f32 v[100:101], v[124:125], v[182:183], v[100:101] op_sel_hi:[0,1,1] neg_lo:[1,0,0] neg_hi:[1,0,0]
	ds_read_b64 v[182:183], v149 offset:184
	s_waitcnt vmcnt(18)
	v_pk_fma_f32 v[118:119], v[124:125], v[184:185], v[118:119] op_sel_hi:[0,1,1] neg_lo:[1,0,0] neg_hi:[1,0,0]
	s_waitcnt vmcnt(16) lgkmcnt(2)
	v_pk_fma_f32 v[98:99], v[124:125], v[174:175], v[98:99] op_sel_hi:[0,1,1] neg_lo:[1,0,0] neg_hi:[1,0,0]
	s_waitcnt vmcnt(14)
	v_pk_fma_f32 v[116:117], v[124:125], v[176:177], v[116:117] op_sel_hi:[0,1,1] neg_lo:[1,0,0] neg_hi:[1,0,0]
	s_waitcnt vmcnt(12) lgkmcnt(1)
	v_pk_fma_f32 v[96:97], v[124:125], v[178:179], v[96:97] op_sel_hi:[0,1,1] neg_lo:[1,0,0] neg_hi:[1,0,0]
	;; [unrolled: 4-line block ×3, first 2 shown]
.LBB95_136:
	s_or_b64 exec, exec, s[2:3]
	v_cmp_ne_u32_e32 vcc, 25, v145
	s_waitcnt lgkmcnt(0)
	s_barrier
	s_and_saveexec_b64 s[2:3], vcc
	s_xor_b64 s[2:3], exec, s[2:3]
	s_andn2_saveexec_b64 s[2:3], s[2:3]
	s_cbranch_execz .LBB95_140
; %bb.137:
	s_waitcnt vmcnt(30)
	ds_write_b32 v147, v125
	s_waitcnt vmcnt(26)
	ds_write2_b64 v149, v[104:105], v[122:123] offset0:13 offset1:14
	s_waitcnt vmcnt(22)
	ds_write2_b64 v149, v[102:103], v[120:121] offset0:15 offset1:16
	;; [unrolled: 2-line block ×5, first 2 shown]
	s_waitcnt vmcnt(8)
	ds_write_b64 v149, v[134:135] offset:184
	ds_read_b32 v174, v147
	s_waitcnt lgkmcnt(0)
	v_cmp_neq_f32_e32 vcc, 0, v174
	s_and_saveexec_b64 s[4:5], vcc
	s_cbranch_execz .LBB95_139
; %bb.138:
	v_div_scale_f32 v175, s[10:11], v174, v174, 1.0
	v_rcp_f32_e32 v176, v175
	v_div_scale_f32 v177, vcc, 1.0, v174, 1.0
	v_fma_f32 v178, -v175, v176, 1.0
	v_fmac_f32_e32 v176, v178, v176
	v_mul_f32_e32 v178, v177, v176
	v_fma_f32 v179, -v175, v178, v177
	v_fmac_f32_e32 v178, v179, v176
	v_fma_f32 v175, -v175, v178, v177
	v_div_fmas_f32 v175, v175, v176, v178
	v_div_fixup_f32 v174, v175, v174, 1.0
	ds_write_b32 v147, v174
.LBB95_139:
	s_or_b64 exec, exec, s[4:5]
.LBB95_140:
	s_or_b64 exec, exec, s[2:3]
	s_waitcnt lgkmcnt(0)
	s_barrier
	ds_read_b32 v174, v147
	v_cmp_lt_u32_e32 vcc, 25, v145
	s_and_saveexec_b64 s[2:3], vcc
	s_cbranch_execz .LBB95_142
; %bb.141:
	ds_read2_b64 v[176:179], v149 offset0:13 offset1:14
	ds_read2_b64 v[180:183], v149 offset0:15 offset1:16
	;; [unrolled: 1-line block ×3, first 2 shown]
	s_waitcnt vmcnt(30) lgkmcnt(3)
	v_mul_f32_e32 v188, v174, v125
	v_mov_b32_e32 v125, v188
	s_waitcnt vmcnt(28) lgkmcnt(2)
	v_pk_fma_f32 v[104:105], v[188:189], v[176:177], v[104:105] op_sel_hi:[0,1,1] neg_lo:[1,0,0] neg_hi:[1,0,0]
	s_waitcnt vmcnt(26)
	v_pk_fma_f32 v[122:123], v[188:189], v[178:179], v[122:123] op_sel_hi:[0,1,1] neg_lo:[1,0,0] neg_hi:[1,0,0]
	s_waitcnt vmcnt(24) lgkmcnt(1)
	v_pk_fma_f32 v[102:103], v[188:189], v[180:181], v[102:103] op_sel_hi:[0,1,1] neg_lo:[1,0,0] neg_hi:[1,0,0]
	s_waitcnt vmcnt(22)
	v_pk_fma_f32 v[120:121], v[188:189], v[182:183], v[120:121] op_sel_hi:[0,1,1] neg_lo:[1,0,0] neg_hi:[1,0,0]
	ds_read2_b64 v[176:179], v149 offset0:19 offset1:20
	s_waitcnt vmcnt(20) lgkmcnt(1)
	v_pk_fma_f32 v[100:101], v[188:189], v[184:185], v[100:101] op_sel_hi:[0,1,1] neg_lo:[1,0,0] neg_hi:[1,0,0]
	ds_read2_b64 v[180:183], v149 offset0:21 offset1:22
	ds_read_b64 v[184:185], v149 offset:184
	s_waitcnt vmcnt(18)
	v_pk_fma_f32 v[118:119], v[188:189], v[186:187], v[118:119] op_sel_hi:[0,1,1] neg_lo:[1,0,0] neg_hi:[1,0,0]
	s_waitcnt vmcnt(16) lgkmcnt(2)
	v_pk_fma_f32 v[98:99], v[188:189], v[176:177], v[98:99] op_sel_hi:[0,1,1] neg_lo:[1,0,0] neg_hi:[1,0,0]
	s_waitcnt vmcnt(14)
	v_pk_fma_f32 v[116:117], v[188:189], v[178:179], v[116:117] op_sel_hi:[0,1,1] neg_lo:[1,0,0] neg_hi:[1,0,0]
	s_waitcnt vmcnt(12) lgkmcnt(1)
	v_pk_fma_f32 v[96:97], v[188:189], v[180:181], v[96:97] op_sel_hi:[0,1,1] neg_lo:[1,0,0] neg_hi:[1,0,0]
	;; [unrolled: 4-line block ×3, first 2 shown]
.LBB95_142:
	s_or_b64 exec, exec, s[2:3]
	v_cmp_eq_u32_e32 vcc, 26, v145
	s_waitcnt lgkmcnt(0)
	s_barrier
	s_and_saveexec_b64 s[2:3], vcc
	s_cbranch_execz .LBB95_145
; %bb.143:
	s_waitcnt vmcnt(26)
	v_pk_mov_b32 v[176:177], v[104:105], v[122:123] op_sel:[1,0]
	ds_write_b32 v147, v104
	ds_write2_b32 v149, v176, v177 offset0:27 offset1:28
	s_waitcnt vmcnt(24)
	v_pk_mov_b32 v[176:177], v[122:123], v[102:103] op_sel:[1,0]
	ds_write2_b32 v149, v176, v177 offset0:29 offset1:30
	s_waitcnt vmcnt(22)
	v_pk_mov_b32 v[176:177], v[102:103], v[120:121] op_sel:[1,0]
	;; [unrolled: 3-line block ×9, first 2 shown]
	ds_write2_b32 v149, v176, v177 offset0:45 offset1:46
	ds_write_b32 v149, v135 offset:188
	ds_read_b32 v175, v147
	s_waitcnt lgkmcnt(0)
	v_cmp_neq_f32_e32 vcc, 0, v175
	s_and_b64 exec, exec, vcc
	s_cbranch_execz .LBB95_145
; %bb.144:
	v_div_scale_f32 v176, s[4:5], v175, v175, 1.0
	v_rcp_f32_e32 v177, v176
	v_div_scale_f32 v178, vcc, 1.0, v175, 1.0
	v_fma_f32 v179, -v176, v177, 1.0
	v_fmac_f32_e32 v177, v179, v177
	v_mul_f32_e32 v179, v178, v177
	v_fma_f32 v180, -v176, v179, v178
	v_fmac_f32_e32 v179, v180, v177
	v_fma_f32 v176, -v176, v179, v178
	v_div_fmas_f32 v176, v176, v177, v179
	v_div_fixup_f32 v175, v176, v175, 1.0
	ds_write_b32 v147, v175
.LBB95_145:
	s_or_b64 exec, exec, s[2:3]
	s_waitcnt lgkmcnt(0)
	s_barrier
	ds_read_b32 v175, v147
	v_cmp_lt_u32_e32 vcc, 26, v145
	s_and_saveexec_b64 s[2:3], vcc
	s_cbranch_execz .LBB95_147
; %bb.146:
	ds_read_b32 v184, v149 offset:108
	ds_read2_b64 v[176:179], v149 offset0:14 offset1:15
	ds_read2_b64 v[180:183], v149 offset0:16 offset1:17
	s_waitcnt vmcnt(29) lgkmcnt(3)
	v_mul_f32_e32 v104, v175, v104
	s_waitcnt vmcnt(28) lgkmcnt(2)
	v_fma_f32 v105, -v104, v184, v105
	s_waitcnt vmcnt(26) lgkmcnt(1)
	v_pk_fma_f32 v[122:123], v[104:105], v[176:177], v[122:123] op_sel_hi:[0,1,1] neg_lo:[1,0,0] neg_hi:[1,0,0]
	s_waitcnt vmcnt(24)
	v_pk_fma_f32 v[102:103], v[104:105], v[178:179], v[102:103] op_sel_hi:[0,1,1] neg_lo:[1,0,0] neg_hi:[1,0,0]
	ds_read2_b64 v[176:179], v149 offset0:18 offset1:19
	s_waitcnt vmcnt(22) lgkmcnt(1)
	v_pk_fma_f32 v[120:121], v[104:105], v[180:181], v[120:121] op_sel_hi:[0,1,1] neg_lo:[1,0,0] neg_hi:[1,0,0]
	ds_read2_b64 v[184:187], v149 offset0:20 offset1:21
	s_waitcnt vmcnt(20)
	v_pk_fma_f32 v[100:101], v[104:105], v[182:183], v[100:101] op_sel_hi:[0,1,1] neg_lo:[1,0,0] neg_hi:[1,0,0]
	ds_read2_b64 v[180:183], v149 offset0:22 offset1:23
	s_waitcnt vmcnt(18) lgkmcnt(2)
	v_pk_fma_f32 v[118:119], v[104:105], v[176:177], v[118:119] op_sel_hi:[0,1,1] neg_lo:[1,0,0] neg_hi:[1,0,0]
	s_waitcnt vmcnt(16)
	v_pk_fma_f32 v[98:99], v[104:105], v[178:179], v[98:99] op_sel_hi:[0,1,1] neg_lo:[1,0,0] neg_hi:[1,0,0]
	s_waitcnt vmcnt(14) lgkmcnt(1)
	v_pk_fma_f32 v[116:117], v[104:105], v[184:185], v[116:117] op_sel_hi:[0,1,1] neg_lo:[1,0,0] neg_hi:[1,0,0]
	s_waitcnt vmcnt(12)
	v_pk_fma_f32 v[96:97], v[104:105], v[186:187], v[96:97] op_sel_hi:[0,1,1] neg_lo:[1,0,0] neg_hi:[1,0,0]
	;; [unrolled: 4-line block ×3, first 2 shown]
.LBB95_147:
	s_or_b64 exec, exec, s[2:3]
	v_cmp_ne_u32_e32 vcc, 27, v145
	s_waitcnt lgkmcnt(0)
	s_barrier
	s_and_saveexec_b64 s[2:3], vcc
	s_xor_b64 s[2:3], exec, s[2:3]
	s_andn2_saveexec_b64 s[2:3], s[2:3]
	s_cbranch_execz .LBB95_151
; %bb.148:
	s_waitcnt vmcnt(27)
	v_mov_b32_e32 v176, v122
	s_waitcnt vmcnt(26)
	v_mov_b32_e32 v177, v123
	;; [unrolled: 2-line block ×4, first 2 shown]
	ds_write_b32 v147, v105
	ds_write2_b64 v149, v[176:177], v[178:179] offset0:14 offset1:15
	s_waitcnt vmcnt(23)
	v_mov_b32_e32 v176, v120
	s_waitcnt vmcnt(22)
	v_mov_b32_e32 v177, v121
	s_waitcnt vmcnt(21)
	v_mov_b32_e32 v178, v100
	s_waitcnt vmcnt(20)
	v_mov_b32_e32 v179, v101
	ds_write2_b64 v149, v[176:177], v[178:179] offset0:16 offset1:17
	s_waitcnt vmcnt(19)
	v_mov_b32_e32 v176, v118
	s_waitcnt vmcnt(18)
	v_mov_b32_e32 v177, v119
	s_waitcnt vmcnt(17)
	v_mov_b32_e32 v178, v98
	s_waitcnt vmcnt(16)
	v_mov_b32_e32 v179, v99
	;; [unrolled: 9-line block ×3, first 2 shown]
	ds_write2_b64 v149, v[176:177], v[178:179] offset0:20 offset1:21
	s_waitcnt vmcnt(11)
	v_mov_b32_e32 v176, v114
	s_waitcnt vmcnt(10)
	v_mov_b32_e32 v177, v115
	s_waitcnt vmcnt(8)
	ds_write2_b64 v149, v[176:177], v[134:135] offset0:22 offset1:23
	ds_read_b32 v176, v147
	s_waitcnt lgkmcnt(0)
	v_cmp_neq_f32_e32 vcc, 0, v176
	s_and_saveexec_b64 s[4:5], vcc
	s_cbranch_execz .LBB95_150
; %bb.149:
	v_div_scale_f32 v177, s[10:11], v176, v176, 1.0
	v_rcp_f32_e32 v178, v177
	v_div_scale_f32 v179, vcc, 1.0, v176, 1.0
	v_fma_f32 v180, -v177, v178, 1.0
	v_fmac_f32_e32 v178, v180, v178
	v_mul_f32_e32 v180, v179, v178
	v_fma_f32 v181, -v177, v180, v179
	v_fmac_f32_e32 v180, v181, v178
	v_fma_f32 v177, -v177, v180, v179
	v_div_fmas_f32 v177, v177, v178, v180
	v_div_fixup_f32 v176, v177, v176, 1.0
	ds_write_b32 v147, v176
.LBB95_150:
	s_or_b64 exec, exec, s[4:5]
.LBB95_151:
	s_or_b64 exec, exec, s[2:3]
	s_waitcnt lgkmcnt(0)
	s_barrier
	ds_read_b32 v176, v147
	v_cmp_lt_u32_e32 vcc, 27, v145
	s_and_saveexec_b64 s[2:3], vcc
	s_cbranch_execz .LBB95_153
; %bb.152:
	ds_read2_b64 v[178:181], v149 offset0:14 offset1:15
	ds_read2_b64 v[182:185], v149 offset0:16 offset1:17
	s_waitcnt vmcnt(28) lgkmcnt(2)
	v_mul_f32_e32 v190, v176, v105
	ds_read2_b64 v[186:189], v149 offset0:18 offset1:19
	v_mov_b32_e32 v105, v190
	s_waitcnt vmcnt(26) lgkmcnt(2)
	v_pk_fma_f32 v[122:123], v[190:191], v[178:179], v[122:123] op_sel_hi:[0,1,1] neg_lo:[1,0,0] neg_hi:[1,0,0]
	s_waitcnt vmcnt(24)
	v_pk_fma_f32 v[102:103], v[190:191], v[180:181], v[102:103] op_sel_hi:[0,1,1] neg_lo:[1,0,0] neg_hi:[1,0,0]
	s_waitcnt vmcnt(22) lgkmcnt(1)
	v_pk_fma_f32 v[120:121], v[190:191], v[182:183], v[120:121] op_sel_hi:[0,1,1] neg_lo:[1,0,0] neg_hi:[1,0,0]
	ds_read2_b64 v[178:181], v149 offset0:20 offset1:21
	s_waitcnt vmcnt(20)
	v_pk_fma_f32 v[100:101], v[190:191], v[184:185], v[100:101] op_sel_hi:[0,1,1] neg_lo:[1,0,0] neg_hi:[1,0,0]
	ds_read2_b64 v[182:185], v149 offset0:22 offset1:23
	s_waitcnt vmcnt(18) lgkmcnt(2)
	v_pk_fma_f32 v[118:119], v[190:191], v[186:187], v[118:119] op_sel_hi:[0,1,1] neg_lo:[1,0,0] neg_hi:[1,0,0]
	s_waitcnt vmcnt(16)
	v_pk_fma_f32 v[98:99], v[190:191], v[188:189], v[98:99] op_sel_hi:[0,1,1] neg_lo:[1,0,0] neg_hi:[1,0,0]
	s_waitcnt vmcnt(14) lgkmcnt(1)
	v_pk_fma_f32 v[116:117], v[190:191], v[178:179], v[116:117] op_sel_hi:[0,1,1] neg_lo:[1,0,0] neg_hi:[1,0,0]
	s_waitcnt vmcnt(12)
	v_pk_fma_f32 v[96:97], v[190:191], v[180:181], v[96:97] op_sel_hi:[0,1,1] neg_lo:[1,0,0] neg_hi:[1,0,0]
	;; [unrolled: 4-line block ×3, first 2 shown]
.LBB95_153:
	s_or_b64 exec, exec, s[2:3]
	v_cmp_eq_u32_e32 vcc, 28, v145
	s_waitcnt lgkmcnt(0)
	s_barrier
	s_and_saveexec_b64 s[2:3], vcc
	s_cbranch_execz .LBB95_156
; %bb.154:
	s_waitcnt vmcnt(24)
	v_pk_mov_b32 v[178:179], v[122:123], v[102:103] op_sel:[1,0]
	ds_write_b32 v147, v122
	ds_write2_b32 v149, v178, v179 offset0:29 offset1:30
	s_waitcnt vmcnt(22)
	v_pk_mov_b32 v[178:179], v[102:103], v[120:121] op_sel:[1,0]
	ds_write2_b32 v149, v178, v179 offset0:31 offset1:32
	s_waitcnt vmcnt(20)
	v_pk_mov_b32 v[178:179], v[120:121], v[100:101] op_sel:[1,0]
	;; [unrolled: 3-line block ×8, first 2 shown]
	ds_write2_b32 v149, v178, v179 offset0:45 offset1:46
	ds_write_b32 v149, v135 offset:188
	ds_read_b32 v177, v147
	s_waitcnt lgkmcnt(0)
	v_cmp_neq_f32_e32 vcc, 0, v177
	s_and_b64 exec, exec, vcc
	s_cbranch_execz .LBB95_156
; %bb.155:
	v_div_scale_f32 v178, s[4:5], v177, v177, 1.0
	v_rcp_f32_e32 v179, v178
	v_div_scale_f32 v180, vcc, 1.0, v177, 1.0
	v_fma_f32 v181, -v178, v179, 1.0
	v_fmac_f32_e32 v179, v181, v179
	v_mul_f32_e32 v181, v180, v179
	v_fma_f32 v182, -v178, v181, v180
	v_fmac_f32_e32 v181, v182, v179
	v_fma_f32 v178, -v178, v181, v180
	v_div_fmas_f32 v178, v178, v179, v181
	v_div_fixup_f32 v177, v178, v177, 1.0
	ds_write_b32 v147, v177
.LBB95_156:
	s_or_b64 exec, exec, s[2:3]
	s_waitcnt lgkmcnt(0)
	s_barrier
	ds_read_b32 v177, v147
	v_cmp_lt_u32_e32 vcc, 28, v145
	s_and_saveexec_b64 s[2:3], vcc
	s_cbranch_execz .LBB95_158
; %bb.157:
	ds_read_b32 v186, v149 offset:116
	ds_read2_b64 v[178:181], v149 offset0:15 offset1:16
	ds_read2_b64 v[182:185], v149 offset0:17 offset1:18
	s_waitcnt vmcnt(27) lgkmcnt(3)
	v_mul_f32_e32 v122, v177, v122
	s_waitcnt vmcnt(26) lgkmcnt(2)
	v_fma_f32 v123, -v122, v186, v123
	s_waitcnt vmcnt(24) lgkmcnt(1)
	v_pk_fma_f32 v[102:103], v[122:123], v[178:179], v[102:103] op_sel_hi:[0,1,1] neg_lo:[1,0,0] neg_hi:[1,0,0]
	s_waitcnt vmcnt(22)
	v_pk_fma_f32 v[120:121], v[122:123], v[180:181], v[120:121] op_sel_hi:[0,1,1] neg_lo:[1,0,0] neg_hi:[1,0,0]
	ds_read2_b64 v[178:181], v149 offset0:19 offset1:20
	s_waitcnt vmcnt(20) lgkmcnt(1)
	v_pk_fma_f32 v[100:101], v[122:123], v[182:183], v[100:101] op_sel_hi:[0,1,1] neg_lo:[1,0,0] neg_hi:[1,0,0]
	ds_read2_b64 v[186:189], v149 offset0:21 offset1:22
	ds_read_b64 v[182:183], v149 offset:184
	s_waitcnt vmcnt(18)
	v_pk_fma_f32 v[118:119], v[122:123], v[184:185], v[118:119] op_sel_hi:[0,1,1] neg_lo:[1,0,0] neg_hi:[1,0,0]
	s_waitcnt vmcnt(16) lgkmcnt(2)
	v_pk_fma_f32 v[98:99], v[122:123], v[178:179], v[98:99] op_sel_hi:[0,1,1] neg_lo:[1,0,0] neg_hi:[1,0,0]
	s_waitcnt vmcnt(14)
	v_pk_fma_f32 v[116:117], v[122:123], v[180:181], v[116:117] op_sel_hi:[0,1,1] neg_lo:[1,0,0] neg_hi:[1,0,0]
	s_waitcnt vmcnt(12) lgkmcnt(1)
	v_pk_fma_f32 v[96:97], v[122:123], v[186:187], v[96:97] op_sel_hi:[0,1,1] neg_lo:[1,0,0] neg_hi:[1,0,0]
	;; [unrolled: 4-line block ×3, first 2 shown]
.LBB95_158:
	s_or_b64 exec, exec, s[2:3]
	v_cmp_ne_u32_e32 vcc, 29, v145
	s_waitcnt lgkmcnt(0)
	s_barrier
	s_and_saveexec_b64 s[2:3], vcc
	s_xor_b64 s[2:3], exec, s[2:3]
	s_andn2_saveexec_b64 s[2:3], s[2:3]
	s_cbranch_execz .LBB95_162
; %bb.159:
	s_waitcnt vmcnt(26)
	ds_write_b32 v147, v123
	s_waitcnt vmcnt(22)
	ds_write2_b64 v149, v[102:103], v[120:121] offset0:15 offset1:16
	s_waitcnt vmcnt(18)
	ds_write2_b64 v149, v[100:101], v[118:119] offset0:17 offset1:18
	s_waitcnt vmcnt(14)
	ds_write2_b64 v149, v[98:99], v[116:117] offset0:19 offset1:20
	s_waitcnt vmcnt(10)
	ds_write2_b64 v149, v[96:97], v[114:115] offset0:21 offset1:22
	s_waitcnt vmcnt(8)
	ds_write_b64 v149, v[134:135] offset:184
	ds_read_b32 v178, v147
	s_waitcnt lgkmcnt(0)
	v_cmp_neq_f32_e32 vcc, 0, v178
	s_and_saveexec_b64 s[4:5], vcc
	s_cbranch_execz .LBB95_161
; %bb.160:
	v_div_scale_f32 v179, s[10:11], v178, v178, 1.0
	v_rcp_f32_e32 v180, v179
	v_div_scale_f32 v181, vcc, 1.0, v178, 1.0
	v_fma_f32 v182, -v179, v180, 1.0
	v_fmac_f32_e32 v180, v182, v180
	v_mul_f32_e32 v182, v181, v180
	v_fma_f32 v183, -v179, v182, v181
	v_fmac_f32_e32 v182, v183, v180
	v_fma_f32 v179, -v179, v182, v181
	v_div_fmas_f32 v179, v179, v180, v182
	v_div_fixup_f32 v178, v179, v178, 1.0
	ds_write_b32 v147, v178
.LBB95_161:
	s_or_b64 exec, exec, s[4:5]
.LBB95_162:
	s_or_b64 exec, exec, s[2:3]
	s_waitcnt lgkmcnt(0)
	s_barrier
	ds_read_b32 v178, v147
	v_cmp_lt_u32_e32 vcc, 29, v145
	s_and_saveexec_b64 s[2:3], vcc
	s_cbranch_execz .LBB95_164
; %bb.163:
	ds_read2_b64 v[180:183], v149 offset0:15 offset1:16
	ds_read2_b64 v[184:187], v149 offset0:17 offset1:18
	s_waitcnt vmcnt(26) lgkmcnt(2)
	v_mul_f32_e32 v192, v178, v123
	ds_read2_b64 v[188:191], v149 offset0:19 offset1:20
	v_mov_b32_e32 v123, v192
	s_waitcnt vmcnt(24) lgkmcnt(2)
	v_pk_fma_f32 v[102:103], v[192:193], v[180:181], v[102:103] op_sel_hi:[0,1,1] neg_lo:[1,0,0] neg_hi:[1,0,0]
	s_waitcnt vmcnt(22)
	v_pk_fma_f32 v[120:121], v[192:193], v[182:183], v[120:121] op_sel_hi:[0,1,1] neg_lo:[1,0,0] neg_hi:[1,0,0]
	s_waitcnt vmcnt(20) lgkmcnt(1)
	v_pk_fma_f32 v[100:101], v[192:193], v[184:185], v[100:101] op_sel_hi:[0,1,1] neg_lo:[1,0,0] neg_hi:[1,0,0]
	ds_read2_b64 v[180:183], v149 offset0:21 offset1:22
	ds_read_b64 v[184:185], v149 offset:184
	s_waitcnt vmcnt(18)
	v_pk_fma_f32 v[118:119], v[192:193], v[186:187], v[118:119] op_sel_hi:[0,1,1] neg_lo:[1,0,0] neg_hi:[1,0,0]
	s_waitcnt vmcnt(16) lgkmcnt(2)
	v_pk_fma_f32 v[98:99], v[192:193], v[188:189], v[98:99] op_sel_hi:[0,1,1] neg_lo:[1,0,0] neg_hi:[1,0,0]
	s_waitcnt vmcnt(14)
	v_pk_fma_f32 v[116:117], v[192:193], v[190:191], v[116:117] op_sel_hi:[0,1,1] neg_lo:[1,0,0] neg_hi:[1,0,0]
	s_waitcnt vmcnt(12) lgkmcnt(1)
	v_pk_fma_f32 v[96:97], v[192:193], v[180:181], v[96:97] op_sel_hi:[0,1,1] neg_lo:[1,0,0] neg_hi:[1,0,0]
	s_waitcnt vmcnt(10)
	v_pk_fma_f32 v[114:115], v[192:193], v[182:183], v[114:115] op_sel_hi:[0,1,1] neg_lo:[1,0,0] neg_hi:[1,0,0]
	s_waitcnt vmcnt(8) lgkmcnt(0)
	v_pk_fma_f32 v[134:135], v[192:193], v[184:185], v[134:135] op_sel_hi:[0,1,1] neg_lo:[1,0,0] neg_hi:[1,0,0]
.LBB95_164:
	s_or_b64 exec, exec, s[2:3]
	v_cmp_eq_u32_e32 vcc, 30, v145
	s_waitcnt lgkmcnt(0)
	s_barrier
	s_and_saveexec_b64 s[2:3], vcc
	s_cbranch_execz .LBB95_167
; %bb.165:
	s_waitcnt vmcnt(22)
	v_pk_mov_b32 v[180:181], v[102:103], v[120:121] op_sel:[1,0]
	ds_write_b32 v147, v102
	ds_write2_b32 v149, v180, v181 offset0:31 offset1:32
	s_waitcnt vmcnt(20)
	v_pk_mov_b32 v[180:181], v[120:121], v[100:101] op_sel:[1,0]
	ds_write2_b32 v149, v180, v181 offset0:33 offset1:34
	s_waitcnt vmcnt(18)
	v_pk_mov_b32 v[180:181], v[100:101], v[118:119] op_sel:[1,0]
	;; [unrolled: 3-line block ×7, first 2 shown]
	ds_write2_b32 v149, v180, v181 offset0:45 offset1:46
	ds_write_b32 v149, v135 offset:188
	ds_read_b32 v179, v147
	s_waitcnt lgkmcnt(0)
	v_cmp_neq_f32_e32 vcc, 0, v179
	s_and_b64 exec, exec, vcc
	s_cbranch_execz .LBB95_167
; %bb.166:
	v_div_scale_f32 v180, s[4:5], v179, v179, 1.0
	v_rcp_f32_e32 v181, v180
	v_div_scale_f32 v182, vcc, 1.0, v179, 1.0
	v_fma_f32 v183, -v180, v181, 1.0
	v_fmac_f32_e32 v181, v183, v181
	v_mul_f32_e32 v183, v182, v181
	v_fma_f32 v184, -v180, v183, v182
	v_fmac_f32_e32 v183, v184, v181
	v_fma_f32 v180, -v180, v183, v182
	v_div_fmas_f32 v180, v180, v181, v183
	v_div_fixup_f32 v179, v180, v179, 1.0
	ds_write_b32 v147, v179
.LBB95_167:
	s_or_b64 exec, exec, s[2:3]
	s_waitcnt lgkmcnt(0)
	s_barrier
	ds_read_b32 v179, v147
	v_cmp_lt_u32_e32 vcc, 30, v145
	s_and_saveexec_b64 s[2:3], vcc
	s_cbranch_execz .LBB95_169
; %bb.168:
	ds_read_b32 v192, v149 offset:124
	ds_read2_b64 v[180:183], v149 offset0:16 offset1:17
	s_waitcnt vmcnt(25) lgkmcnt(2)
	v_mul_f32_e32 v102, v179, v102
	ds_read2_b64 v[184:187], v149 offset0:18 offset1:19
	ds_read2_b64 v[188:191], v149 offset0:20 offset1:21
	s_waitcnt vmcnt(24) lgkmcnt(3)
	v_fma_f32 v103, -v102, v192, v103
	s_waitcnt vmcnt(22) lgkmcnt(2)
	v_pk_fma_f32 v[120:121], v[102:103], v[180:181], v[120:121] op_sel_hi:[0,1,1] neg_lo:[1,0,0] neg_hi:[1,0,0]
	s_waitcnt vmcnt(20)
	v_pk_fma_f32 v[100:101], v[102:103], v[182:183], v[100:101] op_sel_hi:[0,1,1] neg_lo:[1,0,0] neg_hi:[1,0,0]
	ds_read2_b64 v[180:183], v149 offset0:22 offset1:23
	s_waitcnt vmcnt(18) lgkmcnt(2)
	v_pk_fma_f32 v[118:119], v[102:103], v[184:185], v[118:119] op_sel_hi:[0,1,1] neg_lo:[1,0,0] neg_hi:[1,0,0]
	s_waitcnt vmcnt(16)
	v_pk_fma_f32 v[98:99], v[102:103], v[186:187], v[98:99] op_sel_hi:[0,1,1] neg_lo:[1,0,0] neg_hi:[1,0,0]
	s_waitcnt vmcnt(14) lgkmcnt(1)
	v_pk_fma_f32 v[116:117], v[102:103], v[188:189], v[116:117] op_sel_hi:[0,1,1] neg_lo:[1,0,0] neg_hi:[1,0,0]
	s_waitcnt vmcnt(12)
	v_pk_fma_f32 v[96:97], v[102:103], v[190:191], v[96:97] op_sel_hi:[0,1,1] neg_lo:[1,0,0] neg_hi:[1,0,0]
	;; [unrolled: 4-line block ×3, first 2 shown]
.LBB95_169:
	s_or_b64 exec, exec, s[2:3]
	v_cmp_ne_u32_e32 vcc, 31, v145
	s_waitcnt lgkmcnt(0)
	s_barrier
	s_and_saveexec_b64 s[2:3], vcc
	s_xor_b64 s[2:3], exec, s[2:3]
	s_andn2_saveexec_b64 s[2:3], s[2:3]
	s_cbranch_execz .LBB95_173
; %bb.170:
	s_waitcnt vmcnt(23)
	v_mov_b32_e32 v180, v120
	s_waitcnt vmcnt(22)
	v_mov_b32_e32 v181, v121
	;; [unrolled: 2-line block ×4, first 2 shown]
	ds_write_b32 v147, v103
	ds_write2_b64 v149, v[180:181], v[182:183] offset0:16 offset1:17
	s_waitcnt vmcnt(19)
	v_mov_b32_e32 v180, v118
	s_waitcnt vmcnt(18)
	v_mov_b32_e32 v181, v119
	;; [unrolled: 2-line block ×4, first 2 shown]
	ds_write2_b64 v149, v[180:181], v[182:183] offset0:18 offset1:19
	s_waitcnt vmcnt(15)
	v_mov_b32_e32 v180, v116
	s_waitcnt vmcnt(14)
	v_mov_b32_e32 v181, v117
	;; [unrolled: 2-line block ×4, first 2 shown]
	ds_write2_b64 v149, v[180:181], v[182:183] offset0:20 offset1:21
	s_waitcnt vmcnt(11)
	v_mov_b32_e32 v180, v114
	s_waitcnt vmcnt(10)
	v_mov_b32_e32 v181, v115
	s_waitcnt vmcnt(8)
	ds_write2_b64 v149, v[180:181], v[134:135] offset0:22 offset1:23
	ds_read_b32 v180, v147
	s_waitcnt lgkmcnt(0)
	v_cmp_neq_f32_e32 vcc, 0, v180
	s_and_saveexec_b64 s[4:5], vcc
	s_cbranch_execz .LBB95_172
; %bb.171:
	v_div_scale_f32 v181, s[10:11], v180, v180, 1.0
	v_rcp_f32_e32 v182, v181
	v_div_scale_f32 v183, vcc, 1.0, v180, 1.0
	v_fma_f32 v184, -v181, v182, 1.0
	v_fmac_f32_e32 v182, v184, v182
	v_mul_f32_e32 v184, v183, v182
	v_fma_f32 v185, -v181, v184, v183
	v_fmac_f32_e32 v184, v185, v182
	v_fma_f32 v181, -v181, v184, v183
	v_div_fmas_f32 v181, v181, v182, v184
	v_div_fixup_f32 v180, v181, v180, 1.0
	ds_write_b32 v147, v180
.LBB95_172:
	s_or_b64 exec, exec, s[4:5]
.LBB95_173:
	s_or_b64 exec, exec, s[2:3]
	s_waitcnt lgkmcnt(0)
	s_barrier
	ds_read_b32 v180, v147
	v_cmp_lt_u32_e32 vcc, 31, v145
	s_and_saveexec_b64 s[2:3], vcc
	s_cbranch_execz .LBB95_175
; %bb.174:
	ds_read2_b64 v[182:185], v149 offset0:16 offset1:17
	s_waitcnt vmcnt(24) lgkmcnt(1)
	v_mul_f32_e32 v194, v180, v103
	ds_read2_b64 v[186:189], v149 offset0:18 offset1:19
	ds_read2_b64 v[190:193], v149 offset0:20 offset1:21
	v_mov_b32_e32 v103, v194
	s_waitcnt vmcnt(22) lgkmcnt(2)
	v_pk_fma_f32 v[120:121], v[194:195], v[182:183], v[120:121] op_sel_hi:[0,1,1] neg_lo:[1,0,0] neg_hi:[1,0,0]
	s_waitcnt vmcnt(20)
	v_pk_fma_f32 v[100:101], v[194:195], v[184:185], v[100:101] op_sel_hi:[0,1,1] neg_lo:[1,0,0] neg_hi:[1,0,0]
	ds_read2_b64 v[182:185], v149 offset0:22 offset1:23
	s_waitcnt vmcnt(18) lgkmcnt(2)
	v_pk_fma_f32 v[118:119], v[194:195], v[186:187], v[118:119] op_sel_hi:[0,1,1] neg_lo:[1,0,0] neg_hi:[1,0,0]
	s_waitcnt vmcnt(16)
	v_pk_fma_f32 v[98:99], v[194:195], v[188:189], v[98:99] op_sel_hi:[0,1,1] neg_lo:[1,0,0] neg_hi:[1,0,0]
	s_waitcnt vmcnt(14) lgkmcnt(1)
	v_pk_fma_f32 v[116:117], v[194:195], v[190:191], v[116:117] op_sel_hi:[0,1,1] neg_lo:[1,0,0] neg_hi:[1,0,0]
	s_waitcnt vmcnt(12)
	v_pk_fma_f32 v[96:97], v[194:195], v[192:193], v[96:97] op_sel_hi:[0,1,1] neg_lo:[1,0,0] neg_hi:[1,0,0]
	;; [unrolled: 4-line block ×3, first 2 shown]
.LBB95_175:
	s_or_b64 exec, exec, s[2:3]
	v_cmp_eq_u32_e32 vcc, 32, v145
	s_waitcnt lgkmcnt(0)
	s_barrier
	s_and_saveexec_b64 s[2:3], vcc
	s_cbranch_execz .LBB95_178
; %bb.176:
	s_waitcnt vmcnt(20)
	v_pk_mov_b32 v[182:183], v[120:121], v[100:101] op_sel:[1,0]
	ds_write_b32 v147, v120
	ds_write2_b32 v149, v182, v183 offset0:33 offset1:34
	s_waitcnt vmcnt(18)
	v_pk_mov_b32 v[182:183], v[100:101], v[118:119] op_sel:[1,0]
	ds_write2_b32 v149, v182, v183 offset0:35 offset1:36
	s_waitcnt vmcnt(16)
	v_pk_mov_b32 v[182:183], v[118:119], v[98:99] op_sel:[1,0]
	;; [unrolled: 3-line block ×6, first 2 shown]
	ds_write2_b32 v149, v182, v183 offset0:45 offset1:46
	ds_write_b32 v149, v135 offset:188
	ds_read_b32 v181, v147
	s_waitcnt lgkmcnt(0)
	v_cmp_neq_f32_e32 vcc, 0, v181
	s_and_b64 exec, exec, vcc
	s_cbranch_execz .LBB95_178
; %bb.177:
	v_div_scale_f32 v182, s[4:5], v181, v181, 1.0
	v_rcp_f32_e32 v183, v182
	v_div_scale_f32 v184, vcc, 1.0, v181, 1.0
	v_fma_f32 v185, -v182, v183, 1.0
	v_fmac_f32_e32 v183, v185, v183
	v_mul_f32_e32 v185, v184, v183
	v_fma_f32 v186, -v182, v185, v184
	v_fmac_f32_e32 v185, v186, v183
	v_fma_f32 v182, -v182, v185, v184
	v_div_fmas_f32 v182, v182, v183, v185
	v_div_fixup_f32 v181, v182, v181, 1.0
	ds_write_b32 v147, v181
.LBB95_178:
	s_or_b64 exec, exec, s[2:3]
	s_waitcnt lgkmcnt(0)
	s_barrier
	ds_read_b32 v181, v147
	v_cmp_lt_u32_e32 vcc, 32, v145
	s_and_saveexec_b64 s[2:3], vcc
	s_cbranch_execz .LBB95_180
; %bb.179:
	ds_read_b32 v190, v149 offset:132
	s_waitcnt vmcnt(23) lgkmcnt(1)
	v_mul_f32_e32 v120, v181, v120
	ds_read2_b64 v[182:185], v149 offset0:17 offset1:18
	ds_read_b64 v[194:195], v149 offset:184
	ds_read2_b64 v[186:189], v149 offset0:19 offset1:20
	s_waitcnt vmcnt(22) lgkmcnt(3)
	v_fma_f32 v121, -v120, v190, v121
	ds_read2_b64 v[190:193], v149 offset0:21 offset1:22
	s_waitcnt vmcnt(20) lgkmcnt(3)
	v_pk_fma_f32 v[100:101], v[120:121], v[182:183], v[100:101] op_sel_hi:[0,1,1] neg_lo:[1,0,0] neg_hi:[1,0,0]
	s_waitcnt vmcnt(18)
	v_pk_fma_f32 v[118:119], v[120:121], v[184:185], v[118:119] op_sel_hi:[0,1,1] neg_lo:[1,0,0] neg_hi:[1,0,0]
	s_waitcnt vmcnt(16) lgkmcnt(1)
	v_pk_fma_f32 v[98:99], v[120:121], v[186:187], v[98:99] op_sel_hi:[0,1,1] neg_lo:[1,0,0] neg_hi:[1,0,0]
	s_waitcnt vmcnt(14)
	v_pk_fma_f32 v[116:117], v[120:121], v[188:189], v[116:117] op_sel_hi:[0,1,1] neg_lo:[1,0,0] neg_hi:[1,0,0]
	;; [unrolled: 4-line block ×3, first 2 shown]
	s_waitcnt vmcnt(8)
	v_pk_fma_f32 v[134:135], v[120:121], v[194:195], v[134:135] op_sel_hi:[0,1,1] neg_lo:[1,0,0] neg_hi:[1,0,0]
.LBB95_180:
	s_or_b64 exec, exec, s[2:3]
	v_cmp_ne_u32_e32 vcc, 33, v145
	s_waitcnt lgkmcnt(0)
	s_barrier
	s_and_saveexec_b64 s[2:3], vcc
	s_xor_b64 s[2:3], exec, s[2:3]
	s_andn2_saveexec_b64 s[2:3], s[2:3]
	s_cbranch_execz .LBB95_184
; %bb.181:
	s_waitcnt vmcnt(22)
	ds_write_b32 v147, v121
	s_waitcnt vmcnt(18)
	ds_write2_b64 v149, v[100:101], v[118:119] offset0:17 offset1:18
	s_waitcnt vmcnt(14)
	ds_write2_b64 v149, v[98:99], v[116:117] offset0:19 offset1:20
	;; [unrolled: 2-line block ×3, first 2 shown]
	s_waitcnt vmcnt(8)
	ds_write_b64 v149, v[134:135] offset:184
	ds_read_b32 v182, v147
	s_waitcnt lgkmcnt(0)
	v_cmp_neq_f32_e32 vcc, 0, v182
	s_and_saveexec_b64 s[4:5], vcc
	s_cbranch_execz .LBB95_183
; %bb.182:
	v_div_scale_f32 v183, s[10:11], v182, v182, 1.0
	v_rcp_f32_e32 v184, v183
	v_div_scale_f32 v185, vcc, 1.0, v182, 1.0
	v_fma_f32 v186, -v183, v184, 1.0
	v_fmac_f32_e32 v184, v186, v184
	v_mul_f32_e32 v186, v185, v184
	v_fma_f32 v187, -v183, v186, v185
	v_fmac_f32_e32 v186, v187, v184
	v_fma_f32 v183, -v183, v186, v185
	v_div_fmas_f32 v183, v183, v184, v186
	v_div_fixup_f32 v182, v183, v182, 1.0
	ds_write_b32 v147, v182
.LBB95_183:
	s_or_b64 exec, exec, s[4:5]
.LBB95_184:
	s_or_b64 exec, exec, s[2:3]
	s_waitcnt lgkmcnt(0)
	s_barrier
	ds_read_b32 v182, v147
	v_cmp_lt_u32_e32 vcc, 33, v145
	s_and_saveexec_b64 s[2:3], vcc
	s_cbranch_execz .LBB95_186
; %bb.185:
	ds_read2_b64 v[184:187], v149 offset0:17 offset1:18
	s_waitcnt vmcnt(22) lgkmcnt(1)
	v_mul_f32_e32 v196, v182, v121
	ds_read2_b64 v[188:191], v149 offset0:19 offset1:20
	ds_read2_b64 v[192:195], v149 offset0:21 offset1:22
	v_mov_b32_e32 v121, v196
	s_waitcnt vmcnt(20) lgkmcnt(2)
	v_pk_fma_f32 v[100:101], v[196:197], v[184:185], v[100:101] op_sel_hi:[0,1,1] neg_lo:[1,0,0] neg_hi:[1,0,0]
	ds_read_b64 v[184:185], v149 offset:184
	s_waitcnt vmcnt(18)
	v_pk_fma_f32 v[118:119], v[196:197], v[186:187], v[118:119] op_sel_hi:[0,1,1] neg_lo:[1,0,0] neg_hi:[1,0,0]
	s_waitcnt vmcnt(16) lgkmcnt(2)
	v_pk_fma_f32 v[98:99], v[196:197], v[188:189], v[98:99] op_sel_hi:[0,1,1] neg_lo:[1,0,0] neg_hi:[1,0,0]
	s_waitcnt vmcnt(14)
	v_pk_fma_f32 v[116:117], v[196:197], v[190:191], v[116:117] op_sel_hi:[0,1,1] neg_lo:[1,0,0] neg_hi:[1,0,0]
	s_waitcnt vmcnt(12) lgkmcnt(1)
	v_pk_fma_f32 v[96:97], v[196:197], v[192:193], v[96:97] op_sel_hi:[0,1,1] neg_lo:[1,0,0] neg_hi:[1,0,0]
	;; [unrolled: 4-line block ×3, first 2 shown]
.LBB95_186:
	s_or_b64 exec, exec, s[2:3]
	v_cmp_eq_u32_e32 vcc, 34, v145
	s_waitcnt lgkmcnt(0)
	s_barrier
	s_and_saveexec_b64 s[2:3], vcc
	s_cbranch_execz .LBB95_189
; %bb.187:
	s_waitcnt vmcnt(18)
	v_pk_mov_b32 v[184:185], v[100:101], v[118:119] op_sel:[1,0]
	ds_write_b32 v147, v100
	ds_write2_b32 v149, v184, v185 offset0:35 offset1:36
	s_waitcnt vmcnt(16)
	v_pk_mov_b32 v[184:185], v[118:119], v[98:99] op_sel:[1,0]
	ds_write2_b32 v149, v184, v185 offset0:37 offset1:38
	s_waitcnt vmcnt(14)
	v_pk_mov_b32 v[184:185], v[98:99], v[116:117] op_sel:[1,0]
	;; [unrolled: 3-line block ×5, first 2 shown]
	ds_write2_b32 v149, v184, v185 offset0:45 offset1:46
	ds_write_b32 v149, v135 offset:188
	ds_read_b32 v183, v147
	s_waitcnt lgkmcnt(0)
	v_cmp_neq_f32_e32 vcc, 0, v183
	s_and_b64 exec, exec, vcc
	s_cbranch_execz .LBB95_189
; %bb.188:
	v_div_scale_f32 v184, s[4:5], v183, v183, 1.0
	v_rcp_f32_e32 v185, v184
	v_div_scale_f32 v186, vcc, 1.0, v183, 1.0
	v_fma_f32 v187, -v184, v185, 1.0
	v_fmac_f32_e32 v185, v187, v185
	v_mul_f32_e32 v187, v186, v185
	v_fma_f32 v188, -v184, v187, v186
	v_fmac_f32_e32 v187, v188, v185
	v_fma_f32 v184, -v184, v187, v186
	v_div_fmas_f32 v184, v184, v185, v187
	v_div_fixup_f32 v183, v184, v183, 1.0
	ds_write_b32 v147, v183
.LBB95_189:
	s_or_b64 exec, exec, s[2:3]
	s_waitcnt lgkmcnt(0)
	s_barrier
	ds_read_b32 v183, v147
	v_cmp_lt_u32_e32 vcc, 34, v145
	s_and_saveexec_b64 s[2:3], vcc
	s_cbranch_execz .LBB95_191
; %bb.190:
	ds_read_b32 v196, v149 offset:140
	ds_read2_b64 v[184:187], v149 offset0:18 offset1:19
	ds_read2_b64 v[188:191], v149 offset0:20 offset1:21
	ds_read2_b64 v[192:195], v149 offset0:22 offset1:23
	s_waitcnt vmcnt(21) lgkmcnt(4)
	v_mul_f32_e32 v100, v183, v100
	s_waitcnt vmcnt(20) lgkmcnt(3)
	v_fma_f32 v101, -v100, v196, v101
	s_waitcnt vmcnt(18) lgkmcnt(2)
	v_pk_fma_f32 v[118:119], v[100:101], v[184:185], v[118:119] op_sel_hi:[0,1,1] neg_lo:[1,0,0] neg_hi:[1,0,0]
	s_waitcnt vmcnt(16)
	v_pk_fma_f32 v[98:99], v[100:101], v[186:187], v[98:99] op_sel_hi:[0,1,1] neg_lo:[1,0,0] neg_hi:[1,0,0]
	s_waitcnt vmcnt(14) lgkmcnt(1)
	v_pk_fma_f32 v[116:117], v[100:101], v[188:189], v[116:117] op_sel_hi:[0,1,1] neg_lo:[1,0,0] neg_hi:[1,0,0]
	s_waitcnt vmcnt(12)
	v_pk_fma_f32 v[96:97], v[100:101], v[190:191], v[96:97] op_sel_hi:[0,1,1] neg_lo:[1,0,0] neg_hi:[1,0,0]
	;; [unrolled: 4-line block ×3, first 2 shown]
.LBB95_191:
	s_or_b64 exec, exec, s[2:3]
	v_cmp_ne_u32_e32 vcc, 35, v145
	s_waitcnt lgkmcnt(0)
	s_barrier
	s_and_saveexec_b64 s[2:3], vcc
	s_xor_b64 s[2:3], exec, s[2:3]
	s_andn2_saveexec_b64 s[2:3], s[2:3]
	s_cbranch_execz .LBB95_195
; %bb.192:
	s_waitcnt vmcnt(19)
	v_mov_b32_e32 v184, v118
	s_waitcnt vmcnt(18)
	v_mov_b32_e32 v185, v119
	;; [unrolled: 2-line block ×4, first 2 shown]
	ds_write_b32 v147, v101
	ds_write2_b64 v149, v[184:185], v[186:187] offset0:18 offset1:19
	s_waitcnt vmcnt(15)
	v_mov_b32_e32 v184, v116
	s_waitcnt vmcnt(14)
	v_mov_b32_e32 v185, v117
	;; [unrolled: 2-line block ×4, first 2 shown]
	ds_write2_b64 v149, v[184:185], v[186:187] offset0:20 offset1:21
	s_waitcnt vmcnt(11)
	v_mov_b32_e32 v184, v114
	s_waitcnt vmcnt(10)
	v_mov_b32_e32 v185, v115
	s_waitcnt vmcnt(8)
	ds_write2_b64 v149, v[184:185], v[134:135] offset0:22 offset1:23
	ds_read_b32 v184, v147
	s_waitcnt lgkmcnt(0)
	v_cmp_neq_f32_e32 vcc, 0, v184
	s_and_saveexec_b64 s[4:5], vcc
	s_cbranch_execz .LBB95_194
; %bb.193:
	v_div_scale_f32 v185, s[10:11], v184, v184, 1.0
	v_rcp_f32_e32 v186, v185
	v_div_scale_f32 v187, vcc, 1.0, v184, 1.0
	v_fma_f32 v188, -v185, v186, 1.0
	v_fmac_f32_e32 v186, v188, v186
	v_mul_f32_e32 v188, v187, v186
	v_fma_f32 v189, -v185, v188, v187
	v_fmac_f32_e32 v188, v189, v186
	v_fma_f32 v185, -v185, v188, v187
	v_div_fmas_f32 v185, v185, v186, v188
	v_div_fixup_f32 v184, v185, v184, 1.0
	ds_write_b32 v147, v184
.LBB95_194:
	s_or_b64 exec, exec, s[4:5]
.LBB95_195:
	s_or_b64 exec, exec, s[2:3]
	s_waitcnt lgkmcnt(0)
	s_barrier
	ds_read_b32 v184, v147
	v_cmp_lt_u32_e32 vcc, 35, v145
	s_and_saveexec_b64 s[2:3], vcc
	s_cbranch_execz .LBB95_197
; %bb.196:
	ds_read2_b64 v[186:189], v149 offset0:18 offset1:19
	ds_read2_b64 v[190:193], v149 offset0:20 offset1:21
	;; [unrolled: 1-line block ×3, first 2 shown]
	s_waitcnt vmcnt(20) lgkmcnt(3)
	v_mul_f32_e32 v198, v184, v101
	v_mov_b32_e32 v101, v198
	s_waitcnt vmcnt(18) lgkmcnt(2)
	v_pk_fma_f32 v[118:119], v[198:199], v[186:187], v[118:119] op_sel_hi:[0,1,1] neg_lo:[1,0,0] neg_hi:[1,0,0]
	s_waitcnt vmcnt(16)
	v_pk_fma_f32 v[98:99], v[198:199], v[188:189], v[98:99] op_sel_hi:[0,1,1] neg_lo:[1,0,0] neg_hi:[1,0,0]
	s_waitcnt vmcnt(14) lgkmcnt(1)
	v_pk_fma_f32 v[116:117], v[198:199], v[190:191], v[116:117] op_sel_hi:[0,1,1] neg_lo:[1,0,0] neg_hi:[1,0,0]
	s_waitcnt vmcnt(12)
	v_pk_fma_f32 v[96:97], v[198:199], v[192:193], v[96:97] op_sel_hi:[0,1,1] neg_lo:[1,0,0] neg_hi:[1,0,0]
	;; [unrolled: 4-line block ×3, first 2 shown]
.LBB95_197:
	s_or_b64 exec, exec, s[2:3]
	v_cmp_eq_u32_e32 vcc, 36, v145
	s_waitcnt lgkmcnt(0)
	s_barrier
	s_and_saveexec_b64 s[2:3], vcc
	s_cbranch_execz .LBB95_200
; %bb.198:
	s_waitcnt vmcnt(16)
	v_pk_mov_b32 v[186:187], v[118:119], v[98:99] op_sel:[1,0]
	ds_write_b32 v147, v118
	ds_write2_b32 v149, v186, v187 offset0:37 offset1:38
	s_waitcnt vmcnt(14)
	v_pk_mov_b32 v[186:187], v[98:99], v[116:117] op_sel:[1,0]
	ds_write2_b32 v149, v186, v187 offset0:39 offset1:40
	s_waitcnt vmcnt(12)
	v_pk_mov_b32 v[186:187], v[116:117], v[96:97] op_sel:[1,0]
	;; [unrolled: 3-line block ×4, first 2 shown]
	ds_write2_b32 v149, v186, v187 offset0:45 offset1:46
	ds_write_b32 v149, v135 offset:188
	ds_read_b32 v185, v147
	s_waitcnt lgkmcnt(0)
	v_cmp_neq_f32_e32 vcc, 0, v185
	s_and_b64 exec, exec, vcc
	s_cbranch_execz .LBB95_200
; %bb.199:
	v_div_scale_f32 v186, s[4:5], v185, v185, 1.0
	v_rcp_f32_e32 v187, v186
	v_div_scale_f32 v188, vcc, 1.0, v185, 1.0
	v_fma_f32 v189, -v186, v187, 1.0
	v_fmac_f32_e32 v187, v189, v187
	v_mul_f32_e32 v189, v188, v187
	v_fma_f32 v190, -v186, v189, v188
	v_fmac_f32_e32 v189, v190, v187
	v_fma_f32 v186, -v186, v189, v188
	v_div_fmas_f32 v186, v186, v187, v189
	v_div_fixup_f32 v185, v186, v185, 1.0
	ds_write_b32 v147, v185
.LBB95_200:
	s_or_b64 exec, exec, s[2:3]
	s_waitcnt lgkmcnt(0)
	s_barrier
	ds_read_b32 v185, v147
	v_cmp_lt_u32_e32 vcc, 36, v145
	s_and_saveexec_b64 s[2:3], vcc
	s_cbranch_execz .LBB95_202
; %bb.201:
	ds_read_b32 v196, v149 offset:148
	ds_read2_b64 v[186:189], v149 offset0:19 offset1:20
	ds_read_b64 v[194:195], v149 offset:184
	ds_read2_b64 v[190:193], v149 offset0:21 offset1:22
	s_waitcnt vmcnt(19) lgkmcnt(4)
	v_mul_f32_e32 v118, v185, v118
	s_waitcnt vmcnt(18) lgkmcnt(3)
	v_fma_f32 v119, -v118, v196, v119
	s_waitcnt vmcnt(16) lgkmcnt(2)
	v_pk_fma_f32 v[98:99], v[118:119], v[186:187], v[98:99] op_sel_hi:[0,1,1] neg_lo:[1,0,0] neg_hi:[1,0,0]
	s_waitcnt vmcnt(14)
	v_pk_fma_f32 v[116:117], v[118:119], v[188:189], v[116:117] op_sel_hi:[0,1,1] neg_lo:[1,0,0] neg_hi:[1,0,0]
	s_waitcnt vmcnt(12) lgkmcnt(0)
	v_pk_fma_f32 v[96:97], v[118:119], v[190:191], v[96:97] op_sel_hi:[0,1,1] neg_lo:[1,0,0] neg_hi:[1,0,0]
	s_waitcnt vmcnt(10)
	v_pk_fma_f32 v[114:115], v[118:119], v[192:193], v[114:115] op_sel_hi:[0,1,1] neg_lo:[1,0,0] neg_hi:[1,0,0]
	s_waitcnt vmcnt(8)
	v_pk_fma_f32 v[134:135], v[118:119], v[194:195], v[134:135] op_sel_hi:[0,1,1] neg_lo:[1,0,0] neg_hi:[1,0,0]
.LBB95_202:
	s_or_b64 exec, exec, s[2:3]
	v_cmp_ne_u32_e32 vcc, 37, v145
	s_waitcnt lgkmcnt(0)
	s_barrier
	s_and_saveexec_b64 s[2:3], vcc
	s_xor_b64 s[2:3], exec, s[2:3]
	s_andn2_saveexec_b64 s[2:3], s[2:3]
	s_cbranch_execz .LBB95_206
; %bb.203:
	s_waitcnt vmcnt(18)
	ds_write_b32 v147, v119
	s_waitcnt vmcnt(14)
	ds_write2_b64 v149, v[98:99], v[116:117] offset0:19 offset1:20
	s_waitcnt vmcnt(10)
	ds_write2_b64 v149, v[96:97], v[114:115] offset0:21 offset1:22
	s_waitcnt vmcnt(8)
	ds_write_b64 v149, v[134:135] offset:184
	ds_read_b32 v186, v147
	s_waitcnt lgkmcnt(0)
	v_cmp_neq_f32_e32 vcc, 0, v186
	s_and_saveexec_b64 s[4:5], vcc
	s_cbranch_execz .LBB95_205
; %bb.204:
	v_div_scale_f32 v187, s[10:11], v186, v186, 1.0
	v_rcp_f32_e32 v188, v187
	v_div_scale_f32 v189, vcc, 1.0, v186, 1.0
	v_fma_f32 v190, -v187, v188, 1.0
	v_fmac_f32_e32 v188, v190, v188
	v_mul_f32_e32 v190, v189, v188
	v_fma_f32 v191, -v187, v190, v189
	v_fmac_f32_e32 v190, v191, v188
	v_fma_f32 v187, -v187, v190, v189
	v_div_fmas_f32 v187, v187, v188, v190
	v_div_fixup_f32 v186, v187, v186, 1.0
	ds_write_b32 v147, v186
.LBB95_205:
	s_or_b64 exec, exec, s[4:5]
.LBB95_206:
	s_or_b64 exec, exec, s[2:3]
	s_waitcnt lgkmcnt(0)
	s_barrier
	ds_read_b32 v186, v147
	v_cmp_lt_u32_e32 vcc, 37, v145
	s_and_saveexec_b64 s[2:3], vcc
	s_cbranch_execz .LBB95_208
; %bb.207:
	ds_read2_b64 v[188:191], v149 offset0:19 offset1:20
	ds_read2_b64 v[192:195], v149 offset0:21 offset1:22
	ds_read_b64 v[198:199], v149 offset:184
	s_waitcnt vmcnt(18) lgkmcnt(3)
	v_mul_f32_e32 v196, v186, v119
	v_mov_b32_e32 v119, v196
	s_waitcnt vmcnt(16) lgkmcnt(2)
	v_pk_fma_f32 v[98:99], v[196:197], v[188:189], v[98:99] op_sel_hi:[0,1,1] neg_lo:[1,0,0] neg_hi:[1,0,0]
	s_waitcnt vmcnt(14)
	v_pk_fma_f32 v[116:117], v[196:197], v[190:191], v[116:117] op_sel_hi:[0,1,1] neg_lo:[1,0,0] neg_hi:[1,0,0]
	s_waitcnt vmcnt(12) lgkmcnt(1)
	v_pk_fma_f32 v[96:97], v[196:197], v[192:193], v[96:97] op_sel_hi:[0,1,1] neg_lo:[1,0,0] neg_hi:[1,0,0]
	s_waitcnt vmcnt(10)
	v_pk_fma_f32 v[114:115], v[196:197], v[194:195], v[114:115] op_sel_hi:[0,1,1] neg_lo:[1,0,0] neg_hi:[1,0,0]
	s_waitcnt vmcnt(8) lgkmcnt(0)
	v_pk_fma_f32 v[134:135], v[196:197], v[198:199], v[134:135] op_sel_hi:[0,1,1] neg_lo:[1,0,0] neg_hi:[1,0,0]
.LBB95_208:
	s_or_b64 exec, exec, s[2:3]
	v_cmp_eq_u32_e32 vcc, 38, v145
	s_waitcnt lgkmcnt(0)
	s_barrier
	s_and_saveexec_b64 s[2:3], vcc
	s_cbranch_execz .LBB95_211
; %bb.209:
	s_waitcnt vmcnt(14)
	v_pk_mov_b32 v[188:189], v[98:99], v[116:117] op_sel:[1,0]
	ds_write_b32 v147, v98
	ds_write2_b32 v149, v188, v189 offset0:39 offset1:40
	s_waitcnt vmcnt(12)
	v_pk_mov_b32 v[188:189], v[116:117], v[96:97] op_sel:[1,0]
	ds_write2_b32 v149, v188, v189 offset0:41 offset1:42
	s_waitcnt vmcnt(10)
	v_pk_mov_b32 v[188:189], v[96:97], v[114:115] op_sel:[1,0]
	;; [unrolled: 3-line block ×3, first 2 shown]
	ds_write2_b32 v149, v188, v189 offset0:45 offset1:46
	ds_write_b32 v149, v135 offset:188
	ds_read_b32 v187, v147
	s_waitcnt lgkmcnt(0)
	v_cmp_neq_f32_e32 vcc, 0, v187
	s_and_b64 exec, exec, vcc
	s_cbranch_execz .LBB95_211
; %bb.210:
	v_div_scale_f32 v188, s[4:5], v187, v187, 1.0
	v_rcp_f32_e32 v189, v188
	v_div_scale_f32 v190, vcc, 1.0, v187, 1.0
	v_fma_f32 v191, -v188, v189, 1.0
	v_fmac_f32_e32 v189, v191, v189
	v_mul_f32_e32 v191, v190, v189
	v_fma_f32 v192, -v188, v191, v190
	v_fmac_f32_e32 v191, v192, v189
	v_fma_f32 v188, -v188, v191, v190
	v_div_fmas_f32 v188, v188, v189, v191
	v_div_fixup_f32 v187, v188, v187, 1.0
	ds_write_b32 v147, v187
.LBB95_211:
	s_or_b64 exec, exec, s[2:3]
	s_waitcnt lgkmcnt(0)
	s_barrier
	ds_read_b32 v187, v147
	v_cmp_lt_u32_e32 vcc, 38, v145
	s_and_saveexec_b64 s[2:3], vcc
	s_cbranch_execz .LBB95_213
; %bb.212:
	ds_read_b32 v196, v149 offset:156
	ds_read2_b64 v[188:191], v149 offset0:20 offset1:21
	ds_read2_b64 v[192:195], v149 offset0:22 offset1:23
	s_waitcnt vmcnt(17) lgkmcnt(3)
	v_mul_f32_e32 v98, v187, v98
	s_waitcnt vmcnt(16) lgkmcnt(2)
	v_fma_f32 v99, -v98, v196, v99
	s_waitcnt vmcnt(14) lgkmcnt(1)
	v_pk_fma_f32 v[116:117], v[98:99], v[188:189], v[116:117] op_sel_hi:[0,1,1] neg_lo:[1,0,0] neg_hi:[1,0,0]
	s_waitcnt vmcnt(12)
	v_pk_fma_f32 v[96:97], v[98:99], v[190:191], v[96:97] op_sel_hi:[0,1,1] neg_lo:[1,0,0] neg_hi:[1,0,0]
	s_waitcnt vmcnt(10) lgkmcnt(0)
	v_pk_fma_f32 v[114:115], v[98:99], v[192:193], v[114:115] op_sel_hi:[0,1,1] neg_lo:[1,0,0] neg_hi:[1,0,0]
	s_waitcnt vmcnt(8)
	v_pk_fma_f32 v[134:135], v[98:99], v[194:195], v[134:135] op_sel_hi:[0,1,1] neg_lo:[1,0,0] neg_hi:[1,0,0]
.LBB95_213:
	s_or_b64 exec, exec, s[2:3]
	v_cmp_ne_u32_e32 vcc, 39, v145
	s_waitcnt lgkmcnt(0)
	s_barrier
	s_and_saveexec_b64 s[2:3], vcc
	s_xor_b64 s[2:3], exec, s[2:3]
	s_andn2_saveexec_b64 s[2:3], s[2:3]
	s_cbranch_execz .LBB95_217
; %bb.214:
	s_waitcnt vmcnt(15)
	v_mov_b32_e32 v188, v116
	s_waitcnt vmcnt(14)
	v_mov_b32_e32 v189, v117
	s_waitcnt vmcnt(13)
	v_mov_b32_e32 v190, v96
	s_waitcnt vmcnt(12)
	v_mov_b32_e32 v191, v97
	ds_write_b32 v147, v99
	ds_write2_b64 v149, v[188:189], v[190:191] offset0:20 offset1:21
	s_waitcnt vmcnt(11)
	v_mov_b32_e32 v188, v114
	s_waitcnt vmcnt(10)
	v_mov_b32_e32 v189, v115
	s_waitcnt vmcnt(8)
	ds_write2_b64 v149, v[188:189], v[134:135] offset0:22 offset1:23
	ds_read_b32 v188, v147
	s_waitcnt lgkmcnt(0)
	v_cmp_neq_f32_e32 vcc, 0, v188
	s_and_saveexec_b64 s[4:5], vcc
	s_cbranch_execz .LBB95_216
; %bb.215:
	v_div_scale_f32 v189, s[10:11], v188, v188, 1.0
	v_rcp_f32_e32 v190, v189
	v_div_scale_f32 v191, vcc, 1.0, v188, 1.0
	v_fma_f32 v192, -v189, v190, 1.0
	v_fmac_f32_e32 v190, v192, v190
	v_mul_f32_e32 v192, v191, v190
	v_fma_f32 v193, -v189, v192, v191
	v_fmac_f32_e32 v192, v193, v190
	v_fma_f32 v189, -v189, v192, v191
	v_div_fmas_f32 v189, v189, v190, v192
	v_div_fixup_f32 v188, v189, v188, 1.0
	ds_write_b32 v147, v188
.LBB95_216:
	s_or_b64 exec, exec, s[4:5]
.LBB95_217:
	s_or_b64 exec, exec, s[2:3]
	s_waitcnt lgkmcnt(0)
	s_barrier
	ds_read_b32 v188, v147
	v_cmp_lt_u32_e32 vcc, 39, v145
	s_and_saveexec_b64 s[2:3], vcc
	s_cbranch_execz .LBB95_219
; %bb.218:
	ds_read2_b64 v[190:193], v149 offset0:20 offset1:21
	ds_read2_b64 v[194:197], v149 offset0:22 offset1:23
	s_waitcnt vmcnt(16) lgkmcnt(2)
	v_mul_f32_e32 v198, v188, v99
	v_mov_b32_e32 v99, v198
	s_waitcnt vmcnt(14) lgkmcnt(1)
	v_pk_fma_f32 v[116:117], v[198:199], v[190:191], v[116:117] op_sel_hi:[0,1,1] neg_lo:[1,0,0] neg_hi:[1,0,0]
	s_waitcnt vmcnt(12)
	v_pk_fma_f32 v[96:97], v[198:199], v[192:193], v[96:97] op_sel_hi:[0,1,1] neg_lo:[1,0,0] neg_hi:[1,0,0]
	s_waitcnt vmcnt(10) lgkmcnt(0)
	v_pk_fma_f32 v[114:115], v[198:199], v[194:195], v[114:115] op_sel_hi:[0,1,1] neg_lo:[1,0,0] neg_hi:[1,0,0]
	s_waitcnt vmcnt(8)
	v_pk_fma_f32 v[134:135], v[198:199], v[196:197], v[134:135] op_sel_hi:[0,1,1] neg_lo:[1,0,0] neg_hi:[1,0,0]
.LBB95_219:
	s_or_b64 exec, exec, s[2:3]
	v_cmp_eq_u32_e32 vcc, 40, v145
	s_waitcnt lgkmcnt(0)
	s_barrier
	s_and_saveexec_b64 s[2:3], vcc
	s_cbranch_execz .LBB95_222
; %bb.220:
	s_waitcnt vmcnt(12)
	v_pk_mov_b32 v[190:191], v[116:117], v[96:97] op_sel:[1,0]
	ds_write_b32 v147, v116
	ds_write2_b32 v149, v190, v191 offset0:41 offset1:42
	s_waitcnt vmcnt(10)
	v_pk_mov_b32 v[190:191], v[96:97], v[114:115] op_sel:[1,0]
	ds_write2_b32 v149, v190, v191 offset0:43 offset1:44
	s_waitcnt vmcnt(8)
	v_pk_mov_b32 v[190:191], v[114:115], v[134:135] op_sel:[1,0]
	ds_write2_b32 v149, v190, v191 offset0:45 offset1:46
	ds_write_b32 v149, v135 offset:188
	ds_read_b32 v189, v147
	s_waitcnt lgkmcnt(0)
	v_cmp_neq_f32_e32 vcc, 0, v189
	s_and_b64 exec, exec, vcc
	s_cbranch_execz .LBB95_222
; %bb.221:
	v_div_scale_f32 v190, s[4:5], v189, v189, 1.0
	v_rcp_f32_e32 v191, v190
	v_div_scale_f32 v192, vcc, 1.0, v189, 1.0
	v_fma_f32 v193, -v190, v191, 1.0
	v_fmac_f32_e32 v191, v193, v191
	v_mul_f32_e32 v193, v192, v191
	v_fma_f32 v194, -v190, v193, v192
	v_fmac_f32_e32 v193, v194, v191
	v_fma_f32 v190, -v190, v193, v192
	v_div_fmas_f32 v190, v190, v191, v193
	v_div_fixup_f32 v189, v190, v189, 1.0
	ds_write_b32 v147, v189
.LBB95_222:
	s_or_b64 exec, exec, s[2:3]
	s_waitcnt lgkmcnt(0)
	s_barrier
	ds_read_b32 v189, v147
	v_cmp_lt_u32_e32 vcc, 40, v145
	s_and_saveexec_b64 s[2:3], vcc
	s_cbranch_execz .LBB95_224
; %bb.223:
	ds_read_b32 v196, v149 offset:164
	ds_read2_b64 v[190:193], v149 offset0:21 offset1:22
	ds_read_b64 v[194:195], v149 offset:184
	s_waitcnt vmcnt(15) lgkmcnt(3)
	v_mul_f32_e32 v116, v189, v116
	s_waitcnt vmcnt(14) lgkmcnt(2)
	v_fma_f32 v117, -v116, v196, v117
	s_waitcnt vmcnt(12) lgkmcnt(1)
	v_pk_fma_f32 v[96:97], v[116:117], v[190:191], v[96:97] op_sel_hi:[0,1,1] neg_lo:[1,0,0] neg_hi:[1,0,0]
	s_waitcnt vmcnt(10)
	v_pk_fma_f32 v[114:115], v[116:117], v[192:193], v[114:115] op_sel_hi:[0,1,1] neg_lo:[1,0,0] neg_hi:[1,0,0]
	s_waitcnt vmcnt(8) lgkmcnt(0)
	v_pk_fma_f32 v[134:135], v[116:117], v[194:195], v[134:135] op_sel_hi:[0,1,1] neg_lo:[1,0,0] neg_hi:[1,0,0]
.LBB95_224:
	s_or_b64 exec, exec, s[2:3]
	v_cmp_ne_u32_e32 vcc, 41, v145
	s_waitcnt lgkmcnt(0)
	s_barrier
	s_and_saveexec_b64 s[2:3], vcc
	s_xor_b64 s[2:3], exec, s[2:3]
	s_andn2_saveexec_b64 s[2:3], s[2:3]
	s_cbranch_execz .LBB95_228
; %bb.225:
	s_waitcnt vmcnt(14)
	ds_write_b32 v147, v117
	s_waitcnt vmcnt(10)
	ds_write2_b64 v149, v[96:97], v[114:115] offset0:21 offset1:22
	s_waitcnt vmcnt(8)
	ds_write_b64 v149, v[134:135] offset:184
	ds_read_b32 v190, v147
	s_waitcnt lgkmcnt(0)
	v_cmp_neq_f32_e32 vcc, 0, v190
	s_and_saveexec_b64 s[4:5], vcc
	s_cbranch_execz .LBB95_227
; %bb.226:
	v_div_scale_f32 v191, s[10:11], v190, v190, 1.0
	v_rcp_f32_e32 v192, v191
	v_div_scale_f32 v193, vcc, 1.0, v190, 1.0
	v_fma_f32 v194, -v191, v192, 1.0
	v_fmac_f32_e32 v192, v194, v192
	v_mul_f32_e32 v194, v193, v192
	v_fma_f32 v195, -v191, v194, v193
	v_fmac_f32_e32 v194, v195, v192
	v_fma_f32 v191, -v191, v194, v193
	v_div_fmas_f32 v191, v191, v192, v194
	v_div_fixup_f32 v190, v191, v190, 1.0
	ds_write_b32 v147, v190
.LBB95_227:
	s_or_b64 exec, exec, s[4:5]
.LBB95_228:
	s_or_b64 exec, exec, s[2:3]
	s_waitcnt lgkmcnt(0)
	s_barrier
	ds_read_b32 v190, v147
	v_cmp_lt_u32_e32 vcc, 41, v145
	s_and_saveexec_b64 s[2:3], vcc
	s_cbranch_execz .LBB95_230
; %bb.229:
	ds_read2_b64 v[192:195], v149 offset0:21 offset1:22
	ds_read_b64 v[196:197], v149 offset:184
	s_waitcnt vmcnt(14) lgkmcnt(2)
	v_mul_f32_e32 v198, v190, v117
	v_mov_b32_e32 v117, v198
	s_waitcnt vmcnt(12) lgkmcnt(1)
	v_pk_fma_f32 v[96:97], v[198:199], v[192:193], v[96:97] op_sel_hi:[0,1,1] neg_lo:[1,0,0] neg_hi:[1,0,0]
	s_waitcnt vmcnt(10)
	v_pk_fma_f32 v[114:115], v[198:199], v[194:195], v[114:115] op_sel_hi:[0,1,1] neg_lo:[1,0,0] neg_hi:[1,0,0]
	s_waitcnt vmcnt(8) lgkmcnt(0)
	v_pk_fma_f32 v[134:135], v[198:199], v[196:197], v[134:135] op_sel_hi:[0,1,1] neg_lo:[1,0,0] neg_hi:[1,0,0]
.LBB95_230:
	s_or_b64 exec, exec, s[2:3]
	v_cmp_eq_u32_e32 vcc, 42, v145
	s_waitcnt lgkmcnt(0)
	s_barrier
	s_and_saveexec_b64 s[2:3], vcc
	s_cbranch_execz .LBB95_233
; %bb.231:
	s_waitcnt vmcnt(10)
	v_pk_mov_b32 v[192:193], v[96:97], v[114:115] op_sel:[1,0]
	ds_write_b32 v147, v96
	ds_write2_b32 v149, v192, v193 offset0:43 offset1:44
	s_waitcnt vmcnt(8)
	v_pk_mov_b32 v[192:193], v[114:115], v[134:135] op_sel:[1,0]
	ds_write2_b32 v149, v192, v193 offset0:45 offset1:46
	ds_write_b32 v149, v135 offset:188
	ds_read_b32 v191, v147
	s_waitcnt lgkmcnt(0)
	v_cmp_neq_f32_e32 vcc, 0, v191
	s_and_b64 exec, exec, vcc
	s_cbranch_execz .LBB95_233
; %bb.232:
	v_div_scale_f32 v192, s[4:5], v191, v191, 1.0
	v_rcp_f32_e32 v193, v192
	v_div_scale_f32 v194, vcc, 1.0, v191, 1.0
	v_fma_f32 v195, -v192, v193, 1.0
	v_fmac_f32_e32 v193, v195, v193
	v_mul_f32_e32 v195, v194, v193
	v_fma_f32 v196, -v192, v195, v194
	v_fmac_f32_e32 v195, v196, v193
	v_fma_f32 v192, -v192, v195, v194
	v_div_fmas_f32 v192, v192, v193, v195
	v_div_fixup_f32 v191, v192, v191, 1.0
	ds_write_b32 v147, v191
.LBB95_233:
	s_or_b64 exec, exec, s[2:3]
	s_waitcnt lgkmcnt(0)
	s_barrier
	ds_read_b32 v191, v147
	v_cmp_lt_u32_e32 vcc, 42, v145
	s_and_saveexec_b64 s[2:3], vcc
	s_cbranch_execz .LBB95_235
; %bb.234:
	ds_read_b32 v196, v149 offset:172
	ds_read2_b64 v[192:195], v149 offset0:22 offset1:23
	s_waitcnt vmcnt(13) lgkmcnt(2)
	v_mul_f32_e32 v96, v191, v96
	s_waitcnt vmcnt(12) lgkmcnt(1)
	v_fma_f32 v97, -v96, v196, v97
	s_waitcnt vmcnt(10) lgkmcnt(0)
	v_pk_fma_f32 v[114:115], v[96:97], v[192:193], v[114:115] op_sel_hi:[0,1,1] neg_lo:[1,0,0] neg_hi:[1,0,0]
	s_waitcnt vmcnt(8)
	v_pk_fma_f32 v[134:135], v[96:97], v[194:195], v[134:135] op_sel_hi:[0,1,1] neg_lo:[1,0,0] neg_hi:[1,0,0]
.LBB95_235:
	s_or_b64 exec, exec, s[2:3]
	v_cmp_ne_u32_e32 vcc, 43, v145
	s_waitcnt lgkmcnt(0)
	s_barrier
	s_and_saveexec_b64 s[2:3], vcc
	s_xor_b64 s[2:3], exec, s[2:3]
	s_andn2_saveexec_b64 s[2:3], s[2:3]
	s_cbranch_execz .LBB95_239
; %bb.236:
	s_waitcnt vmcnt(11)
	v_mov_b32_e32 v192, v114
	s_waitcnt vmcnt(10)
	v_mov_b32_e32 v193, v115
	ds_write_b32 v147, v97
	s_waitcnt vmcnt(8)
	ds_write2_b64 v149, v[192:193], v[134:135] offset0:22 offset1:23
	ds_read_b32 v192, v147
	s_waitcnt lgkmcnt(0)
	v_cmp_neq_f32_e32 vcc, 0, v192
	s_and_saveexec_b64 s[4:5], vcc
	s_cbranch_execz .LBB95_238
; %bb.237:
	v_div_scale_f32 v193, s[10:11], v192, v192, 1.0
	v_rcp_f32_e32 v194, v193
	v_div_scale_f32 v195, vcc, 1.0, v192, 1.0
	v_fma_f32 v196, -v193, v194, 1.0
	v_fmac_f32_e32 v194, v196, v194
	v_mul_f32_e32 v196, v195, v194
	v_fma_f32 v197, -v193, v196, v195
	v_fmac_f32_e32 v196, v197, v194
	v_fma_f32 v193, -v193, v196, v195
	v_div_fmas_f32 v193, v193, v194, v196
	v_div_fixup_f32 v192, v193, v192, 1.0
	ds_write_b32 v147, v192
.LBB95_238:
	s_or_b64 exec, exec, s[4:5]
.LBB95_239:
	s_or_b64 exec, exec, s[2:3]
	s_waitcnt lgkmcnt(0)
	s_barrier
	ds_read_b32 v192, v147
	v_cmp_lt_u32_e32 vcc, 43, v145
	s_and_saveexec_b64 s[2:3], vcc
	s_cbranch_execz .LBB95_241
; %bb.240:
	ds_read2_b64 v[194:197], v149 offset0:22 offset1:23
	s_waitcnt vmcnt(12) lgkmcnt(1)
	v_mul_f32_e32 v198, v192, v97
	v_mov_b32_e32 v97, v198
	s_waitcnt vmcnt(10) lgkmcnt(0)
	v_pk_fma_f32 v[114:115], v[198:199], v[194:195], v[114:115] op_sel_hi:[0,1,1] neg_lo:[1,0,0] neg_hi:[1,0,0]
	s_waitcnt vmcnt(8)
	v_pk_fma_f32 v[134:135], v[198:199], v[196:197], v[134:135] op_sel_hi:[0,1,1] neg_lo:[1,0,0] neg_hi:[1,0,0]
.LBB95_241:
	s_or_b64 exec, exec, s[2:3]
	v_cmp_eq_u32_e32 vcc, 44, v145
	s_waitcnt lgkmcnt(0)
	s_barrier
	s_and_saveexec_b64 s[2:3], vcc
	s_cbranch_execz .LBB95_244
; %bb.242:
	s_waitcnt vmcnt(8)
	v_pk_mov_b32 v[194:195], v[114:115], v[134:135] op_sel:[1,0]
	ds_write_b32 v147, v114
	ds_write2_b32 v149, v194, v195 offset0:45 offset1:46
	ds_write_b32 v149, v135 offset:188
	ds_read_b32 v193, v147
	s_waitcnt lgkmcnt(0)
	v_cmp_neq_f32_e32 vcc, 0, v193
	s_and_b64 exec, exec, vcc
	s_cbranch_execz .LBB95_244
; %bb.243:
	v_div_scale_f32 v194, s[4:5], v193, v193, 1.0
	v_rcp_f32_e32 v195, v194
	v_div_scale_f32 v196, vcc, 1.0, v193, 1.0
	v_fma_f32 v197, -v194, v195, 1.0
	v_fmac_f32_e32 v195, v197, v195
	v_mul_f32_e32 v197, v196, v195
	v_fma_f32 v198, -v194, v197, v196
	v_fmac_f32_e32 v197, v198, v195
	v_fma_f32 v194, -v194, v197, v196
	v_div_fmas_f32 v194, v194, v195, v197
	v_div_fixup_f32 v193, v194, v193, 1.0
	ds_write_b32 v147, v193
.LBB95_244:
	s_or_b64 exec, exec, s[2:3]
	s_waitcnt lgkmcnt(0)
	s_barrier
	ds_read_b32 v193, v147
	v_cmp_lt_u32_e32 vcc, 44, v145
	s_and_saveexec_b64 s[2:3], vcc
	s_cbranch_execz .LBB95_246
; %bb.245:
	ds_read_b32 v196, v149 offset:180
	ds_read_b64 v[194:195], v149 offset:184
	s_waitcnt vmcnt(11) lgkmcnt(2)
	v_mul_f32_e32 v114, v193, v114
	s_waitcnt vmcnt(10) lgkmcnt(1)
	v_fma_f32 v115, -v114, v196, v115
	s_waitcnt vmcnt(8) lgkmcnt(0)
	v_pk_fma_f32 v[134:135], v[114:115], v[194:195], v[134:135] op_sel_hi:[0,1,1] neg_lo:[1,0,0] neg_hi:[1,0,0]
.LBB95_246:
	s_or_b64 exec, exec, s[2:3]
	v_cmp_ne_u32_e32 vcc, 45, v145
	s_waitcnt lgkmcnt(0)
	s_barrier
	s_and_saveexec_b64 s[2:3], vcc
	s_xor_b64 s[2:3], exec, s[2:3]
	s_andn2_saveexec_b64 s[2:3], s[2:3]
	s_cbranch_execz .LBB95_250
; %bb.247:
	s_waitcnt vmcnt(10)
	ds_write_b32 v147, v115
	s_waitcnt vmcnt(8)
	ds_write_b64 v149, v[134:135] offset:184
	ds_read_b32 v194, v147
	s_waitcnt lgkmcnt(0)
	v_cmp_neq_f32_e32 vcc, 0, v194
	s_and_saveexec_b64 s[4:5], vcc
	s_cbranch_execz .LBB95_249
; %bb.248:
	v_div_scale_f32 v195, s[10:11], v194, v194, 1.0
	v_rcp_f32_e32 v196, v195
	v_div_scale_f32 v197, vcc, 1.0, v194, 1.0
	v_fma_f32 v198, -v195, v196, 1.0
	v_fmac_f32_e32 v196, v198, v196
	v_mul_f32_e32 v198, v197, v196
	v_fma_f32 v199, -v195, v198, v197
	v_fmac_f32_e32 v198, v199, v196
	v_fma_f32 v195, -v195, v198, v197
	v_div_fmas_f32 v195, v195, v196, v198
	v_div_fixup_f32 v194, v195, v194, 1.0
	ds_write_b32 v147, v194
.LBB95_249:
	s_or_b64 exec, exec, s[4:5]
.LBB95_250:
	s_or_b64 exec, exec, s[2:3]
	s_waitcnt lgkmcnt(0)
	s_barrier
	ds_read_b32 v194, v147
	v_cmp_lt_u32_e32 vcc, 45, v145
	s_and_saveexec_b64 s[2:3], vcc
	s_cbranch_execz .LBB95_252
; %bb.251:
	ds_read_b64 v[196:197], v149 offset:184
	s_waitcnt vmcnt(10) lgkmcnt(1)
	v_mul_f32_e32 v198, v194, v115
	v_mov_b32_e32 v115, v198
	s_waitcnt vmcnt(8) lgkmcnt(0)
	v_pk_fma_f32 v[134:135], v[198:199], v[196:197], v[134:135] op_sel_hi:[0,1,1] neg_lo:[1,0,0] neg_hi:[1,0,0]
.LBB95_252:
	s_or_b64 exec, exec, s[2:3]
	v_cmp_eq_u32_e32 vcc, 46, v145
	s_waitcnt lgkmcnt(0)
	s_barrier
	s_and_saveexec_b64 s[2:3], vcc
	s_cbranch_execz .LBB95_255
; %bb.253:
	s_waitcnt vmcnt(9)
	ds_write_b32 v147, v134
	s_waitcnt vmcnt(8)
	ds_write_b32 v149, v135 offset:188
	ds_read_b32 v195, v147
	s_waitcnt lgkmcnt(0)
	v_cmp_neq_f32_e32 vcc, 0, v195
	s_and_b64 exec, exec, vcc
	s_cbranch_execz .LBB95_255
; %bb.254:
	v_div_scale_f32 v196, s[4:5], v195, v195, 1.0
	v_rcp_f32_e32 v197, v196
	v_div_scale_f32 v198, vcc, 1.0, v195, 1.0
	v_fma_f32 v199, -v196, v197, 1.0
	v_fmac_f32_e32 v197, v199, v197
	v_mul_f32_e32 v199, v198, v197
	v_fma_f32 v200, -v196, v199, v198
	v_fmac_f32_e32 v199, v200, v197
	v_fma_f32 v196, -v196, v199, v198
	v_div_fmas_f32 v196, v196, v197, v199
	v_div_fixup_f32 v195, v196, v195, 1.0
	ds_write_b32 v147, v195
.LBB95_255:
	s_or_b64 exec, exec, s[2:3]
	s_waitcnt lgkmcnt(0)
	s_barrier
	ds_read_b32 v195, v147
	v_cmp_lt_u32_e32 vcc, 46, v145
	s_and_saveexec_b64 s[2:3], vcc
	s_cbranch_execz .LBB95_257
; %bb.256:
	ds_read_b32 v149, v149 offset:188
	s_waitcnt vmcnt(9) lgkmcnt(1)
	v_mul_f32_e32 v134, v195, v134
	s_waitcnt vmcnt(8) lgkmcnt(0)
	v_fma_f32 v135, -v134, v149, v135
.LBB95_257:
	s_or_b64 exec, exec, s[2:3]
	v_cmp_ne_u32_e32 vcc, 47, v145
	s_waitcnt lgkmcnt(0)
	s_barrier
	s_and_saveexec_b64 s[2:3], vcc
	s_xor_b64 s[2:3], exec, s[2:3]
	s_andn2_saveexec_b64 s[2:3], s[2:3]
	s_cbranch_execz .LBB95_261
; %bb.258:
	s_waitcnt vmcnt(8)
	v_cmp_neq_f32_e32 vcc, 0, v135
	ds_write_b32 v147, v135
	s_and_saveexec_b64 s[4:5], vcc
	s_cbranch_execz .LBB95_260
; %bb.259:
	v_div_scale_f32 v149, s[10:11], v135, v135, 1.0
	v_rcp_f32_e32 v196, v149
	v_div_scale_f32 v197, vcc, 1.0, v135, 1.0
	v_fma_f32 v198, -v149, v196, 1.0
	v_fmac_f32_e32 v196, v198, v196
	v_mul_f32_e32 v198, v197, v196
	v_fma_f32 v199, -v149, v198, v197
	v_fmac_f32_e32 v198, v199, v196
	v_fma_f32 v149, -v149, v198, v197
	v_div_fmas_f32 v149, v149, v196, v198
	v_div_fixup_f32 v149, v149, v135, 1.0
	ds_write_b32 v147, v149
.LBB95_260:
	s_or_b64 exec, exec, s[4:5]
.LBB95_261:
	s_or_b64 exec, exec, s[2:3]
	s_waitcnt lgkmcnt(0)
	s_barrier
	ds_read_b32 v147, v147
	s_waitcnt lgkmcnt(0)
	s_barrier
	s_and_saveexec_b64 s[2:3], s[0:1]
	s_cbranch_execz .LBB95_264
; %bb.262:
	v_cmp_eq_f32_e32 vcc, 0, v148
	v_cmp_neq_f32_e64 s[0:1], 0, v150
	v_mov_b32_e32 v149, s7
	v_cndmask_b32_e64 v148, 0, 1, vcc
	s_or_b64 vcc, s[0:1], vcc
	v_cndmask_b32_e32 v148, 2, v148, vcc
	v_cmp_eq_f32_e32 vcc, 0, v151
	v_cmp_eq_u32_e64 s[0:1], 0, v148
	s_and_b64 s[0:1], vcc, s[0:1]
	v_cmp_eq_f32_e32 vcc, 0, v152
	v_cndmask_b32_e64 v148, v148, 3, s[0:1]
	v_cmp_eq_u32_e64 s[0:1], 0, v148
	s_and_b64 s[0:1], vcc, s[0:1]
	v_cmp_eq_f32_e32 vcc, 0, v153
	v_cndmask_b32_e64 v148, v148, 4, s[0:1]
	;; [unrolled: 4-line block ×26, first 2 shown]
	v_mov_b32_e32 v148, s6
	v_lshl_add_u64 v[24:25], v[24:25], 2, v[148:149]
	global_load_dword v149, v[24:25], off
	v_cmp_eq_u32_e64 s[0:1], 0, v150
	s_and_b64 s[0:1], vcc, s[0:1]
	v_cmp_eq_f32_e32 vcc, 0, v178
	v_cndmask_b32_e64 v148, v150, 29, s[0:1]
	v_cmp_eq_u32_e64 s[0:1], 0, v148
	s_and_b64 s[0:1], vcc, s[0:1]
	v_cmp_eq_f32_e32 vcc, 0, v179
	v_cndmask_b32_e64 v148, v148, 30, s[0:1]
	;; [unrolled: 4-line block ×19, first 2 shown]
	v_cmp_eq_u32_e64 s[0:1], 0, v148
	s_and_b64 s[0:1], vcc, s[0:1]
	s_waitcnt vmcnt(0)
	v_cmp_eq_u32_e32 vcc, 0, v149
	v_cndmask_b32_e64 v148, v148, 48, s[0:1]
	v_cmp_ne_u32_e64 s[0:1], 0, v148
	s_and_b64 s[0:1], vcc, s[0:1]
	s_and_b64 exec, exec, s[0:1]
	s_cbranch_execz .LBB95_264
; %bb.263:
	v_add_u32_e32 v148, s9, v148
	global_store_dword v[24:25], v148, off
.LBB95_264:
	s_or_b64 exec, exec, s[2:3]
	s_waitcnt vmcnt(8)
	v_mul_f32_e32 v24, v147, v135
	v_cmp_lt_u32_e32 vcc, 47, v145
	s_nop 1
	v_cndmask_b32_e32 v24, v135, v24, vcc
	s_waitcnt vmcnt(1)
	global_store_dword v[0:1], v144, off
	s_waitcnt vmcnt(1)
	global_store_dword v[142:143], v146, off
	global_store_dword v[2:3], v138, off
	;; [unrolled: 1-line block ×47, first 2 shown]
.LBB95_265:
	s_endpgm
	.section	.rodata,"a",@progbits
	.p2align	6, 0x0
	.amdhsa_kernel _ZN9rocsolver6v33100L23getf2_npvt_small_kernelILi48EfiiPfEEvT1_T3_lS3_lPT2_S3_S3_
		.amdhsa_group_segment_fixed_size 0
		.amdhsa_private_segment_fixed_size 0
		.amdhsa_kernarg_size 312
		.amdhsa_user_sgpr_count 2
		.amdhsa_user_sgpr_dispatch_ptr 0
		.amdhsa_user_sgpr_queue_ptr 0
		.amdhsa_user_sgpr_kernarg_segment_ptr 1
		.amdhsa_user_sgpr_dispatch_id 0
		.amdhsa_user_sgpr_kernarg_preload_length 0
		.amdhsa_user_sgpr_kernarg_preload_offset 0
		.amdhsa_user_sgpr_private_segment_size 0
		.amdhsa_uses_dynamic_stack 0
		.amdhsa_enable_private_segment 0
		.amdhsa_system_sgpr_workgroup_id_x 1
		.amdhsa_system_sgpr_workgroup_id_y 1
		.amdhsa_system_sgpr_workgroup_id_z 0
		.amdhsa_system_sgpr_workgroup_info 0
		.amdhsa_system_vgpr_workitem_id 1
		.amdhsa_next_free_vgpr 201
		.amdhsa_next_free_sgpr 16
		.amdhsa_accum_offset 204
		.amdhsa_reserve_vcc 1
		.amdhsa_float_round_mode_32 0
		.amdhsa_float_round_mode_16_64 0
		.amdhsa_float_denorm_mode_32 3
		.amdhsa_float_denorm_mode_16_64 3
		.amdhsa_dx10_clamp 1
		.amdhsa_ieee_mode 1
		.amdhsa_fp16_overflow 0
		.amdhsa_tg_split 0
		.amdhsa_exception_fp_ieee_invalid_op 0
		.amdhsa_exception_fp_denorm_src 0
		.amdhsa_exception_fp_ieee_div_zero 0
		.amdhsa_exception_fp_ieee_overflow 0
		.amdhsa_exception_fp_ieee_underflow 0
		.amdhsa_exception_fp_ieee_inexact 0
		.amdhsa_exception_int_div_zero 0
	.end_amdhsa_kernel
	.section	.text._ZN9rocsolver6v33100L23getf2_npvt_small_kernelILi48EfiiPfEEvT1_T3_lS3_lPT2_S3_S3_,"axG",@progbits,_ZN9rocsolver6v33100L23getf2_npvt_small_kernelILi48EfiiPfEEvT1_T3_lS3_lPT2_S3_S3_,comdat
.Lfunc_end95:
	.size	_ZN9rocsolver6v33100L23getf2_npvt_small_kernelILi48EfiiPfEEvT1_T3_lS3_lPT2_S3_S3_, .Lfunc_end95-_ZN9rocsolver6v33100L23getf2_npvt_small_kernelILi48EfiiPfEEvT1_T3_lS3_lPT2_S3_S3_
                                        ; -- End function
	.set _ZN9rocsolver6v33100L23getf2_npvt_small_kernelILi48EfiiPfEEvT1_T3_lS3_lPT2_S3_S3_.num_vgpr, 201
	.set _ZN9rocsolver6v33100L23getf2_npvt_small_kernelILi48EfiiPfEEvT1_T3_lS3_lPT2_S3_S3_.num_agpr, 0
	.set _ZN9rocsolver6v33100L23getf2_npvt_small_kernelILi48EfiiPfEEvT1_T3_lS3_lPT2_S3_S3_.numbered_sgpr, 16
	.set _ZN9rocsolver6v33100L23getf2_npvt_small_kernelILi48EfiiPfEEvT1_T3_lS3_lPT2_S3_S3_.num_named_barrier, 0
	.set _ZN9rocsolver6v33100L23getf2_npvt_small_kernelILi48EfiiPfEEvT1_T3_lS3_lPT2_S3_S3_.private_seg_size, 0
	.set _ZN9rocsolver6v33100L23getf2_npvt_small_kernelILi48EfiiPfEEvT1_T3_lS3_lPT2_S3_S3_.uses_vcc, 1
	.set _ZN9rocsolver6v33100L23getf2_npvt_small_kernelILi48EfiiPfEEvT1_T3_lS3_lPT2_S3_S3_.uses_flat_scratch, 0
	.set _ZN9rocsolver6v33100L23getf2_npvt_small_kernelILi48EfiiPfEEvT1_T3_lS3_lPT2_S3_S3_.has_dyn_sized_stack, 0
	.set _ZN9rocsolver6v33100L23getf2_npvt_small_kernelILi48EfiiPfEEvT1_T3_lS3_lPT2_S3_S3_.has_recursion, 0
	.set _ZN9rocsolver6v33100L23getf2_npvt_small_kernelILi48EfiiPfEEvT1_T3_lS3_lPT2_S3_S3_.has_indirect_call, 0
	.section	.AMDGPU.csdata,"",@progbits
; Kernel info:
; codeLenInByte = 29136
; TotalNumSgprs: 22
; NumVgprs: 201
; NumAgprs: 0
; TotalNumVgprs: 201
; ScratchSize: 0
; MemoryBound: 0
; FloatMode: 240
; IeeeMode: 1
; LDSByteSize: 0 bytes/workgroup (compile time only)
; SGPRBlocks: 2
; VGPRBlocks: 25
; NumSGPRsForWavesPerEU: 22
; NumVGPRsForWavesPerEU: 201
; AccumOffset: 204
; Occupancy: 2
; WaveLimiterHint : 0
; COMPUTE_PGM_RSRC2:SCRATCH_EN: 0
; COMPUTE_PGM_RSRC2:USER_SGPR: 2
; COMPUTE_PGM_RSRC2:TRAP_HANDLER: 0
; COMPUTE_PGM_RSRC2:TGID_X_EN: 1
; COMPUTE_PGM_RSRC2:TGID_Y_EN: 1
; COMPUTE_PGM_RSRC2:TGID_Z_EN: 0
; COMPUTE_PGM_RSRC2:TIDIG_COMP_CNT: 1
; COMPUTE_PGM_RSRC3_GFX90A:ACCUM_OFFSET: 50
; COMPUTE_PGM_RSRC3_GFX90A:TG_SPLIT: 0
	.section	.text._ZN9rocsolver6v33100L18getf2_small_kernelILi49EfiiPfEEvT1_T3_lS3_lPS3_llPT2_S3_S3_S5_l,"axG",@progbits,_ZN9rocsolver6v33100L18getf2_small_kernelILi49EfiiPfEEvT1_T3_lS3_lPS3_llPT2_S3_S3_S5_l,comdat
	.globl	_ZN9rocsolver6v33100L18getf2_small_kernelILi49EfiiPfEEvT1_T3_lS3_lPS3_llPT2_S3_S3_S5_l ; -- Begin function _ZN9rocsolver6v33100L18getf2_small_kernelILi49EfiiPfEEvT1_T3_lS3_lPS3_llPT2_S3_S3_S5_l
	.p2align	8
	.type	_ZN9rocsolver6v33100L18getf2_small_kernelILi49EfiiPfEEvT1_T3_lS3_lPS3_llPT2_S3_S3_S5_l,@function
_ZN9rocsolver6v33100L18getf2_small_kernelILi49EfiiPfEEvT1_T3_lS3_lPS3_llPT2_S3_S3_S5_l: ; @_ZN9rocsolver6v33100L18getf2_small_kernelILi49EfiiPfEEvT1_T3_lS3_lPS3_llPT2_S3_S3_S5_l
; %bb.0:
	s_load_dword s2, s[0:1], 0x6c
	s_load_dwordx2 s[18:19], s[0:1], 0x48
	v_bfe_u32 v55, v0, 10, 10
	s_waitcnt lgkmcnt(0)
	s_lshr_b32 s2, s2, 16
	s_mul_i32 s3, s3, s2
	v_add_u32_e32 v2, s3, v55
	v_cmp_gt_i32_e32 vcc, s18, v2
	s_and_saveexec_b64 s[2:3], vcc
	s_cbranch_execz .LBB96_830
; %bb.1:
	s_load_dwordx4 s[4:7], s[0:1], 0x50
	v_ashrrev_i32_e32 v3, 31, v2
	v_mov_b64_e32 v[4:5], 0
	s_waitcnt lgkmcnt(0)
	s_cmp_eq_u64 s[4:5], 0
	s_cselect_b64 s[20:21], -1, 0
	s_and_b64 vcc, exec, s[20:21]
	s_cbranch_vccnz .LBB96_3
; %bb.2:
	v_mul_lo_u32 v1, s7, v2
	v_mul_lo_u32 v6, s6, v3
	v_mad_u64_u32 v[4:5], s[2:3], s6, v2, 0
	v_add3_u32 v5, v5, v6, v1
	v_lshl_add_u64 v[4:5], v[4:5], 2, s[4:5]
.LBB96_3:
	s_load_dwordx4 s[12:15], s[0:1], 0x8
	s_load_dwordx8 s[4:11], s[0:1], 0x20
	s_load_dword s16, s[0:1], 0x18
	s_load_dword s22, s[0:1], 0x0
	v_and_b32_e32 v60, 0x3ff, v0
	s_waitcnt lgkmcnt(0)
	v_mov_b32_e32 v6, s12
	v_mul_lo_u32 v1, s5, v2
	v_mul_lo_u32 v10, s4, v3
	v_mad_u64_u32 v[8:9], s[2:3], s4, v2, 0
	v_mov_b32_e32 v7, s13
	v_add3_u32 v9, v9, v10, v1
	s_add_i32 s18, s16, s16
	v_lshl_add_u64 v[6:7], v[8:9], 2, v[6:7]
	v_add_u32_e32 v10, s18, v60
	v_lshl_add_u64 v[6:7], s[14:15], 2, v[6:7]
	v_ashrrev_i32_e32 v11, 31, v10
	v_lshl_add_u64 v[12:13], v[10:11], 2, v[6:7]
	v_add_u32_e32 v10, s16, v10
	v_ashrrev_i32_e32 v11, 31, v10
	v_lshl_add_u64 v[14:15], v[10:11], 2, v[6:7]
	v_add_u32_e32 v10, s16, v10
	;; [unrolled: 3-line block ×4, first 2 shown]
	v_ashrrev_i32_e32 v11, 31, v10
	v_lshlrev_b32_e32 v56, 2, v60
	v_mov_b32_e32 v57, 0
	v_lshl_add_u64 v[20:21], v[10:11], 2, v[6:7]
	v_add_u32_e32 v10, s16, v10
	v_lshl_add_u64 v[0:1], v[6:7], 0, v[56:57]
	s_ashr_i32 s17, s16, 31
	v_ashrrev_i32_e32 v11, 31, v10
	v_lshl_add_u64 v[8:9], s[16:17], 2, v[0:1]
	v_lshl_add_u64 v[22:23], v[10:11], 2, v[6:7]
	global_load_dword v54, v[0:1], off
	global_load_dword v52, v[8:9], off
	;; [unrolled: 1-line block ×8, first 2 shown]
	v_add_u32_e32 v0, s16, v10
	v_ashrrev_i32_e32 v1, 31, v0
	v_lshl_add_u64 v[8:9], v[0:1], 2, v[6:7]
	v_add_u32_e32 v0, s16, v0
	v_ashrrev_i32_e32 v1, 31, v0
	v_lshl_add_u64 v[10:11], v[0:1], 2, v[6:7]
	v_add_u32_e32 v0, s16, v0
	v_ashrrev_i32_e32 v1, 31, v0
	v_lshl_add_u64 v[12:13], v[0:1], 2, v[6:7]
	v_add_u32_e32 v0, s16, v0
	v_ashrrev_i32_e32 v1, 31, v0
	v_lshl_add_u64 v[14:15], v[0:1], 2, v[6:7]
	v_add_u32_e32 v0, s16, v0
	v_ashrrev_i32_e32 v1, 31, v0
	v_lshl_add_u64 v[16:17], v[0:1], 2, v[6:7]
	v_add_u32_e32 v0, s16, v0
	v_ashrrev_i32_e32 v1, 31, v0
	v_lshl_add_u64 v[18:19], v[0:1], 2, v[6:7]
	v_add_u32_e32 v0, s16, v0
	v_ashrrev_i32_e32 v1, 31, v0
	v_lshl_add_u64 v[20:21], v[0:1], 2, v[6:7]
	v_add_u32_e32 v0, s16, v0
	v_ashrrev_i32_e32 v1, 31, v0
	v_lshl_add_u64 v[22:23], v[0:1], 2, v[6:7]
	v_add_u32_e32 v0, s16, v0
	v_ashrrev_i32_e32 v1, 31, v0
	global_load_dword v35, v[8:9], off
	global_load_dword v50, v[10:11], off
	;; [unrolled: 1-line block ×8, first 2 shown]
	v_lshl_add_u64 v[8:9], v[0:1], 2, v[6:7]
	v_add_u32_e32 v0, s16, v0
	v_ashrrev_i32_e32 v1, 31, v0
	v_lshl_add_u64 v[10:11], v[0:1], 2, v[6:7]
	v_add_u32_e32 v0, s16, v0
	v_ashrrev_i32_e32 v1, 31, v0
	;; [unrolled: 3-line block ×8, first 2 shown]
	global_load_dword v27, v[8:9], off
	global_load_dword v46, v[10:11], off
	;; [unrolled: 1-line block ×8, first 2 shown]
	v_lshl_add_u64 v[8:9], v[0:1], 2, v[6:7]
	v_add_u32_e32 v0, s16, v0
	v_ashrrev_i32_e32 v1, 31, v0
	v_lshl_add_u64 v[10:11], v[0:1], 2, v[6:7]
	v_add_u32_e32 v0, s16, v0
	v_ashrrev_i32_e32 v1, 31, v0
	;; [unrolled: 3-line block ×8, first 2 shown]
	global_load_dword v19, v[8:9], off
	global_load_dword v40, v[10:11], off
	;; [unrolled: 1-line block ×8, first 2 shown]
	v_lshl_add_u64 v[8:9], v[0:1], 2, v[6:7]
	v_add_u32_e32 v0, s16, v0
	v_ashrrev_i32_e32 v1, 31, v0
	v_lshl_add_u64 v[10:11], v[0:1], 2, v[6:7]
	v_add_u32_e32 v0, s16, v0
	v_ashrrev_i32_e32 v1, 31, v0
	;; [unrolled: 3-line block ×5, first 2 shown]
	v_lshl_add_u64 v[62:63], v[0:1], 2, v[6:7]
	v_add_u32_e32 v0, s16, v0
	v_add_u32_e32 v66, s16, v0
	v_ashrrev_i32_e32 v1, 31, v0
	v_ashrrev_i32_e32 v67, 31, v66
	v_lshl_add_u64 v[64:65], v[0:1], 2, v[6:7]
	v_lshl_add_u64 v[68:69], v[66:67], 2, v[6:7]
	global_load_dword v13, v[8:9], off
	global_load_dword v32, v[10:11], off
	global_load_dword v33, v[16:17], off
	global_load_dword v22, v[24:25], off
	global_load_dword v23, v[58:59], off
	global_load_dword v14, v[62:63], off
	global_load_dword v15, v[64:65], off
	global_load_dword v0, v[68:69], off
	v_add_u32_e32 v8, s16, v66
	v_ashrrev_i32_e32 v9, 31, v8
	v_lshl_add_u64 v[10:11], v[8:9], 2, v[6:7]
	v_add_u32_e32 v8, s16, v8
	v_ashrrev_i32_e32 v9, 31, v8
	v_lshl_add_u64 v[58:59], v[8:9], 2, v[6:7]
	;; [unrolled: 3-line block ×6, first 2 shown]
	v_add_u32_e32 v8, s16, v8
	v_add_u32_e32 v72, s16, v8
	v_ashrrev_i32_e32 v9, 31, v8
	v_ashrrev_i32_e32 v73, 31, v72
	v_lshl_add_u64 v[70:71], v[8:9], 2, v[6:7]
	v_lshl_add_u64 v[74:75], v[72:73], 2, v[6:7]
	global_load_dword v1, v[10:11], off
	global_load_dword v24, v[58:59], off
	;; [unrolled: 1-line block ×5, first 2 shown]
                                        ; kill: killed $vgpr10_vgpr11
                                        ; kill: killed $vgpr58_vgpr59
                                        ; kill: killed $vgpr62_vgpr63
                                        ; kill: killed $vgpr64_vgpr65
                                        ; kill: killed $vgpr66_vgpr67
	s_nop 0
	global_load_dword v10, v[68:69], off
	global_load_dword v11, v[70:71], off
	;; [unrolled: 1-line block ×3, first 2 shown]
	v_add_u32_e32 v58, s16, v72
	v_ashrrev_i32_e32 v59, 31, v58
	v_lshl_add_u64 v[58:59], v[58:59], 2, v[6:7]
	global_load_dword v9, v[58:59], off
	s_load_dwordx2 s[4:5], s[0:1], 0x40
	s_max_i32 s0, s22, 49
	v_mul_lo_u32 v58, s0, v55
	v_lshl_add_u32 v55, v58, 2, 0
	v_add_u32_e32 v56, v55, v56
	s_waitcnt vmcnt(48)
	ds_write_b32 v56, v54
	s_waitcnt lgkmcnt(0)
	s_barrier
	ds_read_b32 v56, v55
	s_cmp_lt_i32 s22, 2
	v_lshlrev_b32_e32 v58, 2, v58
	s_cbranch_scc1 .LBB96_6
; %bb.4:
	v_add3_u32 v59, v58, 0, 4
	v_mov_b32_e32 v57, 0
	s_mov_b32 s0, 1
.LBB96_5:                               ; =>This Inner Loop Header: Depth=1
	ds_read_b32 v61, v59
	v_mov_b32_e32 v62, s0
	s_add_i32 s0, s0, 1
	v_add_u32_e32 v59, 4, v59
	s_cmp_eq_u32 s22, s0
	s_waitcnt lgkmcnt(0)
	v_cmp_lt_f32_e64 vcc, |v56|, |v61|
	s_nop 1
	v_cndmask_b32_e32 v56, v56, v61, vcc
	v_cndmask_b32_e32 v57, v57, v62, vcc
	s_cbranch_scc0 .LBB96_5
.LBB96_6:
	v_cmp_ne_u32_e32 vcc, v60, v57
                                        ; implicit-def: $vgpr59
	s_and_saveexec_b64 s[0:1], vcc
	s_xor_b64 s[0:1], exec, s[0:1]
	s_cbranch_execz .LBB96_12
; %bb.7:
	v_cmp_eq_u32_e32 vcc, 0, v60
	s_and_saveexec_b64 s[2:3], vcc
	s_cbranch_execz .LBB96_11
; %bb.8:
	v_cmp_ne_u32_e32 vcc, 0, v57
	s_xor_b64 s[12:13], s[20:21], -1
	s_and_b64 s[14:15], s[12:13], vcc
	s_and_saveexec_b64 s[12:13], s[14:15]
	s_cbranch_execz .LBB96_10
; %bb.9:
	v_ashrrev_i32_e32 v61, 31, v57
	v_mov_b32_e32 v60, v57
	v_lshl_add_u64 v[60:61], v[60:61], 2, v[4:5]
	global_load_dword v59, v[60:61], off
	global_load_dword v62, v[4:5], off
	s_waitcnt vmcnt(1)
	global_store_dword v[4:5], v59, off
	s_waitcnt vmcnt(1)
	global_store_dword v[60:61], v62, off
.LBB96_10:
	s_or_b64 exec, exec, s[12:13]
	v_mov_b32_e32 v60, v57
.LBB96_11:
	s_or_b64 exec, exec, s[2:3]
	v_mov_b32_e32 v59, v60
                                        ; implicit-def: $vgpr60
.LBB96_12:
	s_or_saveexec_b64 s[0:1], s[0:1]
	v_mov_b32_e32 v57, v59
	s_xor_b64 exec, exec, s[0:1]
	s_cbranch_execz .LBB96_14
; %bb.13:
	v_mov_b32_e32 v59, 0
	v_mov_b32_e32 v57, v60
	s_waitcnt vmcnt(46)
	ds_write2_b32 v55, v52, v53 offset0:1 offset1:2
	s_waitcnt vmcnt(44)
	ds_write2_b32 v55, v48, v49 offset0:3 offset1:4
	s_waitcnt vmcnt(42)
	ds_write2_b32 v55, v42, v43 offset0:5 offset1:6
	s_waitcnt vmcnt(40)
	ds_write2_b32 v55, v34, v35 offset0:7 offset1:8
	s_waitcnt vmcnt(38)
	ds_write2_b32 v55, v50, v51 offset0:9 offset1:10
	s_waitcnt vmcnt(36)
	ds_write2_b32 v55, v44, v45 offset0:11 offset1:12
	s_waitcnt vmcnt(34)
	ds_write2_b32 v55, v36, v37 offset0:13 offset1:14
	s_waitcnt vmcnt(32)
	ds_write2_b32 v55, v26, v27 offset0:15 offset1:16
	s_waitcnt vmcnt(30)
	ds_write2_b32 v55, v46, v47 offset0:17 offset1:18
	s_waitcnt vmcnt(28)
	ds_write2_b32 v55, v38, v39 offset0:19 offset1:20
	s_waitcnt vmcnt(26)
	ds_write2_b32 v55, v28, v29 offset0:21 offset1:22
	s_waitcnt vmcnt(24)
	ds_write2_b32 v55, v18, v19 offset0:23 offset1:24
	s_waitcnt vmcnt(22)
	ds_write2_b32 v55, v40, v41 offset0:25 offset1:26
	s_waitcnt vmcnt(20)
	ds_write2_b32 v55, v30, v31 offset0:27 offset1:28
	s_waitcnt vmcnt(18)
	ds_write2_b32 v55, v20, v21 offset0:29 offset1:30
	s_waitcnt vmcnt(16)
	ds_write2_b32 v55, v12, v13 offset0:31 offset1:32
	s_waitcnt vmcnt(14)
	ds_write2_b32 v55, v32, v33 offset0:33 offset1:34
	s_waitcnt vmcnt(12)
	ds_write2_b32 v55, v22, v23 offset0:35 offset1:36
	s_waitcnt vmcnt(10)
	ds_write2_b32 v55, v14, v15 offset0:37 offset1:38
	s_waitcnt vmcnt(8)
	ds_write2_b32 v55, v0, v1 offset0:39 offset1:40
	s_waitcnt vmcnt(6)
	ds_write2_b32 v55, v24, v25 offset0:41 offset1:42
	s_waitcnt vmcnt(4)
	ds_write2_b32 v55, v16, v17 offset0:43 offset1:44
	s_waitcnt vmcnt(2)
	ds_write2_b32 v55, v10, v11 offset0:45 offset1:46
	s_waitcnt vmcnt(0)
	ds_write2_b32 v55, v8, v9 offset0:47 offset1:48
.LBB96_14:
	s_or_b64 exec, exec, s[0:1]
	s_waitcnt lgkmcnt(0)
	v_cmp_eq_f32_e64 s[0:1], 0, v56
	v_cmp_lt_i32_e32 vcc, 0, v59
	s_barrier
	s_and_saveexec_b64 s[2:3], vcc
	s_cbranch_execz .LBB96_16
; %bb.15:
	v_div_scale_f32 v60, s[12:13], v56, v56, 1.0
	v_rcp_f32_e32 v61, v60
	v_div_scale_f32 v62, vcc, 1.0, v56, 1.0
	v_fma_f32 v63, -v60, v61, 1.0
	v_fmac_f32_e32 v61, v63, v61
	v_mul_f32_e32 v63, v62, v61
	v_fma_f32 v64, -v60, v63, v62
	v_fmac_f32_e32 v63, v64, v61
	v_fma_f32 v60, -v60, v63, v62
	v_div_fmas_f32 v60, v60, v61, v63
	v_div_fixup_f32 v60, v60, v56, 1.0
	v_cndmask_b32_e64 v56, v60, v56, s[0:1]
	ds_read2_b32 v[60:61], v55 offset0:1 offset1:2
	ds_read2_b32 v[62:63], v55 offset0:3 offset1:4
	;; [unrolled: 1-line block ×4, first 2 shown]
	v_mul_f32_e32 v54, v56, v54
	s_waitcnt vmcnt(46) lgkmcnt(3)
	v_pk_fma_f32 v[52:53], v[54:55], v[60:61], v[52:53] op_sel_hi:[0,1,1] neg_lo:[1,0,0] neg_hi:[1,0,0]
	s_waitcnt vmcnt(44) lgkmcnt(2)
	v_pk_fma_f32 v[48:49], v[54:55], v[62:63], v[48:49] op_sel_hi:[0,1,1] neg_lo:[1,0,0] neg_hi:[1,0,0]
	s_waitcnt vmcnt(42) lgkmcnt(1)
	v_pk_fma_f32 v[42:43], v[54:55], v[64:65], v[42:43] op_sel_hi:[0,1,1] neg_lo:[1,0,0] neg_hi:[1,0,0]
	ds_read2_b32 v[60:61], v55 offset0:9 offset1:10
	ds_read2_b32 v[62:63], v55 offset0:11 offset1:12
	ds_read2_b32 v[64:65], v55 offset0:13 offset1:14
	s_waitcnt vmcnt(40) lgkmcnt(3)
	v_pk_fma_f32 v[34:35], v[54:55], v[66:67], v[34:35] op_sel_hi:[0,1,1] neg_lo:[1,0,0] neg_hi:[1,0,0]
	ds_read2_b32 v[66:67], v55 offset0:15 offset1:16
	s_waitcnt vmcnt(38) lgkmcnt(3)
	v_pk_fma_f32 v[50:51], v[54:55], v[60:61], v[50:51] op_sel_hi:[0,1,1] neg_lo:[1,0,0] neg_hi:[1,0,0]
	s_waitcnt vmcnt(36) lgkmcnt(2)
	v_pk_fma_f32 v[44:45], v[54:55], v[62:63], v[44:45] op_sel_hi:[0,1,1] neg_lo:[1,0,0] neg_hi:[1,0,0]
	s_waitcnt vmcnt(34) lgkmcnt(1)
	v_pk_fma_f32 v[36:37], v[54:55], v[64:65], v[36:37] op_sel_hi:[0,1,1] neg_lo:[1,0,0] neg_hi:[1,0,0]
	ds_read2_b32 v[60:61], v55 offset0:17 offset1:18
	ds_read2_b32 v[62:63], v55 offset0:19 offset1:20
	ds_read2_b32 v[64:65], v55 offset0:21 offset1:22
	s_waitcnt vmcnt(32) lgkmcnt(3)
	v_pk_fma_f32 v[26:27], v[54:55], v[66:67], v[26:27] op_sel_hi:[0,1,1] neg_lo:[1,0,0] neg_hi:[1,0,0]
	ds_read2_b32 v[66:67], v55 offset0:23 offset1:24
	;; [unrolled: 12-line block ×4, first 2 shown]
	s_waitcnt vmcnt(14) lgkmcnt(3)
	v_pk_fma_f32 v[32:33], v[54:55], v[60:61], v[32:33] op_sel_hi:[0,1,1] neg_lo:[1,0,0] neg_hi:[1,0,0]
	s_waitcnt vmcnt(12) lgkmcnt(2)
	v_pk_fma_f32 v[22:23], v[54:55], v[62:63], v[22:23] op_sel_hi:[0,1,1] neg_lo:[1,0,0] neg_hi:[1,0,0]
	;; [unrolled: 2-line block ×3, first 2 shown]
	ds_read2_b32 v[60:61], v55 offset0:41 offset1:42
	ds_read2_b32 v[62:63], v55 offset0:43 offset1:44
	;; [unrolled: 1-line block ×4, first 2 shown]
	s_waitcnt vmcnt(8) lgkmcnt(4)
	v_pk_fma_f32 v[0:1], v[54:55], v[66:67], v[0:1] op_sel_hi:[0,1,1] neg_lo:[1,0,0] neg_hi:[1,0,0]
	s_waitcnt vmcnt(6) lgkmcnt(3)
	v_pk_fma_f32 v[24:25], v[54:55], v[60:61], v[24:25] op_sel_hi:[0,1,1] neg_lo:[1,0,0] neg_hi:[1,0,0]
	;; [unrolled: 2-line block ×5, first 2 shown]
.LBB96_16:
	s_or_b64 exec, exec, s[2:3]
	v_lshl_add_u32 v56, v59, 2, v55
	s_barrier
	s_waitcnt vmcnt(47)
	ds_write_b32 v56, v52
	s_waitcnt lgkmcnt(0)
	s_barrier
	ds_read_b32 v60, v55 offset:4
	s_mov_b32 s2, 2
	s_cmp_lt_i32 s22, 3
	v_mov_b32_e32 v56, 1
	s_cbranch_scc1 .LBB96_19
; %bb.17:
	v_add3_u32 v61, v58, 0, 8
	v_mov_b32_e32 v56, 1
.LBB96_18:                              ; =>This Inner Loop Header: Depth=1
	ds_read_b32 v62, v61
	v_mov_b32_e32 v63, s2
	s_add_i32 s2, s2, 1
	v_add_u32_e32 v61, 4, v61
	s_cmp_lg_u32 s22, s2
	s_waitcnt lgkmcnt(0)
	v_cmp_lt_f32_e64 vcc, |v60|, |v62|
	s_nop 1
	v_cndmask_b32_e32 v60, v60, v62, vcc
	v_cndmask_b32_e32 v56, v56, v63, vcc
	s_cbranch_scc1 .LBB96_18
.LBB96_19:
	v_cmp_ne_u32_e32 vcc, v59, v56
	s_and_saveexec_b64 s[2:3], vcc
	s_xor_b64 s[2:3], exec, s[2:3]
	s_cbranch_execz .LBB96_25
; %bb.20:
	v_cmp_eq_u32_e32 vcc, 1, v59
	s_and_saveexec_b64 s[12:13], vcc
	s_cbranch_execz .LBB96_24
; %bb.21:
	v_cmp_ne_u32_e32 vcc, 1, v56
	s_xor_b64 s[14:15], s[20:21], -1
	s_and_b64 s[24:25], s[14:15], vcc
	s_and_saveexec_b64 s[14:15], s[24:25]
	s_cbranch_execz .LBB96_23
; %bb.22:
	v_ashrrev_i32_e32 v57, 31, v56
	v_lshl_add_u64 v[62:63], v[56:57], 2, v[4:5]
	global_load_dword v57, v[62:63], off
	global_load_dword v59, v[4:5], off offset:4
	s_waitcnt vmcnt(1)
	global_store_dword v[4:5], v57, off offset:4
	s_waitcnt vmcnt(1)
	global_store_dword v[62:63], v59, off
.LBB96_23:
	s_or_b64 exec, exec, s[14:15]
	v_mov_b32_e32 v57, v56
	v_mov_b32_e32 v59, v56
.LBB96_24:
	s_or_b64 exec, exec, s[12:13]
.LBB96_25:
	s_andn2_saveexec_b64 s[2:3], s[2:3]
	s_cbranch_execz .LBB96_27
; %bb.26:
	s_waitcnt vmcnt(44)
	v_pk_mov_b32 v[62:63], v[52:53], v[48:49] op_sel:[1,0]
	ds_write2_b32 v55, v62, v63 offset0:2 offset1:3
	s_waitcnt vmcnt(42)
	v_pk_mov_b32 v[62:63], v[48:49], v[42:43] op_sel:[1,0]
	ds_write2_b32 v55, v62, v63 offset0:4 offset1:5
	;; [unrolled: 3-line block ×22, first 2 shown]
	s_waitcnt vmcnt(0)
	v_pk_mov_b32 v[62:63], v[10:11], v[8:9] op_sel:[1,0]
	v_mov_b32_e32 v59, 1
	ds_write2_b32 v55, v62, v63 offset0:46 offset1:47
	ds_write_b32 v55, v9 offset:192
.LBB96_27:
	s_or_b64 exec, exec, s[2:3]
	s_waitcnt lgkmcnt(0)
	v_cmp_neq_f32_e64 s[2:3], 0, v60
	v_cmp_lt_i32_e32 vcc, 1, v59
	s_barrier
	s_and_saveexec_b64 s[12:13], vcc
	s_cbranch_execz .LBB96_29
; %bb.28:
	v_div_scale_f32 v56, s[14:15], v60, v60, 1.0
	v_rcp_f32_e32 v61, v56
	v_div_scale_f32 v62, vcc, 1.0, v60, 1.0
	v_fma_f32 v63, -v56, v61, 1.0
	v_fmac_f32_e32 v61, v63, v61
	v_mul_f32_e32 v63, v62, v61
	v_fma_f32 v64, -v56, v63, v62
	v_fmac_f32_e32 v63, v64, v61
	v_fma_f32 v56, -v56, v63, v62
	v_div_fmas_f32 v56, v56, v61, v63
	v_div_fixup_f32 v56, v56, v60, 1.0
	v_cndmask_b32_e64 v56, v60, v56, s[2:3]
	ds_read_b32 v66, v55 offset:8
	ds_read2_b32 v[60:61], v55 offset0:3 offset1:4
	ds_read2_b32 v[62:63], v55 offset0:5 offset1:6
	v_mul_f32_e32 v52, v56, v52
	ds_read2_b32 v[64:65], v55 offset0:7 offset1:8
	s_waitcnt vmcnt(46) lgkmcnt(3)
	v_fma_f32 v53, -v52, v66, v53
	s_waitcnt vmcnt(44) lgkmcnt(2)
	v_pk_fma_f32 v[48:49], v[52:53], v[60:61], v[48:49] op_sel_hi:[0,1,1] neg_lo:[1,0,0] neg_hi:[1,0,0]
	s_waitcnt vmcnt(42) lgkmcnt(1)
	v_pk_fma_f32 v[42:43], v[52:53], v[62:63], v[42:43] op_sel_hi:[0,1,1] neg_lo:[1,0,0] neg_hi:[1,0,0]
	ds_read2_b32 v[60:61], v55 offset0:9 offset1:10
	ds_read2_b32 v[62:63], v55 offset0:11 offset1:12
	ds_read2_b32 v[66:67], v55 offset0:13 offset1:14
	s_waitcnt vmcnt(40) lgkmcnt(3)
	v_pk_fma_f32 v[34:35], v[52:53], v[64:65], v[34:35] op_sel_hi:[0,1,1] neg_lo:[1,0,0] neg_hi:[1,0,0]
	ds_read2_b32 v[64:65], v55 offset0:15 offset1:16
	s_waitcnt vmcnt(38) lgkmcnt(3)
	v_pk_fma_f32 v[50:51], v[52:53], v[60:61], v[50:51] op_sel_hi:[0,1,1] neg_lo:[1,0,0] neg_hi:[1,0,0]
	s_waitcnt vmcnt(36) lgkmcnt(2)
	v_pk_fma_f32 v[44:45], v[52:53], v[62:63], v[44:45] op_sel_hi:[0,1,1] neg_lo:[1,0,0] neg_hi:[1,0,0]
	s_waitcnt vmcnt(34) lgkmcnt(1)
	v_pk_fma_f32 v[36:37], v[52:53], v[66:67], v[36:37] op_sel_hi:[0,1,1] neg_lo:[1,0,0] neg_hi:[1,0,0]
	ds_read2_b32 v[60:61], v55 offset0:17 offset1:18
	ds_read2_b32 v[62:63], v55 offset0:19 offset1:20
	ds_read2_b32 v[66:67], v55 offset0:21 offset1:22
	s_waitcnt vmcnt(32) lgkmcnt(3)
	v_pk_fma_f32 v[26:27], v[52:53], v[64:65], v[26:27] op_sel_hi:[0,1,1] neg_lo:[1,0,0] neg_hi:[1,0,0]
	ds_read2_b32 v[64:65], v55 offset0:23 offset1:24
	s_waitcnt vmcnt(30) lgkmcnt(3)
	v_pk_fma_f32 v[46:47], v[52:53], v[60:61], v[46:47] op_sel_hi:[0,1,1] neg_lo:[1,0,0] neg_hi:[1,0,0]
	;; [unrolled: 12-line block ×4, first 2 shown]
	s_waitcnt vmcnt(12) lgkmcnt(2)
	v_pk_fma_f32 v[22:23], v[52:53], v[62:63], v[22:23] op_sel_hi:[0,1,1] neg_lo:[1,0,0] neg_hi:[1,0,0]
	s_waitcnt vmcnt(10) lgkmcnt(1)
	v_pk_fma_f32 v[14:15], v[52:53], v[66:67], v[14:15] op_sel_hi:[0,1,1] neg_lo:[1,0,0] neg_hi:[1,0,0]
	ds_read2_b32 v[60:61], v55 offset0:41 offset1:42
	ds_read2_b32 v[62:63], v55 offset0:43 offset1:44
	;; [unrolled: 1-line block ×4, first 2 shown]
	s_waitcnt vmcnt(8) lgkmcnt(4)
	v_pk_fma_f32 v[0:1], v[52:53], v[64:65], v[0:1] op_sel_hi:[0,1,1] neg_lo:[1,0,0] neg_hi:[1,0,0]
	s_waitcnt vmcnt(6) lgkmcnt(3)
	v_pk_fma_f32 v[24:25], v[52:53], v[60:61], v[24:25] op_sel_hi:[0,1,1] neg_lo:[1,0,0] neg_hi:[1,0,0]
	;; [unrolled: 2-line block ×5, first 2 shown]
.LBB96_29:
	s_or_b64 exec, exec, s[12:13]
	v_lshl_add_u32 v56, v59, 2, v55
	s_barrier
	s_waitcnt vmcnt(46)
	ds_write_b32 v56, v53
	s_waitcnt lgkmcnt(0)
	s_barrier
	ds_read_b32 v61, v55 offset:8
	s_cmp_lt_i32 s22, 4
	v_mov_b32_e32 v56, 2
	s_cbranch_scc1 .LBB96_32
; %bb.30:
	v_mov_b32_e32 v56, 2
	v_add3_u32 v60, v58, 0, 12
	s_mov_b32 s12, 3
.LBB96_31:                              ; =>This Inner Loop Header: Depth=1
	ds_read_b32 v62, v60
	v_mov_b32_e32 v63, s12
	s_add_i32 s12, s12, 1
	v_add_u32_e32 v60, 4, v60
	s_cmp_lg_u32 s22, s12
	s_waitcnt lgkmcnt(0)
	v_cmp_lt_f32_e64 vcc, |v61|, |v62|
	s_nop 1
	v_cndmask_b32_e32 v61, v61, v62, vcc
	v_cndmask_b32_e32 v56, v56, v63, vcc
	s_cbranch_scc1 .LBB96_31
.LBB96_32:
	v_cndmask_b32_e64 v60, 2, 1, s[0:1]
	v_cndmask_b32_e64 v62, 0, 1, s[0:1]
	;; [unrolled: 1-line block ×3, first 2 shown]
	s_waitcnt lgkmcnt(0)
	v_cmp_eq_f32_e32 vcc, 0, v61
	s_and_saveexec_b64 s[0:1], vcc
	s_xor_b64 s[0:1], exec, s[0:1]
; %bb.33:
	v_cmp_ne_u32_e32 vcc, 0, v60
	s_nop 1
	v_cndmask_b32_e32 v60, 3, v60, vcc
; %bb.34:
	s_andn2_saveexec_b64 s[0:1], s[0:1]
	s_cbranch_execz .LBB96_36
; %bb.35:
	v_div_scale_f32 v62, s[2:3], v61, v61, 1.0
	v_rcp_f32_e32 v63, v62
	v_div_scale_f32 v64, vcc, 1.0, v61, 1.0
	v_fma_f32 v65, -v62, v63, 1.0
	v_fmac_f32_e32 v63, v65, v63
	v_mul_f32_e32 v65, v64, v63
	v_fma_f32 v66, -v62, v65, v64
	v_fmac_f32_e32 v65, v66, v63
	v_fma_f32 v62, -v62, v65, v64
	v_div_fmas_f32 v62, v62, v63, v65
	v_div_fixup_f32 v61, v62, v61, 1.0
.LBB96_36:
	s_or_b64 exec, exec, s[0:1]
	v_cmp_ne_u32_e32 vcc, v59, v56
	s_and_saveexec_b64 s[0:1], vcc
	s_xor_b64 s[0:1], exec, s[0:1]
	s_cbranch_execz .LBB96_42
; %bb.37:
	v_cmp_eq_u32_e32 vcc, 2, v59
	s_and_saveexec_b64 s[2:3], vcc
	s_cbranch_execz .LBB96_41
; %bb.38:
	v_cmp_ne_u32_e32 vcc, 2, v56
	s_xor_b64 s[12:13], s[20:21], -1
	s_and_b64 s[14:15], s[12:13], vcc
	s_and_saveexec_b64 s[12:13], s[14:15]
	s_cbranch_execz .LBB96_40
; %bb.39:
	v_ashrrev_i32_e32 v57, 31, v56
	v_lshl_add_u64 v[62:63], v[56:57], 2, v[4:5]
	global_load_dword v57, v[62:63], off
	global_load_dword v59, v[4:5], off offset:8
	s_waitcnt vmcnt(1)
	global_store_dword v[4:5], v57, off offset:8
	s_waitcnt vmcnt(1)
	global_store_dword v[62:63], v59, off
.LBB96_40:
	s_or_b64 exec, exec, s[12:13]
	v_mov_b32_e32 v57, v56
	v_mov_b32_e32 v59, v56
.LBB96_41:
	s_or_b64 exec, exec, s[2:3]
.LBB96_42:
	s_andn2_saveexec_b64 s[0:1], s[0:1]
	s_cbranch_execz .LBB96_44
; %bb.43:
	v_mov_b32_e32 v59, 2
	s_waitcnt vmcnt(44)
	ds_write2_b32 v55, v48, v49 offset0:3 offset1:4
	s_waitcnt vmcnt(42)
	ds_write2_b32 v55, v42, v43 offset0:5 offset1:6
	;; [unrolled: 2-line block ×23, first 2 shown]
.LBB96_44:
	s_or_b64 exec, exec, s[0:1]
	v_cmp_lt_i32_e32 vcc, 2, v59
	s_waitcnt lgkmcnt(0)
	s_barrier
	s_and_saveexec_b64 s[0:1], vcc
	s_cbranch_execz .LBB96_46
; %bb.45:
	ds_read2_b32 v[62:63], v55 offset0:3 offset1:4
	ds_read2_b32 v[64:65], v55 offset0:5 offset1:6
	;; [unrolled: 1-line block ×3, first 2 shown]
	v_mul_f32_e32 v56, v61, v53
	ds_read2_b32 v[68:69], v55 offset0:9 offset1:10
	s_waitcnt vmcnt(44) lgkmcnt(3)
	v_pk_fma_f32 v[48:49], v[56:57], v[62:63], v[48:49] op_sel_hi:[0,1,1] neg_lo:[1,0,0] neg_hi:[1,0,0]
	s_waitcnt vmcnt(42) lgkmcnt(2)
	v_pk_fma_f32 v[42:43], v[56:57], v[64:65], v[42:43] op_sel_hi:[0,1,1] neg_lo:[1,0,0] neg_hi:[1,0,0]
	s_waitcnt vmcnt(40) lgkmcnt(1)
	v_pk_fma_f32 v[34:35], v[56:57], v[66:67], v[34:35] op_sel_hi:[0,1,1] neg_lo:[1,0,0] neg_hi:[1,0,0]
	ds_read2_b32 v[62:63], v55 offset0:11 offset1:12
	ds_read2_b32 v[64:65], v55 offset0:13 offset1:14
	ds_read2_b32 v[66:67], v55 offset0:15 offset1:16
	s_waitcnt vmcnt(38) lgkmcnt(3)
	v_pk_fma_f32 v[50:51], v[56:57], v[68:69], v[50:51] op_sel_hi:[0,1,1] neg_lo:[1,0,0] neg_hi:[1,0,0]
	ds_read2_b32 v[68:69], v55 offset0:17 offset1:18
	s_waitcnt vmcnt(36) lgkmcnt(3)
	v_pk_fma_f32 v[44:45], v[56:57], v[62:63], v[44:45] op_sel_hi:[0,1,1] neg_lo:[1,0,0] neg_hi:[1,0,0]
	s_waitcnt vmcnt(34) lgkmcnt(2)
	v_pk_fma_f32 v[36:37], v[56:57], v[64:65], v[36:37] op_sel_hi:[0,1,1] neg_lo:[1,0,0] neg_hi:[1,0,0]
	s_waitcnt vmcnt(32) lgkmcnt(1)
	v_pk_fma_f32 v[26:27], v[56:57], v[66:67], v[26:27] op_sel_hi:[0,1,1] neg_lo:[1,0,0] neg_hi:[1,0,0]
	ds_read2_b32 v[62:63], v55 offset0:19 offset1:20
	ds_read2_b32 v[64:65], v55 offset0:21 offset1:22
	ds_read2_b32 v[66:67], v55 offset0:23 offset1:24
	s_waitcnt vmcnt(30) lgkmcnt(3)
	v_pk_fma_f32 v[46:47], v[56:57], v[68:69], v[46:47] op_sel_hi:[0,1,1] neg_lo:[1,0,0] neg_hi:[1,0,0]
	;; [unrolled: 12-line block ×3, first 2 shown]
	ds_read2_b32 v[68:69], v55 offset0:33 offset1:34
	s_waitcnt vmcnt(20) lgkmcnt(3)
	v_pk_fma_f32 v[30:31], v[56:57], v[62:63], v[30:31] op_sel_hi:[0,1,1] neg_lo:[1,0,0] neg_hi:[1,0,0]
	s_waitcnt vmcnt(18) lgkmcnt(2)
	v_pk_fma_f32 v[20:21], v[56:57], v[64:65], v[20:21] op_sel_hi:[0,1,1] neg_lo:[1,0,0] neg_hi:[1,0,0]
	ds_read2_b32 v[62:63], v55 offset0:35 offset1:36
	ds_read2_b32 v[64:65], v55 offset0:37 offset1:38
	s_waitcnt vmcnt(16) lgkmcnt(3)
	v_pk_fma_f32 v[12:13], v[56:57], v[66:67], v[12:13] op_sel_hi:[0,1,1] neg_lo:[1,0,0] neg_hi:[1,0,0]
	s_waitcnt vmcnt(14) lgkmcnt(2)
	v_pk_fma_f32 v[32:33], v[56:57], v[68:69], v[32:33] op_sel_hi:[0,1,1] neg_lo:[1,0,0] neg_hi:[1,0,0]
	ds_read2_b32 v[66:67], v55 offset0:39 offset1:40
	;; [unrolled: 6-line block ×3, first 2 shown]
	ds_read2_b32 v[64:65], v55 offset0:45 offset1:46
	ds_read2_b32 v[70:71], v55 offset0:47 offset1:48
	s_waitcnt vmcnt(8) lgkmcnt(4)
	v_pk_fma_f32 v[0:1], v[56:57], v[66:67], v[0:1] op_sel_hi:[0,1,1] neg_lo:[1,0,0] neg_hi:[1,0,0]
	s_waitcnt vmcnt(6) lgkmcnt(3)
	v_pk_fma_f32 v[24:25], v[56:57], v[68:69], v[24:25] op_sel_hi:[0,1,1] neg_lo:[1,0,0] neg_hi:[1,0,0]
	;; [unrolled: 2-line block ×5, first 2 shown]
	v_mov_b32_e32 v53, v56
.LBB96_46:
	s_or_b64 exec, exec, s[0:1]
	v_lshl_add_u32 v56, v59, 2, v55
	s_barrier
	s_waitcnt vmcnt(45)
	ds_write_b32 v56, v48
	s_waitcnt lgkmcnt(0)
	s_barrier
	ds_read_b32 v61, v55 offset:12
	s_cmp_lt_i32 s22, 5
	v_mov_b32_e32 v56, 3
	s_cbranch_scc1 .LBB96_49
; %bb.47:
	v_add3_u32 v62, v58, 0, 16
	v_mov_b32_e32 v56, 3
	s_mov_b32 s0, 4
.LBB96_48:                              ; =>This Inner Loop Header: Depth=1
	ds_read_b32 v63, v62
	v_mov_b32_e32 v64, s0
	s_add_i32 s0, s0, 1
	v_add_u32_e32 v62, 4, v62
	s_cmp_lg_u32 s22, s0
	s_waitcnt lgkmcnt(0)
	v_cmp_lt_f32_e64 vcc, |v61|, |v63|
	s_nop 1
	v_cndmask_b32_e32 v61, v61, v63, vcc
	v_cndmask_b32_e32 v56, v56, v64, vcc
	s_cbranch_scc1 .LBB96_48
.LBB96_49:
	s_waitcnt lgkmcnt(0)
	v_cmp_eq_f32_e32 vcc, 0, v61
	s_and_saveexec_b64 s[0:1], vcc
	s_xor_b64 s[0:1], exec, s[0:1]
; %bb.50:
	v_cmp_ne_u32_e32 vcc, 0, v60
	s_nop 1
	v_cndmask_b32_e32 v60, 4, v60, vcc
; %bb.51:
	s_andn2_saveexec_b64 s[0:1], s[0:1]
	s_cbranch_execz .LBB96_53
; %bb.52:
	v_div_scale_f32 v62, s[2:3], v61, v61, 1.0
	v_rcp_f32_e32 v63, v62
	v_div_scale_f32 v64, vcc, 1.0, v61, 1.0
	v_fma_f32 v65, -v62, v63, 1.0
	v_fmac_f32_e32 v63, v65, v63
	v_mul_f32_e32 v65, v64, v63
	v_fma_f32 v66, -v62, v65, v64
	v_fmac_f32_e32 v65, v66, v63
	v_fma_f32 v62, -v62, v65, v64
	v_div_fmas_f32 v62, v62, v63, v65
	v_div_fixup_f32 v61, v62, v61, 1.0
.LBB96_53:
	s_or_b64 exec, exec, s[0:1]
	v_cmp_ne_u32_e32 vcc, v59, v56
	s_and_saveexec_b64 s[0:1], vcc
	s_xor_b64 s[0:1], exec, s[0:1]
	s_cbranch_execz .LBB96_59
; %bb.54:
	v_cmp_eq_u32_e32 vcc, 3, v59
	s_and_saveexec_b64 s[2:3], vcc
	s_cbranch_execz .LBB96_58
; %bb.55:
	v_cmp_ne_u32_e32 vcc, 3, v56
	s_xor_b64 s[12:13], s[20:21], -1
	s_and_b64 s[14:15], s[12:13], vcc
	s_and_saveexec_b64 s[12:13], s[14:15]
	s_cbranch_execz .LBB96_57
; %bb.56:
	v_ashrrev_i32_e32 v57, 31, v56
	v_lshl_add_u64 v[62:63], v[56:57], 2, v[4:5]
	global_load_dword v57, v[62:63], off
	global_load_dword v59, v[4:5], off offset:12
	s_waitcnt vmcnt(1)
	global_store_dword v[4:5], v57, off offset:12
	s_waitcnt vmcnt(1)
	global_store_dword v[62:63], v59, off
.LBB96_57:
	s_or_b64 exec, exec, s[12:13]
	v_mov_b32_e32 v57, v56
	v_mov_b32_e32 v59, v56
.LBB96_58:
	s_or_b64 exec, exec, s[2:3]
.LBB96_59:
	s_andn2_saveexec_b64 s[0:1], s[0:1]
	s_cbranch_execz .LBB96_61
; %bb.60:
	s_waitcnt vmcnt(42)
	v_pk_mov_b32 v[62:63], v[48:49], v[42:43] op_sel:[1,0]
	ds_write2_b32 v55, v62, v63 offset0:4 offset1:5
	s_waitcnt vmcnt(40)
	v_pk_mov_b32 v[62:63], v[42:43], v[34:35] op_sel:[1,0]
	ds_write2_b32 v55, v62, v63 offset0:6 offset1:7
	;; [unrolled: 3-line block ×21, first 2 shown]
	s_waitcnt vmcnt(0)
	v_pk_mov_b32 v[62:63], v[10:11], v[8:9] op_sel:[1,0]
	v_mov_b32_e32 v59, 3
	ds_write2_b32 v55, v62, v63 offset0:46 offset1:47
	ds_write_b32 v55, v9 offset:192
.LBB96_61:
	s_or_b64 exec, exec, s[0:1]
	v_cmp_lt_i32_e32 vcc, 3, v59
	s_waitcnt lgkmcnt(0)
	s_barrier
	s_and_saveexec_b64 s[0:1], vcc
	s_cbranch_execz .LBB96_63
; %bb.62:
	ds_read_b32 v56, v55 offset:16
	ds_read2_b32 v[62:63], v55 offset0:5 offset1:6
	ds_read2_b32 v[64:65], v55 offset0:7 offset1:8
	v_mul_f32_e32 v48, v61, v48
	ds_read2_b32 v[66:67], v55 offset0:9 offset1:10
	s_waitcnt vmcnt(44) lgkmcnt(3)
	v_fma_f32 v49, -v48, v56, v49
	s_waitcnt vmcnt(42) lgkmcnt(2)
	v_pk_fma_f32 v[42:43], v[48:49], v[62:63], v[42:43] op_sel_hi:[0,1,1] neg_lo:[1,0,0] neg_hi:[1,0,0]
	s_waitcnt vmcnt(40) lgkmcnt(1)
	v_pk_fma_f32 v[34:35], v[48:49], v[64:65], v[34:35] op_sel_hi:[0,1,1] neg_lo:[1,0,0] neg_hi:[1,0,0]
	ds_read2_b32 v[62:63], v55 offset0:11 offset1:12
	ds_read2_b32 v[64:65], v55 offset0:13 offset1:14
	ds_read2_b32 v[68:69], v55 offset0:15 offset1:16
	s_waitcnt vmcnt(38) lgkmcnt(3)
	v_pk_fma_f32 v[50:51], v[48:49], v[66:67], v[50:51] op_sel_hi:[0,1,1] neg_lo:[1,0,0] neg_hi:[1,0,0]
	ds_read2_b32 v[66:67], v55 offset0:17 offset1:18
	s_waitcnt vmcnt(36) lgkmcnt(3)
	v_pk_fma_f32 v[44:45], v[48:49], v[62:63], v[44:45] op_sel_hi:[0,1,1] neg_lo:[1,0,0] neg_hi:[1,0,0]
	s_waitcnt vmcnt(34) lgkmcnt(2)
	v_pk_fma_f32 v[36:37], v[48:49], v[64:65], v[36:37] op_sel_hi:[0,1,1] neg_lo:[1,0,0] neg_hi:[1,0,0]
	s_waitcnt vmcnt(32) lgkmcnt(1)
	v_pk_fma_f32 v[26:27], v[48:49], v[68:69], v[26:27] op_sel_hi:[0,1,1] neg_lo:[1,0,0] neg_hi:[1,0,0]
	ds_read2_b32 v[62:63], v55 offset0:19 offset1:20
	ds_read2_b32 v[64:65], v55 offset0:21 offset1:22
	ds_read2_b32 v[68:69], v55 offset0:23 offset1:24
	s_waitcnt vmcnt(30) lgkmcnt(3)
	v_pk_fma_f32 v[46:47], v[48:49], v[66:67], v[46:47] op_sel_hi:[0,1,1] neg_lo:[1,0,0] neg_hi:[1,0,0]
	ds_read2_b32 v[66:67], v55 offset0:25 offset1:26
	s_waitcnt vmcnt(28) lgkmcnt(3)
	v_pk_fma_f32 v[38:39], v[48:49], v[62:63], v[38:39] op_sel_hi:[0,1,1] neg_lo:[1,0,0] neg_hi:[1,0,0]
	;; [unrolled: 12-line block ×3, first 2 shown]
	s_waitcnt vmcnt(18) lgkmcnt(2)
	v_pk_fma_f32 v[20:21], v[48:49], v[64:65], v[20:21] op_sel_hi:[0,1,1] neg_lo:[1,0,0] neg_hi:[1,0,0]
	ds_read2_b32 v[62:63], v55 offset0:35 offset1:36
	ds_read2_b32 v[64:65], v55 offset0:37 offset1:38
	s_waitcnt vmcnt(16) lgkmcnt(3)
	v_pk_fma_f32 v[12:13], v[48:49], v[68:69], v[12:13] op_sel_hi:[0,1,1] neg_lo:[1,0,0] neg_hi:[1,0,0]
	s_waitcnt vmcnt(14) lgkmcnt(2)
	v_pk_fma_f32 v[32:33], v[48:49], v[66:67], v[32:33] op_sel_hi:[0,1,1] neg_lo:[1,0,0] neg_hi:[1,0,0]
	ds_read2_b32 v[66:67], v55 offset0:39 offset1:40
	ds_read2_b32 v[68:69], v55 offset0:41 offset1:42
	s_waitcnt vmcnt(12) lgkmcnt(3)
	v_pk_fma_f32 v[22:23], v[48:49], v[62:63], v[22:23] op_sel_hi:[0,1,1] neg_lo:[1,0,0] neg_hi:[1,0,0]
	s_waitcnt vmcnt(10) lgkmcnt(2)
	v_pk_fma_f32 v[14:15], v[48:49], v[64:65], v[14:15] op_sel_hi:[0,1,1] neg_lo:[1,0,0] neg_hi:[1,0,0]
	ds_read2_b32 v[62:63], v55 offset0:43 offset1:44
	ds_read2_b32 v[64:65], v55 offset0:45 offset1:46
	;; [unrolled: 1-line block ×3, first 2 shown]
	s_waitcnt vmcnt(8) lgkmcnt(4)
	v_pk_fma_f32 v[0:1], v[48:49], v[66:67], v[0:1] op_sel_hi:[0,1,1] neg_lo:[1,0,0] neg_hi:[1,0,0]
	s_waitcnt vmcnt(6) lgkmcnt(3)
	v_pk_fma_f32 v[24:25], v[48:49], v[68:69], v[24:25] op_sel_hi:[0,1,1] neg_lo:[1,0,0] neg_hi:[1,0,0]
	;; [unrolled: 2-line block ×5, first 2 shown]
.LBB96_63:
	s_or_b64 exec, exec, s[0:1]
	v_lshl_add_u32 v56, v59, 2, v55
	s_barrier
	s_waitcnt vmcnt(44)
	ds_write_b32 v56, v49
	s_waitcnt lgkmcnt(0)
	s_barrier
	ds_read_b32 v61, v55 offset:16
	s_cmp_lt_i32 s22, 6
	v_mov_b32_e32 v56, 4
	s_cbranch_scc1 .LBB96_66
; %bb.64:
	v_add3_u32 v62, v58, 0, 20
	v_mov_b32_e32 v56, 4
	s_mov_b32 s0, 5
.LBB96_65:                              ; =>This Inner Loop Header: Depth=1
	ds_read_b32 v63, v62
	v_mov_b32_e32 v64, s0
	s_add_i32 s0, s0, 1
	v_add_u32_e32 v62, 4, v62
	s_cmp_lg_u32 s22, s0
	s_waitcnt lgkmcnt(0)
	v_cmp_lt_f32_e64 vcc, |v61|, |v63|
	s_nop 1
	v_cndmask_b32_e32 v61, v61, v63, vcc
	v_cndmask_b32_e32 v56, v56, v64, vcc
	s_cbranch_scc1 .LBB96_65
.LBB96_66:
	s_waitcnt lgkmcnt(0)
	v_cmp_eq_f32_e32 vcc, 0, v61
	s_and_saveexec_b64 s[0:1], vcc
	s_xor_b64 s[0:1], exec, s[0:1]
; %bb.67:
	v_cmp_ne_u32_e32 vcc, 0, v60
	s_nop 1
	v_cndmask_b32_e32 v60, 5, v60, vcc
; %bb.68:
	s_andn2_saveexec_b64 s[0:1], s[0:1]
	s_cbranch_execz .LBB96_70
; %bb.69:
	v_div_scale_f32 v62, s[2:3], v61, v61, 1.0
	v_rcp_f32_e32 v63, v62
	v_div_scale_f32 v64, vcc, 1.0, v61, 1.0
	v_fma_f32 v65, -v62, v63, 1.0
	v_fmac_f32_e32 v63, v65, v63
	v_mul_f32_e32 v65, v64, v63
	v_fma_f32 v66, -v62, v65, v64
	v_fmac_f32_e32 v65, v66, v63
	v_fma_f32 v62, -v62, v65, v64
	v_div_fmas_f32 v62, v62, v63, v65
	v_div_fixup_f32 v61, v62, v61, 1.0
.LBB96_70:
	s_or_b64 exec, exec, s[0:1]
	v_cmp_ne_u32_e32 vcc, v59, v56
	s_and_saveexec_b64 s[0:1], vcc
	s_xor_b64 s[0:1], exec, s[0:1]
	s_cbranch_execz .LBB96_76
; %bb.71:
	v_cmp_eq_u32_e32 vcc, 4, v59
	s_and_saveexec_b64 s[2:3], vcc
	s_cbranch_execz .LBB96_75
; %bb.72:
	v_cmp_ne_u32_e32 vcc, 4, v56
	s_xor_b64 s[12:13], s[20:21], -1
	s_and_b64 s[14:15], s[12:13], vcc
	s_and_saveexec_b64 s[12:13], s[14:15]
	s_cbranch_execz .LBB96_74
; %bb.73:
	v_ashrrev_i32_e32 v57, 31, v56
	v_lshl_add_u64 v[62:63], v[56:57], 2, v[4:5]
	global_load_dword v57, v[62:63], off
	global_load_dword v59, v[4:5], off offset:16
	s_waitcnt vmcnt(1)
	global_store_dword v[4:5], v57, off offset:16
	s_waitcnt vmcnt(1)
	global_store_dword v[62:63], v59, off
.LBB96_74:
	s_or_b64 exec, exec, s[12:13]
	v_mov_b32_e32 v57, v56
	v_mov_b32_e32 v59, v56
.LBB96_75:
	s_or_b64 exec, exec, s[2:3]
.LBB96_76:
	s_andn2_saveexec_b64 s[0:1], s[0:1]
	s_cbranch_execz .LBB96_78
; %bb.77:
	v_mov_b32_e32 v59, 4
	s_waitcnt vmcnt(42)
	ds_write2_b32 v55, v42, v43 offset0:5 offset1:6
	s_waitcnt vmcnt(40)
	ds_write2_b32 v55, v34, v35 offset0:7 offset1:8
	;; [unrolled: 2-line block ×22, first 2 shown]
.LBB96_78:
	s_or_b64 exec, exec, s[0:1]
	v_cmp_lt_i32_e32 vcc, 4, v59
	s_waitcnt lgkmcnt(0)
	s_barrier
	s_and_saveexec_b64 s[0:1], vcc
	s_cbranch_execz .LBB96_80
; %bb.79:
	ds_read2_b32 v[62:63], v55 offset0:5 offset1:6
	ds_read2_b32 v[64:65], v55 offset0:7 offset1:8
	;; [unrolled: 1-line block ×4, first 2 shown]
	v_mul_f32_e32 v56, v61, v49
	s_waitcnt vmcnt(42) lgkmcnt(3)
	v_pk_fma_f32 v[42:43], v[56:57], v[62:63], v[42:43] op_sel_hi:[0,1,1] neg_lo:[1,0,0] neg_hi:[1,0,0]
	s_waitcnt vmcnt(40) lgkmcnt(2)
	v_pk_fma_f32 v[34:35], v[56:57], v[64:65], v[34:35] op_sel_hi:[0,1,1] neg_lo:[1,0,0] neg_hi:[1,0,0]
	s_waitcnt vmcnt(38) lgkmcnt(1)
	v_pk_fma_f32 v[50:51], v[56:57], v[66:67], v[50:51] op_sel_hi:[0,1,1] neg_lo:[1,0,0] neg_hi:[1,0,0]
	ds_read2_b32 v[62:63], v55 offset0:13 offset1:14
	ds_read2_b32 v[64:65], v55 offset0:15 offset1:16
	ds_read2_b32 v[66:67], v55 offset0:17 offset1:18
	s_waitcnt vmcnt(36) lgkmcnt(3)
	v_pk_fma_f32 v[44:45], v[56:57], v[68:69], v[44:45] op_sel_hi:[0,1,1] neg_lo:[1,0,0] neg_hi:[1,0,0]
	ds_read2_b32 v[68:69], v55 offset0:19 offset1:20
	s_waitcnt vmcnt(34) lgkmcnt(3)
	v_pk_fma_f32 v[36:37], v[56:57], v[62:63], v[36:37] op_sel_hi:[0,1,1] neg_lo:[1,0,0] neg_hi:[1,0,0]
	s_waitcnt vmcnt(32) lgkmcnt(2)
	v_pk_fma_f32 v[26:27], v[56:57], v[64:65], v[26:27] op_sel_hi:[0,1,1] neg_lo:[1,0,0] neg_hi:[1,0,0]
	s_waitcnt vmcnt(30) lgkmcnt(1)
	v_pk_fma_f32 v[46:47], v[56:57], v[66:67], v[46:47] op_sel_hi:[0,1,1] neg_lo:[1,0,0] neg_hi:[1,0,0]
	ds_read2_b32 v[62:63], v55 offset0:21 offset1:22
	ds_read2_b32 v[64:65], v55 offset0:23 offset1:24
	ds_read2_b32 v[66:67], v55 offset0:25 offset1:26
	s_waitcnt vmcnt(28) lgkmcnt(3)
	v_pk_fma_f32 v[38:39], v[56:57], v[68:69], v[38:39] op_sel_hi:[0,1,1] neg_lo:[1,0,0] neg_hi:[1,0,0]
	ds_read2_b32 v[68:69], v55 offset0:27 offset1:28
	;; [unrolled: 12-line block ×3, first 2 shown]
	s_waitcnt vmcnt(18) lgkmcnt(3)
	v_pk_fma_f32 v[20:21], v[56:57], v[62:63], v[20:21] op_sel_hi:[0,1,1] neg_lo:[1,0,0] neg_hi:[1,0,0]
	ds_read2_b32 v[62:63], v55 offset0:37 offset1:38
	s_waitcnt vmcnt(16) lgkmcnt(3)
	v_pk_fma_f32 v[12:13], v[56:57], v[64:65], v[12:13] op_sel_hi:[0,1,1] neg_lo:[1,0,0] neg_hi:[1,0,0]
	s_waitcnt vmcnt(14) lgkmcnt(2)
	v_pk_fma_f32 v[32:33], v[56:57], v[66:67], v[32:33] op_sel_hi:[0,1,1] neg_lo:[1,0,0] neg_hi:[1,0,0]
	;; [unrolled: 2-line block ×3, first 2 shown]
	ds_read2_b32 v[64:65], v55 offset0:39 offset1:40
	ds_read2_b32 v[66:67], v55 offset0:41 offset1:42
	;; [unrolled: 1-line block ×3, first 2 shown]
	s_waitcnt vmcnt(10) lgkmcnt(3)
	v_pk_fma_f32 v[14:15], v[56:57], v[62:63], v[14:15] op_sel_hi:[0,1,1] neg_lo:[1,0,0] neg_hi:[1,0,0]
	ds_read2_b32 v[62:63], v55 offset0:45 offset1:46
	ds_read2_b32 v[70:71], v55 offset0:47 offset1:48
	s_waitcnt vmcnt(8) lgkmcnt(4)
	v_pk_fma_f32 v[0:1], v[56:57], v[64:65], v[0:1] op_sel_hi:[0,1,1] neg_lo:[1,0,0] neg_hi:[1,0,0]
	s_waitcnt vmcnt(6) lgkmcnt(3)
	v_pk_fma_f32 v[24:25], v[56:57], v[66:67], v[24:25] op_sel_hi:[0,1,1] neg_lo:[1,0,0] neg_hi:[1,0,0]
	;; [unrolled: 2-line block ×5, first 2 shown]
	v_mov_b32_e32 v49, v56
.LBB96_80:
	s_or_b64 exec, exec, s[0:1]
	v_lshl_add_u32 v56, v59, 2, v55
	s_barrier
	s_waitcnt vmcnt(43)
	ds_write_b32 v56, v42
	s_waitcnt lgkmcnt(0)
	s_barrier
	ds_read_b32 v61, v55 offset:20
	s_cmp_lt_i32 s22, 7
	v_mov_b32_e32 v56, 5
	s_cbranch_scc1 .LBB96_83
; %bb.81:
	v_add3_u32 v62, v58, 0, 24
	v_mov_b32_e32 v56, 5
	s_mov_b32 s0, 6
.LBB96_82:                              ; =>This Inner Loop Header: Depth=1
	ds_read_b32 v63, v62
	v_mov_b32_e32 v64, s0
	s_add_i32 s0, s0, 1
	v_add_u32_e32 v62, 4, v62
	s_cmp_lg_u32 s22, s0
	s_waitcnt lgkmcnt(0)
	v_cmp_lt_f32_e64 vcc, |v61|, |v63|
	s_nop 1
	v_cndmask_b32_e32 v61, v61, v63, vcc
	v_cndmask_b32_e32 v56, v56, v64, vcc
	s_cbranch_scc1 .LBB96_82
.LBB96_83:
	s_waitcnt lgkmcnt(0)
	v_cmp_eq_f32_e32 vcc, 0, v61
	s_and_saveexec_b64 s[0:1], vcc
	s_xor_b64 s[0:1], exec, s[0:1]
; %bb.84:
	v_cmp_ne_u32_e32 vcc, 0, v60
	s_nop 1
	v_cndmask_b32_e32 v60, 6, v60, vcc
; %bb.85:
	s_andn2_saveexec_b64 s[0:1], s[0:1]
	s_cbranch_execz .LBB96_87
; %bb.86:
	v_div_scale_f32 v62, s[2:3], v61, v61, 1.0
	v_rcp_f32_e32 v63, v62
	v_div_scale_f32 v64, vcc, 1.0, v61, 1.0
	v_fma_f32 v65, -v62, v63, 1.0
	v_fmac_f32_e32 v63, v65, v63
	v_mul_f32_e32 v65, v64, v63
	v_fma_f32 v66, -v62, v65, v64
	v_fmac_f32_e32 v65, v66, v63
	v_fma_f32 v62, -v62, v65, v64
	v_div_fmas_f32 v62, v62, v63, v65
	v_div_fixup_f32 v61, v62, v61, 1.0
.LBB96_87:
	s_or_b64 exec, exec, s[0:1]
	v_cmp_ne_u32_e32 vcc, v59, v56
	s_and_saveexec_b64 s[0:1], vcc
	s_xor_b64 s[0:1], exec, s[0:1]
	s_cbranch_execz .LBB96_93
; %bb.88:
	v_cmp_eq_u32_e32 vcc, 5, v59
	s_and_saveexec_b64 s[2:3], vcc
	s_cbranch_execz .LBB96_92
; %bb.89:
	v_cmp_ne_u32_e32 vcc, 5, v56
	s_xor_b64 s[12:13], s[20:21], -1
	s_and_b64 s[14:15], s[12:13], vcc
	s_and_saveexec_b64 s[12:13], s[14:15]
	s_cbranch_execz .LBB96_91
; %bb.90:
	v_ashrrev_i32_e32 v57, 31, v56
	v_lshl_add_u64 v[62:63], v[56:57], 2, v[4:5]
	global_load_dword v57, v[62:63], off
	global_load_dword v59, v[4:5], off offset:20
	s_waitcnt vmcnt(1)
	global_store_dword v[4:5], v57, off offset:20
	s_waitcnt vmcnt(1)
	global_store_dword v[62:63], v59, off
.LBB96_91:
	s_or_b64 exec, exec, s[12:13]
	v_mov_b32_e32 v57, v56
	v_mov_b32_e32 v59, v56
.LBB96_92:
	s_or_b64 exec, exec, s[2:3]
.LBB96_93:
	s_andn2_saveexec_b64 s[0:1], s[0:1]
	s_cbranch_execz .LBB96_95
; %bb.94:
	s_waitcnt vmcnt(40)
	v_pk_mov_b32 v[62:63], v[42:43], v[34:35] op_sel:[1,0]
	ds_write2_b32 v55, v62, v63 offset0:6 offset1:7
	s_waitcnt vmcnt(38)
	v_pk_mov_b32 v[62:63], v[34:35], v[50:51] op_sel:[1,0]
	ds_write2_b32 v55, v62, v63 offset0:8 offset1:9
	;; [unrolled: 3-line block ×20, first 2 shown]
	s_waitcnt vmcnt(0)
	v_pk_mov_b32 v[62:63], v[10:11], v[8:9] op_sel:[1,0]
	v_mov_b32_e32 v59, 5
	ds_write2_b32 v55, v62, v63 offset0:46 offset1:47
	ds_write_b32 v55, v9 offset:192
.LBB96_95:
	s_or_b64 exec, exec, s[0:1]
	v_cmp_lt_i32_e32 vcc, 5, v59
	s_waitcnt lgkmcnt(0)
	s_barrier
	s_and_saveexec_b64 s[0:1], vcc
	s_cbranch_execz .LBB96_97
; %bb.96:
	ds_read_b32 v56, v55 offset:24
	ds_read2_b32 v[62:63], v55 offset0:7 offset1:8
	ds_read2_b32 v[64:65], v55 offset0:9 offset1:10
	v_mul_f32_e32 v42, v61, v42
	ds_read2_b32 v[66:67], v55 offset0:11 offset1:12
	s_waitcnt vmcnt(42) lgkmcnt(3)
	v_fma_f32 v43, -v42, v56, v43
	s_waitcnt vmcnt(40) lgkmcnt(2)
	v_pk_fma_f32 v[34:35], v[42:43], v[62:63], v[34:35] op_sel_hi:[0,1,1] neg_lo:[1,0,0] neg_hi:[1,0,0]
	s_waitcnt vmcnt(38) lgkmcnt(1)
	v_pk_fma_f32 v[50:51], v[42:43], v[64:65], v[50:51] op_sel_hi:[0,1,1] neg_lo:[1,0,0] neg_hi:[1,0,0]
	ds_read2_b32 v[62:63], v55 offset0:13 offset1:14
	ds_read2_b32 v[64:65], v55 offset0:15 offset1:16
	ds_read2_b32 v[68:69], v55 offset0:17 offset1:18
	s_waitcnt vmcnt(36) lgkmcnt(3)
	v_pk_fma_f32 v[44:45], v[42:43], v[66:67], v[44:45] op_sel_hi:[0,1,1] neg_lo:[1,0,0] neg_hi:[1,0,0]
	ds_read2_b32 v[66:67], v55 offset0:19 offset1:20
	s_waitcnt vmcnt(34) lgkmcnt(3)
	v_pk_fma_f32 v[36:37], v[42:43], v[62:63], v[36:37] op_sel_hi:[0,1,1] neg_lo:[1,0,0] neg_hi:[1,0,0]
	s_waitcnt vmcnt(32) lgkmcnt(2)
	v_pk_fma_f32 v[26:27], v[42:43], v[64:65], v[26:27] op_sel_hi:[0,1,1] neg_lo:[1,0,0] neg_hi:[1,0,0]
	s_waitcnt vmcnt(30) lgkmcnt(1)
	v_pk_fma_f32 v[46:47], v[42:43], v[68:69], v[46:47] op_sel_hi:[0,1,1] neg_lo:[1,0,0] neg_hi:[1,0,0]
	ds_read2_b32 v[62:63], v55 offset0:21 offset1:22
	ds_read2_b32 v[64:65], v55 offset0:23 offset1:24
	ds_read2_b32 v[68:69], v55 offset0:25 offset1:26
	s_waitcnt vmcnt(28) lgkmcnt(3)
	v_pk_fma_f32 v[38:39], v[42:43], v[66:67], v[38:39] op_sel_hi:[0,1,1] neg_lo:[1,0,0] neg_hi:[1,0,0]
	ds_read2_b32 v[66:67], v55 offset0:27 offset1:28
	s_waitcnt vmcnt(26) lgkmcnt(3)
	v_pk_fma_f32 v[28:29], v[42:43], v[62:63], v[28:29] op_sel_hi:[0,1,1] neg_lo:[1,0,0] neg_hi:[1,0,0]
	s_waitcnt vmcnt(24) lgkmcnt(2)
	v_pk_fma_f32 v[18:19], v[42:43], v[64:65], v[18:19] op_sel_hi:[0,1,1] neg_lo:[1,0,0] neg_hi:[1,0,0]
	s_waitcnt vmcnt(22) lgkmcnt(1)
	v_pk_fma_f32 v[40:41], v[42:43], v[68:69], v[40:41] op_sel_hi:[0,1,1] neg_lo:[1,0,0] neg_hi:[1,0,0]
	ds_read2_b32 v[62:63], v55 offset0:29 offset1:30
	ds_read2_b32 v[64:65], v55 offset0:31 offset1:32
	ds_read2_b32 v[68:69], v55 offset0:33 offset1:34
	s_waitcnt vmcnt(20) lgkmcnt(3)
	v_pk_fma_f32 v[30:31], v[42:43], v[66:67], v[30:31] op_sel_hi:[0,1,1] neg_lo:[1,0,0] neg_hi:[1,0,0]
	ds_read2_b32 v[66:67], v55 offset0:35 offset1:36
	s_waitcnt vmcnt(18) lgkmcnt(3)
	v_pk_fma_f32 v[20:21], v[42:43], v[62:63], v[20:21] op_sel_hi:[0,1,1] neg_lo:[1,0,0] neg_hi:[1,0,0]
	ds_read2_b32 v[62:63], v55 offset0:37 offset1:38
	s_waitcnt vmcnt(16) lgkmcnt(3)
	v_pk_fma_f32 v[12:13], v[42:43], v[64:65], v[12:13] op_sel_hi:[0,1,1] neg_lo:[1,0,0] neg_hi:[1,0,0]
	s_waitcnt vmcnt(14) lgkmcnt(2)
	v_pk_fma_f32 v[32:33], v[42:43], v[68:69], v[32:33] op_sel_hi:[0,1,1] neg_lo:[1,0,0] neg_hi:[1,0,0]
	;; [unrolled: 2-line block ×3, first 2 shown]
	ds_read2_b32 v[64:65], v55 offset0:39 offset1:40
	ds_read2_b32 v[66:67], v55 offset0:41 offset1:42
	;; [unrolled: 1-line block ×3, first 2 shown]
	s_waitcnt vmcnt(10) lgkmcnt(3)
	v_pk_fma_f32 v[14:15], v[42:43], v[62:63], v[14:15] op_sel_hi:[0,1,1] neg_lo:[1,0,0] neg_hi:[1,0,0]
	ds_read2_b32 v[62:63], v55 offset0:45 offset1:46
	ds_read2_b32 v[70:71], v55 offset0:47 offset1:48
	s_waitcnt vmcnt(8) lgkmcnt(4)
	v_pk_fma_f32 v[0:1], v[42:43], v[64:65], v[0:1] op_sel_hi:[0,1,1] neg_lo:[1,0,0] neg_hi:[1,0,0]
	s_waitcnt vmcnt(6) lgkmcnt(3)
	v_pk_fma_f32 v[24:25], v[42:43], v[66:67], v[24:25] op_sel_hi:[0,1,1] neg_lo:[1,0,0] neg_hi:[1,0,0]
	;; [unrolled: 2-line block ×5, first 2 shown]
.LBB96_97:
	s_or_b64 exec, exec, s[0:1]
	v_lshl_add_u32 v56, v59, 2, v55
	s_barrier
	s_waitcnt vmcnt(42)
	ds_write_b32 v56, v43
	s_waitcnt lgkmcnt(0)
	s_barrier
	ds_read_b32 v61, v55 offset:24
	s_cmp_lt_i32 s22, 8
	v_mov_b32_e32 v56, 6
	s_cbranch_scc1 .LBB96_100
; %bb.98:
	v_add3_u32 v62, v58, 0, 28
	v_mov_b32_e32 v56, 6
	s_mov_b32 s0, 7
.LBB96_99:                              ; =>This Inner Loop Header: Depth=1
	ds_read_b32 v63, v62
	v_mov_b32_e32 v64, s0
	s_add_i32 s0, s0, 1
	v_add_u32_e32 v62, 4, v62
	s_cmp_lg_u32 s22, s0
	s_waitcnt lgkmcnt(0)
	v_cmp_lt_f32_e64 vcc, |v61|, |v63|
	s_nop 1
	v_cndmask_b32_e32 v61, v61, v63, vcc
	v_cndmask_b32_e32 v56, v56, v64, vcc
	s_cbranch_scc1 .LBB96_99
.LBB96_100:
	s_waitcnt lgkmcnt(0)
	v_cmp_eq_f32_e32 vcc, 0, v61
	s_and_saveexec_b64 s[0:1], vcc
	s_xor_b64 s[0:1], exec, s[0:1]
; %bb.101:
	v_cmp_ne_u32_e32 vcc, 0, v60
	s_nop 1
	v_cndmask_b32_e32 v60, 7, v60, vcc
; %bb.102:
	s_andn2_saveexec_b64 s[0:1], s[0:1]
	s_cbranch_execz .LBB96_104
; %bb.103:
	v_div_scale_f32 v62, s[2:3], v61, v61, 1.0
	v_rcp_f32_e32 v63, v62
	v_div_scale_f32 v64, vcc, 1.0, v61, 1.0
	v_fma_f32 v65, -v62, v63, 1.0
	v_fmac_f32_e32 v63, v65, v63
	v_mul_f32_e32 v65, v64, v63
	v_fma_f32 v66, -v62, v65, v64
	v_fmac_f32_e32 v65, v66, v63
	v_fma_f32 v62, -v62, v65, v64
	v_div_fmas_f32 v62, v62, v63, v65
	v_div_fixup_f32 v61, v62, v61, 1.0
.LBB96_104:
	s_or_b64 exec, exec, s[0:1]
	v_cmp_ne_u32_e32 vcc, v59, v56
	s_and_saveexec_b64 s[0:1], vcc
	s_xor_b64 s[0:1], exec, s[0:1]
	s_cbranch_execz .LBB96_110
; %bb.105:
	v_cmp_eq_u32_e32 vcc, 6, v59
	s_and_saveexec_b64 s[2:3], vcc
	s_cbranch_execz .LBB96_109
; %bb.106:
	v_cmp_ne_u32_e32 vcc, 6, v56
	s_xor_b64 s[12:13], s[20:21], -1
	s_and_b64 s[14:15], s[12:13], vcc
	s_and_saveexec_b64 s[12:13], s[14:15]
	s_cbranch_execz .LBB96_108
; %bb.107:
	v_ashrrev_i32_e32 v57, 31, v56
	v_lshl_add_u64 v[62:63], v[56:57], 2, v[4:5]
	global_load_dword v57, v[62:63], off
	global_load_dword v59, v[4:5], off offset:24
	s_waitcnt vmcnt(1)
	global_store_dword v[4:5], v57, off offset:24
	s_waitcnt vmcnt(1)
	global_store_dword v[62:63], v59, off
.LBB96_108:
	s_or_b64 exec, exec, s[12:13]
	v_mov_b32_e32 v57, v56
	v_mov_b32_e32 v59, v56
.LBB96_109:
	s_or_b64 exec, exec, s[2:3]
.LBB96_110:
	s_andn2_saveexec_b64 s[0:1], s[0:1]
	s_cbranch_execz .LBB96_112
; %bb.111:
	v_mov_b32_e32 v59, 6
	s_waitcnt vmcnt(40)
	ds_write2_b32 v55, v34, v35 offset0:7 offset1:8
	s_waitcnt vmcnt(38)
	ds_write2_b32 v55, v50, v51 offset0:9 offset1:10
	;; [unrolled: 2-line block ×21, first 2 shown]
.LBB96_112:
	s_or_b64 exec, exec, s[0:1]
	v_cmp_lt_i32_e32 vcc, 6, v59
	s_waitcnt lgkmcnt(0)
	s_barrier
	s_and_saveexec_b64 s[0:1], vcc
	s_cbranch_execz .LBB96_114
; %bb.113:
	ds_read2_b32 v[62:63], v55 offset0:7 offset1:8
	ds_read2_b32 v[64:65], v55 offset0:9 offset1:10
	;; [unrolled: 1-line block ×3, first 2 shown]
	v_mul_f32_e32 v56, v61, v43
	ds_read2_b32 v[68:69], v55 offset0:13 offset1:14
	s_waitcnt vmcnt(40) lgkmcnt(3)
	v_pk_fma_f32 v[34:35], v[56:57], v[62:63], v[34:35] op_sel_hi:[0,1,1] neg_lo:[1,0,0] neg_hi:[1,0,0]
	s_waitcnt vmcnt(38) lgkmcnt(2)
	v_pk_fma_f32 v[50:51], v[56:57], v[64:65], v[50:51] op_sel_hi:[0,1,1] neg_lo:[1,0,0] neg_hi:[1,0,0]
	;; [unrolled: 2-line block ×3, first 2 shown]
	ds_read2_b32 v[62:63], v55 offset0:15 offset1:16
	ds_read2_b32 v[64:65], v55 offset0:17 offset1:18
	;; [unrolled: 1-line block ×3, first 2 shown]
	s_waitcnt vmcnt(34) lgkmcnt(3)
	v_pk_fma_f32 v[36:37], v[56:57], v[68:69], v[36:37] op_sel_hi:[0,1,1] neg_lo:[1,0,0] neg_hi:[1,0,0]
	ds_read2_b32 v[68:69], v55 offset0:21 offset1:22
	s_waitcnt vmcnt(32) lgkmcnt(3)
	v_pk_fma_f32 v[26:27], v[56:57], v[62:63], v[26:27] op_sel_hi:[0,1,1] neg_lo:[1,0,0] neg_hi:[1,0,0]
	s_waitcnt vmcnt(30) lgkmcnt(2)
	v_pk_fma_f32 v[46:47], v[56:57], v[64:65], v[46:47] op_sel_hi:[0,1,1] neg_lo:[1,0,0] neg_hi:[1,0,0]
	;; [unrolled: 2-line block ×3, first 2 shown]
	ds_read2_b32 v[62:63], v55 offset0:23 offset1:24
	ds_read2_b32 v[64:65], v55 offset0:25 offset1:26
	;; [unrolled: 1-line block ×3, first 2 shown]
	s_waitcnt vmcnt(26) lgkmcnt(3)
	v_pk_fma_f32 v[28:29], v[56:57], v[68:69], v[28:29] op_sel_hi:[0,1,1] neg_lo:[1,0,0] neg_hi:[1,0,0]
	ds_read2_b32 v[68:69], v55 offset0:29 offset1:30
	s_waitcnt vmcnt(24) lgkmcnt(3)
	v_pk_fma_f32 v[18:19], v[56:57], v[62:63], v[18:19] op_sel_hi:[0,1,1] neg_lo:[1,0,0] neg_hi:[1,0,0]
	s_waitcnt vmcnt(22) lgkmcnt(2)
	v_pk_fma_f32 v[40:41], v[56:57], v[64:65], v[40:41] op_sel_hi:[0,1,1] neg_lo:[1,0,0] neg_hi:[1,0,0]
	;; [unrolled: 2-line block ×3, first 2 shown]
	ds_read2_b32 v[62:63], v55 offset0:31 offset1:32
	ds_read2_b32 v[64:65], v55 offset0:33 offset1:34
	;; [unrolled: 1-line block ×4, first 2 shown]
	s_waitcnt vmcnt(18) lgkmcnt(4)
	v_pk_fma_f32 v[20:21], v[56:57], v[68:69], v[20:21] op_sel_hi:[0,1,1] neg_lo:[1,0,0] neg_hi:[1,0,0]
	s_waitcnt vmcnt(16) lgkmcnt(3)
	v_pk_fma_f32 v[12:13], v[56:57], v[62:63], v[12:13] op_sel_hi:[0,1,1] neg_lo:[1,0,0] neg_hi:[1,0,0]
	;; [unrolled: 2-line block ×5, first 2 shown]
	ds_read2_b32 v[62:63], v55 offset0:39 offset1:40
	ds_read2_b32 v[64:65], v55 offset0:41 offset1:42
	;; [unrolled: 1-line block ×5, first 2 shown]
	s_waitcnt vmcnt(8) lgkmcnt(4)
	v_pk_fma_f32 v[0:1], v[56:57], v[62:63], v[0:1] op_sel_hi:[0,1,1] neg_lo:[1,0,0] neg_hi:[1,0,0]
	s_waitcnt vmcnt(6) lgkmcnt(3)
	v_pk_fma_f32 v[24:25], v[56:57], v[64:65], v[24:25] op_sel_hi:[0,1,1] neg_lo:[1,0,0] neg_hi:[1,0,0]
	;; [unrolled: 2-line block ×5, first 2 shown]
	v_mov_b32_e32 v43, v56
.LBB96_114:
	s_or_b64 exec, exec, s[0:1]
	v_lshl_add_u32 v56, v59, 2, v55
	s_barrier
	s_waitcnt vmcnt(41)
	ds_write_b32 v56, v34
	s_waitcnt lgkmcnt(0)
	s_barrier
	ds_read_b32 v61, v55 offset:28
	s_cmp_lt_i32 s22, 9
	v_mov_b32_e32 v56, 7
	s_cbranch_scc1 .LBB96_117
; %bb.115:
	v_add3_u32 v62, v58, 0, 32
	v_mov_b32_e32 v56, 7
	s_mov_b32 s0, 8
.LBB96_116:                             ; =>This Inner Loop Header: Depth=1
	ds_read_b32 v63, v62
	v_mov_b32_e32 v64, s0
	s_add_i32 s0, s0, 1
	v_add_u32_e32 v62, 4, v62
	s_cmp_lg_u32 s22, s0
	s_waitcnt lgkmcnt(0)
	v_cmp_lt_f32_e64 vcc, |v61|, |v63|
	s_nop 1
	v_cndmask_b32_e32 v61, v61, v63, vcc
	v_cndmask_b32_e32 v56, v56, v64, vcc
	s_cbranch_scc1 .LBB96_116
.LBB96_117:
	s_waitcnt lgkmcnt(0)
	v_cmp_eq_f32_e32 vcc, 0, v61
	s_and_saveexec_b64 s[0:1], vcc
	s_xor_b64 s[0:1], exec, s[0:1]
; %bb.118:
	v_cmp_ne_u32_e32 vcc, 0, v60
	s_nop 1
	v_cndmask_b32_e32 v60, 8, v60, vcc
; %bb.119:
	s_andn2_saveexec_b64 s[0:1], s[0:1]
	s_cbranch_execz .LBB96_121
; %bb.120:
	v_div_scale_f32 v62, s[2:3], v61, v61, 1.0
	v_rcp_f32_e32 v63, v62
	v_div_scale_f32 v64, vcc, 1.0, v61, 1.0
	v_fma_f32 v65, -v62, v63, 1.0
	v_fmac_f32_e32 v63, v65, v63
	v_mul_f32_e32 v65, v64, v63
	v_fma_f32 v66, -v62, v65, v64
	v_fmac_f32_e32 v65, v66, v63
	v_fma_f32 v62, -v62, v65, v64
	v_div_fmas_f32 v62, v62, v63, v65
	v_div_fixup_f32 v61, v62, v61, 1.0
.LBB96_121:
	s_or_b64 exec, exec, s[0:1]
	v_cmp_ne_u32_e32 vcc, v59, v56
	s_and_saveexec_b64 s[0:1], vcc
	s_xor_b64 s[0:1], exec, s[0:1]
	s_cbranch_execz .LBB96_127
; %bb.122:
	v_cmp_eq_u32_e32 vcc, 7, v59
	s_and_saveexec_b64 s[2:3], vcc
	s_cbranch_execz .LBB96_126
; %bb.123:
	v_cmp_ne_u32_e32 vcc, 7, v56
	s_xor_b64 s[12:13], s[20:21], -1
	s_and_b64 s[14:15], s[12:13], vcc
	s_and_saveexec_b64 s[12:13], s[14:15]
	s_cbranch_execz .LBB96_125
; %bb.124:
	v_ashrrev_i32_e32 v57, 31, v56
	v_lshl_add_u64 v[62:63], v[56:57], 2, v[4:5]
	global_load_dword v57, v[62:63], off
	global_load_dword v59, v[4:5], off offset:28
	s_waitcnt vmcnt(1)
	global_store_dword v[4:5], v57, off offset:28
	s_waitcnt vmcnt(1)
	global_store_dword v[62:63], v59, off
.LBB96_125:
	s_or_b64 exec, exec, s[12:13]
	v_mov_b32_e32 v57, v56
	v_mov_b32_e32 v59, v56
.LBB96_126:
	s_or_b64 exec, exec, s[2:3]
.LBB96_127:
	s_andn2_saveexec_b64 s[0:1], s[0:1]
	s_cbranch_execz .LBB96_129
; %bb.128:
	s_waitcnt vmcnt(38)
	v_pk_mov_b32 v[62:63], v[34:35], v[50:51] op_sel:[1,0]
	ds_write2_b32 v55, v62, v63 offset0:8 offset1:9
	s_waitcnt vmcnt(36)
	v_pk_mov_b32 v[62:63], v[50:51], v[44:45] op_sel:[1,0]
	ds_write2_b32 v55, v62, v63 offset0:10 offset1:11
	;; [unrolled: 3-line block ×19, first 2 shown]
	s_waitcnt vmcnt(0)
	v_pk_mov_b32 v[62:63], v[10:11], v[8:9] op_sel:[1,0]
	v_mov_b32_e32 v59, 7
	ds_write2_b32 v55, v62, v63 offset0:46 offset1:47
	ds_write_b32 v55, v9 offset:192
.LBB96_129:
	s_or_b64 exec, exec, s[0:1]
	v_cmp_lt_i32_e32 vcc, 7, v59
	s_waitcnt lgkmcnt(0)
	s_barrier
	s_and_saveexec_b64 s[0:1], vcc
	s_cbranch_execz .LBB96_131
; %bb.130:
	ds_read_b32 v56, v55 offset:32
	ds_read2_b32 v[62:63], v55 offset0:9 offset1:10
	ds_read2_b32 v[64:65], v55 offset0:11 offset1:12
	v_mul_f32_e32 v34, v61, v34
	ds_read2_b32 v[66:67], v55 offset0:13 offset1:14
	s_waitcnt vmcnt(40) lgkmcnt(3)
	v_fma_f32 v35, -v34, v56, v35
	s_waitcnt vmcnt(38) lgkmcnt(2)
	v_pk_fma_f32 v[50:51], v[34:35], v[62:63], v[50:51] op_sel_hi:[0,1,1] neg_lo:[1,0,0] neg_hi:[1,0,0]
	s_waitcnt vmcnt(36) lgkmcnt(1)
	v_pk_fma_f32 v[44:45], v[34:35], v[64:65], v[44:45] op_sel_hi:[0,1,1] neg_lo:[1,0,0] neg_hi:[1,0,0]
	ds_read2_b32 v[62:63], v55 offset0:15 offset1:16
	ds_read2_b32 v[64:65], v55 offset0:17 offset1:18
	;; [unrolled: 1-line block ×3, first 2 shown]
	s_waitcnt vmcnt(34) lgkmcnt(3)
	v_pk_fma_f32 v[36:37], v[34:35], v[66:67], v[36:37] op_sel_hi:[0,1,1] neg_lo:[1,0,0] neg_hi:[1,0,0]
	ds_read2_b32 v[66:67], v55 offset0:21 offset1:22
	s_waitcnt vmcnt(32) lgkmcnt(3)
	v_pk_fma_f32 v[26:27], v[34:35], v[62:63], v[26:27] op_sel_hi:[0,1,1] neg_lo:[1,0,0] neg_hi:[1,0,0]
	s_waitcnt vmcnt(30) lgkmcnt(2)
	v_pk_fma_f32 v[46:47], v[34:35], v[64:65], v[46:47] op_sel_hi:[0,1,1] neg_lo:[1,0,0] neg_hi:[1,0,0]
	;; [unrolled: 2-line block ×3, first 2 shown]
	ds_read2_b32 v[62:63], v55 offset0:23 offset1:24
	ds_read2_b32 v[64:65], v55 offset0:25 offset1:26
	;; [unrolled: 1-line block ×3, first 2 shown]
	s_waitcnt vmcnt(26) lgkmcnt(3)
	v_pk_fma_f32 v[28:29], v[34:35], v[66:67], v[28:29] op_sel_hi:[0,1,1] neg_lo:[1,0,0] neg_hi:[1,0,0]
	ds_read2_b32 v[66:67], v55 offset0:29 offset1:30
	s_waitcnt vmcnt(24) lgkmcnt(3)
	v_pk_fma_f32 v[18:19], v[34:35], v[62:63], v[18:19] op_sel_hi:[0,1,1] neg_lo:[1,0,0] neg_hi:[1,0,0]
	s_waitcnt vmcnt(22) lgkmcnt(2)
	v_pk_fma_f32 v[40:41], v[34:35], v[64:65], v[40:41] op_sel_hi:[0,1,1] neg_lo:[1,0,0] neg_hi:[1,0,0]
	;; [unrolled: 2-line block ×3, first 2 shown]
	ds_read2_b32 v[62:63], v55 offset0:31 offset1:32
	ds_read2_b32 v[64:65], v55 offset0:33 offset1:34
	;; [unrolled: 1-line block ×4, first 2 shown]
	s_waitcnt vmcnt(18) lgkmcnt(4)
	v_pk_fma_f32 v[20:21], v[34:35], v[66:67], v[20:21] op_sel_hi:[0,1,1] neg_lo:[1,0,0] neg_hi:[1,0,0]
	s_waitcnt vmcnt(16) lgkmcnt(3)
	v_pk_fma_f32 v[12:13], v[34:35], v[62:63], v[12:13] op_sel_hi:[0,1,1] neg_lo:[1,0,0] neg_hi:[1,0,0]
	;; [unrolled: 2-line block ×5, first 2 shown]
	ds_read2_b32 v[62:63], v55 offset0:39 offset1:40
	ds_read2_b32 v[64:65], v55 offset0:41 offset1:42
	;; [unrolled: 1-line block ×5, first 2 shown]
	s_waitcnt vmcnt(8) lgkmcnt(4)
	v_pk_fma_f32 v[0:1], v[34:35], v[62:63], v[0:1] op_sel_hi:[0,1,1] neg_lo:[1,0,0] neg_hi:[1,0,0]
	s_waitcnt vmcnt(6) lgkmcnt(3)
	v_pk_fma_f32 v[24:25], v[34:35], v[64:65], v[24:25] op_sel_hi:[0,1,1] neg_lo:[1,0,0] neg_hi:[1,0,0]
	;; [unrolled: 2-line block ×5, first 2 shown]
.LBB96_131:
	s_or_b64 exec, exec, s[0:1]
	v_lshl_add_u32 v56, v59, 2, v55
	s_barrier
	s_waitcnt vmcnt(40)
	ds_write_b32 v56, v35
	s_waitcnt lgkmcnt(0)
	s_barrier
	ds_read_b32 v61, v55 offset:32
	s_cmp_lt_i32 s22, 10
	v_mov_b32_e32 v56, 8
	s_cbranch_scc1 .LBB96_134
; %bb.132:
	v_add3_u32 v62, v58, 0, 36
	v_mov_b32_e32 v56, 8
	s_mov_b32 s0, 9
.LBB96_133:                             ; =>This Inner Loop Header: Depth=1
	ds_read_b32 v63, v62
	v_mov_b32_e32 v64, s0
	s_add_i32 s0, s0, 1
	v_add_u32_e32 v62, 4, v62
	s_cmp_lg_u32 s22, s0
	s_waitcnt lgkmcnt(0)
	v_cmp_lt_f32_e64 vcc, |v61|, |v63|
	s_nop 1
	v_cndmask_b32_e32 v61, v61, v63, vcc
	v_cndmask_b32_e32 v56, v56, v64, vcc
	s_cbranch_scc1 .LBB96_133
.LBB96_134:
	s_waitcnt lgkmcnt(0)
	v_cmp_eq_f32_e32 vcc, 0, v61
	s_and_saveexec_b64 s[0:1], vcc
	s_xor_b64 s[0:1], exec, s[0:1]
; %bb.135:
	v_cmp_ne_u32_e32 vcc, 0, v60
	s_nop 1
	v_cndmask_b32_e32 v60, 9, v60, vcc
; %bb.136:
	s_andn2_saveexec_b64 s[0:1], s[0:1]
	s_cbranch_execz .LBB96_138
; %bb.137:
	v_div_scale_f32 v62, s[2:3], v61, v61, 1.0
	v_rcp_f32_e32 v63, v62
	v_div_scale_f32 v64, vcc, 1.0, v61, 1.0
	v_fma_f32 v65, -v62, v63, 1.0
	v_fmac_f32_e32 v63, v65, v63
	v_mul_f32_e32 v65, v64, v63
	v_fma_f32 v66, -v62, v65, v64
	v_fmac_f32_e32 v65, v66, v63
	v_fma_f32 v62, -v62, v65, v64
	v_div_fmas_f32 v62, v62, v63, v65
	v_div_fixup_f32 v61, v62, v61, 1.0
.LBB96_138:
	s_or_b64 exec, exec, s[0:1]
	v_cmp_ne_u32_e32 vcc, v59, v56
	s_and_saveexec_b64 s[0:1], vcc
	s_xor_b64 s[0:1], exec, s[0:1]
	s_cbranch_execz .LBB96_144
; %bb.139:
	v_cmp_eq_u32_e32 vcc, 8, v59
	s_and_saveexec_b64 s[2:3], vcc
	s_cbranch_execz .LBB96_143
; %bb.140:
	v_cmp_ne_u32_e32 vcc, 8, v56
	s_xor_b64 s[12:13], s[20:21], -1
	s_and_b64 s[14:15], s[12:13], vcc
	s_and_saveexec_b64 s[12:13], s[14:15]
	s_cbranch_execz .LBB96_142
; %bb.141:
	v_ashrrev_i32_e32 v57, 31, v56
	v_lshl_add_u64 v[62:63], v[56:57], 2, v[4:5]
	global_load_dword v57, v[62:63], off
	global_load_dword v59, v[4:5], off offset:32
	s_waitcnt vmcnt(1)
	global_store_dword v[4:5], v57, off offset:32
	s_waitcnt vmcnt(1)
	global_store_dword v[62:63], v59, off
.LBB96_142:
	s_or_b64 exec, exec, s[12:13]
	v_mov_b32_e32 v57, v56
	v_mov_b32_e32 v59, v56
.LBB96_143:
	s_or_b64 exec, exec, s[2:3]
.LBB96_144:
	s_andn2_saveexec_b64 s[0:1], s[0:1]
	s_cbranch_execz .LBB96_146
; %bb.145:
	v_mov_b32_e32 v59, 8
	s_waitcnt vmcnt(38)
	ds_write2_b32 v55, v50, v51 offset0:9 offset1:10
	s_waitcnt vmcnt(36)
	ds_write2_b32 v55, v44, v45 offset0:11 offset1:12
	;; [unrolled: 2-line block ×20, first 2 shown]
.LBB96_146:
	s_or_b64 exec, exec, s[0:1]
	v_cmp_lt_i32_e32 vcc, 8, v59
	s_waitcnt lgkmcnt(0)
	s_barrier
	s_and_saveexec_b64 s[0:1], vcc
	s_cbranch_execz .LBB96_148
; %bb.147:
	ds_read2_b32 v[62:63], v55 offset0:9 offset1:10
	ds_read2_b32 v[64:65], v55 offset0:11 offset1:12
	;; [unrolled: 1-line block ×3, first 2 shown]
	v_mul_f32_e32 v56, v61, v35
	ds_read2_b32 v[68:69], v55 offset0:15 offset1:16
	s_waitcnt vmcnt(38) lgkmcnt(3)
	v_pk_fma_f32 v[50:51], v[56:57], v[62:63], v[50:51] op_sel_hi:[0,1,1] neg_lo:[1,0,0] neg_hi:[1,0,0]
	s_waitcnt vmcnt(36) lgkmcnt(2)
	v_pk_fma_f32 v[44:45], v[56:57], v[64:65], v[44:45] op_sel_hi:[0,1,1] neg_lo:[1,0,0] neg_hi:[1,0,0]
	s_waitcnt vmcnt(34) lgkmcnt(1)
	v_pk_fma_f32 v[36:37], v[56:57], v[66:67], v[36:37] op_sel_hi:[0,1,1] neg_lo:[1,0,0] neg_hi:[1,0,0]
	ds_read2_b32 v[62:63], v55 offset0:17 offset1:18
	ds_read2_b32 v[64:65], v55 offset0:19 offset1:20
	ds_read2_b32 v[66:67], v55 offset0:21 offset1:22
	s_waitcnt vmcnt(32) lgkmcnt(3)
	v_pk_fma_f32 v[26:27], v[56:57], v[68:69], v[26:27] op_sel_hi:[0,1,1] neg_lo:[1,0,0] neg_hi:[1,0,0]
	ds_read2_b32 v[68:69], v55 offset0:23 offset1:24
	s_waitcnt vmcnt(30) lgkmcnt(3)
	v_pk_fma_f32 v[46:47], v[56:57], v[62:63], v[46:47] op_sel_hi:[0,1,1] neg_lo:[1,0,0] neg_hi:[1,0,0]
	s_waitcnt vmcnt(28) lgkmcnt(2)
	v_pk_fma_f32 v[38:39], v[56:57], v[64:65], v[38:39] op_sel_hi:[0,1,1] neg_lo:[1,0,0] neg_hi:[1,0,0]
	s_waitcnt vmcnt(26) lgkmcnt(1)
	v_pk_fma_f32 v[28:29], v[56:57], v[66:67], v[28:29] op_sel_hi:[0,1,1] neg_lo:[1,0,0] neg_hi:[1,0,0]
	ds_read2_b32 v[62:63], v55 offset0:25 offset1:26
	ds_read2_b32 v[64:65], v55 offset0:27 offset1:28
	ds_read2_b32 v[66:67], v55 offset0:29 offset1:30
	s_waitcnt vmcnt(24) lgkmcnt(3)
	v_pk_fma_f32 v[18:19], v[56:57], v[68:69], v[18:19] op_sel_hi:[0,1,1] neg_lo:[1,0,0] neg_hi:[1,0,0]
	ds_read2_b32 v[68:69], v55 offset0:31 offset1:32
	s_waitcnt vmcnt(22) lgkmcnt(3)
	v_pk_fma_f32 v[40:41], v[56:57], v[62:63], v[40:41] op_sel_hi:[0,1,1] neg_lo:[1,0,0] neg_hi:[1,0,0]
	s_waitcnt vmcnt(20) lgkmcnt(2)
	v_pk_fma_f32 v[30:31], v[56:57], v[64:65], v[30:31] op_sel_hi:[0,1,1] neg_lo:[1,0,0] neg_hi:[1,0,0]
	s_waitcnt vmcnt(18) lgkmcnt(1)
	v_pk_fma_f32 v[20:21], v[56:57], v[66:67], v[20:21] op_sel_hi:[0,1,1] neg_lo:[1,0,0] neg_hi:[1,0,0]
	ds_read2_b32 v[62:63], v55 offset0:33 offset1:34
	ds_read2_b32 v[64:65], v55 offset0:35 offset1:36
	ds_read2_b32 v[66:67], v55 offset0:37 offset1:38
	s_waitcnt vmcnt(16) lgkmcnt(3)
	v_pk_fma_f32 v[12:13], v[56:57], v[68:69], v[12:13] op_sel_hi:[0,1,1] neg_lo:[1,0,0] neg_hi:[1,0,0]
	ds_read2_b32 v[68:69], v55 offset0:39 offset1:40
	s_waitcnt vmcnt(14) lgkmcnt(3)
	v_pk_fma_f32 v[32:33], v[56:57], v[62:63], v[32:33] op_sel_hi:[0,1,1] neg_lo:[1,0,0] neg_hi:[1,0,0]
	s_waitcnt vmcnt(12) lgkmcnt(2)
	v_pk_fma_f32 v[22:23], v[56:57], v[64:65], v[22:23] op_sel_hi:[0,1,1] neg_lo:[1,0,0] neg_hi:[1,0,0]
	;; [unrolled: 2-line block ×3, first 2 shown]
	ds_read2_b32 v[62:63], v55 offset0:41 offset1:42
	ds_read2_b32 v[64:65], v55 offset0:43 offset1:44
	;; [unrolled: 1-line block ×4, first 2 shown]
	s_waitcnt vmcnt(8) lgkmcnt(4)
	v_pk_fma_f32 v[0:1], v[56:57], v[68:69], v[0:1] op_sel_hi:[0,1,1] neg_lo:[1,0,0] neg_hi:[1,0,0]
	s_waitcnt vmcnt(6) lgkmcnt(3)
	v_pk_fma_f32 v[24:25], v[56:57], v[62:63], v[24:25] op_sel_hi:[0,1,1] neg_lo:[1,0,0] neg_hi:[1,0,0]
	;; [unrolled: 2-line block ×5, first 2 shown]
	v_mov_b32_e32 v35, v56
.LBB96_148:
	s_or_b64 exec, exec, s[0:1]
	v_lshl_add_u32 v56, v59, 2, v55
	s_barrier
	s_waitcnt vmcnt(39)
	ds_write_b32 v56, v50
	s_waitcnt lgkmcnt(0)
	s_barrier
	ds_read_b32 v61, v55 offset:36
	s_cmp_lt_i32 s22, 11
	v_mov_b32_e32 v56, 9
	s_cbranch_scc1 .LBB96_151
; %bb.149:
	v_add3_u32 v62, v58, 0, 40
	v_mov_b32_e32 v56, 9
	s_mov_b32 s0, 10
.LBB96_150:                             ; =>This Inner Loop Header: Depth=1
	ds_read_b32 v63, v62
	v_mov_b32_e32 v64, s0
	s_add_i32 s0, s0, 1
	v_add_u32_e32 v62, 4, v62
	s_cmp_lg_u32 s22, s0
	s_waitcnt lgkmcnt(0)
	v_cmp_lt_f32_e64 vcc, |v61|, |v63|
	s_nop 1
	v_cndmask_b32_e32 v61, v61, v63, vcc
	v_cndmask_b32_e32 v56, v56, v64, vcc
	s_cbranch_scc1 .LBB96_150
.LBB96_151:
	s_waitcnt lgkmcnt(0)
	v_cmp_eq_f32_e32 vcc, 0, v61
	s_and_saveexec_b64 s[0:1], vcc
	s_xor_b64 s[0:1], exec, s[0:1]
; %bb.152:
	v_cmp_ne_u32_e32 vcc, 0, v60
	s_nop 1
	v_cndmask_b32_e32 v60, 10, v60, vcc
; %bb.153:
	s_andn2_saveexec_b64 s[0:1], s[0:1]
	s_cbranch_execz .LBB96_155
; %bb.154:
	v_div_scale_f32 v62, s[2:3], v61, v61, 1.0
	v_rcp_f32_e32 v63, v62
	v_div_scale_f32 v64, vcc, 1.0, v61, 1.0
	v_fma_f32 v65, -v62, v63, 1.0
	v_fmac_f32_e32 v63, v65, v63
	v_mul_f32_e32 v65, v64, v63
	v_fma_f32 v66, -v62, v65, v64
	v_fmac_f32_e32 v65, v66, v63
	v_fma_f32 v62, -v62, v65, v64
	v_div_fmas_f32 v62, v62, v63, v65
	v_div_fixup_f32 v61, v62, v61, 1.0
.LBB96_155:
	s_or_b64 exec, exec, s[0:1]
	v_cmp_ne_u32_e32 vcc, v59, v56
	s_and_saveexec_b64 s[0:1], vcc
	s_xor_b64 s[0:1], exec, s[0:1]
	s_cbranch_execz .LBB96_161
; %bb.156:
	v_cmp_eq_u32_e32 vcc, 9, v59
	s_and_saveexec_b64 s[2:3], vcc
	s_cbranch_execz .LBB96_160
; %bb.157:
	v_cmp_ne_u32_e32 vcc, 9, v56
	s_xor_b64 s[12:13], s[20:21], -1
	s_and_b64 s[14:15], s[12:13], vcc
	s_and_saveexec_b64 s[12:13], s[14:15]
	s_cbranch_execz .LBB96_159
; %bb.158:
	v_ashrrev_i32_e32 v57, 31, v56
	v_lshl_add_u64 v[62:63], v[56:57], 2, v[4:5]
	global_load_dword v57, v[62:63], off
	global_load_dword v59, v[4:5], off offset:36
	s_waitcnt vmcnt(1)
	global_store_dword v[4:5], v57, off offset:36
	s_waitcnt vmcnt(1)
	global_store_dword v[62:63], v59, off
.LBB96_159:
	s_or_b64 exec, exec, s[12:13]
	v_mov_b32_e32 v57, v56
	v_mov_b32_e32 v59, v56
.LBB96_160:
	s_or_b64 exec, exec, s[2:3]
.LBB96_161:
	s_andn2_saveexec_b64 s[0:1], s[0:1]
	s_cbranch_execz .LBB96_163
; %bb.162:
	s_waitcnt vmcnt(36)
	v_pk_mov_b32 v[62:63], v[50:51], v[44:45] op_sel:[1,0]
	ds_write2_b32 v55, v62, v63 offset0:10 offset1:11
	s_waitcnt vmcnt(34)
	v_pk_mov_b32 v[62:63], v[44:45], v[36:37] op_sel:[1,0]
	ds_write2_b32 v55, v62, v63 offset0:12 offset1:13
	;; [unrolled: 3-line block ×18, first 2 shown]
	s_waitcnt vmcnt(0)
	v_pk_mov_b32 v[62:63], v[10:11], v[8:9] op_sel:[1,0]
	v_mov_b32_e32 v59, 9
	ds_write2_b32 v55, v62, v63 offset0:46 offset1:47
	ds_write_b32 v55, v9 offset:192
.LBB96_163:
	s_or_b64 exec, exec, s[0:1]
	v_cmp_lt_i32_e32 vcc, 9, v59
	s_waitcnt lgkmcnt(0)
	s_barrier
	s_and_saveexec_b64 s[0:1], vcc
	s_cbranch_execz .LBB96_165
; %bb.164:
	ds_read_b32 v56, v55 offset:40
	ds_read2_b32 v[62:63], v55 offset0:11 offset1:12
	ds_read2_b32 v[64:65], v55 offset0:13 offset1:14
	v_mul_f32_e32 v50, v61, v50
	ds_read2_b32 v[66:67], v55 offset0:15 offset1:16
	s_waitcnt vmcnt(38) lgkmcnt(3)
	v_fma_f32 v51, -v50, v56, v51
	s_waitcnt vmcnt(36) lgkmcnt(2)
	v_pk_fma_f32 v[44:45], v[50:51], v[62:63], v[44:45] op_sel_hi:[0,1,1] neg_lo:[1,0,0] neg_hi:[1,0,0]
	s_waitcnt vmcnt(34) lgkmcnt(1)
	v_pk_fma_f32 v[36:37], v[50:51], v[64:65], v[36:37] op_sel_hi:[0,1,1] neg_lo:[1,0,0] neg_hi:[1,0,0]
	ds_read2_b32 v[62:63], v55 offset0:17 offset1:18
	ds_read2_b32 v[64:65], v55 offset0:19 offset1:20
	ds_read2_b32 v[68:69], v55 offset0:21 offset1:22
	s_waitcnt vmcnt(32) lgkmcnt(3)
	v_pk_fma_f32 v[26:27], v[50:51], v[66:67], v[26:27] op_sel_hi:[0,1,1] neg_lo:[1,0,0] neg_hi:[1,0,0]
	ds_read2_b32 v[66:67], v55 offset0:23 offset1:24
	s_waitcnt vmcnt(30) lgkmcnt(3)
	v_pk_fma_f32 v[46:47], v[50:51], v[62:63], v[46:47] op_sel_hi:[0,1,1] neg_lo:[1,0,0] neg_hi:[1,0,0]
	s_waitcnt vmcnt(28) lgkmcnt(2)
	v_pk_fma_f32 v[38:39], v[50:51], v[64:65], v[38:39] op_sel_hi:[0,1,1] neg_lo:[1,0,0] neg_hi:[1,0,0]
	s_waitcnt vmcnt(26) lgkmcnt(1)
	v_pk_fma_f32 v[28:29], v[50:51], v[68:69], v[28:29] op_sel_hi:[0,1,1] neg_lo:[1,0,0] neg_hi:[1,0,0]
	ds_read2_b32 v[62:63], v55 offset0:25 offset1:26
	ds_read2_b32 v[64:65], v55 offset0:27 offset1:28
	ds_read2_b32 v[68:69], v55 offset0:29 offset1:30
	s_waitcnt vmcnt(24) lgkmcnt(3)
	v_pk_fma_f32 v[18:19], v[50:51], v[66:67], v[18:19] op_sel_hi:[0,1,1] neg_lo:[1,0,0] neg_hi:[1,0,0]
	ds_read2_b32 v[66:67], v55 offset0:31 offset1:32
	s_waitcnt vmcnt(22) lgkmcnt(3)
	v_pk_fma_f32 v[40:41], v[50:51], v[62:63], v[40:41] op_sel_hi:[0,1,1] neg_lo:[1,0,0] neg_hi:[1,0,0]
	;; [unrolled: 12-line block ×3, first 2 shown]
	s_waitcnt vmcnt(12) lgkmcnt(2)
	v_pk_fma_f32 v[22:23], v[50:51], v[64:65], v[22:23] op_sel_hi:[0,1,1] neg_lo:[1,0,0] neg_hi:[1,0,0]
	s_waitcnt vmcnt(10) lgkmcnt(1)
	v_pk_fma_f32 v[14:15], v[50:51], v[68:69], v[14:15] op_sel_hi:[0,1,1] neg_lo:[1,0,0] neg_hi:[1,0,0]
	ds_read2_b32 v[62:63], v55 offset0:41 offset1:42
	ds_read2_b32 v[64:65], v55 offset0:43 offset1:44
	;; [unrolled: 1-line block ×4, first 2 shown]
	s_waitcnt vmcnt(8) lgkmcnt(4)
	v_pk_fma_f32 v[0:1], v[50:51], v[66:67], v[0:1] op_sel_hi:[0,1,1] neg_lo:[1,0,0] neg_hi:[1,0,0]
	s_waitcnt vmcnt(6) lgkmcnt(3)
	v_pk_fma_f32 v[24:25], v[50:51], v[62:63], v[24:25] op_sel_hi:[0,1,1] neg_lo:[1,0,0] neg_hi:[1,0,0]
	;; [unrolled: 2-line block ×5, first 2 shown]
.LBB96_165:
	s_or_b64 exec, exec, s[0:1]
	v_lshl_add_u32 v56, v59, 2, v55
	s_barrier
	s_waitcnt vmcnt(38)
	ds_write_b32 v56, v51
	s_waitcnt lgkmcnt(0)
	s_barrier
	ds_read_b32 v61, v55 offset:40
	s_cmp_lt_i32 s22, 12
	v_mov_b32_e32 v56, 10
	s_cbranch_scc1 .LBB96_168
; %bb.166:
	v_add3_u32 v62, v58, 0, 44
	v_mov_b32_e32 v56, 10
	s_mov_b32 s0, 11
.LBB96_167:                             ; =>This Inner Loop Header: Depth=1
	ds_read_b32 v63, v62
	v_mov_b32_e32 v64, s0
	s_add_i32 s0, s0, 1
	v_add_u32_e32 v62, 4, v62
	s_cmp_lg_u32 s22, s0
	s_waitcnt lgkmcnt(0)
	v_cmp_lt_f32_e64 vcc, |v61|, |v63|
	s_nop 1
	v_cndmask_b32_e32 v61, v61, v63, vcc
	v_cndmask_b32_e32 v56, v56, v64, vcc
	s_cbranch_scc1 .LBB96_167
.LBB96_168:
	s_waitcnt lgkmcnt(0)
	v_cmp_eq_f32_e32 vcc, 0, v61
	s_and_saveexec_b64 s[0:1], vcc
	s_xor_b64 s[0:1], exec, s[0:1]
; %bb.169:
	v_cmp_ne_u32_e32 vcc, 0, v60
	s_nop 1
	v_cndmask_b32_e32 v60, 11, v60, vcc
; %bb.170:
	s_andn2_saveexec_b64 s[0:1], s[0:1]
	s_cbranch_execz .LBB96_172
; %bb.171:
	v_div_scale_f32 v62, s[2:3], v61, v61, 1.0
	v_rcp_f32_e32 v63, v62
	v_div_scale_f32 v64, vcc, 1.0, v61, 1.0
	v_fma_f32 v65, -v62, v63, 1.0
	v_fmac_f32_e32 v63, v65, v63
	v_mul_f32_e32 v65, v64, v63
	v_fma_f32 v66, -v62, v65, v64
	v_fmac_f32_e32 v65, v66, v63
	v_fma_f32 v62, -v62, v65, v64
	v_div_fmas_f32 v62, v62, v63, v65
	v_div_fixup_f32 v61, v62, v61, 1.0
.LBB96_172:
	s_or_b64 exec, exec, s[0:1]
	v_cmp_ne_u32_e32 vcc, v59, v56
	s_and_saveexec_b64 s[0:1], vcc
	s_xor_b64 s[0:1], exec, s[0:1]
	s_cbranch_execz .LBB96_178
; %bb.173:
	v_cmp_eq_u32_e32 vcc, 10, v59
	s_and_saveexec_b64 s[2:3], vcc
	s_cbranch_execz .LBB96_177
; %bb.174:
	v_cmp_ne_u32_e32 vcc, 10, v56
	s_xor_b64 s[12:13], s[20:21], -1
	s_and_b64 s[14:15], s[12:13], vcc
	s_and_saveexec_b64 s[12:13], s[14:15]
	s_cbranch_execz .LBB96_176
; %bb.175:
	v_ashrrev_i32_e32 v57, 31, v56
	v_lshl_add_u64 v[62:63], v[56:57], 2, v[4:5]
	global_load_dword v57, v[62:63], off
	global_load_dword v59, v[4:5], off offset:40
	s_waitcnt vmcnt(1)
	global_store_dword v[4:5], v57, off offset:40
	s_waitcnt vmcnt(1)
	global_store_dword v[62:63], v59, off
.LBB96_176:
	s_or_b64 exec, exec, s[12:13]
	v_mov_b32_e32 v57, v56
	v_mov_b32_e32 v59, v56
.LBB96_177:
	s_or_b64 exec, exec, s[2:3]
.LBB96_178:
	s_andn2_saveexec_b64 s[0:1], s[0:1]
	s_cbranch_execz .LBB96_180
; %bb.179:
	v_mov_b32_e32 v59, 10
	s_waitcnt vmcnt(36)
	ds_write2_b32 v55, v44, v45 offset0:11 offset1:12
	s_waitcnt vmcnt(34)
	ds_write2_b32 v55, v36, v37 offset0:13 offset1:14
	;; [unrolled: 2-line block ×19, first 2 shown]
.LBB96_180:
	s_or_b64 exec, exec, s[0:1]
	v_cmp_lt_i32_e32 vcc, 10, v59
	s_waitcnt lgkmcnt(0)
	s_barrier
	s_and_saveexec_b64 s[0:1], vcc
	s_cbranch_execz .LBB96_182
; %bb.181:
	ds_read2_b32 v[62:63], v55 offset0:11 offset1:12
	ds_read2_b32 v[64:65], v55 offset0:13 offset1:14
	;; [unrolled: 1-line block ×3, first 2 shown]
	v_mul_f32_e32 v56, v61, v51
	ds_read2_b32 v[68:69], v55 offset0:17 offset1:18
	s_waitcnt vmcnt(36) lgkmcnt(3)
	v_pk_fma_f32 v[44:45], v[56:57], v[62:63], v[44:45] op_sel_hi:[0,1,1] neg_lo:[1,0,0] neg_hi:[1,0,0]
	s_waitcnt vmcnt(34) lgkmcnt(2)
	v_pk_fma_f32 v[36:37], v[56:57], v[64:65], v[36:37] op_sel_hi:[0,1,1] neg_lo:[1,0,0] neg_hi:[1,0,0]
	;; [unrolled: 2-line block ×3, first 2 shown]
	ds_read2_b32 v[62:63], v55 offset0:19 offset1:20
	ds_read2_b32 v[64:65], v55 offset0:21 offset1:22
	;; [unrolled: 1-line block ×3, first 2 shown]
	s_waitcnt vmcnt(30) lgkmcnt(3)
	v_pk_fma_f32 v[46:47], v[56:57], v[68:69], v[46:47] op_sel_hi:[0,1,1] neg_lo:[1,0,0] neg_hi:[1,0,0]
	ds_read2_b32 v[68:69], v55 offset0:25 offset1:26
	s_waitcnt vmcnt(28) lgkmcnt(3)
	v_pk_fma_f32 v[38:39], v[56:57], v[62:63], v[38:39] op_sel_hi:[0,1,1] neg_lo:[1,0,0] neg_hi:[1,0,0]
	s_waitcnt vmcnt(26) lgkmcnt(2)
	v_pk_fma_f32 v[28:29], v[56:57], v[64:65], v[28:29] op_sel_hi:[0,1,1] neg_lo:[1,0,0] neg_hi:[1,0,0]
	;; [unrolled: 2-line block ×3, first 2 shown]
	ds_read2_b32 v[62:63], v55 offset0:27 offset1:28
	ds_read2_b32 v[64:65], v55 offset0:29 offset1:30
	;; [unrolled: 1-line block ×3, first 2 shown]
	s_waitcnt vmcnt(22) lgkmcnt(3)
	v_pk_fma_f32 v[40:41], v[56:57], v[68:69], v[40:41] op_sel_hi:[0,1,1] neg_lo:[1,0,0] neg_hi:[1,0,0]
	ds_read2_b32 v[68:69], v55 offset0:33 offset1:34
	s_waitcnt vmcnt(20) lgkmcnt(3)
	v_pk_fma_f32 v[30:31], v[56:57], v[62:63], v[30:31] op_sel_hi:[0,1,1] neg_lo:[1,0,0] neg_hi:[1,0,0]
	s_waitcnt vmcnt(18) lgkmcnt(2)
	v_pk_fma_f32 v[20:21], v[56:57], v[64:65], v[20:21] op_sel_hi:[0,1,1] neg_lo:[1,0,0] neg_hi:[1,0,0]
	ds_read2_b32 v[62:63], v55 offset0:35 offset1:36
	ds_read2_b32 v[64:65], v55 offset0:37 offset1:38
	s_waitcnt vmcnt(16) lgkmcnt(3)
	v_pk_fma_f32 v[12:13], v[56:57], v[66:67], v[12:13] op_sel_hi:[0,1,1] neg_lo:[1,0,0] neg_hi:[1,0,0]
	s_waitcnt vmcnt(14) lgkmcnt(2)
	v_pk_fma_f32 v[32:33], v[56:57], v[68:69], v[32:33] op_sel_hi:[0,1,1] neg_lo:[1,0,0] neg_hi:[1,0,0]
	ds_read2_b32 v[66:67], v55 offset0:39 offset1:40
	;; [unrolled: 6-line block ×3, first 2 shown]
	ds_read2_b32 v[64:65], v55 offset0:45 offset1:46
	ds_read2_b32 v[70:71], v55 offset0:47 offset1:48
	s_waitcnt vmcnt(8) lgkmcnt(4)
	v_pk_fma_f32 v[0:1], v[56:57], v[66:67], v[0:1] op_sel_hi:[0,1,1] neg_lo:[1,0,0] neg_hi:[1,0,0]
	s_waitcnt vmcnt(6) lgkmcnt(3)
	v_pk_fma_f32 v[24:25], v[56:57], v[68:69], v[24:25] op_sel_hi:[0,1,1] neg_lo:[1,0,0] neg_hi:[1,0,0]
	;; [unrolled: 2-line block ×5, first 2 shown]
	v_mov_b32_e32 v51, v56
.LBB96_182:
	s_or_b64 exec, exec, s[0:1]
	v_lshl_add_u32 v56, v59, 2, v55
	s_barrier
	s_waitcnt vmcnt(37)
	ds_write_b32 v56, v44
	s_waitcnt lgkmcnt(0)
	s_barrier
	ds_read_b32 v61, v55 offset:44
	s_cmp_lt_i32 s22, 13
	v_mov_b32_e32 v56, 11
	s_cbranch_scc1 .LBB96_185
; %bb.183:
	v_add3_u32 v62, v58, 0, 48
	v_mov_b32_e32 v56, 11
	s_mov_b32 s0, 12
.LBB96_184:                             ; =>This Inner Loop Header: Depth=1
	ds_read_b32 v63, v62
	v_mov_b32_e32 v64, s0
	s_add_i32 s0, s0, 1
	v_add_u32_e32 v62, 4, v62
	s_cmp_lg_u32 s22, s0
	s_waitcnt lgkmcnt(0)
	v_cmp_lt_f32_e64 vcc, |v61|, |v63|
	s_nop 1
	v_cndmask_b32_e32 v61, v61, v63, vcc
	v_cndmask_b32_e32 v56, v56, v64, vcc
	s_cbranch_scc1 .LBB96_184
.LBB96_185:
	s_waitcnt lgkmcnt(0)
	v_cmp_eq_f32_e32 vcc, 0, v61
	s_and_saveexec_b64 s[0:1], vcc
	s_xor_b64 s[0:1], exec, s[0:1]
; %bb.186:
	v_cmp_ne_u32_e32 vcc, 0, v60
	s_nop 1
	v_cndmask_b32_e32 v60, 12, v60, vcc
; %bb.187:
	s_andn2_saveexec_b64 s[0:1], s[0:1]
	s_cbranch_execz .LBB96_189
; %bb.188:
	v_div_scale_f32 v62, s[2:3], v61, v61, 1.0
	v_rcp_f32_e32 v63, v62
	v_div_scale_f32 v64, vcc, 1.0, v61, 1.0
	v_fma_f32 v65, -v62, v63, 1.0
	v_fmac_f32_e32 v63, v65, v63
	v_mul_f32_e32 v65, v64, v63
	v_fma_f32 v66, -v62, v65, v64
	v_fmac_f32_e32 v65, v66, v63
	v_fma_f32 v62, -v62, v65, v64
	v_div_fmas_f32 v62, v62, v63, v65
	v_div_fixup_f32 v61, v62, v61, 1.0
.LBB96_189:
	s_or_b64 exec, exec, s[0:1]
	v_cmp_ne_u32_e32 vcc, v59, v56
	s_and_saveexec_b64 s[0:1], vcc
	s_xor_b64 s[0:1], exec, s[0:1]
	s_cbranch_execz .LBB96_195
; %bb.190:
	v_cmp_eq_u32_e32 vcc, 11, v59
	s_and_saveexec_b64 s[2:3], vcc
	s_cbranch_execz .LBB96_194
; %bb.191:
	v_cmp_ne_u32_e32 vcc, 11, v56
	s_xor_b64 s[12:13], s[20:21], -1
	s_and_b64 s[14:15], s[12:13], vcc
	s_and_saveexec_b64 s[12:13], s[14:15]
	s_cbranch_execz .LBB96_193
; %bb.192:
	v_ashrrev_i32_e32 v57, 31, v56
	v_lshl_add_u64 v[62:63], v[56:57], 2, v[4:5]
	global_load_dword v57, v[62:63], off
	global_load_dword v59, v[4:5], off offset:44
	s_waitcnt vmcnt(1)
	global_store_dword v[4:5], v57, off offset:44
	s_waitcnt vmcnt(1)
	global_store_dword v[62:63], v59, off
.LBB96_193:
	s_or_b64 exec, exec, s[12:13]
	v_mov_b32_e32 v57, v56
	v_mov_b32_e32 v59, v56
.LBB96_194:
	s_or_b64 exec, exec, s[2:3]
.LBB96_195:
	s_andn2_saveexec_b64 s[0:1], s[0:1]
	s_cbranch_execz .LBB96_197
; %bb.196:
	s_waitcnt vmcnt(34)
	v_pk_mov_b32 v[62:63], v[44:45], v[36:37] op_sel:[1,0]
	ds_write2_b32 v55, v62, v63 offset0:12 offset1:13
	s_waitcnt vmcnt(32)
	v_pk_mov_b32 v[62:63], v[36:37], v[26:27] op_sel:[1,0]
	ds_write2_b32 v55, v62, v63 offset0:14 offset1:15
	s_waitcnt vmcnt(30)
	v_pk_mov_b32 v[62:63], v[26:27], v[46:47] op_sel:[1,0]
	ds_write2_b32 v55, v62, v63 offset0:16 offset1:17
	s_waitcnt vmcnt(28)
	v_pk_mov_b32 v[62:63], v[46:47], v[38:39] op_sel:[1,0]
	ds_write2_b32 v55, v62, v63 offset0:18 offset1:19
	s_waitcnt vmcnt(26)
	v_pk_mov_b32 v[62:63], v[38:39], v[28:29] op_sel:[1,0]
	ds_write2_b32 v55, v62, v63 offset0:20 offset1:21
	s_waitcnt vmcnt(24)
	v_pk_mov_b32 v[62:63], v[28:29], v[18:19] op_sel:[1,0]
	ds_write2_b32 v55, v62, v63 offset0:22 offset1:23
	s_waitcnt vmcnt(22)
	v_pk_mov_b32 v[62:63], v[18:19], v[40:41] op_sel:[1,0]
	ds_write2_b32 v55, v62, v63 offset0:24 offset1:25
	s_waitcnt vmcnt(20)
	v_pk_mov_b32 v[62:63], v[40:41], v[30:31] op_sel:[1,0]
	ds_write2_b32 v55, v62, v63 offset0:26 offset1:27
	s_waitcnt vmcnt(18)
	v_pk_mov_b32 v[62:63], v[30:31], v[20:21] op_sel:[1,0]
	ds_write2_b32 v55, v62, v63 offset0:28 offset1:29
	s_waitcnt vmcnt(16)
	v_pk_mov_b32 v[62:63], v[20:21], v[12:13] op_sel:[1,0]
	ds_write2_b32 v55, v62, v63 offset0:30 offset1:31
	s_waitcnt vmcnt(14)
	v_pk_mov_b32 v[62:63], v[12:13], v[32:33] op_sel:[1,0]
	ds_write2_b32 v55, v62, v63 offset0:32 offset1:33
	s_waitcnt vmcnt(12)
	v_pk_mov_b32 v[62:63], v[32:33], v[22:23] op_sel:[1,0]
	ds_write2_b32 v55, v62, v63 offset0:34 offset1:35
	s_waitcnt vmcnt(10)
	v_pk_mov_b32 v[62:63], v[22:23], v[14:15] op_sel:[1,0]
	ds_write2_b32 v55, v62, v63 offset0:36 offset1:37
	s_waitcnt vmcnt(8)
	v_pk_mov_b32 v[62:63], v[14:15], v[0:1] op_sel:[1,0]
	ds_write2_b32 v55, v62, v63 offset0:38 offset1:39
	s_waitcnt vmcnt(6)
	v_pk_mov_b32 v[62:63], v[0:1], v[24:25] op_sel:[1,0]
	ds_write2_b32 v55, v62, v63 offset0:40 offset1:41
	s_waitcnt vmcnt(4)
	v_pk_mov_b32 v[62:63], v[24:25], v[16:17] op_sel:[1,0]
	ds_write2_b32 v55, v62, v63 offset0:42 offset1:43
	s_waitcnt vmcnt(2)
	v_pk_mov_b32 v[62:63], v[16:17], v[10:11] op_sel:[1,0]
	ds_write2_b32 v55, v62, v63 offset0:44 offset1:45
	s_waitcnt vmcnt(0)
	v_pk_mov_b32 v[62:63], v[10:11], v[8:9] op_sel:[1,0]
	v_mov_b32_e32 v59, 11
	ds_write2_b32 v55, v62, v63 offset0:46 offset1:47
	ds_write_b32 v55, v9 offset:192
.LBB96_197:
	s_or_b64 exec, exec, s[0:1]
	v_cmp_lt_i32_e32 vcc, 11, v59
	s_waitcnt lgkmcnt(0)
	s_barrier
	s_and_saveexec_b64 s[0:1], vcc
	s_cbranch_execz .LBB96_199
; %bb.198:
	ds_read_b32 v56, v55 offset:48
	ds_read2_b32 v[62:63], v55 offset0:13 offset1:14
	ds_read2_b32 v[64:65], v55 offset0:15 offset1:16
	v_mul_f32_e32 v44, v61, v44
	ds_read2_b32 v[66:67], v55 offset0:17 offset1:18
	s_waitcnt vmcnt(36) lgkmcnt(3)
	v_fma_f32 v45, -v44, v56, v45
	s_waitcnt vmcnt(34) lgkmcnt(2)
	v_pk_fma_f32 v[36:37], v[44:45], v[62:63], v[36:37] op_sel_hi:[0,1,1] neg_lo:[1,0,0] neg_hi:[1,0,0]
	s_waitcnt vmcnt(32) lgkmcnt(1)
	v_pk_fma_f32 v[26:27], v[44:45], v[64:65], v[26:27] op_sel_hi:[0,1,1] neg_lo:[1,0,0] neg_hi:[1,0,0]
	ds_read2_b32 v[62:63], v55 offset0:19 offset1:20
	ds_read2_b32 v[64:65], v55 offset0:21 offset1:22
	;; [unrolled: 1-line block ×3, first 2 shown]
	s_waitcnt vmcnt(30) lgkmcnt(3)
	v_pk_fma_f32 v[46:47], v[44:45], v[66:67], v[46:47] op_sel_hi:[0,1,1] neg_lo:[1,0,0] neg_hi:[1,0,0]
	ds_read2_b32 v[66:67], v55 offset0:25 offset1:26
	s_waitcnt vmcnt(28) lgkmcnt(3)
	v_pk_fma_f32 v[38:39], v[44:45], v[62:63], v[38:39] op_sel_hi:[0,1,1] neg_lo:[1,0,0] neg_hi:[1,0,0]
	s_waitcnt vmcnt(26) lgkmcnt(2)
	v_pk_fma_f32 v[28:29], v[44:45], v[64:65], v[28:29] op_sel_hi:[0,1,1] neg_lo:[1,0,0] neg_hi:[1,0,0]
	;; [unrolled: 2-line block ×3, first 2 shown]
	ds_read2_b32 v[62:63], v55 offset0:27 offset1:28
	ds_read2_b32 v[64:65], v55 offset0:29 offset1:30
	;; [unrolled: 1-line block ×3, first 2 shown]
	s_waitcnt vmcnt(22) lgkmcnt(3)
	v_pk_fma_f32 v[40:41], v[44:45], v[66:67], v[40:41] op_sel_hi:[0,1,1] neg_lo:[1,0,0] neg_hi:[1,0,0]
	ds_read2_b32 v[66:67], v55 offset0:33 offset1:34
	s_waitcnt vmcnt(20) lgkmcnt(3)
	v_pk_fma_f32 v[30:31], v[44:45], v[62:63], v[30:31] op_sel_hi:[0,1,1] neg_lo:[1,0,0] neg_hi:[1,0,0]
	s_waitcnt vmcnt(18) lgkmcnt(2)
	v_pk_fma_f32 v[20:21], v[44:45], v[64:65], v[20:21] op_sel_hi:[0,1,1] neg_lo:[1,0,0] neg_hi:[1,0,0]
	ds_read2_b32 v[62:63], v55 offset0:35 offset1:36
	ds_read2_b32 v[64:65], v55 offset0:37 offset1:38
	s_waitcnt vmcnt(16) lgkmcnt(3)
	v_pk_fma_f32 v[12:13], v[44:45], v[68:69], v[12:13] op_sel_hi:[0,1,1] neg_lo:[1,0,0] neg_hi:[1,0,0]
	s_waitcnt vmcnt(14) lgkmcnt(2)
	v_pk_fma_f32 v[32:33], v[44:45], v[66:67], v[32:33] op_sel_hi:[0,1,1] neg_lo:[1,0,0] neg_hi:[1,0,0]
	ds_read2_b32 v[66:67], v55 offset0:39 offset1:40
	;; [unrolled: 6-line block ×3, first 2 shown]
	ds_read2_b32 v[64:65], v55 offset0:45 offset1:46
	ds_read2_b32 v[70:71], v55 offset0:47 offset1:48
	s_waitcnt vmcnt(8) lgkmcnt(4)
	v_pk_fma_f32 v[0:1], v[44:45], v[66:67], v[0:1] op_sel_hi:[0,1,1] neg_lo:[1,0,0] neg_hi:[1,0,0]
	s_waitcnt vmcnt(6) lgkmcnt(3)
	v_pk_fma_f32 v[24:25], v[44:45], v[68:69], v[24:25] op_sel_hi:[0,1,1] neg_lo:[1,0,0] neg_hi:[1,0,0]
	;; [unrolled: 2-line block ×5, first 2 shown]
.LBB96_199:
	s_or_b64 exec, exec, s[0:1]
	v_lshl_add_u32 v56, v59, 2, v55
	s_barrier
	s_waitcnt vmcnt(36)
	ds_write_b32 v56, v45
	s_waitcnt lgkmcnt(0)
	s_barrier
	ds_read_b32 v61, v55 offset:48
	s_cmp_lt_i32 s22, 14
	v_mov_b32_e32 v56, 12
	s_cbranch_scc1 .LBB96_202
; %bb.200:
	v_add3_u32 v62, v58, 0, 52
	v_mov_b32_e32 v56, 12
	s_mov_b32 s0, 13
.LBB96_201:                             ; =>This Inner Loop Header: Depth=1
	ds_read_b32 v63, v62
	v_mov_b32_e32 v64, s0
	s_add_i32 s0, s0, 1
	v_add_u32_e32 v62, 4, v62
	s_cmp_lg_u32 s22, s0
	s_waitcnt lgkmcnt(0)
	v_cmp_lt_f32_e64 vcc, |v61|, |v63|
	s_nop 1
	v_cndmask_b32_e32 v61, v61, v63, vcc
	v_cndmask_b32_e32 v56, v56, v64, vcc
	s_cbranch_scc1 .LBB96_201
.LBB96_202:
	s_waitcnt lgkmcnt(0)
	v_cmp_eq_f32_e32 vcc, 0, v61
	s_and_saveexec_b64 s[0:1], vcc
	s_xor_b64 s[0:1], exec, s[0:1]
; %bb.203:
	v_cmp_ne_u32_e32 vcc, 0, v60
	s_nop 1
	v_cndmask_b32_e32 v60, 13, v60, vcc
; %bb.204:
	s_andn2_saveexec_b64 s[0:1], s[0:1]
	s_cbranch_execz .LBB96_206
; %bb.205:
	v_div_scale_f32 v62, s[2:3], v61, v61, 1.0
	v_rcp_f32_e32 v63, v62
	v_div_scale_f32 v64, vcc, 1.0, v61, 1.0
	v_fma_f32 v65, -v62, v63, 1.0
	v_fmac_f32_e32 v63, v65, v63
	v_mul_f32_e32 v65, v64, v63
	v_fma_f32 v66, -v62, v65, v64
	v_fmac_f32_e32 v65, v66, v63
	v_fma_f32 v62, -v62, v65, v64
	v_div_fmas_f32 v62, v62, v63, v65
	v_div_fixup_f32 v61, v62, v61, 1.0
.LBB96_206:
	s_or_b64 exec, exec, s[0:1]
	v_cmp_ne_u32_e32 vcc, v59, v56
	s_and_saveexec_b64 s[0:1], vcc
	s_xor_b64 s[0:1], exec, s[0:1]
	s_cbranch_execz .LBB96_212
; %bb.207:
	v_cmp_eq_u32_e32 vcc, 12, v59
	s_and_saveexec_b64 s[2:3], vcc
	s_cbranch_execz .LBB96_211
; %bb.208:
	v_cmp_ne_u32_e32 vcc, 12, v56
	s_xor_b64 s[12:13], s[20:21], -1
	s_and_b64 s[14:15], s[12:13], vcc
	s_and_saveexec_b64 s[12:13], s[14:15]
	s_cbranch_execz .LBB96_210
; %bb.209:
	v_ashrrev_i32_e32 v57, 31, v56
	v_lshl_add_u64 v[62:63], v[56:57], 2, v[4:5]
	global_load_dword v57, v[62:63], off
	global_load_dword v59, v[4:5], off offset:48
	s_waitcnt vmcnt(1)
	global_store_dword v[4:5], v57, off offset:48
	s_waitcnt vmcnt(1)
	global_store_dword v[62:63], v59, off
.LBB96_210:
	s_or_b64 exec, exec, s[12:13]
	v_mov_b32_e32 v57, v56
	v_mov_b32_e32 v59, v56
.LBB96_211:
	s_or_b64 exec, exec, s[2:3]
.LBB96_212:
	s_andn2_saveexec_b64 s[0:1], s[0:1]
	s_cbranch_execz .LBB96_214
; %bb.213:
	v_mov_b32_e32 v59, 12
	s_waitcnt vmcnt(34)
	ds_write2_b32 v55, v36, v37 offset0:13 offset1:14
	s_waitcnt vmcnt(32)
	ds_write2_b32 v55, v26, v27 offset0:15 offset1:16
	;; [unrolled: 2-line block ×18, first 2 shown]
.LBB96_214:
	s_or_b64 exec, exec, s[0:1]
	v_cmp_lt_i32_e32 vcc, 12, v59
	s_waitcnt lgkmcnt(0)
	s_barrier
	s_and_saveexec_b64 s[0:1], vcc
	s_cbranch_execz .LBB96_216
; %bb.215:
	ds_read2_b32 v[62:63], v55 offset0:13 offset1:14
	ds_read2_b32 v[64:65], v55 offset0:15 offset1:16
	;; [unrolled: 1-line block ×4, first 2 shown]
	v_mul_f32_e32 v56, v61, v45
	s_waitcnt vmcnt(34) lgkmcnt(3)
	v_pk_fma_f32 v[36:37], v[56:57], v[62:63], v[36:37] op_sel_hi:[0,1,1] neg_lo:[1,0,0] neg_hi:[1,0,0]
	s_waitcnt vmcnt(32) lgkmcnt(2)
	v_pk_fma_f32 v[26:27], v[56:57], v[64:65], v[26:27] op_sel_hi:[0,1,1] neg_lo:[1,0,0] neg_hi:[1,0,0]
	;; [unrolled: 2-line block ×3, first 2 shown]
	ds_read2_b32 v[62:63], v55 offset0:21 offset1:22
	ds_read2_b32 v[64:65], v55 offset0:23 offset1:24
	;; [unrolled: 1-line block ×3, first 2 shown]
	s_waitcnt vmcnt(28) lgkmcnt(3)
	v_pk_fma_f32 v[38:39], v[56:57], v[68:69], v[38:39] op_sel_hi:[0,1,1] neg_lo:[1,0,0] neg_hi:[1,0,0]
	ds_read2_b32 v[68:69], v55 offset0:27 offset1:28
	s_waitcnt vmcnt(26) lgkmcnt(3)
	v_pk_fma_f32 v[28:29], v[56:57], v[62:63], v[28:29] op_sel_hi:[0,1,1] neg_lo:[1,0,0] neg_hi:[1,0,0]
	s_waitcnt vmcnt(24) lgkmcnt(2)
	v_pk_fma_f32 v[18:19], v[56:57], v[64:65], v[18:19] op_sel_hi:[0,1,1] neg_lo:[1,0,0] neg_hi:[1,0,0]
	;; [unrolled: 2-line block ×3, first 2 shown]
	ds_read2_b32 v[62:63], v55 offset0:29 offset1:30
	ds_read2_b32 v[64:65], v55 offset0:31 offset1:32
	;; [unrolled: 1-line block ×3, first 2 shown]
	s_waitcnt vmcnt(20) lgkmcnt(3)
	v_pk_fma_f32 v[30:31], v[56:57], v[68:69], v[30:31] op_sel_hi:[0,1,1] neg_lo:[1,0,0] neg_hi:[1,0,0]
	ds_read2_b32 v[68:69], v55 offset0:35 offset1:36
	s_waitcnt vmcnt(18) lgkmcnt(3)
	v_pk_fma_f32 v[20:21], v[56:57], v[62:63], v[20:21] op_sel_hi:[0,1,1] neg_lo:[1,0,0] neg_hi:[1,0,0]
	ds_read2_b32 v[62:63], v55 offset0:37 offset1:38
	s_waitcnt vmcnt(16) lgkmcnt(3)
	v_pk_fma_f32 v[12:13], v[56:57], v[64:65], v[12:13] op_sel_hi:[0,1,1] neg_lo:[1,0,0] neg_hi:[1,0,0]
	s_waitcnt vmcnt(14) lgkmcnt(2)
	v_pk_fma_f32 v[32:33], v[56:57], v[66:67], v[32:33] op_sel_hi:[0,1,1] neg_lo:[1,0,0] neg_hi:[1,0,0]
	;; [unrolled: 2-line block ×3, first 2 shown]
	ds_read2_b32 v[64:65], v55 offset0:39 offset1:40
	ds_read2_b32 v[66:67], v55 offset0:41 offset1:42
	;; [unrolled: 1-line block ×3, first 2 shown]
	s_waitcnt vmcnt(10) lgkmcnt(3)
	v_pk_fma_f32 v[14:15], v[56:57], v[62:63], v[14:15] op_sel_hi:[0,1,1] neg_lo:[1,0,0] neg_hi:[1,0,0]
	ds_read2_b32 v[62:63], v55 offset0:45 offset1:46
	ds_read2_b32 v[70:71], v55 offset0:47 offset1:48
	s_waitcnt vmcnt(8) lgkmcnt(4)
	v_pk_fma_f32 v[0:1], v[56:57], v[64:65], v[0:1] op_sel_hi:[0,1,1] neg_lo:[1,0,0] neg_hi:[1,0,0]
	s_waitcnt vmcnt(6) lgkmcnt(3)
	v_pk_fma_f32 v[24:25], v[56:57], v[66:67], v[24:25] op_sel_hi:[0,1,1] neg_lo:[1,0,0] neg_hi:[1,0,0]
	;; [unrolled: 2-line block ×5, first 2 shown]
	v_mov_b32_e32 v45, v56
.LBB96_216:
	s_or_b64 exec, exec, s[0:1]
	v_lshl_add_u32 v56, v59, 2, v55
	s_barrier
	s_waitcnt vmcnt(35)
	ds_write_b32 v56, v36
	s_waitcnt lgkmcnt(0)
	s_barrier
	ds_read_b32 v61, v55 offset:52
	s_cmp_lt_i32 s22, 15
	v_mov_b32_e32 v56, 13
	s_cbranch_scc1 .LBB96_219
; %bb.217:
	v_add3_u32 v62, v58, 0, 56
	v_mov_b32_e32 v56, 13
	s_mov_b32 s0, 14
.LBB96_218:                             ; =>This Inner Loop Header: Depth=1
	ds_read_b32 v63, v62
	v_mov_b32_e32 v64, s0
	s_add_i32 s0, s0, 1
	v_add_u32_e32 v62, 4, v62
	s_cmp_lg_u32 s22, s0
	s_waitcnt lgkmcnt(0)
	v_cmp_lt_f32_e64 vcc, |v61|, |v63|
	s_nop 1
	v_cndmask_b32_e32 v61, v61, v63, vcc
	v_cndmask_b32_e32 v56, v56, v64, vcc
	s_cbranch_scc1 .LBB96_218
.LBB96_219:
	s_waitcnt lgkmcnt(0)
	v_cmp_eq_f32_e32 vcc, 0, v61
	s_and_saveexec_b64 s[0:1], vcc
	s_xor_b64 s[0:1], exec, s[0:1]
; %bb.220:
	v_cmp_ne_u32_e32 vcc, 0, v60
	s_nop 1
	v_cndmask_b32_e32 v60, 14, v60, vcc
; %bb.221:
	s_andn2_saveexec_b64 s[0:1], s[0:1]
	s_cbranch_execz .LBB96_223
; %bb.222:
	v_div_scale_f32 v62, s[2:3], v61, v61, 1.0
	v_rcp_f32_e32 v63, v62
	v_div_scale_f32 v64, vcc, 1.0, v61, 1.0
	v_fma_f32 v65, -v62, v63, 1.0
	v_fmac_f32_e32 v63, v65, v63
	v_mul_f32_e32 v65, v64, v63
	v_fma_f32 v66, -v62, v65, v64
	v_fmac_f32_e32 v65, v66, v63
	v_fma_f32 v62, -v62, v65, v64
	v_div_fmas_f32 v62, v62, v63, v65
	v_div_fixup_f32 v61, v62, v61, 1.0
.LBB96_223:
	s_or_b64 exec, exec, s[0:1]
	v_cmp_ne_u32_e32 vcc, v59, v56
	s_and_saveexec_b64 s[0:1], vcc
	s_xor_b64 s[0:1], exec, s[0:1]
	s_cbranch_execz .LBB96_229
; %bb.224:
	v_cmp_eq_u32_e32 vcc, 13, v59
	s_and_saveexec_b64 s[2:3], vcc
	s_cbranch_execz .LBB96_228
; %bb.225:
	v_cmp_ne_u32_e32 vcc, 13, v56
	s_xor_b64 s[12:13], s[20:21], -1
	s_and_b64 s[14:15], s[12:13], vcc
	s_and_saveexec_b64 s[12:13], s[14:15]
	s_cbranch_execz .LBB96_227
; %bb.226:
	v_ashrrev_i32_e32 v57, 31, v56
	v_lshl_add_u64 v[62:63], v[56:57], 2, v[4:5]
	global_load_dword v57, v[62:63], off
	global_load_dword v59, v[4:5], off offset:52
	s_waitcnt vmcnt(1)
	global_store_dword v[4:5], v57, off offset:52
	s_waitcnt vmcnt(1)
	global_store_dword v[62:63], v59, off
.LBB96_227:
	s_or_b64 exec, exec, s[12:13]
	v_mov_b32_e32 v57, v56
	v_mov_b32_e32 v59, v56
.LBB96_228:
	s_or_b64 exec, exec, s[2:3]
.LBB96_229:
	s_andn2_saveexec_b64 s[0:1], s[0:1]
	s_cbranch_execz .LBB96_231
; %bb.230:
	s_waitcnt vmcnt(32)
	v_pk_mov_b32 v[62:63], v[36:37], v[26:27] op_sel:[1,0]
	ds_write2_b32 v55, v62, v63 offset0:14 offset1:15
	s_waitcnt vmcnt(30)
	v_pk_mov_b32 v[62:63], v[26:27], v[46:47] op_sel:[1,0]
	ds_write2_b32 v55, v62, v63 offset0:16 offset1:17
	;; [unrolled: 3-line block ×16, first 2 shown]
	s_waitcnt vmcnt(0)
	v_pk_mov_b32 v[62:63], v[10:11], v[8:9] op_sel:[1,0]
	v_mov_b32_e32 v59, 13
	ds_write2_b32 v55, v62, v63 offset0:46 offset1:47
	ds_write_b32 v55, v9 offset:192
.LBB96_231:
	s_or_b64 exec, exec, s[0:1]
	v_cmp_lt_i32_e32 vcc, 13, v59
	s_waitcnt lgkmcnt(0)
	s_barrier
	s_and_saveexec_b64 s[0:1], vcc
	s_cbranch_execz .LBB96_233
; %bb.232:
	ds_read_b32 v56, v55 offset:56
	ds_read2_b32 v[62:63], v55 offset0:15 offset1:16
	ds_read2_b32 v[64:65], v55 offset0:17 offset1:18
	v_mul_f32_e32 v36, v61, v36
	ds_read2_b32 v[66:67], v55 offset0:19 offset1:20
	s_waitcnt vmcnt(34) lgkmcnt(3)
	v_fma_f32 v37, -v36, v56, v37
	s_waitcnt vmcnt(32) lgkmcnt(2)
	v_pk_fma_f32 v[26:27], v[36:37], v[62:63], v[26:27] op_sel_hi:[0,1,1] neg_lo:[1,0,0] neg_hi:[1,0,0]
	s_waitcnt vmcnt(30) lgkmcnt(1)
	v_pk_fma_f32 v[46:47], v[36:37], v[64:65], v[46:47] op_sel_hi:[0,1,1] neg_lo:[1,0,0] neg_hi:[1,0,0]
	ds_read2_b32 v[62:63], v55 offset0:21 offset1:22
	ds_read2_b32 v[64:65], v55 offset0:23 offset1:24
	;; [unrolled: 1-line block ×3, first 2 shown]
	s_waitcnt vmcnt(28) lgkmcnt(3)
	v_pk_fma_f32 v[38:39], v[36:37], v[66:67], v[38:39] op_sel_hi:[0,1,1] neg_lo:[1,0,0] neg_hi:[1,0,0]
	ds_read2_b32 v[66:67], v55 offset0:27 offset1:28
	s_waitcnt vmcnt(26) lgkmcnt(3)
	v_pk_fma_f32 v[28:29], v[36:37], v[62:63], v[28:29] op_sel_hi:[0,1,1] neg_lo:[1,0,0] neg_hi:[1,0,0]
	s_waitcnt vmcnt(24) lgkmcnt(2)
	v_pk_fma_f32 v[18:19], v[36:37], v[64:65], v[18:19] op_sel_hi:[0,1,1] neg_lo:[1,0,0] neg_hi:[1,0,0]
	;; [unrolled: 2-line block ×3, first 2 shown]
	ds_read2_b32 v[62:63], v55 offset0:29 offset1:30
	ds_read2_b32 v[64:65], v55 offset0:31 offset1:32
	;; [unrolled: 1-line block ×3, first 2 shown]
	s_waitcnt vmcnt(20) lgkmcnt(3)
	v_pk_fma_f32 v[30:31], v[36:37], v[66:67], v[30:31] op_sel_hi:[0,1,1] neg_lo:[1,0,0] neg_hi:[1,0,0]
	ds_read2_b32 v[66:67], v55 offset0:35 offset1:36
	s_waitcnt vmcnt(18) lgkmcnt(3)
	v_pk_fma_f32 v[20:21], v[36:37], v[62:63], v[20:21] op_sel_hi:[0,1,1] neg_lo:[1,0,0] neg_hi:[1,0,0]
	ds_read2_b32 v[62:63], v55 offset0:37 offset1:38
	s_waitcnt vmcnt(16) lgkmcnt(3)
	v_pk_fma_f32 v[12:13], v[36:37], v[64:65], v[12:13] op_sel_hi:[0,1,1] neg_lo:[1,0,0] neg_hi:[1,0,0]
	s_waitcnt vmcnt(14) lgkmcnt(2)
	v_pk_fma_f32 v[32:33], v[36:37], v[68:69], v[32:33] op_sel_hi:[0,1,1] neg_lo:[1,0,0] neg_hi:[1,0,0]
	;; [unrolled: 2-line block ×3, first 2 shown]
	ds_read2_b32 v[64:65], v55 offset0:39 offset1:40
	ds_read2_b32 v[66:67], v55 offset0:41 offset1:42
	;; [unrolled: 1-line block ×3, first 2 shown]
	s_waitcnt vmcnt(10) lgkmcnt(3)
	v_pk_fma_f32 v[14:15], v[36:37], v[62:63], v[14:15] op_sel_hi:[0,1,1] neg_lo:[1,0,0] neg_hi:[1,0,0]
	ds_read2_b32 v[62:63], v55 offset0:45 offset1:46
	ds_read2_b32 v[70:71], v55 offset0:47 offset1:48
	s_waitcnt vmcnt(8) lgkmcnt(4)
	v_pk_fma_f32 v[0:1], v[36:37], v[64:65], v[0:1] op_sel_hi:[0,1,1] neg_lo:[1,0,0] neg_hi:[1,0,0]
	s_waitcnt vmcnt(6) lgkmcnt(3)
	v_pk_fma_f32 v[24:25], v[36:37], v[66:67], v[24:25] op_sel_hi:[0,1,1] neg_lo:[1,0,0] neg_hi:[1,0,0]
	;; [unrolled: 2-line block ×5, first 2 shown]
.LBB96_233:
	s_or_b64 exec, exec, s[0:1]
	v_lshl_add_u32 v56, v59, 2, v55
	s_barrier
	s_waitcnt vmcnt(34)
	ds_write_b32 v56, v37
	s_waitcnt lgkmcnt(0)
	s_barrier
	ds_read_b32 v61, v55 offset:56
	s_cmp_lt_i32 s22, 16
	v_mov_b32_e32 v56, 14
	s_cbranch_scc1 .LBB96_236
; %bb.234:
	v_add3_u32 v62, v58, 0, 60
	v_mov_b32_e32 v56, 14
	s_mov_b32 s0, 15
.LBB96_235:                             ; =>This Inner Loop Header: Depth=1
	ds_read_b32 v63, v62
	v_mov_b32_e32 v64, s0
	s_add_i32 s0, s0, 1
	v_add_u32_e32 v62, 4, v62
	s_cmp_lg_u32 s22, s0
	s_waitcnt lgkmcnt(0)
	v_cmp_lt_f32_e64 vcc, |v61|, |v63|
	s_nop 1
	v_cndmask_b32_e32 v61, v61, v63, vcc
	v_cndmask_b32_e32 v56, v56, v64, vcc
	s_cbranch_scc1 .LBB96_235
.LBB96_236:
	s_waitcnt lgkmcnt(0)
	v_cmp_eq_f32_e32 vcc, 0, v61
	s_and_saveexec_b64 s[0:1], vcc
	s_xor_b64 s[0:1], exec, s[0:1]
; %bb.237:
	v_cmp_ne_u32_e32 vcc, 0, v60
	s_nop 1
	v_cndmask_b32_e32 v60, 15, v60, vcc
; %bb.238:
	s_andn2_saveexec_b64 s[0:1], s[0:1]
	s_cbranch_execz .LBB96_240
; %bb.239:
	v_div_scale_f32 v62, s[2:3], v61, v61, 1.0
	v_rcp_f32_e32 v63, v62
	v_div_scale_f32 v64, vcc, 1.0, v61, 1.0
	v_fma_f32 v65, -v62, v63, 1.0
	v_fmac_f32_e32 v63, v65, v63
	v_mul_f32_e32 v65, v64, v63
	v_fma_f32 v66, -v62, v65, v64
	v_fmac_f32_e32 v65, v66, v63
	v_fma_f32 v62, -v62, v65, v64
	v_div_fmas_f32 v62, v62, v63, v65
	v_div_fixup_f32 v61, v62, v61, 1.0
.LBB96_240:
	s_or_b64 exec, exec, s[0:1]
	v_cmp_ne_u32_e32 vcc, v59, v56
	s_and_saveexec_b64 s[0:1], vcc
	s_xor_b64 s[0:1], exec, s[0:1]
	s_cbranch_execz .LBB96_246
; %bb.241:
	v_cmp_eq_u32_e32 vcc, 14, v59
	s_and_saveexec_b64 s[2:3], vcc
	s_cbranch_execz .LBB96_245
; %bb.242:
	v_cmp_ne_u32_e32 vcc, 14, v56
	s_xor_b64 s[12:13], s[20:21], -1
	s_and_b64 s[14:15], s[12:13], vcc
	s_and_saveexec_b64 s[12:13], s[14:15]
	s_cbranch_execz .LBB96_244
; %bb.243:
	v_ashrrev_i32_e32 v57, 31, v56
	v_lshl_add_u64 v[62:63], v[56:57], 2, v[4:5]
	global_load_dword v57, v[62:63], off
	global_load_dword v59, v[4:5], off offset:56
	s_waitcnt vmcnt(1)
	global_store_dword v[4:5], v57, off offset:56
	s_waitcnt vmcnt(1)
	global_store_dword v[62:63], v59, off
.LBB96_244:
	s_or_b64 exec, exec, s[12:13]
	v_mov_b32_e32 v57, v56
	v_mov_b32_e32 v59, v56
.LBB96_245:
	s_or_b64 exec, exec, s[2:3]
.LBB96_246:
	s_andn2_saveexec_b64 s[0:1], s[0:1]
	s_cbranch_execz .LBB96_248
; %bb.247:
	v_mov_b32_e32 v59, 14
	s_waitcnt vmcnt(32)
	ds_write2_b32 v55, v26, v27 offset0:15 offset1:16
	s_waitcnt vmcnt(30)
	ds_write2_b32 v55, v46, v47 offset0:17 offset1:18
	;; [unrolled: 2-line block ×17, first 2 shown]
.LBB96_248:
	s_or_b64 exec, exec, s[0:1]
	v_cmp_lt_i32_e32 vcc, 14, v59
	s_waitcnt lgkmcnt(0)
	s_barrier
	s_and_saveexec_b64 s[0:1], vcc
	s_cbranch_execz .LBB96_250
; %bb.249:
	ds_read2_b32 v[62:63], v55 offset0:15 offset1:16
	ds_read2_b32 v[64:65], v55 offset0:17 offset1:18
	;; [unrolled: 1-line block ×3, first 2 shown]
	v_mul_f32_e32 v56, v61, v37
	ds_read2_b32 v[68:69], v55 offset0:21 offset1:22
	s_waitcnt vmcnt(32) lgkmcnt(3)
	v_pk_fma_f32 v[26:27], v[56:57], v[62:63], v[26:27] op_sel_hi:[0,1,1] neg_lo:[1,0,0] neg_hi:[1,0,0]
	s_waitcnt vmcnt(30) lgkmcnt(2)
	v_pk_fma_f32 v[46:47], v[56:57], v[64:65], v[46:47] op_sel_hi:[0,1,1] neg_lo:[1,0,0] neg_hi:[1,0,0]
	;; [unrolled: 2-line block ×3, first 2 shown]
	ds_read2_b32 v[62:63], v55 offset0:23 offset1:24
	ds_read2_b32 v[64:65], v55 offset0:25 offset1:26
	;; [unrolled: 1-line block ×3, first 2 shown]
	s_waitcnt vmcnt(26) lgkmcnt(3)
	v_pk_fma_f32 v[28:29], v[56:57], v[68:69], v[28:29] op_sel_hi:[0,1,1] neg_lo:[1,0,0] neg_hi:[1,0,0]
	ds_read2_b32 v[68:69], v55 offset0:29 offset1:30
	s_waitcnt vmcnt(24) lgkmcnt(3)
	v_pk_fma_f32 v[18:19], v[56:57], v[62:63], v[18:19] op_sel_hi:[0,1,1] neg_lo:[1,0,0] neg_hi:[1,0,0]
	s_waitcnt vmcnt(22) lgkmcnt(2)
	v_pk_fma_f32 v[40:41], v[56:57], v[64:65], v[40:41] op_sel_hi:[0,1,1] neg_lo:[1,0,0] neg_hi:[1,0,0]
	s_waitcnt vmcnt(20) lgkmcnt(1)
	v_pk_fma_f32 v[30:31], v[56:57], v[66:67], v[30:31] op_sel_hi:[0,1,1] neg_lo:[1,0,0] neg_hi:[1,0,0]
	ds_read2_b32 v[62:63], v55 offset0:31 offset1:32
	ds_read2_b32 v[64:65], v55 offset0:33 offset1:34
	;; [unrolled: 1-line block ×4, first 2 shown]
	s_waitcnt vmcnt(18) lgkmcnt(4)
	v_pk_fma_f32 v[20:21], v[56:57], v[68:69], v[20:21] op_sel_hi:[0,1,1] neg_lo:[1,0,0] neg_hi:[1,0,0]
	s_waitcnt vmcnt(16) lgkmcnt(3)
	v_pk_fma_f32 v[12:13], v[56:57], v[62:63], v[12:13] op_sel_hi:[0,1,1] neg_lo:[1,0,0] neg_hi:[1,0,0]
	;; [unrolled: 2-line block ×5, first 2 shown]
	ds_read2_b32 v[62:63], v55 offset0:39 offset1:40
	ds_read2_b32 v[64:65], v55 offset0:41 offset1:42
	;; [unrolled: 1-line block ×5, first 2 shown]
	s_waitcnt vmcnt(8) lgkmcnt(4)
	v_pk_fma_f32 v[0:1], v[56:57], v[62:63], v[0:1] op_sel_hi:[0,1,1] neg_lo:[1,0,0] neg_hi:[1,0,0]
	s_waitcnt vmcnt(6) lgkmcnt(3)
	v_pk_fma_f32 v[24:25], v[56:57], v[64:65], v[24:25] op_sel_hi:[0,1,1] neg_lo:[1,0,0] neg_hi:[1,0,0]
	;; [unrolled: 2-line block ×5, first 2 shown]
	v_mov_b32_e32 v37, v56
.LBB96_250:
	s_or_b64 exec, exec, s[0:1]
	v_lshl_add_u32 v56, v59, 2, v55
	s_barrier
	s_waitcnt vmcnt(33)
	ds_write_b32 v56, v26
	s_waitcnt lgkmcnt(0)
	s_barrier
	ds_read_b32 v61, v55 offset:60
	s_cmp_lt_i32 s22, 17
	v_mov_b32_e32 v56, 15
	s_cbranch_scc1 .LBB96_253
; %bb.251:
	v_add3_u32 v58, v58, 0, 64
	v_mov_b32_e32 v56, 15
	s_mov_b32 s0, 16
.LBB96_252:                             ; =>This Inner Loop Header: Depth=1
	ds_read_b32 v62, v58
	v_mov_b32_e32 v63, s0
	s_add_i32 s0, s0, 1
	v_add_u32_e32 v58, 4, v58
	s_cmp_lg_u32 s22, s0
	s_waitcnt lgkmcnt(0)
	v_cmp_lt_f32_e64 vcc, |v61|, |v62|
	s_nop 1
	v_cndmask_b32_e32 v61, v61, v62, vcc
	v_cndmask_b32_e32 v56, v56, v63, vcc
	s_cbranch_scc1 .LBB96_252
.LBB96_253:
	s_waitcnt lgkmcnt(0)
	v_cmp_eq_f32_e32 vcc, 0, v61
	s_and_saveexec_b64 s[0:1], vcc
	s_xor_b64 s[0:1], exec, s[0:1]
; %bb.254:
	v_cmp_ne_u32_e32 vcc, 0, v60
	s_nop 1
	v_cndmask_b32_e32 v60, 16, v60, vcc
; %bb.255:
	s_andn2_saveexec_b64 s[0:1], s[0:1]
	s_cbranch_execz .LBB96_257
; %bb.256:
	v_div_scale_f32 v58, s[2:3], v61, v61, 1.0
	v_rcp_f32_e32 v62, v58
	v_div_scale_f32 v63, vcc, 1.0, v61, 1.0
	v_fma_f32 v64, -v58, v62, 1.0
	v_fmac_f32_e32 v62, v64, v62
	v_mul_f32_e32 v64, v63, v62
	v_fma_f32 v65, -v58, v64, v63
	v_fmac_f32_e32 v64, v65, v62
	v_fma_f32 v58, -v58, v64, v63
	v_div_fmas_f32 v58, v58, v62, v64
	v_div_fixup_f32 v61, v58, v61, 1.0
.LBB96_257:
	s_or_b64 exec, exec, s[0:1]
	v_cmp_ne_u32_e32 vcc, v59, v56
	s_and_saveexec_b64 s[0:1], vcc
	s_xor_b64 s[0:1], exec, s[0:1]
	s_cbranch_execz .LBB96_263
; %bb.258:
	v_cmp_eq_u32_e32 vcc, 15, v59
	s_and_saveexec_b64 s[2:3], vcc
	s_cbranch_execz .LBB96_262
; %bb.259:
	v_cmp_ne_u32_e32 vcc, 15, v56
	s_xor_b64 s[12:13], s[20:21], -1
	s_and_b64 s[14:15], s[12:13], vcc
	s_and_saveexec_b64 s[12:13], s[14:15]
	s_cbranch_execz .LBB96_261
; %bb.260:
	v_ashrrev_i32_e32 v57, 31, v56
	v_lshl_add_u64 v[58:59], v[56:57], 2, v[4:5]
	global_load_dword v57, v[58:59], off
	global_load_dword v62, v[4:5], off offset:60
	s_waitcnt vmcnt(1)
	global_store_dword v[4:5], v57, off offset:60
	s_waitcnt vmcnt(1)
	global_store_dword v[58:59], v62, off
.LBB96_261:
	s_or_b64 exec, exec, s[12:13]
	v_mov_b32_e32 v57, v56
	v_mov_b32_e32 v59, v56
.LBB96_262:
	s_or_b64 exec, exec, s[2:3]
.LBB96_263:
	s_andn2_saveexec_b64 s[0:1], s[0:1]
	s_cbranch_execz .LBB96_265
; %bb.264:
	s_waitcnt vmcnt(30)
	v_pk_mov_b32 v[58:59], v[26:27], v[46:47] op_sel:[1,0]
	ds_write2_b32 v55, v58, v59 offset0:16 offset1:17
	s_waitcnt vmcnt(28)
	v_pk_mov_b32 v[58:59], v[46:47], v[38:39] op_sel:[1,0]
	ds_write2_b32 v55, v58, v59 offset0:18 offset1:19
	;; [unrolled: 3-line block ×16, first 2 shown]
	ds_write_b32 v55, v9 offset:192
	v_mov_b32_e32 v59, 15
.LBB96_265:
	s_or_b64 exec, exec, s[0:1]
	v_cmp_lt_i32_e32 vcc, 15, v59
	s_waitcnt lgkmcnt(0)
	s_barrier
	s_and_saveexec_b64 s[0:1], vcc
	s_cbranch_execz .LBB96_267
; %bb.266:
	ds_read_b32 v56, v55 offset:64
	ds_read2_b32 v[62:63], v55 offset0:17 offset1:18
	ds_read2_b32 v[64:65], v55 offset0:19 offset1:20
	v_mul_f32_e32 v26, v61, v26
	ds_read2_b32 v[66:67], v55 offset0:21 offset1:22
	s_waitcnt vmcnt(32) lgkmcnt(3)
	v_fma_f32 v27, -v26, v56, v27
	s_waitcnt vmcnt(30) lgkmcnt(2)
	v_pk_fma_f32 v[46:47], v[26:27], v[62:63], v[46:47] op_sel_hi:[0,1,1] neg_lo:[1,0,0] neg_hi:[1,0,0]
	s_waitcnt vmcnt(28) lgkmcnt(1)
	v_pk_fma_f32 v[38:39], v[26:27], v[64:65], v[38:39] op_sel_hi:[0,1,1] neg_lo:[1,0,0] neg_hi:[1,0,0]
	ds_read2_b32 v[62:63], v55 offset0:23 offset1:24
	ds_read2_b32 v[64:65], v55 offset0:25 offset1:26
	;; [unrolled: 1-line block ×3, first 2 shown]
	s_waitcnt vmcnt(26) lgkmcnt(3)
	v_pk_fma_f32 v[28:29], v[26:27], v[66:67], v[28:29] op_sel_hi:[0,1,1] neg_lo:[1,0,0] neg_hi:[1,0,0]
	ds_read2_b32 v[66:67], v55 offset0:29 offset1:30
	s_waitcnt vmcnt(24) lgkmcnt(3)
	v_pk_fma_f32 v[18:19], v[26:27], v[62:63], v[18:19] op_sel_hi:[0,1,1] neg_lo:[1,0,0] neg_hi:[1,0,0]
	s_waitcnt vmcnt(22) lgkmcnt(2)
	v_pk_fma_f32 v[40:41], v[26:27], v[64:65], v[40:41] op_sel_hi:[0,1,1] neg_lo:[1,0,0] neg_hi:[1,0,0]
	;; [unrolled: 2-line block ×3, first 2 shown]
	ds_read2_b32 v[62:63], v55 offset0:31 offset1:32
	ds_read2_b32 v[64:65], v55 offset0:33 offset1:34
	;; [unrolled: 1-line block ×4, first 2 shown]
	s_waitcnt vmcnt(18) lgkmcnt(4)
	v_pk_fma_f32 v[20:21], v[26:27], v[66:67], v[20:21] op_sel_hi:[0,1,1] neg_lo:[1,0,0] neg_hi:[1,0,0]
	s_waitcnt vmcnt(16) lgkmcnt(3)
	v_pk_fma_f32 v[12:13], v[26:27], v[62:63], v[12:13] op_sel_hi:[0,1,1] neg_lo:[1,0,0] neg_hi:[1,0,0]
	;; [unrolled: 2-line block ×5, first 2 shown]
	ds_read2_b32 v[62:63], v55 offset0:39 offset1:40
	ds_read2_b32 v[64:65], v55 offset0:41 offset1:42
	;; [unrolled: 1-line block ×5, first 2 shown]
	s_waitcnt vmcnt(8) lgkmcnt(4)
	v_pk_fma_f32 v[0:1], v[26:27], v[62:63], v[0:1] op_sel_hi:[0,1,1] neg_lo:[1,0,0] neg_hi:[1,0,0]
	s_waitcnt vmcnt(6) lgkmcnt(3)
	v_pk_fma_f32 v[24:25], v[26:27], v[64:65], v[24:25] op_sel_hi:[0,1,1] neg_lo:[1,0,0] neg_hi:[1,0,0]
	;; [unrolled: 2-line block ×5, first 2 shown]
.LBB96_267:
	s_or_b64 exec, exec, s[0:1]
	v_lshl_add_u32 v56, v59, 2, v55
	s_barrier
	s_waitcnt vmcnt(32)
	ds_write_b32 v56, v27
	s_waitcnt lgkmcnt(0)
	s_barrier
	ds_read_b32 v58, v55 offset:64
	s_cmp_lt_i32 s22, 18
	v_mov_b32_e32 v56, 16
	s_cbranch_scc1 .LBB96_270
; %bb.268:
	v_add_u32_e32 v61, 0x44, v55
	v_mov_b32_e32 v56, 16
	s_mov_b32 s0, 17
.LBB96_269:                             ; =>This Inner Loop Header: Depth=1
	ds_read_b32 v62, v61
	v_mov_b32_e32 v63, s0
	s_add_i32 s0, s0, 1
	v_add_u32_e32 v61, 4, v61
	s_cmp_lg_u32 s22, s0
	s_waitcnt lgkmcnt(0)
	v_cmp_lt_f32_e64 vcc, |v58|, |v62|
	s_nop 1
	v_cndmask_b32_e32 v58, v58, v62, vcc
	v_cndmask_b32_e32 v56, v56, v63, vcc
	s_cbranch_scc1 .LBB96_269
.LBB96_270:
	s_waitcnt lgkmcnt(0)
	v_cmp_eq_f32_e32 vcc, 0, v58
	s_and_saveexec_b64 s[0:1], vcc
	s_xor_b64 s[0:1], exec, s[0:1]
; %bb.271:
	v_cmp_ne_u32_e32 vcc, 0, v60
	s_nop 1
	v_cndmask_b32_e32 v60, 17, v60, vcc
; %bb.272:
	s_andn2_saveexec_b64 s[0:1], s[0:1]
	s_cbranch_execz .LBB96_274
; %bb.273:
	v_div_scale_f32 v61, s[2:3], v58, v58, 1.0
	v_rcp_f32_e32 v62, v61
	v_div_scale_f32 v63, vcc, 1.0, v58, 1.0
	v_fma_f32 v64, -v61, v62, 1.0
	v_fmac_f32_e32 v62, v64, v62
	v_mul_f32_e32 v64, v63, v62
	v_fma_f32 v65, -v61, v64, v63
	v_fmac_f32_e32 v64, v65, v62
	v_fma_f32 v61, -v61, v64, v63
	v_div_fmas_f32 v61, v61, v62, v64
	v_div_fixup_f32 v58, v61, v58, 1.0
.LBB96_274:
	s_or_b64 exec, exec, s[0:1]
	v_cmp_ne_u32_e32 vcc, v59, v56
	s_and_saveexec_b64 s[0:1], vcc
	s_xor_b64 s[0:1], exec, s[0:1]
	s_cbranch_execz .LBB96_280
; %bb.275:
	v_cmp_eq_u32_e32 vcc, 16, v59
	s_and_saveexec_b64 s[2:3], vcc
	s_cbranch_execz .LBB96_279
; %bb.276:
	v_cmp_ne_u32_e32 vcc, 16, v56
	s_xor_b64 s[12:13], s[20:21], -1
	s_and_b64 s[14:15], s[12:13], vcc
	s_and_saveexec_b64 s[12:13], s[14:15]
	s_cbranch_execz .LBB96_278
; %bb.277:
	v_ashrrev_i32_e32 v57, 31, v56
	v_lshl_add_u64 v[62:63], v[56:57], 2, v[4:5]
	global_load_dword v57, v[62:63], off
	global_load_dword v59, v[4:5], off offset:64
	s_waitcnt vmcnt(1)
	global_store_dword v[4:5], v57, off offset:64
	s_waitcnt vmcnt(1)
	global_store_dword v[62:63], v59, off
.LBB96_278:
	s_or_b64 exec, exec, s[12:13]
	v_mov_b32_e32 v57, v56
	v_mov_b32_e32 v59, v56
.LBB96_279:
	s_or_b64 exec, exec, s[2:3]
.LBB96_280:
	s_andn2_saveexec_b64 s[0:1], s[0:1]
	s_cbranch_execz .LBB96_282
; %bb.281:
	v_mov_b32_e32 v59, 16
	s_waitcnt vmcnt(30)
	ds_write2_b32 v55, v46, v47 offset0:17 offset1:18
	s_waitcnt vmcnt(28)
	ds_write2_b32 v55, v38, v39 offset0:19 offset1:20
	;; [unrolled: 2-line block ×16, first 2 shown]
.LBB96_282:
	s_or_b64 exec, exec, s[0:1]
	v_cmp_lt_i32_e32 vcc, 16, v59
	s_waitcnt lgkmcnt(0)
	s_barrier
	s_and_saveexec_b64 s[0:1], vcc
	s_cbranch_execz .LBB96_284
; %bb.283:
	ds_read2_b32 v[62:63], v55 offset0:17 offset1:18
	ds_read2_b32 v[64:65], v55 offset0:19 offset1:20
	;; [unrolled: 1-line block ×3, first 2 shown]
	v_mul_f32_e32 v56, v58, v27
	ds_read2_b32 v[68:69], v55 offset0:23 offset1:24
	s_waitcnt vmcnt(30) lgkmcnt(3)
	v_pk_fma_f32 v[46:47], v[56:57], v[62:63], v[46:47] op_sel_hi:[0,1,1] neg_lo:[1,0,0] neg_hi:[1,0,0]
	s_waitcnt vmcnt(28) lgkmcnt(2)
	v_pk_fma_f32 v[38:39], v[56:57], v[64:65], v[38:39] op_sel_hi:[0,1,1] neg_lo:[1,0,0] neg_hi:[1,0,0]
	;; [unrolled: 2-line block ×3, first 2 shown]
	ds_read2_b32 v[62:63], v55 offset0:25 offset1:26
	ds_read2_b32 v[64:65], v55 offset0:27 offset1:28
	;; [unrolled: 1-line block ×3, first 2 shown]
	s_waitcnt vmcnt(24) lgkmcnt(3)
	v_pk_fma_f32 v[18:19], v[56:57], v[68:69], v[18:19] op_sel_hi:[0,1,1] neg_lo:[1,0,0] neg_hi:[1,0,0]
	ds_read2_b32 v[68:69], v55 offset0:31 offset1:32
	s_waitcnt vmcnt(22) lgkmcnt(3)
	v_pk_fma_f32 v[40:41], v[56:57], v[62:63], v[40:41] op_sel_hi:[0,1,1] neg_lo:[1,0,0] neg_hi:[1,0,0]
	s_waitcnt vmcnt(20) lgkmcnt(2)
	v_pk_fma_f32 v[30:31], v[56:57], v[64:65], v[30:31] op_sel_hi:[0,1,1] neg_lo:[1,0,0] neg_hi:[1,0,0]
	;; [unrolled: 2-line block ×3, first 2 shown]
	ds_read2_b32 v[62:63], v55 offset0:33 offset1:34
	ds_read2_b32 v[64:65], v55 offset0:35 offset1:36
	;; [unrolled: 1-line block ×3, first 2 shown]
	s_waitcnt vmcnt(16) lgkmcnt(3)
	v_pk_fma_f32 v[12:13], v[56:57], v[68:69], v[12:13] op_sel_hi:[0,1,1] neg_lo:[1,0,0] neg_hi:[1,0,0]
	ds_read2_b32 v[68:69], v55 offset0:39 offset1:40
	s_waitcnt vmcnt(14) lgkmcnt(3)
	v_pk_fma_f32 v[32:33], v[56:57], v[62:63], v[32:33] op_sel_hi:[0,1,1] neg_lo:[1,0,0] neg_hi:[1,0,0]
	s_waitcnt vmcnt(12) lgkmcnt(2)
	v_pk_fma_f32 v[22:23], v[56:57], v[64:65], v[22:23] op_sel_hi:[0,1,1] neg_lo:[1,0,0] neg_hi:[1,0,0]
	;; [unrolled: 2-line block ×3, first 2 shown]
	ds_read2_b32 v[62:63], v55 offset0:41 offset1:42
	ds_read2_b32 v[64:65], v55 offset0:43 offset1:44
	;; [unrolled: 1-line block ×4, first 2 shown]
	s_waitcnt vmcnt(8) lgkmcnt(4)
	v_pk_fma_f32 v[0:1], v[56:57], v[68:69], v[0:1] op_sel_hi:[0,1,1] neg_lo:[1,0,0] neg_hi:[1,0,0]
	s_waitcnt vmcnt(6) lgkmcnt(3)
	v_pk_fma_f32 v[24:25], v[56:57], v[62:63], v[24:25] op_sel_hi:[0,1,1] neg_lo:[1,0,0] neg_hi:[1,0,0]
	;; [unrolled: 2-line block ×5, first 2 shown]
	v_mov_b32_e32 v27, v56
.LBB96_284:
	s_or_b64 exec, exec, s[0:1]
	v_lshl_add_u32 v56, v59, 2, v55
	s_barrier
	s_waitcnt vmcnt(31)
	ds_write_b32 v56, v46
	s_waitcnt lgkmcnt(0)
	s_barrier
	ds_read_b32 v58, v55 offset:68
	s_cmp_lt_i32 s22, 19
	v_mov_b32_e32 v56, 17
	s_cbranch_scc1 .LBB96_287
; %bb.285:
	v_add_u32_e32 v61, 0x48, v55
	v_mov_b32_e32 v56, 17
	s_mov_b32 s0, 18
.LBB96_286:                             ; =>This Inner Loop Header: Depth=1
	ds_read_b32 v62, v61
	v_mov_b32_e32 v63, s0
	s_add_i32 s0, s0, 1
	v_add_u32_e32 v61, 4, v61
	s_cmp_lg_u32 s22, s0
	s_waitcnt lgkmcnt(0)
	v_cmp_lt_f32_e64 vcc, |v58|, |v62|
	s_nop 1
	v_cndmask_b32_e32 v58, v58, v62, vcc
	v_cndmask_b32_e32 v56, v56, v63, vcc
	s_cbranch_scc1 .LBB96_286
.LBB96_287:
	s_waitcnt lgkmcnt(0)
	v_cmp_eq_f32_e32 vcc, 0, v58
	s_and_saveexec_b64 s[0:1], vcc
	s_xor_b64 s[0:1], exec, s[0:1]
; %bb.288:
	v_cmp_ne_u32_e32 vcc, 0, v60
	s_nop 1
	v_cndmask_b32_e32 v60, 18, v60, vcc
; %bb.289:
	s_andn2_saveexec_b64 s[0:1], s[0:1]
	s_cbranch_execz .LBB96_291
; %bb.290:
	v_div_scale_f32 v61, s[2:3], v58, v58, 1.0
	v_rcp_f32_e32 v62, v61
	v_div_scale_f32 v63, vcc, 1.0, v58, 1.0
	v_fma_f32 v64, -v61, v62, 1.0
	v_fmac_f32_e32 v62, v64, v62
	v_mul_f32_e32 v64, v63, v62
	v_fma_f32 v65, -v61, v64, v63
	v_fmac_f32_e32 v64, v65, v62
	v_fma_f32 v61, -v61, v64, v63
	v_div_fmas_f32 v61, v61, v62, v64
	v_div_fixup_f32 v58, v61, v58, 1.0
.LBB96_291:
	s_or_b64 exec, exec, s[0:1]
	v_cmp_ne_u32_e32 vcc, v59, v56
	s_and_saveexec_b64 s[0:1], vcc
	s_xor_b64 s[0:1], exec, s[0:1]
	s_cbranch_execz .LBB96_297
; %bb.292:
	v_cmp_eq_u32_e32 vcc, 17, v59
	s_and_saveexec_b64 s[2:3], vcc
	s_cbranch_execz .LBB96_296
; %bb.293:
	v_cmp_ne_u32_e32 vcc, 17, v56
	s_xor_b64 s[12:13], s[20:21], -1
	s_and_b64 s[14:15], s[12:13], vcc
	s_and_saveexec_b64 s[12:13], s[14:15]
	s_cbranch_execz .LBB96_295
; %bb.294:
	v_ashrrev_i32_e32 v57, 31, v56
	v_lshl_add_u64 v[62:63], v[56:57], 2, v[4:5]
	global_load_dword v57, v[62:63], off
	global_load_dword v59, v[4:5], off offset:68
	s_waitcnt vmcnt(1)
	global_store_dword v[4:5], v57, off offset:68
	s_waitcnt vmcnt(1)
	global_store_dword v[62:63], v59, off
.LBB96_295:
	s_or_b64 exec, exec, s[12:13]
	v_mov_b32_e32 v57, v56
	v_mov_b32_e32 v59, v56
.LBB96_296:
	s_or_b64 exec, exec, s[2:3]
.LBB96_297:
	s_andn2_saveexec_b64 s[0:1], s[0:1]
	s_cbranch_execz .LBB96_299
; %bb.298:
	s_waitcnt vmcnt(28)
	v_pk_mov_b32 v[62:63], v[46:47], v[38:39] op_sel:[1,0]
	ds_write2_b32 v55, v62, v63 offset0:18 offset1:19
	s_waitcnt vmcnt(26)
	v_pk_mov_b32 v[62:63], v[38:39], v[28:29] op_sel:[1,0]
	ds_write2_b32 v55, v62, v63 offset0:20 offset1:21
	;; [unrolled: 3-line block ×14, first 2 shown]
	s_waitcnt vmcnt(0)
	v_pk_mov_b32 v[62:63], v[10:11], v[8:9] op_sel:[1,0]
	v_mov_b32_e32 v59, 17
	ds_write2_b32 v55, v62, v63 offset0:46 offset1:47
	ds_write_b32 v55, v9 offset:192
.LBB96_299:
	s_or_b64 exec, exec, s[0:1]
	v_cmp_lt_i32_e32 vcc, 17, v59
	s_waitcnt lgkmcnt(0)
	s_barrier
	s_and_saveexec_b64 s[0:1], vcc
	s_cbranch_execz .LBB96_301
; %bb.300:
	ds_read_b32 v56, v55 offset:72
	ds_read2_b32 v[62:63], v55 offset0:19 offset1:20
	ds_read2_b32 v[64:65], v55 offset0:21 offset1:22
	v_mul_f32_e32 v46, v58, v46
	ds_read2_b32 v[66:67], v55 offset0:23 offset1:24
	s_waitcnt vmcnt(30) lgkmcnt(3)
	v_fma_f32 v47, -v46, v56, v47
	s_waitcnt vmcnt(28) lgkmcnt(2)
	v_pk_fma_f32 v[38:39], v[46:47], v[62:63], v[38:39] op_sel_hi:[0,1,1] neg_lo:[1,0,0] neg_hi:[1,0,0]
	s_waitcnt vmcnt(26) lgkmcnt(1)
	v_pk_fma_f32 v[28:29], v[46:47], v[64:65], v[28:29] op_sel_hi:[0,1,1] neg_lo:[1,0,0] neg_hi:[1,0,0]
	ds_read2_b32 v[62:63], v55 offset0:25 offset1:26
	ds_read2_b32 v[64:65], v55 offset0:27 offset1:28
	;; [unrolled: 1-line block ×3, first 2 shown]
	s_waitcnt vmcnt(24) lgkmcnt(3)
	v_pk_fma_f32 v[18:19], v[46:47], v[66:67], v[18:19] op_sel_hi:[0,1,1] neg_lo:[1,0,0] neg_hi:[1,0,0]
	ds_read2_b32 v[66:67], v55 offset0:31 offset1:32
	s_waitcnt vmcnt(22) lgkmcnt(3)
	v_pk_fma_f32 v[40:41], v[46:47], v[62:63], v[40:41] op_sel_hi:[0,1,1] neg_lo:[1,0,0] neg_hi:[1,0,0]
	s_waitcnt vmcnt(20) lgkmcnt(2)
	v_pk_fma_f32 v[30:31], v[46:47], v[64:65], v[30:31] op_sel_hi:[0,1,1] neg_lo:[1,0,0] neg_hi:[1,0,0]
	;; [unrolled: 2-line block ×3, first 2 shown]
	ds_read2_b32 v[62:63], v55 offset0:33 offset1:34
	ds_read2_b32 v[64:65], v55 offset0:35 offset1:36
	;; [unrolled: 1-line block ×3, first 2 shown]
	s_waitcnt vmcnt(16) lgkmcnt(3)
	v_pk_fma_f32 v[12:13], v[46:47], v[66:67], v[12:13] op_sel_hi:[0,1,1] neg_lo:[1,0,0] neg_hi:[1,0,0]
	ds_read2_b32 v[66:67], v55 offset0:39 offset1:40
	s_waitcnt vmcnt(14) lgkmcnt(3)
	v_pk_fma_f32 v[32:33], v[46:47], v[62:63], v[32:33] op_sel_hi:[0,1,1] neg_lo:[1,0,0] neg_hi:[1,0,0]
	s_waitcnt vmcnt(12) lgkmcnt(2)
	v_pk_fma_f32 v[22:23], v[46:47], v[64:65], v[22:23] op_sel_hi:[0,1,1] neg_lo:[1,0,0] neg_hi:[1,0,0]
	;; [unrolled: 2-line block ×3, first 2 shown]
	ds_read2_b32 v[62:63], v55 offset0:41 offset1:42
	ds_read2_b32 v[64:65], v55 offset0:43 offset1:44
	;; [unrolled: 1-line block ×4, first 2 shown]
	s_waitcnt vmcnt(8) lgkmcnt(4)
	v_pk_fma_f32 v[0:1], v[46:47], v[66:67], v[0:1] op_sel_hi:[0,1,1] neg_lo:[1,0,0] neg_hi:[1,0,0]
	s_waitcnt vmcnt(6) lgkmcnt(3)
	v_pk_fma_f32 v[24:25], v[46:47], v[62:63], v[24:25] op_sel_hi:[0,1,1] neg_lo:[1,0,0] neg_hi:[1,0,0]
	s_waitcnt vmcnt(4) lgkmcnt(2)
	v_pk_fma_f32 v[16:17], v[46:47], v[64:65], v[16:17] op_sel_hi:[0,1,1] neg_lo:[1,0,0] neg_hi:[1,0,0]
	s_waitcnt vmcnt(2) lgkmcnt(1)
	v_pk_fma_f32 v[10:11], v[46:47], v[68:69], v[10:11] op_sel_hi:[0,1,1] neg_lo:[1,0,0] neg_hi:[1,0,0]
	s_waitcnt vmcnt(0) lgkmcnt(0)
	v_pk_fma_f32 v[8:9], v[46:47], v[70:71], v[8:9] op_sel_hi:[0,1,1] neg_lo:[1,0,0] neg_hi:[1,0,0]
.LBB96_301:
	s_or_b64 exec, exec, s[0:1]
	v_lshl_add_u32 v56, v59, 2, v55
	s_barrier
	s_waitcnt vmcnt(30)
	ds_write_b32 v56, v47
	s_waitcnt lgkmcnt(0)
	s_barrier
	ds_read_b32 v58, v55 offset:72
	s_cmp_lt_i32 s22, 20
	v_mov_b32_e32 v56, 18
	s_cbranch_scc1 .LBB96_304
; %bb.302:
	v_add_u32_e32 v61, 0x4c, v55
	v_mov_b32_e32 v56, 18
	s_mov_b32 s0, 19
.LBB96_303:                             ; =>This Inner Loop Header: Depth=1
	ds_read_b32 v62, v61
	v_mov_b32_e32 v63, s0
	s_add_i32 s0, s0, 1
	v_add_u32_e32 v61, 4, v61
	s_cmp_lg_u32 s22, s0
	s_waitcnt lgkmcnt(0)
	v_cmp_lt_f32_e64 vcc, |v58|, |v62|
	s_nop 1
	v_cndmask_b32_e32 v58, v58, v62, vcc
	v_cndmask_b32_e32 v56, v56, v63, vcc
	s_cbranch_scc1 .LBB96_303
.LBB96_304:
	s_waitcnt lgkmcnt(0)
	v_cmp_eq_f32_e32 vcc, 0, v58
	s_and_saveexec_b64 s[0:1], vcc
	s_xor_b64 s[0:1], exec, s[0:1]
; %bb.305:
	v_cmp_ne_u32_e32 vcc, 0, v60
	s_nop 1
	v_cndmask_b32_e32 v60, 19, v60, vcc
; %bb.306:
	s_andn2_saveexec_b64 s[0:1], s[0:1]
	s_cbranch_execz .LBB96_308
; %bb.307:
	v_div_scale_f32 v61, s[2:3], v58, v58, 1.0
	v_rcp_f32_e32 v62, v61
	v_div_scale_f32 v63, vcc, 1.0, v58, 1.0
	v_fma_f32 v64, -v61, v62, 1.0
	v_fmac_f32_e32 v62, v64, v62
	v_mul_f32_e32 v64, v63, v62
	v_fma_f32 v65, -v61, v64, v63
	v_fmac_f32_e32 v64, v65, v62
	v_fma_f32 v61, -v61, v64, v63
	v_div_fmas_f32 v61, v61, v62, v64
	v_div_fixup_f32 v58, v61, v58, 1.0
.LBB96_308:
	s_or_b64 exec, exec, s[0:1]
	v_cmp_ne_u32_e32 vcc, v59, v56
	s_and_saveexec_b64 s[0:1], vcc
	s_xor_b64 s[0:1], exec, s[0:1]
	s_cbranch_execz .LBB96_314
; %bb.309:
	v_cmp_eq_u32_e32 vcc, 18, v59
	s_and_saveexec_b64 s[2:3], vcc
	s_cbranch_execz .LBB96_313
; %bb.310:
	v_cmp_ne_u32_e32 vcc, 18, v56
	s_xor_b64 s[12:13], s[20:21], -1
	s_and_b64 s[14:15], s[12:13], vcc
	s_and_saveexec_b64 s[12:13], s[14:15]
	s_cbranch_execz .LBB96_312
; %bb.311:
	v_ashrrev_i32_e32 v57, 31, v56
	v_lshl_add_u64 v[62:63], v[56:57], 2, v[4:5]
	global_load_dword v57, v[62:63], off
	global_load_dword v59, v[4:5], off offset:72
	s_waitcnt vmcnt(1)
	global_store_dword v[4:5], v57, off offset:72
	s_waitcnt vmcnt(1)
	global_store_dword v[62:63], v59, off
.LBB96_312:
	s_or_b64 exec, exec, s[12:13]
	v_mov_b32_e32 v57, v56
	v_mov_b32_e32 v59, v56
.LBB96_313:
	s_or_b64 exec, exec, s[2:3]
.LBB96_314:
	s_andn2_saveexec_b64 s[0:1], s[0:1]
	s_cbranch_execz .LBB96_316
; %bb.315:
	v_mov_b32_e32 v59, 18
	s_waitcnt vmcnt(28)
	ds_write2_b32 v55, v38, v39 offset0:19 offset1:20
	s_waitcnt vmcnt(26)
	ds_write2_b32 v55, v28, v29 offset0:21 offset1:22
	;; [unrolled: 2-line block ×15, first 2 shown]
.LBB96_316:
	s_or_b64 exec, exec, s[0:1]
	v_cmp_lt_i32_e32 vcc, 18, v59
	s_waitcnt lgkmcnt(0)
	s_barrier
	s_and_saveexec_b64 s[0:1], vcc
	s_cbranch_execz .LBB96_318
; %bb.317:
	ds_read2_b32 v[62:63], v55 offset0:19 offset1:20
	ds_read2_b32 v[64:65], v55 offset0:21 offset1:22
	;; [unrolled: 1-line block ×3, first 2 shown]
	v_mul_f32_e32 v56, v58, v47
	ds_read2_b32 v[68:69], v55 offset0:25 offset1:26
	s_waitcnt vmcnt(28) lgkmcnt(3)
	v_pk_fma_f32 v[38:39], v[56:57], v[62:63], v[38:39] op_sel_hi:[0,1,1] neg_lo:[1,0,0] neg_hi:[1,0,0]
	s_waitcnt vmcnt(26) lgkmcnt(2)
	v_pk_fma_f32 v[28:29], v[56:57], v[64:65], v[28:29] op_sel_hi:[0,1,1] neg_lo:[1,0,0] neg_hi:[1,0,0]
	s_waitcnt vmcnt(24) lgkmcnt(1)
	v_pk_fma_f32 v[18:19], v[56:57], v[66:67], v[18:19] op_sel_hi:[0,1,1] neg_lo:[1,0,0] neg_hi:[1,0,0]
	ds_read2_b32 v[62:63], v55 offset0:27 offset1:28
	ds_read2_b32 v[64:65], v55 offset0:29 offset1:30
	;; [unrolled: 1-line block ×3, first 2 shown]
	s_waitcnt vmcnt(22) lgkmcnt(3)
	v_pk_fma_f32 v[40:41], v[56:57], v[68:69], v[40:41] op_sel_hi:[0,1,1] neg_lo:[1,0,0] neg_hi:[1,0,0]
	ds_read2_b32 v[68:69], v55 offset0:33 offset1:34
	s_waitcnt vmcnt(20) lgkmcnt(3)
	v_pk_fma_f32 v[30:31], v[56:57], v[62:63], v[30:31] op_sel_hi:[0,1,1] neg_lo:[1,0,0] neg_hi:[1,0,0]
	s_waitcnt vmcnt(18) lgkmcnt(2)
	v_pk_fma_f32 v[20:21], v[56:57], v[64:65], v[20:21] op_sel_hi:[0,1,1] neg_lo:[1,0,0] neg_hi:[1,0,0]
	ds_read2_b32 v[62:63], v55 offset0:35 offset1:36
	ds_read2_b32 v[64:65], v55 offset0:37 offset1:38
	s_waitcnt vmcnt(16) lgkmcnt(3)
	v_pk_fma_f32 v[12:13], v[56:57], v[66:67], v[12:13] op_sel_hi:[0,1,1] neg_lo:[1,0,0] neg_hi:[1,0,0]
	s_waitcnt vmcnt(14) lgkmcnt(2)
	v_pk_fma_f32 v[32:33], v[56:57], v[68:69], v[32:33] op_sel_hi:[0,1,1] neg_lo:[1,0,0] neg_hi:[1,0,0]
	ds_read2_b32 v[66:67], v55 offset0:39 offset1:40
	;; [unrolled: 6-line block ×3, first 2 shown]
	ds_read2_b32 v[64:65], v55 offset0:45 offset1:46
	ds_read2_b32 v[70:71], v55 offset0:47 offset1:48
	s_waitcnt vmcnt(8) lgkmcnt(4)
	v_pk_fma_f32 v[0:1], v[56:57], v[66:67], v[0:1] op_sel_hi:[0,1,1] neg_lo:[1,0,0] neg_hi:[1,0,0]
	s_waitcnt vmcnt(6) lgkmcnt(3)
	v_pk_fma_f32 v[24:25], v[56:57], v[68:69], v[24:25] op_sel_hi:[0,1,1] neg_lo:[1,0,0] neg_hi:[1,0,0]
	;; [unrolled: 2-line block ×5, first 2 shown]
	v_mov_b32_e32 v47, v56
.LBB96_318:
	s_or_b64 exec, exec, s[0:1]
	v_lshl_add_u32 v56, v59, 2, v55
	s_barrier
	s_waitcnt vmcnt(29)
	ds_write_b32 v56, v38
	s_waitcnt lgkmcnt(0)
	s_barrier
	ds_read_b32 v58, v55 offset:76
	s_cmp_lt_i32 s22, 21
	v_mov_b32_e32 v56, 19
	s_cbranch_scc1 .LBB96_321
; %bb.319:
	v_add_u32_e32 v61, 0x50, v55
	v_mov_b32_e32 v56, 19
	s_mov_b32 s0, 20
.LBB96_320:                             ; =>This Inner Loop Header: Depth=1
	ds_read_b32 v62, v61
	v_mov_b32_e32 v63, s0
	s_add_i32 s0, s0, 1
	v_add_u32_e32 v61, 4, v61
	s_cmp_lg_u32 s22, s0
	s_waitcnt lgkmcnt(0)
	v_cmp_lt_f32_e64 vcc, |v58|, |v62|
	s_nop 1
	v_cndmask_b32_e32 v58, v58, v62, vcc
	v_cndmask_b32_e32 v56, v56, v63, vcc
	s_cbranch_scc1 .LBB96_320
.LBB96_321:
	s_waitcnt lgkmcnt(0)
	v_cmp_eq_f32_e32 vcc, 0, v58
	s_and_saveexec_b64 s[0:1], vcc
	s_xor_b64 s[0:1], exec, s[0:1]
; %bb.322:
	v_cmp_ne_u32_e32 vcc, 0, v60
	s_nop 1
	v_cndmask_b32_e32 v60, 20, v60, vcc
; %bb.323:
	s_andn2_saveexec_b64 s[0:1], s[0:1]
	s_cbranch_execz .LBB96_325
; %bb.324:
	v_div_scale_f32 v61, s[2:3], v58, v58, 1.0
	v_rcp_f32_e32 v62, v61
	v_div_scale_f32 v63, vcc, 1.0, v58, 1.0
	v_fma_f32 v64, -v61, v62, 1.0
	v_fmac_f32_e32 v62, v64, v62
	v_mul_f32_e32 v64, v63, v62
	v_fma_f32 v65, -v61, v64, v63
	v_fmac_f32_e32 v64, v65, v62
	v_fma_f32 v61, -v61, v64, v63
	v_div_fmas_f32 v61, v61, v62, v64
	v_div_fixup_f32 v58, v61, v58, 1.0
.LBB96_325:
	s_or_b64 exec, exec, s[0:1]
	v_cmp_ne_u32_e32 vcc, v59, v56
	s_and_saveexec_b64 s[0:1], vcc
	s_xor_b64 s[0:1], exec, s[0:1]
	s_cbranch_execz .LBB96_331
; %bb.326:
	v_cmp_eq_u32_e32 vcc, 19, v59
	s_and_saveexec_b64 s[2:3], vcc
	s_cbranch_execz .LBB96_330
; %bb.327:
	v_cmp_ne_u32_e32 vcc, 19, v56
	s_xor_b64 s[12:13], s[20:21], -1
	s_and_b64 s[14:15], s[12:13], vcc
	s_and_saveexec_b64 s[12:13], s[14:15]
	s_cbranch_execz .LBB96_329
; %bb.328:
	v_ashrrev_i32_e32 v57, 31, v56
	v_lshl_add_u64 v[62:63], v[56:57], 2, v[4:5]
	global_load_dword v57, v[62:63], off
	global_load_dword v59, v[4:5], off offset:76
	s_waitcnt vmcnt(1)
	global_store_dword v[4:5], v57, off offset:76
	s_waitcnt vmcnt(1)
	global_store_dword v[62:63], v59, off
.LBB96_329:
	s_or_b64 exec, exec, s[12:13]
	v_mov_b32_e32 v57, v56
	v_mov_b32_e32 v59, v56
.LBB96_330:
	s_or_b64 exec, exec, s[2:3]
.LBB96_331:
	s_andn2_saveexec_b64 s[0:1], s[0:1]
	s_cbranch_execz .LBB96_333
; %bb.332:
	s_waitcnt vmcnt(26)
	v_pk_mov_b32 v[62:63], v[38:39], v[28:29] op_sel:[1,0]
	ds_write2_b32 v55, v62, v63 offset0:20 offset1:21
	s_waitcnt vmcnt(24)
	v_pk_mov_b32 v[62:63], v[28:29], v[18:19] op_sel:[1,0]
	ds_write2_b32 v55, v62, v63 offset0:22 offset1:23
	;; [unrolled: 3-line block ×13, first 2 shown]
	s_waitcnt vmcnt(0)
	v_pk_mov_b32 v[62:63], v[10:11], v[8:9] op_sel:[1,0]
	v_mov_b32_e32 v59, 19
	ds_write2_b32 v55, v62, v63 offset0:46 offset1:47
	ds_write_b32 v55, v9 offset:192
.LBB96_333:
	s_or_b64 exec, exec, s[0:1]
	v_cmp_lt_i32_e32 vcc, 19, v59
	s_waitcnt lgkmcnt(0)
	s_barrier
	s_and_saveexec_b64 s[0:1], vcc
	s_cbranch_execz .LBB96_335
; %bb.334:
	ds_read_b32 v56, v55 offset:80
	ds_read2_b32 v[62:63], v55 offset0:21 offset1:22
	ds_read2_b32 v[64:65], v55 offset0:23 offset1:24
	v_mul_f32_e32 v38, v58, v38
	ds_read2_b32 v[66:67], v55 offset0:25 offset1:26
	s_waitcnt vmcnt(28) lgkmcnt(3)
	v_fma_f32 v39, -v38, v56, v39
	s_waitcnt vmcnt(26) lgkmcnt(2)
	v_pk_fma_f32 v[28:29], v[38:39], v[62:63], v[28:29] op_sel_hi:[0,1,1] neg_lo:[1,0,0] neg_hi:[1,0,0]
	s_waitcnt vmcnt(24) lgkmcnt(1)
	v_pk_fma_f32 v[18:19], v[38:39], v[64:65], v[18:19] op_sel_hi:[0,1,1] neg_lo:[1,0,0] neg_hi:[1,0,0]
	ds_read2_b32 v[62:63], v55 offset0:27 offset1:28
	ds_read2_b32 v[64:65], v55 offset0:29 offset1:30
	;; [unrolled: 1-line block ×3, first 2 shown]
	s_waitcnt vmcnt(22) lgkmcnt(3)
	v_pk_fma_f32 v[40:41], v[38:39], v[66:67], v[40:41] op_sel_hi:[0,1,1] neg_lo:[1,0,0] neg_hi:[1,0,0]
	ds_read2_b32 v[66:67], v55 offset0:33 offset1:34
	s_waitcnt vmcnt(20) lgkmcnt(3)
	v_pk_fma_f32 v[30:31], v[38:39], v[62:63], v[30:31] op_sel_hi:[0,1,1] neg_lo:[1,0,0] neg_hi:[1,0,0]
	s_waitcnt vmcnt(18) lgkmcnt(2)
	v_pk_fma_f32 v[20:21], v[38:39], v[64:65], v[20:21] op_sel_hi:[0,1,1] neg_lo:[1,0,0] neg_hi:[1,0,0]
	ds_read2_b32 v[62:63], v55 offset0:35 offset1:36
	ds_read2_b32 v[64:65], v55 offset0:37 offset1:38
	s_waitcnt vmcnt(16) lgkmcnt(3)
	v_pk_fma_f32 v[12:13], v[38:39], v[68:69], v[12:13] op_sel_hi:[0,1,1] neg_lo:[1,0,0] neg_hi:[1,0,0]
	s_waitcnt vmcnt(14) lgkmcnt(2)
	v_pk_fma_f32 v[32:33], v[38:39], v[66:67], v[32:33] op_sel_hi:[0,1,1] neg_lo:[1,0,0] neg_hi:[1,0,0]
	ds_read2_b32 v[66:67], v55 offset0:39 offset1:40
	;; [unrolled: 6-line block ×3, first 2 shown]
	ds_read2_b32 v[64:65], v55 offset0:45 offset1:46
	ds_read2_b32 v[70:71], v55 offset0:47 offset1:48
	s_waitcnt vmcnt(8) lgkmcnt(4)
	v_pk_fma_f32 v[0:1], v[38:39], v[66:67], v[0:1] op_sel_hi:[0,1,1] neg_lo:[1,0,0] neg_hi:[1,0,0]
	s_waitcnt vmcnt(6) lgkmcnt(3)
	v_pk_fma_f32 v[24:25], v[38:39], v[68:69], v[24:25] op_sel_hi:[0,1,1] neg_lo:[1,0,0] neg_hi:[1,0,0]
	;; [unrolled: 2-line block ×5, first 2 shown]
.LBB96_335:
	s_or_b64 exec, exec, s[0:1]
	v_lshl_add_u32 v56, v59, 2, v55
	s_barrier
	s_waitcnt vmcnt(28)
	ds_write_b32 v56, v39
	s_waitcnt lgkmcnt(0)
	s_barrier
	ds_read_b32 v58, v55 offset:80
	s_cmp_lt_i32 s22, 22
	v_mov_b32_e32 v56, 20
	s_cbranch_scc1 .LBB96_338
; %bb.336:
	v_add_u32_e32 v61, 0x54, v55
	v_mov_b32_e32 v56, 20
	s_mov_b32 s0, 21
.LBB96_337:                             ; =>This Inner Loop Header: Depth=1
	ds_read_b32 v62, v61
	v_mov_b32_e32 v63, s0
	s_add_i32 s0, s0, 1
	v_add_u32_e32 v61, 4, v61
	s_cmp_lg_u32 s22, s0
	s_waitcnt lgkmcnt(0)
	v_cmp_lt_f32_e64 vcc, |v58|, |v62|
	s_nop 1
	v_cndmask_b32_e32 v58, v58, v62, vcc
	v_cndmask_b32_e32 v56, v56, v63, vcc
	s_cbranch_scc1 .LBB96_337
.LBB96_338:
	s_waitcnt lgkmcnt(0)
	v_cmp_eq_f32_e32 vcc, 0, v58
	s_and_saveexec_b64 s[0:1], vcc
	s_xor_b64 s[0:1], exec, s[0:1]
; %bb.339:
	v_cmp_ne_u32_e32 vcc, 0, v60
	s_nop 1
	v_cndmask_b32_e32 v60, 21, v60, vcc
; %bb.340:
	s_andn2_saveexec_b64 s[0:1], s[0:1]
	s_cbranch_execz .LBB96_342
; %bb.341:
	v_div_scale_f32 v61, s[2:3], v58, v58, 1.0
	v_rcp_f32_e32 v62, v61
	v_div_scale_f32 v63, vcc, 1.0, v58, 1.0
	v_fma_f32 v64, -v61, v62, 1.0
	v_fmac_f32_e32 v62, v64, v62
	v_mul_f32_e32 v64, v63, v62
	v_fma_f32 v65, -v61, v64, v63
	v_fmac_f32_e32 v64, v65, v62
	v_fma_f32 v61, -v61, v64, v63
	v_div_fmas_f32 v61, v61, v62, v64
	v_div_fixup_f32 v58, v61, v58, 1.0
.LBB96_342:
	s_or_b64 exec, exec, s[0:1]
	v_cmp_ne_u32_e32 vcc, v59, v56
	s_and_saveexec_b64 s[0:1], vcc
	s_xor_b64 s[0:1], exec, s[0:1]
	s_cbranch_execz .LBB96_348
; %bb.343:
	v_cmp_eq_u32_e32 vcc, 20, v59
	s_and_saveexec_b64 s[2:3], vcc
	s_cbranch_execz .LBB96_347
; %bb.344:
	v_cmp_ne_u32_e32 vcc, 20, v56
	s_xor_b64 s[12:13], s[20:21], -1
	s_and_b64 s[14:15], s[12:13], vcc
	s_and_saveexec_b64 s[12:13], s[14:15]
	s_cbranch_execz .LBB96_346
; %bb.345:
	v_ashrrev_i32_e32 v57, 31, v56
	v_lshl_add_u64 v[62:63], v[56:57], 2, v[4:5]
	global_load_dword v57, v[62:63], off
	global_load_dword v59, v[4:5], off offset:80
	s_waitcnt vmcnt(1)
	global_store_dword v[4:5], v57, off offset:80
	s_waitcnt vmcnt(1)
	global_store_dword v[62:63], v59, off
.LBB96_346:
	s_or_b64 exec, exec, s[12:13]
	v_mov_b32_e32 v57, v56
	v_mov_b32_e32 v59, v56
.LBB96_347:
	s_or_b64 exec, exec, s[2:3]
.LBB96_348:
	s_andn2_saveexec_b64 s[0:1], s[0:1]
	s_cbranch_execz .LBB96_350
; %bb.349:
	v_mov_b32_e32 v59, 20
	s_waitcnt vmcnt(26)
	ds_write2_b32 v55, v28, v29 offset0:21 offset1:22
	s_waitcnt vmcnt(24)
	ds_write2_b32 v55, v18, v19 offset0:23 offset1:24
	;; [unrolled: 2-line block ×14, first 2 shown]
.LBB96_350:
	s_or_b64 exec, exec, s[0:1]
	v_cmp_lt_i32_e32 vcc, 20, v59
	s_waitcnt lgkmcnt(0)
	s_barrier
	s_and_saveexec_b64 s[0:1], vcc
	s_cbranch_execz .LBB96_352
; %bb.351:
	ds_read2_b32 v[62:63], v55 offset0:21 offset1:22
	ds_read2_b32 v[64:65], v55 offset0:23 offset1:24
	;; [unrolled: 1-line block ×4, first 2 shown]
	v_mul_f32_e32 v56, v58, v39
	s_waitcnt vmcnt(26) lgkmcnt(3)
	v_pk_fma_f32 v[28:29], v[56:57], v[62:63], v[28:29] op_sel_hi:[0,1,1] neg_lo:[1,0,0] neg_hi:[1,0,0]
	s_waitcnt vmcnt(24) lgkmcnt(2)
	v_pk_fma_f32 v[18:19], v[56:57], v[64:65], v[18:19] op_sel_hi:[0,1,1] neg_lo:[1,0,0] neg_hi:[1,0,0]
	;; [unrolled: 2-line block ×3, first 2 shown]
	ds_read2_b32 v[62:63], v55 offset0:29 offset1:30
	ds_read2_b32 v[64:65], v55 offset0:31 offset1:32
	;; [unrolled: 1-line block ×3, first 2 shown]
	s_waitcnt vmcnt(20) lgkmcnt(3)
	v_pk_fma_f32 v[30:31], v[56:57], v[68:69], v[30:31] op_sel_hi:[0,1,1] neg_lo:[1,0,0] neg_hi:[1,0,0]
	ds_read2_b32 v[68:69], v55 offset0:35 offset1:36
	s_waitcnt vmcnt(18) lgkmcnt(3)
	v_pk_fma_f32 v[20:21], v[56:57], v[62:63], v[20:21] op_sel_hi:[0,1,1] neg_lo:[1,0,0] neg_hi:[1,0,0]
	ds_read2_b32 v[62:63], v55 offset0:37 offset1:38
	s_waitcnt vmcnt(16) lgkmcnt(3)
	v_pk_fma_f32 v[12:13], v[56:57], v[64:65], v[12:13] op_sel_hi:[0,1,1] neg_lo:[1,0,0] neg_hi:[1,0,0]
	s_waitcnt vmcnt(14) lgkmcnt(2)
	v_pk_fma_f32 v[32:33], v[56:57], v[66:67], v[32:33] op_sel_hi:[0,1,1] neg_lo:[1,0,0] neg_hi:[1,0,0]
	;; [unrolled: 2-line block ×3, first 2 shown]
	ds_read2_b32 v[64:65], v55 offset0:39 offset1:40
	ds_read2_b32 v[66:67], v55 offset0:41 offset1:42
	;; [unrolled: 1-line block ×3, first 2 shown]
	s_waitcnt vmcnt(10) lgkmcnt(3)
	v_pk_fma_f32 v[14:15], v[56:57], v[62:63], v[14:15] op_sel_hi:[0,1,1] neg_lo:[1,0,0] neg_hi:[1,0,0]
	ds_read2_b32 v[62:63], v55 offset0:45 offset1:46
	ds_read2_b32 v[70:71], v55 offset0:47 offset1:48
	s_waitcnt vmcnt(8) lgkmcnt(4)
	v_pk_fma_f32 v[0:1], v[56:57], v[64:65], v[0:1] op_sel_hi:[0,1,1] neg_lo:[1,0,0] neg_hi:[1,0,0]
	s_waitcnt vmcnt(6) lgkmcnt(3)
	v_pk_fma_f32 v[24:25], v[56:57], v[66:67], v[24:25] op_sel_hi:[0,1,1] neg_lo:[1,0,0] neg_hi:[1,0,0]
	;; [unrolled: 2-line block ×5, first 2 shown]
	v_mov_b32_e32 v39, v56
.LBB96_352:
	s_or_b64 exec, exec, s[0:1]
	v_lshl_add_u32 v56, v59, 2, v55
	s_barrier
	s_waitcnt vmcnt(27)
	ds_write_b32 v56, v28
	s_waitcnt lgkmcnt(0)
	s_barrier
	ds_read_b32 v58, v55 offset:84
	s_cmp_lt_i32 s22, 23
	v_mov_b32_e32 v56, 21
	s_cbranch_scc1 .LBB96_355
; %bb.353:
	v_add_u32_e32 v61, 0x58, v55
	v_mov_b32_e32 v56, 21
	s_mov_b32 s0, 22
.LBB96_354:                             ; =>This Inner Loop Header: Depth=1
	ds_read_b32 v62, v61
	v_mov_b32_e32 v63, s0
	s_add_i32 s0, s0, 1
	v_add_u32_e32 v61, 4, v61
	s_cmp_lg_u32 s22, s0
	s_waitcnt lgkmcnt(0)
	v_cmp_lt_f32_e64 vcc, |v58|, |v62|
	s_nop 1
	v_cndmask_b32_e32 v58, v58, v62, vcc
	v_cndmask_b32_e32 v56, v56, v63, vcc
	s_cbranch_scc1 .LBB96_354
.LBB96_355:
	s_waitcnt lgkmcnt(0)
	v_cmp_eq_f32_e32 vcc, 0, v58
	s_and_saveexec_b64 s[0:1], vcc
	s_xor_b64 s[0:1], exec, s[0:1]
; %bb.356:
	v_cmp_ne_u32_e32 vcc, 0, v60
	s_nop 1
	v_cndmask_b32_e32 v60, 22, v60, vcc
; %bb.357:
	s_andn2_saveexec_b64 s[0:1], s[0:1]
	s_cbranch_execz .LBB96_359
; %bb.358:
	v_div_scale_f32 v61, s[2:3], v58, v58, 1.0
	v_rcp_f32_e32 v62, v61
	v_div_scale_f32 v63, vcc, 1.0, v58, 1.0
	v_fma_f32 v64, -v61, v62, 1.0
	v_fmac_f32_e32 v62, v64, v62
	v_mul_f32_e32 v64, v63, v62
	v_fma_f32 v65, -v61, v64, v63
	v_fmac_f32_e32 v64, v65, v62
	v_fma_f32 v61, -v61, v64, v63
	v_div_fmas_f32 v61, v61, v62, v64
	v_div_fixup_f32 v58, v61, v58, 1.0
.LBB96_359:
	s_or_b64 exec, exec, s[0:1]
	v_cmp_ne_u32_e32 vcc, v59, v56
	s_and_saveexec_b64 s[0:1], vcc
	s_xor_b64 s[0:1], exec, s[0:1]
	s_cbranch_execz .LBB96_365
; %bb.360:
	v_cmp_eq_u32_e32 vcc, 21, v59
	s_and_saveexec_b64 s[2:3], vcc
	s_cbranch_execz .LBB96_364
; %bb.361:
	v_cmp_ne_u32_e32 vcc, 21, v56
	s_xor_b64 s[12:13], s[20:21], -1
	s_and_b64 s[14:15], s[12:13], vcc
	s_and_saveexec_b64 s[12:13], s[14:15]
	s_cbranch_execz .LBB96_363
; %bb.362:
	v_ashrrev_i32_e32 v57, 31, v56
	v_lshl_add_u64 v[62:63], v[56:57], 2, v[4:5]
	global_load_dword v57, v[62:63], off
	global_load_dword v59, v[4:5], off offset:84
	s_waitcnt vmcnt(1)
	global_store_dword v[4:5], v57, off offset:84
	s_waitcnt vmcnt(1)
	global_store_dword v[62:63], v59, off
.LBB96_363:
	s_or_b64 exec, exec, s[12:13]
	v_mov_b32_e32 v57, v56
	v_mov_b32_e32 v59, v56
.LBB96_364:
	s_or_b64 exec, exec, s[2:3]
.LBB96_365:
	s_andn2_saveexec_b64 s[0:1], s[0:1]
	s_cbranch_execz .LBB96_367
; %bb.366:
	s_waitcnt vmcnt(24)
	v_pk_mov_b32 v[62:63], v[28:29], v[18:19] op_sel:[1,0]
	ds_write2_b32 v55, v62, v63 offset0:22 offset1:23
	s_waitcnt vmcnt(22)
	v_pk_mov_b32 v[62:63], v[18:19], v[40:41] op_sel:[1,0]
	ds_write2_b32 v55, v62, v63 offset0:24 offset1:25
	;; [unrolled: 3-line block ×12, first 2 shown]
	s_waitcnt vmcnt(0)
	v_pk_mov_b32 v[62:63], v[10:11], v[8:9] op_sel:[1,0]
	v_mov_b32_e32 v59, 21
	ds_write2_b32 v55, v62, v63 offset0:46 offset1:47
	ds_write_b32 v55, v9 offset:192
.LBB96_367:
	s_or_b64 exec, exec, s[0:1]
	v_cmp_lt_i32_e32 vcc, 21, v59
	s_waitcnt lgkmcnt(0)
	s_barrier
	s_and_saveexec_b64 s[0:1], vcc
	s_cbranch_execz .LBB96_369
; %bb.368:
	ds_read_b32 v56, v55 offset:88
	ds_read2_b32 v[62:63], v55 offset0:23 offset1:24
	ds_read2_b32 v[64:65], v55 offset0:25 offset1:26
	v_mul_f32_e32 v28, v58, v28
	ds_read2_b32 v[66:67], v55 offset0:27 offset1:28
	s_waitcnt vmcnt(26) lgkmcnt(3)
	v_fma_f32 v29, -v28, v56, v29
	s_waitcnt vmcnt(24) lgkmcnt(2)
	v_pk_fma_f32 v[18:19], v[28:29], v[62:63], v[18:19] op_sel_hi:[0,1,1] neg_lo:[1,0,0] neg_hi:[1,0,0]
	s_waitcnt vmcnt(22) lgkmcnt(1)
	v_pk_fma_f32 v[40:41], v[28:29], v[64:65], v[40:41] op_sel_hi:[0,1,1] neg_lo:[1,0,0] neg_hi:[1,0,0]
	ds_read2_b32 v[62:63], v55 offset0:29 offset1:30
	ds_read2_b32 v[64:65], v55 offset0:31 offset1:32
	;; [unrolled: 1-line block ×3, first 2 shown]
	s_waitcnt vmcnt(20) lgkmcnt(3)
	v_pk_fma_f32 v[30:31], v[28:29], v[66:67], v[30:31] op_sel_hi:[0,1,1] neg_lo:[1,0,0] neg_hi:[1,0,0]
	ds_read2_b32 v[66:67], v55 offset0:35 offset1:36
	s_waitcnt vmcnt(18) lgkmcnt(3)
	v_pk_fma_f32 v[20:21], v[28:29], v[62:63], v[20:21] op_sel_hi:[0,1,1] neg_lo:[1,0,0] neg_hi:[1,0,0]
	ds_read2_b32 v[62:63], v55 offset0:37 offset1:38
	s_waitcnt vmcnt(16) lgkmcnt(3)
	v_pk_fma_f32 v[12:13], v[28:29], v[64:65], v[12:13] op_sel_hi:[0,1,1] neg_lo:[1,0,0] neg_hi:[1,0,0]
	s_waitcnt vmcnt(14) lgkmcnt(2)
	v_pk_fma_f32 v[32:33], v[28:29], v[68:69], v[32:33] op_sel_hi:[0,1,1] neg_lo:[1,0,0] neg_hi:[1,0,0]
	;; [unrolled: 2-line block ×3, first 2 shown]
	ds_read2_b32 v[64:65], v55 offset0:39 offset1:40
	ds_read2_b32 v[66:67], v55 offset0:41 offset1:42
	;; [unrolled: 1-line block ×3, first 2 shown]
	s_waitcnt vmcnt(10) lgkmcnt(3)
	v_pk_fma_f32 v[14:15], v[28:29], v[62:63], v[14:15] op_sel_hi:[0,1,1] neg_lo:[1,0,0] neg_hi:[1,0,0]
	ds_read2_b32 v[62:63], v55 offset0:45 offset1:46
	ds_read2_b32 v[70:71], v55 offset0:47 offset1:48
	s_waitcnt vmcnt(8) lgkmcnt(4)
	v_pk_fma_f32 v[0:1], v[28:29], v[64:65], v[0:1] op_sel_hi:[0,1,1] neg_lo:[1,0,0] neg_hi:[1,0,0]
	s_waitcnt vmcnt(6) lgkmcnt(3)
	v_pk_fma_f32 v[24:25], v[28:29], v[66:67], v[24:25] op_sel_hi:[0,1,1] neg_lo:[1,0,0] neg_hi:[1,0,0]
	;; [unrolled: 2-line block ×5, first 2 shown]
.LBB96_369:
	s_or_b64 exec, exec, s[0:1]
	v_lshl_add_u32 v56, v59, 2, v55
	s_barrier
	s_waitcnt vmcnt(26)
	ds_write_b32 v56, v29
	s_waitcnt lgkmcnt(0)
	s_barrier
	ds_read_b32 v58, v55 offset:88
	s_cmp_lt_i32 s22, 24
	v_mov_b32_e32 v56, 22
	s_cbranch_scc1 .LBB96_372
; %bb.370:
	v_add_u32_e32 v61, 0x5c, v55
	v_mov_b32_e32 v56, 22
	s_mov_b32 s0, 23
.LBB96_371:                             ; =>This Inner Loop Header: Depth=1
	ds_read_b32 v62, v61
	v_mov_b32_e32 v63, s0
	s_add_i32 s0, s0, 1
	v_add_u32_e32 v61, 4, v61
	s_cmp_lg_u32 s22, s0
	s_waitcnt lgkmcnt(0)
	v_cmp_lt_f32_e64 vcc, |v58|, |v62|
	s_nop 1
	v_cndmask_b32_e32 v58, v58, v62, vcc
	v_cndmask_b32_e32 v56, v56, v63, vcc
	s_cbranch_scc1 .LBB96_371
.LBB96_372:
	s_waitcnt lgkmcnt(0)
	v_cmp_eq_f32_e32 vcc, 0, v58
	s_and_saveexec_b64 s[0:1], vcc
	s_xor_b64 s[0:1], exec, s[0:1]
; %bb.373:
	v_cmp_ne_u32_e32 vcc, 0, v60
	s_nop 1
	v_cndmask_b32_e32 v60, 23, v60, vcc
; %bb.374:
	s_andn2_saveexec_b64 s[0:1], s[0:1]
	s_cbranch_execz .LBB96_376
; %bb.375:
	v_div_scale_f32 v61, s[2:3], v58, v58, 1.0
	v_rcp_f32_e32 v62, v61
	v_div_scale_f32 v63, vcc, 1.0, v58, 1.0
	v_fma_f32 v64, -v61, v62, 1.0
	v_fmac_f32_e32 v62, v64, v62
	v_mul_f32_e32 v64, v63, v62
	v_fma_f32 v65, -v61, v64, v63
	v_fmac_f32_e32 v64, v65, v62
	v_fma_f32 v61, -v61, v64, v63
	v_div_fmas_f32 v61, v61, v62, v64
	v_div_fixup_f32 v58, v61, v58, 1.0
.LBB96_376:
	s_or_b64 exec, exec, s[0:1]
	v_cmp_ne_u32_e32 vcc, v59, v56
	s_and_saveexec_b64 s[0:1], vcc
	s_xor_b64 s[0:1], exec, s[0:1]
	s_cbranch_execz .LBB96_382
; %bb.377:
	v_cmp_eq_u32_e32 vcc, 22, v59
	s_and_saveexec_b64 s[2:3], vcc
	s_cbranch_execz .LBB96_381
; %bb.378:
	v_cmp_ne_u32_e32 vcc, 22, v56
	s_xor_b64 s[12:13], s[20:21], -1
	s_and_b64 s[14:15], s[12:13], vcc
	s_and_saveexec_b64 s[12:13], s[14:15]
	s_cbranch_execz .LBB96_380
; %bb.379:
	v_ashrrev_i32_e32 v57, 31, v56
	v_lshl_add_u64 v[62:63], v[56:57], 2, v[4:5]
	global_load_dword v57, v[62:63], off
	global_load_dword v59, v[4:5], off offset:88
	s_waitcnt vmcnt(1)
	global_store_dword v[4:5], v57, off offset:88
	s_waitcnt vmcnt(1)
	global_store_dword v[62:63], v59, off
.LBB96_380:
	s_or_b64 exec, exec, s[12:13]
	v_mov_b32_e32 v57, v56
	v_mov_b32_e32 v59, v56
.LBB96_381:
	s_or_b64 exec, exec, s[2:3]
.LBB96_382:
	s_andn2_saveexec_b64 s[0:1], s[0:1]
	s_cbranch_execz .LBB96_384
; %bb.383:
	v_mov_b32_e32 v59, 22
	s_waitcnt vmcnt(24)
	ds_write2_b32 v55, v18, v19 offset0:23 offset1:24
	s_waitcnt vmcnt(22)
	ds_write2_b32 v55, v40, v41 offset0:25 offset1:26
	;; [unrolled: 2-line block ×13, first 2 shown]
.LBB96_384:
	s_or_b64 exec, exec, s[0:1]
	v_cmp_lt_i32_e32 vcc, 22, v59
	s_waitcnt lgkmcnt(0)
	s_barrier
	s_and_saveexec_b64 s[0:1], vcc
	s_cbranch_execz .LBB96_386
; %bb.385:
	ds_read2_b32 v[62:63], v55 offset0:23 offset1:24
	ds_read2_b32 v[64:65], v55 offset0:25 offset1:26
	;; [unrolled: 1-line block ×3, first 2 shown]
	v_mul_f32_e32 v56, v58, v29
	ds_read2_b32 v[68:69], v55 offset0:29 offset1:30
	s_waitcnt vmcnt(24) lgkmcnt(3)
	v_pk_fma_f32 v[18:19], v[56:57], v[62:63], v[18:19] op_sel_hi:[0,1,1] neg_lo:[1,0,0] neg_hi:[1,0,0]
	s_waitcnt vmcnt(22) lgkmcnt(2)
	v_pk_fma_f32 v[40:41], v[56:57], v[64:65], v[40:41] op_sel_hi:[0,1,1] neg_lo:[1,0,0] neg_hi:[1,0,0]
	;; [unrolled: 2-line block ×3, first 2 shown]
	ds_read2_b32 v[62:63], v55 offset0:31 offset1:32
	ds_read2_b32 v[64:65], v55 offset0:33 offset1:34
	;; [unrolled: 1-line block ×4, first 2 shown]
	s_waitcnt vmcnt(18) lgkmcnt(4)
	v_pk_fma_f32 v[20:21], v[56:57], v[68:69], v[20:21] op_sel_hi:[0,1,1] neg_lo:[1,0,0] neg_hi:[1,0,0]
	s_waitcnt vmcnt(16) lgkmcnt(3)
	v_pk_fma_f32 v[12:13], v[56:57], v[62:63], v[12:13] op_sel_hi:[0,1,1] neg_lo:[1,0,0] neg_hi:[1,0,0]
	;; [unrolled: 2-line block ×5, first 2 shown]
	ds_read2_b32 v[62:63], v55 offset0:39 offset1:40
	ds_read2_b32 v[64:65], v55 offset0:41 offset1:42
	;; [unrolled: 1-line block ×5, first 2 shown]
	s_waitcnt vmcnt(8) lgkmcnt(4)
	v_pk_fma_f32 v[0:1], v[56:57], v[62:63], v[0:1] op_sel_hi:[0,1,1] neg_lo:[1,0,0] neg_hi:[1,0,0]
	s_waitcnt vmcnt(6) lgkmcnt(3)
	v_pk_fma_f32 v[24:25], v[56:57], v[64:65], v[24:25] op_sel_hi:[0,1,1] neg_lo:[1,0,0] neg_hi:[1,0,0]
	;; [unrolled: 2-line block ×5, first 2 shown]
	v_mov_b32_e32 v29, v56
.LBB96_386:
	s_or_b64 exec, exec, s[0:1]
	v_lshl_add_u32 v56, v59, 2, v55
	s_barrier
	s_waitcnt vmcnt(25)
	ds_write_b32 v56, v18
	s_waitcnt lgkmcnt(0)
	s_barrier
	ds_read_b32 v58, v55 offset:92
	s_cmp_lt_i32 s22, 25
	v_mov_b32_e32 v56, 23
	s_cbranch_scc1 .LBB96_389
; %bb.387:
	v_add_u32_e32 v61, 0x60, v55
	v_mov_b32_e32 v56, 23
	s_mov_b32 s0, 24
.LBB96_388:                             ; =>This Inner Loop Header: Depth=1
	ds_read_b32 v62, v61
	v_mov_b32_e32 v63, s0
	s_add_i32 s0, s0, 1
	v_add_u32_e32 v61, 4, v61
	s_cmp_lg_u32 s22, s0
	s_waitcnt lgkmcnt(0)
	v_cmp_lt_f32_e64 vcc, |v58|, |v62|
	s_nop 1
	v_cndmask_b32_e32 v58, v58, v62, vcc
	v_cndmask_b32_e32 v56, v56, v63, vcc
	s_cbranch_scc1 .LBB96_388
.LBB96_389:
	s_waitcnt lgkmcnt(0)
	v_cmp_eq_f32_e32 vcc, 0, v58
	s_and_saveexec_b64 s[0:1], vcc
	s_xor_b64 s[0:1], exec, s[0:1]
; %bb.390:
	v_cmp_ne_u32_e32 vcc, 0, v60
	s_nop 1
	v_cndmask_b32_e32 v60, 24, v60, vcc
; %bb.391:
	s_andn2_saveexec_b64 s[0:1], s[0:1]
	s_cbranch_execz .LBB96_393
; %bb.392:
	v_div_scale_f32 v61, s[2:3], v58, v58, 1.0
	v_rcp_f32_e32 v62, v61
	v_div_scale_f32 v63, vcc, 1.0, v58, 1.0
	v_fma_f32 v64, -v61, v62, 1.0
	v_fmac_f32_e32 v62, v64, v62
	v_mul_f32_e32 v64, v63, v62
	v_fma_f32 v65, -v61, v64, v63
	v_fmac_f32_e32 v64, v65, v62
	v_fma_f32 v61, -v61, v64, v63
	v_div_fmas_f32 v61, v61, v62, v64
	v_div_fixup_f32 v58, v61, v58, 1.0
.LBB96_393:
	s_or_b64 exec, exec, s[0:1]
	v_cmp_ne_u32_e32 vcc, v59, v56
	s_and_saveexec_b64 s[0:1], vcc
	s_xor_b64 s[0:1], exec, s[0:1]
	s_cbranch_execz .LBB96_399
; %bb.394:
	v_cmp_eq_u32_e32 vcc, 23, v59
	s_and_saveexec_b64 s[2:3], vcc
	s_cbranch_execz .LBB96_398
; %bb.395:
	v_cmp_ne_u32_e32 vcc, 23, v56
	s_xor_b64 s[12:13], s[20:21], -1
	s_and_b64 s[14:15], s[12:13], vcc
	s_and_saveexec_b64 s[12:13], s[14:15]
	s_cbranch_execz .LBB96_397
; %bb.396:
	v_ashrrev_i32_e32 v57, 31, v56
	v_lshl_add_u64 v[62:63], v[56:57], 2, v[4:5]
	global_load_dword v57, v[62:63], off
	global_load_dword v59, v[4:5], off offset:92
	s_waitcnt vmcnt(1)
	global_store_dword v[4:5], v57, off offset:92
	s_waitcnt vmcnt(1)
	global_store_dword v[62:63], v59, off
.LBB96_397:
	s_or_b64 exec, exec, s[12:13]
	v_mov_b32_e32 v57, v56
	v_mov_b32_e32 v59, v56
.LBB96_398:
	s_or_b64 exec, exec, s[2:3]
.LBB96_399:
	s_andn2_saveexec_b64 s[0:1], s[0:1]
	s_cbranch_execz .LBB96_401
; %bb.400:
	s_waitcnt vmcnt(22)
	v_pk_mov_b32 v[62:63], v[18:19], v[40:41] op_sel:[1,0]
	ds_write2_b32 v55, v62, v63 offset0:24 offset1:25
	s_waitcnt vmcnt(20)
	v_pk_mov_b32 v[62:63], v[40:41], v[30:31] op_sel:[1,0]
	ds_write2_b32 v55, v62, v63 offset0:26 offset1:27
	;; [unrolled: 3-line block ×11, first 2 shown]
	s_waitcnt vmcnt(0)
	v_pk_mov_b32 v[62:63], v[10:11], v[8:9] op_sel:[1,0]
	v_mov_b32_e32 v59, 23
	ds_write2_b32 v55, v62, v63 offset0:46 offset1:47
	ds_write_b32 v55, v9 offset:192
.LBB96_401:
	s_or_b64 exec, exec, s[0:1]
	v_cmp_lt_i32_e32 vcc, 23, v59
	s_waitcnt lgkmcnt(0)
	s_barrier
	s_and_saveexec_b64 s[0:1], vcc
	s_cbranch_execz .LBB96_403
; %bb.402:
	ds_read_b32 v56, v55 offset:96
	ds_read2_b32 v[62:63], v55 offset0:25 offset1:26
	ds_read2_b32 v[64:65], v55 offset0:27 offset1:28
	v_mul_f32_e32 v18, v58, v18
	ds_read2_b32 v[66:67], v55 offset0:29 offset1:30
	s_waitcnt vmcnt(24) lgkmcnt(3)
	v_fma_f32 v19, -v18, v56, v19
	s_waitcnt vmcnt(22) lgkmcnt(2)
	v_pk_fma_f32 v[40:41], v[18:19], v[62:63], v[40:41] op_sel_hi:[0,1,1] neg_lo:[1,0,0] neg_hi:[1,0,0]
	s_waitcnt vmcnt(20) lgkmcnt(1)
	v_pk_fma_f32 v[30:31], v[18:19], v[64:65], v[30:31] op_sel_hi:[0,1,1] neg_lo:[1,0,0] neg_hi:[1,0,0]
	ds_read2_b32 v[62:63], v55 offset0:31 offset1:32
	ds_read2_b32 v[64:65], v55 offset0:33 offset1:34
	;; [unrolled: 1-line block ×4, first 2 shown]
	s_waitcnt vmcnt(18) lgkmcnt(4)
	v_pk_fma_f32 v[20:21], v[18:19], v[66:67], v[20:21] op_sel_hi:[0,1,1] neg_lo:[1,0,0] neg_hi:[1,0,0]
	s_waitcnt vmcnt(16) lgkmcnt(3)
	v_pk_fma_f32 v[12:13], v[18:19], v[62:63], v[12:13] op_sel_hi:[0,1,1] neg_lo:[1,0,0] neg_hi:[1,0,0]
	;; [unrolled: 2-line block ×5, first 2 shown]
	ds_read2_b32 v[62:63], v55 offset0:39 offset1:40
	ds_read2_b32 v[64:65], v55 offset0:41 offset1:42
	;; [unrolled: 1-line block ×5, first 2 shown]
	s_waitcnt vmcnt(8) lgkmcnt(4)
	v_pk_fma_f32 v[0:1], v[18:19], v[62:63], v[0:1] op_sel_hi:[0,1,1] neg_lo:[1,0,0] neg_hi:[1,0,0]
	s_waitcnt vmcnt(6) lgkmcnt(3)
	v_pk_fma_f32 v[24:25], v[18:19], v[64:65], v[24:25] op_sel_hi:[0,1,1] neg_lo:[1,0,0] neg_hi:[1,0,0]
	;; [unrolled: 2-line block ×5, first 2 shown]
.LBB96_403:
	s_or_b64 exec, exec, s[0:1]
	v_lshl_add_u32 v56, v59, 2, v55
	s_barrier
	s_waitcnt vmcnt(24)
	ds_write_b32 v56, v19
	s_waitcnt lgkmcnt(0)
	s_barrier
	ds_read_b32 v58, v55 offset:96
	s_cmp_lt_i32 s22, 26
	v_mov_b32_e32 v56, 24
	s_cbranch_scc1 .LBB96_406
; %bb.404:
	v_add_u32_e32 v61, 0x64, v55
	v_mov_b32_e32 v56, 24
	s_mov_b32 s0, 25
.LBB96_405:                             ; =>This Inner Loop Header: Depth=1
	ds_read_b32 v62, v61
	v_mov_b32_e32 v63, s0
	s_add_i32 s0, s0, 1
	v_add_u32_e32 v61, 4, v61
	s_cmp_lg_u32 s22, s0
	s_waitcnt lgkmcnt(0)
	v_cmp_lt_f32_e64 vcc, |v58|, |v62|
	s_nop 1
	v_cndmask_b32_e32 v58, v58, v62, vcc
	v_cndmask_b32_e32 v56, v56, v63, vcc
	s_cbranch_scc1 .LBB96_405
.LBB96_406:
	s_waitcnt lgkmcnt(0)
	v_cmp_eq_f32_e32 vcc, 0, v58
	s_and_saveexec_b64 s[0:1], vcc
	s_xor_b64 s[0:1], exec, s[0:1]
; %bb.407:
	v_cmp_ne_u32_e32 vcc, 0, v60
	s_nop 1
	v_cndmask_b32_e32 v60, 25, v60, vcc
; %bb.408:
	s_andn2_saveexec_b64 s[0:1], s[0:1]
	s_cbranch_execz .LBB96_410
; %bb.409:
	v_div_scale_f32 v61, s[2:3], v58, v58, 1.0
	v_rcp_f32_e32 v62, v61
	v_div_scale_f32 v63, vcc, 1.0, v58, 1.0
	v_fma_f32 v64, -v61, v62, 1.0
	v_fmac_f32_e32 v62, v64, v62
	v_mul_f32_e32 v64, v63, v62
	v_fma_f32 v65, -v61, v64, v63
	v_fmac_f32_e32 v64, v65, v62
	v_fma_f32 v61, -v61, v64, v63
	v_div_fmas_f32 v61, v61, v62, v64
	v_div_fixup_f32 v58, v61, v58, 1.0
.LBB96_410:
	s_or_b64 exec, exec, s[0:1]
	v_cmp_ne_u32_e32 vcc, v59, v56
	s_and_saveexec_b64 s[0:1], vcc
	s_xor_b64 s[0:1], exec, s[0:1]
	s_cbranch_execz .LBB96_416
; %bb.411:
	v_cmp_eq_u32_e32 vcc, 24, v59
	s_and_saveexec_b64 s[2:3], vcc
	s_cbranch_execz .LBB96_415
; %bb.412:
	v_cmp_ne_u32_e32 vcc, 24, v56
	s_xor_b64 s[12:13], s[20:21], -1
	s_and_b64 s[14:15], s[12:13], vcc
	s_and_saveexec_b64 s[12:13], s[14:15]
	s_cbranch_execz .LBB96_414
; %bb.413:
	v_ashrrev_i32_e32 v57, 31, v56
	v_lshl_add_u64 v[62:63], v[56:57], 2, v[4:5]
	global_load_dword v57, v[62:63], off
	global_load_dword v59, v[4:5], off offset:96
	s_waitcnt vmcnt(1)
	global_store_dword v[4:5], v57, off offset:96
	s_waitcnt vmcnt(1)
	global_store_dword v[62:63], v59, off
.LBB96_414:
	s_or_b64 exec, exec, s[12:13]
	v_mov_b32_e32 v57, v56
	v_mov_b32_e32 v59, v56
.LBB96_415:
	s_or_b64 exec, exec, s[2:3]
.LBB96_416:
	s_andn2_saveexec_b64 s[0:1], s[0:1]
	s_cbranch_execz .LBB96_418
; %bb.417:
	v_mov_b32_e32 v59, 24
	s_waitcnt vmcnt(22)
	ds_write2_b32 v55, v40, v41 offset0:25 offset1:26
	s_waitcnt vmcnt(20)
	ds_write2_b32 v55, v30, v31 offset0:27 offset1:28
	;; [unrolled: 2-line block ×12, first 2 shown]
.LBB96_418:
	s_or_b64 exec, exec, s[0:1]
	v_cmp_lt_i32_e32 vcc, 24, v59
	s_waitcnt lgkmcnt(0)
	s_barrier
	s_and_saveexec_b64 s[0:1], vcc
	s_cbranch_execz .LBB96_420
; %bb.419:
	ds_read2_b32 v[62:63], v55 offset0:25 offset1:26
	ds_read2_b32 v[64:65], v55 offset0:27 offset1:28
	ds_read2_b32 v[66:67], v55 offset0:29 offset1:30
	v_mul_f32_e32 v56, v58, v19
	ds_read2_b32 v[68:69], v55 offset0:31 offset1:32
	s_waitcnt vmcnt(22) lgkmcnt(3)
	v_pk_fma_f32 v[40:41], v[56:57], v[62:63], v[40:41] op_sel_hi:[0,1,1] neg_lo:[1,0,0] neg_hi:[1,0,0]
	s_waitcnt vmcnt(20) lgkmcnt(2)
	v_pk_fma_f32 v[30:31], v[56:57], v[64:65], v[30:31] op_sel_hi:[0,1,1] neg_lo:[1,0,0] neg_hi:[1,0,0]
	;; [unrolled: 2-line block ×3, first 2 shown]
	ds_read2_b32 v[62:63], v55 offset0:33 offset1:34
	ds_read2_b32 v[64:65], v55 offset0:35 offset1:36
	ds_read2_b32 v[66:67], v55 offset0:37 offset1:38
	s_waitcnt vmcnt(16) lgkmcnt(3)
	v_pk_fma_f32 v[12:13], v[56:57], v[68:69], v[12:13] op_sel_hi:[0,1,1] neg_lo:[1,0,0] neg_hi:[1,0,0]
	ds_read2_b32 v[68:69], v55 offset0:39 offset1:40
	s_waitcnt vmcnt(14) lgkmcnt(3)
	v_pk_fma_f32 v[32:33], v[56:57], v[62:63], v[32:33] op_sel_hi:[0,1,1] neg_lo:[1,0,0] neg_hi:[1,0,0]
	s_waitcnt vmcnt(12) lgkmcnt(2)
	v_pk_fma_f32 v[22:23], v[56:57], v[64:65], v[22:23] op_sel_hi:[0,1,1] neg_lo:[1,0,0] neg_hi:[1,0,0]
	;; [unrolled: 2-line block ×3, first 2 shown]
	ds_read2_b32 v[62:63], v55 offset0:41 offset1:42
	ds_read2_b32 v[64:65], v55 offset0:43 offset1:44
	;; [unrolled: 1-line block ×4, first 2 shown]
	s_waitcnt vmcnt(8) lgkmcnt(4)
	v_pk_fma_f32 v[0:1], v[56:57], v[68:69], v[0:1] op_sel_hi:[0,1,1] neg_lo:[1,0,0] neg_hi:[1,0,0]
	s_waitcnt vmcnt(6) lgkmcnt(3)
	v_pk_fma_f32 v[24:25], v[56:57], v[62:63], v[24:25] op_sel_hi:[0,1,1] neg_lo:[1,0,0] neg_hi:[1,0,0]
	;; [unrolled: 2-line block ×5, first 2 shown]
	v_mov_b32_e32 v19, v56
.LBB96_420:
	s_or_b64 exec, exec, s[0:1]
	v_lshl_add_u32 v56, v59, 2, v55
	s_barrier
	s_waitcnt vmcnt(23)
	ds_write_b32 v56, v40
	s_waitcnt lgkmcnt(0)
	s_barrier
	ds_read_b32 v58, v55 offset:100
	s_cmp_lt_i32 s22, 27
	v_mov_b32_e32 v56, 25
	s_cbranch_scc1 .LBB96_423
; %bb.421:
	v_add_u32_e32 v61, 0x68, v55
	v_mov_b32_e32 v56, 25
	s_mov_b32 s0, 26
.LBB96_422:                             ; =>This Inner Loop Header: Depth=1
	ds_read_b32 v62, v61
	v_mov_b32_e32 v63, s0
	s_add_i32 s0, s0, 1
	v_add_u32_e32 v61, 4, v61
	s_cmp_lg_u32 s22, s0
	s_waitcnt lgkmcnt(0)
	v_cmp_lt_f32_e64 vcc, |v58|, |v62|
	s_nop 1
	v_cndmask_b32_e32 v58, v58, v62, vcc
	v_cndmask_b32_e32 v56, v56, v63, vcc
	s_cbranch_scc1 .LBB96_422
.LBB96_423:
	s_waitcnt lgkmcnt(0)
	v_cmp_eq_f32_e32 vcc, 0, v58
	s_and_saveexec_b64 s[0:1], vcc
	s_xor_b64 s[0:1], exec, s[0:1]
; %bb.424:
	v_cmp_ne_u32_e32 vcc, 0, v60
	s_nop 1
	v_cndmask_b32_e32 v60, 26, v60, vcc
; %bb.425:
	s_andn2_saveexec_b64 s[0:1], s[0:1]
	s_cbranch_execz .LBB96_427
; %bb.426:
	v_div_scale_f32 v61, s[2:3], v58, v58, 1.0
	v_rcp_f32_e32 v62, v61
	v_div_scale_f32 v63, vcc, 1.0, v58, 1.0
	v_fma_f32 v64, -v61, v62, 1.0
	v_fmac_f32_e32 v62, v64, v62
	v_mul_f32_e32 v64, v63, v62
	v_fma_f32 v65, -v61, v64, v63
	v_fmac_f32_e32 v64, v65, v62
	v_fma_f32 v61, -v61, v64, v63
	v_div_fmas_f32 v61, v61, v62, v64
	v_div_fixup_f32 v58, v61, v58, 1.0
.LBB96_427:
	s_or_b64 exec, exec, s[0:1]
	v_cmp_ne_u32_e32 vcc, v59, v56
	s_and_saveexec_b64 s[0:1], vcc
	s_xor_b64 s[0:1], exec, s[0:1]
	s_cbranch_execz .LBB96_433
; %bb.428:
	v_cmp_eq_u32_e32 vcc, 25, v59
	s_and_saveexec_b64 s[2:3], vcc
	s_cbranch_execz .LBB96_432
; %bb.429:
	v_cmp_ne_u32_e32 vcc, 25, v56
	s_xor_b64 s[12:13], s[20:21], -1
	s_and_b64 s[14:15], s[12:13], vcc
	s_and_saveexec_b64 s[12:13], s[14:15]
	s_cbranch_execz .LBB96_431
; %bb.430:
	v_ashrrev_i32_e32 v57, 31, v56
	v_lshl_add_u64 v[62:63], v[56:57], 2, v[4:5]
	global_load_dword v57, v[62:63], off
	global_load_dword v59, v[4:5], off offset:100
	s_waitcnt vmcnt(1)
	global_store_dword v[4:5], v57, off offset:100
	s_waitcnt vmcnt(1)
	global_store_dword v[62:63], v59, off
.LBB96_431:
	s_or_b64 exec, exec, s[12:13]
	v_mov_b32_e32 v57, v56
	v_mov_b32_e32 v59, v56
.LBB96_432:
	s_or_b64 exec, exec, s[2:3]
.LBB96_433:
	s_andn2_saveexec_b64 s[0:1], s[0:1]
	s_cbranch_execz .LBB96_435
; %bb.434:
	s_waitcnt vmcnt(20)
	v_pk_mov_b32 v[62:63], v[40:41], v[30:31] op_sel:[1,0]
	ds_write2_b32 v55, v62, v63 offset0:26 offset1:27
	s_waitcnt vmcnt(18)
	v_pk_mov_b32 v[62:63], v[30:31], v[20:21] op_sel:[1,0]
	ds_write2_b32 v55, v62, v63 offset0:28 offset1:29
	;; [unrolled: 3-line block ×10, first 2 shown]
	s_waitcnt vmcnt(0)
	v_pk_mov_b32 v[62:63], v[10:11], v[8:9] op_sel:[1,0]
	v_mov_b32_e32 v59, 25
	ds_write2_b32 v55, v62, v63 offset0:46 offset1:47
	ds_write_b32 v55, v9 offset:192
.LBB96_435:
	s_or_b64 exec, exec, s[0:1]
	v_cmp_lt_i32_e32 vcc, 25, v59
	s_waitcnt lgkmcnt(0)
	s_barrier
	s_and_saveexec_b64 s[0:1], vcc
	s_cbranch_execz .LBB96_437
; %bb.436:
	ds_read_b32 v56, v55 offset:104
	ds_read2_b32 v[62:63], v55 offset0:27 offset1:28
	ds_read2_b32 v[64:65], v55 offset0:29 offset1:30
	v_mul_f32_e32 v40, v58, v40
	ds_read2_b32 v[66:67], v55 offset0:31 offset1:32
	s_waitcnt vmcnt(22) lgkmcnt(3)
	v_fma_f32 v41, -v40, v56, v41
	s_waitcnt vmcnt(20) lgkmcnt(2)
	v_pk_fma_f32 v[30:31], v[40:41], v[62:63], v[30:31] op_sel_hi:[0,1,1] neg_lo:[1,0,0] neg_hi:[1,0,0]
	s_waitcnt vmcnt(18) lgkmcnt(1)
	v_pk_fma_f32 v[20:21], v[40:41], v[64:65], v[20:21] op_sel_hi:[0,1,1] neg_lo:[1,0,0] neg_hi:[1,0,0]
	ds_read2_b32 v[62:63], v55 offset0:33 offset1:34
	ds_read2_b32 v[64:65], v55 offset0:35 offset1:36
	;; [unrolled: 1-line block ×3, first 2 shown]
	s_waitcnt vmcnt(16) lgkmcnt(3)
	v_pk_fma_f32 v[12:13], v[40:41], v[66:67], v[12:13] op_sel_hi:[0,1,1] neg_lo:[1,0,0] neg_hi:[1,0,0]
	ds_read2_b32 v[66:67], v55 offset0:39 offset1:40
	s_waitcnt vmcnt(14) lgkmcnt(3)
	v_pk_fma_f32 v[32:33], v[40:41], v[62:63], v[32:33] op_sel_hi:[0,1,1] neg_lo:[1,0,0] neg_hi:[1,0,0]
	s_waitcnt vmcnt(12) lgkmcnt(2)
	v_pk_fma_f32 v[22:23], v[40:41], v[64:65], v[22:23] op_sel_hi:[0,1,1] neg_lo:[1,0,0] neg_hi:[1,0,0]
	;; [unrolled: 2-line block ×3, first 2 shown]
	ds_read2_b32 v[62:63], v55 offset0:41 offset1:42
	ds_read2_b32 v[64:65], v55 offset0:43 offset1:44
	;; [unrolled: 1-line block ×4, first 2 shown]
	s_waitcnt vmcnt(8) lgkmcnt(4)
	v_pk_fma_f32 v[0:1], v[40:41], v[66:67], v[0:1] op_sel_hi:[0,1,1] neg_lo:[1,0,0] neg_hi:[1,0,0]
	s_waitcnt vmcnt(6) lgkmcnt(3)
	v_pk_fma_f32 v[24:25], v[40:41], v[62:63], v[24:25] op_sel_hi:[0,1,1] neg_lo:[1,0,0] neg_hi:[1,0,0]
	;; [unrolled: 2-line block ×5, first 2 shown]
.LBB96_437:
	s_or_b64 exec, exec, s[0:1]
	v_lshl_add_u32 v56, v59, 2, v55
	s_barrier
	s_waitcnt vmcnt(22)
	ds_write_b32 v56, v41
	s_waitcnt lgkmcnt(0)
	s_barrier
	ds_read_b32 v58, v55 offset:104
	s_cmp_lt_i32 s22, 28
	v_mov_b32_e32 v56, 26
	s_cbranch_scc1 .LBB96_440
; %bb.438:
	v_add_u32_e32 v61, 0x6c, v55
	v_mov_b32_e32 v56, 26
	s_mov_b32 s0, 27
.LBB96_439:                             ; =>This Inner Loop Header: Depth=1
	ds_read_b32 v62, v61
	v_mov_b32_e32 v63, s0
	s_add_i32 s0, s0, 1
	v_add_u32_e32 v61, 4, v61
	s_cmp_lg_u32 s22, s0
	s_waitcnt lgkmcnt(0)
	v_cmp_lt_f32_e64 vcc, |v58|, |v62|
	s_nop 1
	v_cndmask_b32_e32 v58, v58, v62, vcc
	v_cndmask_b32_e32 v56, v56, v63, vcc
	s_cbranch_scc1 .LBB96_439
.LBB96_440:
	s_waitcnt lgkmcnt(0)
	v_cmp_eq_f32_e32 vcc, 0, v58
	s_and_saveexec_b64 s[0:1], vcc
	s_xor_b64 s[0:1], exec, s[0:1]
; %bb.441:
	v_cmp_ne_u32_e32 vcc, 0, v60
	s_nop 1
	v_cndmask_b32_e32 v60, 27, v60, vcc
; %bb.442:
	s_andn2_saveexec_b64 s[0:1], s[0:1]
	s_cbranch_execz .LBB96_444
; %bb.443:
	v_div_scale_f32 v61, s[2:3], v58, v58, 1.0
	v_rcp_f32_e32 v62, v61
	v_div_scale_f32 v63, vcc, 1.0, v58, 1.0
	v_fma_f32 v64, -v61, v62, 1.0
	v_fmac_f32_e32 v62, v64, v62
	v_mul_f32_e32 v64, v63, v62
	v_fma_f32 v65, -v61, v64, v63
	v_fmac_f32_e32 v64, v65, v62
	v_fma_f32 v61, -v61, v64, v63
	v_div_fmas_f32 v61, v61, v62, v64
	v_div_fixup_f32 v58, v61, v58, 1.0
.LBB96_444:
	s_or_b64 exec, exec, s[0:1]
	v_cmp_ne_u32_e32 vcc, v59, v56
	s_and_saveexec_b64 s[0:1], vcc
	s_xor_b64 s[0:1], exec, s[0:1]
	s_cbranch_execz .LBB96_450
; %bb.445:
	v_cmp_eq_u32_e32 vcc, 26, v59
	s_and_saveexec_b64 s[2:3], vcc
	s_cbranch_execz .LBB96_449
; %bb.446:
	v_cmp_ne_u32_e32 vcc, 26, v56
	s_xor_b64 s[12:13], s[20:21], -1
	s_and_b64 s[14:15], s[12:13], vcc
	s_and_saveexec_b64 s[12:13], s[14:15]
	s_cbranch_execz .LBB96_448
; %bb.447:
	v_ashrrev_i32_e32 v57, 31, v56
	v_lshl_add_u64 v[62:63], v[56:57], 2, v[4:5]
	global_load_dword v57, v[62:63], off
	global_load_dword v59, v[4:5], off offset:104
	s_waitcnt vmcnt(1)
	global_store_dword v[4:5], v57, off offset:104
	s_waitcnt vmcnt(1)
	global_store_dword v[62:63], v59, off
.LBB96_448:
	s_or_b64 exec, exec, s[12:13]
	v_mov_b32_e32 v57, v56
	v_mov_b32_e32 v59, v56
.LBB96_449:
	s_or_b64 exec, exec, s[2:3]
.LBB96_450:
	s_andn2_saveexec_b64 s[0:1], s[0:1]
	s_cbranch_execz .LBB96_452
; %bb.451:
	v_mov_b32_e32 v59, 26
	s_waitcnt vmcnt(20)
	ds_write2_b32 v55, v30, v31 offset0:27 offset1:28
	s_waitcnt vmcnt(18)
	ds_write2_b32 v55, v20, v21 offset0:29 offset1:30
	s_waitcnt vmcnt(16)
	ds_write2_b32 v55, v12, v13 offset0:31 offset1:32
	s_waitcnt vmcnt(14)
	ds_write2_b32 v55, v32, v33 offset0:33 offset1:34
	s_waitcnt vmcnt(12)
	ds_write2_b32 v55, v22, v23 offset0:35 offset1:36
	s_waitcnt vmcnt(10)
	ds_write2_b32 v55, v14, v15 offset0:37 offset1:38
	s_waitcnt vmcnt(8)
	ds_write2_b32 v55, v0, v1 offset0:39 offset1:40
	s_waitcnt vmcnt(6)
	ds_write2_b32 v55, v24, v25 offset0:41 offset1:42
	s_waitcnt vmcnt(4)
	ds_write2_b32 v55, v16, v17 offset0:43 offset1:44
	s_waitcnt vmcnt(2)
	ds_write2_b32 v55, v10, v11 offset0:45 offset1:46
	s_waitcnt vmcnt(0)
	ds_write2_b32 v55, v8, v9 offset0:47 offset1:48
.LBB96_452:
	s_or_b64 exec, exec, s[0:1]
	v_cmp_lt_i32_e32 vcc, 26, v59
	s_waitcnt lgkmcnt(0)
	s_barrier
	s_and_saveexec_b64 s[0:1], vcc
	s_cbranch_execz .LBB96_454
; %bb.453:
	ds_read2_b32 v[62:63], v55 offset0:27 offset1:28
	ds_read2_b32 v[64:65], v55 offset0:29 offset1:30
	;; [unrolled: 1-line block ×3, first 2 shown]
	v_mul_f32_e32 v56, v58, v41
	ds_read2_b32 v[68:69], v55 offset0:33 offset1:34
	s_waitcnt vmcnt(20) lgkmcnt(3)
	v_pk_fma_f32 v[30:31], v[56:57], v[62:63], v[30:31] op_sel_hi:[0,1,1] neg_lo:[1,0,0] neg_hi:[1,0,0]
	s_waitcnt vmcnt(18) lgkmcnt(2)
	v_pk_fma_f32 v[20:21], v[56:57], v[64:65], v[20:21] op_sel_hi:[0,1,1] neg_lo:[1,0,0] neg_hi:[1,0,0]
	ds_read2_b32 v[62:63], v55 offset0:35 offset1:36
	ds_read2_b32 v[64:65], v55 offset0:37 offset1:38
	s_waitcnt vmcnt(16) lgkmcnt(3)
	v_pk_fma_f32 v[12:13], v[56:57], v[66:67], v[12:13] op_sel_hi:[0,1,1] neg_lo:[1,0,0] neg_hi:[1,0,0]
	s_waitcnt vmcnt(14) lgkmcnt(2)
	v_pk_fma_f32 v[32:33], v[56:57], v[68:69], v[32:33] op_sel_hi:[0,1,1] neg_lo:[1,0,0] neg_hi:[1,0,0]
	ds_read2_b32 v[66:67], v55 offset0:39 offset1:40
	;; [unrolled: 6-line block ×3, first 2 shown]
	ds_read2_b32 v[64:65], v55 offset0:45 offset1:46
	ds_read2_b32 v[70:71], v55 offset0:47 offset1:48
	s_waitcnt vmcnt(8) lgkmcnt(4)
	v_pk_fma_f32 v[0:1], v[56:57], v[66:67], v[0:1] op_sel_hi:[0,1,1] neg_lo:[1,0,0] neg_hi:[1,0,0]
	s_waitcnt vmcnt(6) lgkmcnt(3)
	v_pk_fma_f32 v[24:25], v[56:57], v[68:69], v[24:25] op_sel_hi:[0,1,1] neg_lo:[1,0,0] neg_hi:[1,0,0]
	;; [unrolled: 2-line block ×5, first 2 shown]
	v_mov_b32_e32 v41, v56
.LBB96_454:
	s_or_b64 exec, exec, s[0:1]
	v_lshl_add_u32 v56, v59, 2, v55
	s_barrier
	s_waitcnt vmcnt(21)
	ds_write_b32 v56, v30
	s_waitcnt lgkmcnt(0)
	s_barrier
	ds_read_b32 v58, v55 offset:108
	s_cmp_lt_i32 s22, 29
	v_mov_b32_e32 v56, 27
	s_cbranch_scc1 .LBB96_457
; %bb.455:
	v_add_u32_e32 v61, 0x70, v55
	v_mov_b32_e32 v56, 27
	s_mov_b32 s0, 28
.LBB96_456:                             ; =>This Inner Loop Header: Depth=1
	ds_read_b32 v62, v61
	v_mov_b32_e32 v63, s0
	s_add_i32 s0, s0, 1
	v_add_u32_e32 v61, 4, v61
	s_cmp_lg_u32 s22, s0
	s_waitcnt lgkmcnt(0)
	v_cmp_lt_f32_e64 vcc, |v58|, |v62|
	s_nop 1
	v_cndmask_b32_e32 v58, v58, v62, vcc
	v_cndmask_b32_e32 v56, v56, v63, vcc
	s_cbranch_scc1 .LBB96_456
.LBB96_457:
	s_waitcnt lgkmcnt(0)
	v_cmp_eq_f32_e32 vcc, 0, v58
	s_and_saveexec_b64 s[0:1], vcc
	s_xor_b64 s[0:1], exec, s[0:1]
; %bb.458:
	v_cmp_ne_u32_e32 vcc, 0, v60
	s_nop 1
	v_cndmask_b32_e32 v60, 28, v60, vcc
; %bb.459:
	s_andn2_saveexec_b64 s[0:1], s[0:1]
	s_cbranch_execz .LBB96_461
; %bb.460:
	v_div_scale_f32 v61, s[2:3], v58, v58, 1.0
	v_rcp_f32_e32 v62, v61
	v_div_scale_f32 v63, vcc, 1.0, v58, 1.0
	v_fma_f32 v64, -v61, v62, 1.0
	v_fmac_f32_e32 v62, v64, v62
	v_mul_f32_e32 v64, v63, v62
	v_fma_f32 v65, -v61, v64, v63
	v_fmac_f32_e32 v64, v65, v62
	v_fma_f32 v61, -v61, v64, v63
	v_div_fmas_f32 v61, v61, v62, v64
	v_div_fixup_f32 v58, v61, v58, 1.0
.LBB96_461:
	s_or_b64 exec, exec, s[0:1]
	v_cmp_ne_u32_e32 vcc, v59, v56
	s_and_saveexec_b64 s[0:1], vcc
	s_xor_b64 s[0:1], exec, s[0:1]
	s_cbranch_execz .LBB96_467
; %bb.462:
	v_cmp_eq_u32_e32 vcc, 27, v59
	s_and_saveexec_b64 s[2:3], vcc
	s_cbranch_execz .LBB96_466
; %bb.463:
	v_cmp_ne_u32_e32 vcc, 27, v56
	s_xor_b64 s[12:13], s[20:21], -1
	s_and_b64 s[14:15], s[12:13], vcc
	s_and_saveexec_b64 s[12:13], s[14:15]
	s_cbranch_execz .LBB96_465
; %bb.464:
	v_ashrrev_i32_e32 v57, 31, v56
	v_lshl_add_u64 v[62:63], v[56:57], 2, v[4:5]
	global_load_dword v57, v[62:63], off
	global_load_dword v59, v[4:5], off offset:108
	s_waitcnt vmcnt(1)
	global_store_dword v[4:5], v57, off offset:108
	s_waitcnt vmcnt(1)
	global_store_dword v[62:63], v59, off
.LBB96_465:
	s_or_b64 exec, exec, s[12:13]
	v_mov_b32_e32 v57, v56
	v_mov_b32_e32 v59, v56
.LBB96_466:
	s_or_b64 exec, exec, s[2:3]
.LBB96_467:
	s_andn2_saveexec_b64 s[0:1], s[0:1]
	s_cbranch_execz .LBB96_469
; %bb.468:
	s_waitcnt vmcnt(18)
	v_pk_mov_b32 v[62:63], v[30:31], v[20:21] op_sel:[1,0]
	ds_write2_b32 v55, v62, v63 offset0:28 offset1:29
	s_waitcnt vmcnt(16)
	v_pk_mov_b32 v[62:63], v[20:21], v[12:13] op_sel:[1,0]
	ds_write2_b32 v55, v62, v63 offset0:30 offset1:31
	;; [unrolled: 3-line block ×9, first 2 shown]
	s_waitcnt vmcnt(0)
	v_pk_mov_b32 v[62:63], v[10:11], v[8:9] op_sel:[1,0]
	v_mov_b32_e32 v59, 27
	ds_write2_b32 v55, v62, v63 offset0:46 offset1:47
	ds_write_b32 v55, v9 offset:192
.LBB96_469:
	s_or_b64 exec, exec, s[0:1]
	v_cmp_lt_i32_e32 vcc, 27, v59
	s_waitcnt lgkmcnt(0)
	s_barrier
	s_and_saveexec_b64 s[0:1], vcc
	s_cbranch_execz .LBB96_471
; %bb.470:
	ds_read_b32 v56, v55 offset:112
	ds_read2_b32 v[62:63], v55 offset0:29 offset1:30
	ds_read2_b32 v[64:65], v55 offset0:31 offset1:32
	v_mul_f32_e32 v30, v58, v30
	ds_read2_b32 v[66:67], v55 offset0:33 offset1:34
	s_waitcnt vmcnt(20) lgkmcnt(3)
	v_fma_f32 v31, -v30, v56, v31
	s_waitcnt vmcnt(18) lgkmcnt(2)
	v_pk_fma_f32 v[20:21], v[30:31], v[62:63], v[20:21] op_sel_hi:[0,1,1] neg_lo:[1,0,0] neg_hi:[1,0,0]
	s_waitcnt vmcnt(16) lgkmcnt(1)
	v_pk_fma_f32 v[12:13], v[30:31], v[64:65], v[12:13] op_sel_hi:[0,1,1] neg_lo:[1,0,0] neg_hi:[1,0,0]
	ds_read2_b32 v[62:63], v55 offset0:35 offset1:36
	ds_read2_b32 v[64:65], v55 offset0:37 offset1:38
	s_waitcnt vmcnt(14) lgkmcnt(2)
	v_pk_fma_f32 v[32:33], v[30:31], v[66:67], v[32:33] op_sel_hi:[0,1,1] neg_lo:[1,0,0] neg_hi:[1,0,0]
	ds_read2_b32 v[66:67], v55 offset0:39 offset1:40
	ds_read2_b32 v[68:69], v55 offset0:41 offset1:42
	s_waitcnt vmcnt(12) lgkmcnt(3)
	v_pk_fma_f32 v[22:23], v[30:31], v[62:63], v[22:23] op_sel_hi:[0,1,1] neg_lo:[1,0,0] neg_hi:[1,0,0]
	s_waitcnt vmcnt(10) lgkmcnt(2)
	v_pk_fma_f32 v[14:15], v[30:31], v[64:65], v[14:15] op_sel_hi:[0,1,1] neg_lo:[1,0,0] neg_hi:[1,0,0]
	ds_read2_b32 v[62:63], v55 offset0:43 offset1:44
	ds_read2_b32 v[64:65], v55 offset0:45 offset1:46
	;; [unrolled: 1-line block ×3, first 2 shown]
	s_waitcnt vmcnt(8) lgkmcnt(4)
	v_pk_fma_f32 v[0:1], v[30:31], v[66:67], v[0:1] op_sel_hi:[0,1,1] neg_lo:[1,0,0] neg_hi:[1,0,0]
	s_waitcnt vmcnt(6) lgkmcnt(3)
	v_pk_fma_f32 v[24:25], v[30:31], v[68:69], v[24:25] op_sel_hi:[0,1,1] neg_lo:[1,0,0] neg_hi:[1,0,0]
	;; [unrolled: 2-line block ×5, first 2 shown]
.LBB96_471:
	s_or_b64 exec, exec, s[0:1]
	v_lshl_add_u32 v56, v59, 2, v55
	s_barrier
	s_waitcnt vmcnt(20)
	ds_write_b32 v56, v31
	s_waitcnt lgkmcnt(0)
	s_barrier
	ds_read_b32 v58, v55 offset:112
	s_cmp_lt_i32 s22, 30
	v_mov_b32_e32 v56, 28
	s_cbranch_scc1 .LBB96_474
; %bb.472:
	v_add_u32_e32 v61, 0x74, v55
	v_mov_b32_e32 v56, 28
	s_mov_b32 s0, 29
.LBB96_473:                             ; =>This Inner Loop Header: Depth=1
	ds_read_b32 v62, v61
	v_mov_b32_e32 v63, s0
	s_add_i32 s0, s0, 1
	v_add_u32_e32 v61, 4, v61
	s_cmp_lg_u32 s22, s0
	s_waitcnt lgkmcnt(0)
	v_cmp_lt_f32_e64 vcc, |v58|, |v62|
	s_nop 1
	v_cndmask_b32_e32 v58, v58, v62, vcc
	v_cndmask_b32_e32 v56, v56, v63, vcc
	s_cbranch_scc1 .LBB96_473
.LBB96_474:
	s_waitcnt lgkmcnt(0)
	v_cmp_eq_f32_e32 vcc, 0, v58
	s_and_saveexec_b64 s[0:1], vcc
	s_xor_b64 s[0:1], exec, s[0:1]
; %bb.475:
	v_cmp_ne_u32_e32 vcc, 0, v60
	s_nop 1
	v_cndmask_b32_e32 v60, 29, v60, vcc
; %bb.476:
	s_andn2_saveexec_b64 s[0:1], s[0:1]
	s_cbranch_execz .LBB96_478
; %bb.477:
	v_div_scale_f32 v61, s[2:3], v58, v58, 1.0
	v_rcp_f32_e32 v62, v61
	v_div_scale_f32 v63, vcc, 1.0, v58, 1.0
	v_fma_f32 v64, -v61, v62, 1.0
	v_fmac_f32_e32 v62, v64, v62
	v_mul_f32_e32 v64, v63, v62
	v_fma_f32 v65, -v61, v64, v63
	v_fmac_f32_e32 v64, v65, v62
	v_fma_f32 v61, -v61, v64, v63
	v_div_fmas_f32 v61, v61, v62, v64
	v_div_fixup_f32 v58, v61, v58, 1.0
.LBB96_478:
	s_or_b64 exec, exec, s[0:1]
	v_cmp_ne_u32_e32 vcc, v59, v56
	s_and_saveexec_b64 s[0:1], vcc
	s_xor_b64 s[0:1], exec, s[0:1]
	s_cbranch_execz .LBB96_484
; %bb.479:
	v_cmp_eq_u32_e32 vcc, 28, v59
	s_and_saveexec_b64 s[2:3], vcc
	s_cbranch_execz .LBB96_483
; %bb.480:
	v_cmp_ne_u32_e32 vcc, 28, v56
	s_xor_b64 s[12:13], s[20:21], -1
	s_and_b64 s[14:15], s[12:13], vcc
	s_and_saveexec_b64 s[12:13], s[14:15]
	s_cbranch_execz .LBB96_482
; %bb.481:
	v_ashrrev_i32_e32 v57, 31, v56
	v_lshl_add_u64 v[62:63], v[56:57], 2, v[4:5]
	global_load_dword v57, v[62:63], off
	global_load_dword v59, v[4:5], off offset:112
	s_waitcnt vmcnt(1)
	global_store_dword v[4:5], v57, off offset:112
	s_waitcnt vmcnt(1)
	global_store_dword v[62:63], v59, off
.LBB96_482:
	s_or_b64 exec, exec, s[12:13]
	v_mov_b32_e32 v57, v56
	v_mov_b32_e32 v59, v56
.LBB96_483:
	s_or_b64 exec, exec, s[2:3]
.LBB96_484:
	s_andn2_saveexec_b64 s[0:1], s[0:1]
	s_cbranch_execz .LBB96_486
; %bb.485:
	v_mov_b32_e32 v59, 28
	s_waitcnt vmcnt(18)
	ds_write2_b32 v55, v20, v21 offset0:29 offset1:30
	s_waitcnt vmcnt(16)
	ds_write2_b32 v55, v12, v13 offset0:31 offset1:32
	;; [unrolled: 2-line block ×10, first 2 shown]
.LBB96_486:
	s_or_b64 exec, exec, s[0:1]
	v_cmp_lt_i32_e32 vcc, 28, v59
	s_waitcnt lgkmcnt(0)
	s_barrier
	s_and_saveexec_b64 s[0:1], vcc
	s_cbranch_execz .LBB96_488
; %bb.487:
	ds_read2_b32 v[62:63], v55 offset0:29 offset1:30
	ds_read2_b32 v[64:65], v55 offset0:31 offset1:32
	;; [unrolled: 1-line block ×3, first 2 shown]
	v_mul_f32_e32 v56, v58, v31
	ds_read2_b32 v[68:69], v55 offset0:35 offset1:36
	s_waitcnt vmcnt(18) lgkmcnt(3)
	v_pk_fma_f32 v[20:21], v[56:57], v[62:63], v[20:21] op_sel_hi:[0,1,1] neg_lo:[1,0,0] neg_hi:[1,0,0]
	ds_read2_b32 v[62:63], v55 offset0:37 offset1:38
	s_waitcnt vmcnt(16) lgkmcnt(3)
	v_pk_fma_f32 v[12:13], v[56:57], v[64:65], v[12:13] op_sel_hi:[0,1,1] neg_lo:[1,0,0] neg_hi:[1,0,0]
	s_waitcnt vmcnt(14) lgkmcnt(2)
	v_pk_fma_f32 v[32:33], v[56:57], v[66:67], v[32:33] op_sel_hi:[0,1,1] neg_lo:[1,0,0] neg_hi:[1,0,0]
	;; [unrolled: 2-line block ×3, first 2 shown]
	ds_read2_b32 v[64:65], v55 offset0:39 offset1:40
	ds_read2_b32 v[66:67], v55 offset0:41 offset1:42
	;; [unrolled: 1-line block ×3, first 2 shown]
	s_waitcnt vmcnt(10) lgkmcnt(3)
	v_pk_fma_f32 v[14:15], v[56:57], v[62:63], v[14:15] op_sel_hi:[0,1,1] neg_lo:[1,0,0] neg_hi:[1,0,0]
	ds_read2_b32 v[62:63], v55 offset0:45 offset1:46
	ds_read2_b32 v[70:71], v55 offset0:47 offset1:48
	s_waitcnt vmcnt(8) lgkmcnt(4)
	v_pk_fma_f32 v[0:1], v[56:57], v[64:65], v[0:1] op_sel_hi:[0,1,1] neg_lo:[1,0,0] neg_hi:[1,0,0]
	s_waitcnt vmcnt(6) lgkmcnt(3)
	v_pk_fma_f32 v[24:25], v[56:57], v[66:67], v[24:25] op_sel_hi:[0,1,1] neg_lo:[1,0,0] neg_hi:[1,0,0]
	;; [unrolled: 2-line block ×5, first 2 shown]
	v_mov_b32_e32 v31, v56
.LBB96_488:
	s_or_b64 exec, exec, s[0:1]
	v_lshl_add_u32 v56, v59, 2, v55
	s_barrier
	s_waitcnt vmcnt(19)
	ds_write_b32 v56, v20
	s_waitcnt lgkmcnt(0)
	s_barrier
	ds_read_b32 v58, v55 offset:116
	s_cmp_lt_i32 s22, 31
	v_mov_b32_e32 v56, 29
	s_cbranch_scc1 .LBB96_491
; %bb.489:
	v_add_u32_e32 v61, 0x78, v55
	v_mov_b32_e32 v56, 29
	s_mov_b32 s0, 30
.LBB96_490:                             ; =>This Inner Loop Header: Depth=1
	ds_read_b32 v62, v61
	v_mov_b32_e32 v63, s0
	s_add_i32 s0, s0, 1
	v_add_u32_e32 v61, 4, v61
	s_cmp_lg_u32 s22, s0
	s_waitcnt lgkmcnt(0)
	v_cmp_lt_f32_e64 vcc, |v58|, |v62|
	s_nop 1
	v_cndmask_b32_e32 v58, v58, v62, vcc
	v_cndmask_b32_e32 v56, v56, v63, vcc
	s_cbranch_scc1 .LBB96_490
.LBB96_491:
	s_waitcnt lgkmcnt(0)
	v_cmp_eq_f32_e32 vcc, 0, v58
	s_and_saveexec_b64 s[0:1], vcc
	s_xor_b64 s[0:1], exec, s[0:1]
; %bb.492:
	v_cmp_ne_u32_e32 vcc, 0, v60
	s_nop 1
	v_cndmask_b32_e32 v60, 30, v60, vcc
; %bb.493:
	s_andn2_saveexec_b64 s[0:1], s[0:1]
	s_cbranch_execz .LBB96_495
; %bb.494:
	v_div_scale_f32 v61, s[2:3], v58, v58, 1.0
	v_rcp_f32_e32 v62, v61
	v_div_scale_f32 v63, vcc, 1.0, v58, 1.0
	v_fma_f32 v64, -v61, v62, 1.0
	v_fmac_f32_e32 v62, v64, v62
	v_mul_f32_e32 v64, v63, v62
	v_fma_f32 v65, -v61, v64, v63
	v_fmac_f32_e32 v64, v65, v62
	v_fma_f32 v61, -v61, v64, v63
	v_div_fmas_f32 v61, v61, v62, v64
	v_div_fixup_f32 v58, v61, v58, 1.0
.LBB96_495:
	s_or_b64 exec, exec, s[0:1]
	v_cmp_ne_u32_e32 vcc, v59, v56
	s_and_saveexec_b64 s[0:1], vcc
	s_xor_b64 s[0:1], exec, s[0:1]
	s_cbranch_execz .LBB96_501
; %bb.496:
	v_cmp_eq_u32_e32 vcc, 29, v59
	s_and_saveexec_b64 s[2:3], vcc
	s_cbranch_execz .LBB96_500
; %bb.497:
	v_cmp_ne_u32_e32 vcc, 29, v56
	s_xor_b64 s[12:13], s[20:21], -1
	s_and_b64 s[14:15], s[12:13], vcc
	s_and_saveexec_b64 s[12:13], s[14:15]
	s_cbranch_execz .LBB96_499
; %bb.498:
	v_ashrrev_i32_e32 v57, 31, v56
	v_lshl_add_u64 v[62:63], v[56:57], 2, v[4:5]
	global_load_dword v57, v[62:63], off
	global_load_dword v59, v[4:5], off offset:116
	s_waitcnt vmcnt(1)
	global_store_dword v[4:5], v57, off offset:116
	s_waitcnt vmcnt(1)
	global_store_dword v[62:63], v59, off
.LBB96_499:
	s_or_b64 exec, exec, s[12:13]
	v_mov_b32_e32 v57, v56
	v_mov_b32_e32 v59, v56
.LBB96_500:
	s_or_b64 exec, exec, s[2:3]
.LBB96_501:
	s_andn2_saveexec_b64 s[0:1], s[0:1]
	s_cbranch_execz .LBB96_503
; %bb.502:
	s_waitcnt vmcnt(16)
	v_pk_mov_b32 v[62:63], v[20:21], v[12:13] op_sel:[1,0]
	ds_write2_b32 v55, v62, v63 offset0:30 offset1:31
	s_waitcnt vmcnt(14)
	v_pk_mov_b32 v[62:63], v[12:13], v[32:33] op_sel:[1,0]
	ds_write2_b32 v55, v62, v63 offset0:32 offset1:33
	;; [unrolled: 3-line block ×8, first 2 shown]
	s_waitcnt vmcnt(0)
	v_pk_mov_b32 v[62:63], v[10:11], v[8:9] op_sel:[1,0]
	v_mov_b32_e32 v59, 29
	ds_write2_b32 v55, v62, v63 offset0:46 offset1:47
	ds_write_b32 v55, v9 offset:192
.LBB96_503:
	s_or_b64 exec, exec, s[0:1]
	v_cmp_lt_i32_e32 vcc, 29, v59
	s_waitcnt lgkmcnt(0)
	s_barrier
	s_and_saveexec_b64 s[0:1], vcc
	s_cbranch_execz .LBB96_505
; %bb.504:
	ds_read_b32 v56, v55 offset:120
	ds_read2_b32 v[62:63], v55 offset0:31 offset1:32
	ds_read2_b32 v[64:65], v55 offset0:33 offset1:34
	v_mul_f32_e32 v20, v58, v20
	ds_read2_b32 v[66:67], v55 offset0:35 offset1:36
	s_waitcnt vmcnt(18) lgkmcnt(3)
	v_fma_f32 v21, -v20, v56, v21
	s_waitcnt vmcnt(16) lgkmcnt(2)
	v_pk_fma_f32 v[12:13], v[20:21], v[62:63], v[12:13] op_sel_hi:[0,1,1] neg_lo:[1,0,0] neg_hi:[1,0,0]
	ds_read2_b32 v[62:63], v55 offset0:37 offset1:38
	s_waitcnt vmcnt(14) lgkmcnt(2)
	v_pk_fma_f32 v[32:33], v[20:21], v[64:65], v[32:33] op_sel_hi:[0,1,1] neg_lo:[1,0,0] neg_hi:[1,0,0]
	s_waitcnt vmcnt(12) lgkmcnt(1)
	v_pk_fma_f32 v[22:23], v[20:21], v[66:67], v[22:23] op_sel_hi:[0,1,1] neg_lo:[1,0,0] neg_hi:[1,0,0]
	ds_read2_b32 v[64:65], v55 offset0:39 offset1:40
	ds_read2_b32 v[66:67], v55 offset0:41 offset1:42
	;; [unrolled: 1-line block ×3, first 2 shown]
	s_waitcnt vmcnt(10) lgkmcnt(3)
	v_pk_fma_f32 v[14:15], v[20:21], v[62:63], v[14:15] op_sel_hi:[0,1,1] neg_lo:[1,0,0] neg_hi:[1,0,0]
	ds_read2_b32 v[62:63], v55 offset0:45 offset1:46
	ds_read2_b32 v[70:71], v55 offset0:47 offset1:48
	s_waitcnt vmcnt(8) lgkmcnt(4)
	v_pk_fma_f32 v[0:1], v[20:21], v[64:65], v[0:1] op_sel_hi:[0,1,1] neg_lo:[1,0,0] neg_hi:[1,0,0]
	s_waitcnt vmcnt(6) lgkmcnt(3)
	v_pk_fma_f32 v[24:25], v[20:21], v[66:67], v[24:25] op_sel_hi:[0,1,1] neg_lo:[1,0,0] neg_hi:[1,0,0]
	;; [unrolled: 2-line block ×5, first 2 shown]
.LBB96_505:
	s_or_b64 exec, exec, s[0:1]
	v_lshl_add_u32 v56, v59, 2, v55
	s_barrier
	s_waitcnt vmcnt(18)
	ds_write_b32 v56, v21
	s_waitcnt lgkmcnt(0)
	s_barrier
	ds_read_b32 v58, v55 offset:120
	s_cmp_lt_i32 s22, 32
	v_mov_b32_e32 v56, 30
	s_cbranch_scc1 .LBB96_508
; %bb.506:
	v_add_u32_e32 v61, 0x7c, v55
	v_mov_b32_e32 v56, 30
	s_mov_b32 s0, 31
.LBB96_507:                             ; =>This Inner Loop Header: Depth=1
	ds_read_b32 v62, v61
	v_mov_b32_e32 v63, s0
	s_add_i32 s0, s0, 1
	v_add_u32_e32 v61, 4, v61
	s_cmp_lg_u32 s22, s0
	s_waitcnt lgkmcnt(0)
	v_cmp_lt_f32_e64 vcc, |v58|, |v62|
	s_nop 1
	v_cndmask_b32_e32 v58, v58, v62, vcc
	v_cndmask_b32_e32 v56, v56, v63, vcc
	s_cbranch_scc1 .LBB96_507
.LBB96_508:
	s_waitcnt lgkmcnt(0)
	v_cmp_eq_f32_e32 vcc, 0, v58
	s_and_saveexec_b64 s[0:1], vcc
	s_xor_b64 s[0:1], exec, s[0:1]
; %bb.509:
	v_cmp_ne_u32_e32 vcc, 0, v60
	s_nop 1
	v_cndmask_b32_e32 v60, 31, v60, vcc
; %bb.510:
	s_andn2_saveexec_b64 s[0:1], s[0:1]
	s_cbranch_execz .LBB96_512
; %bb.511:
	v_div_scale_f32 v61, s[2:3], v58, v58, 1.0
	v_rcp_f32_e32 v62, v61
	v_div_scale_f32 v63, vcc, 1.0, v58, 1.0
	v_fma_f32 v64, -v61, v62, 1.0
	v_fmac_f32_e32 v62, v64, v62
	v_mul_f32_e32 v64, v63, v62
	v_fma_f32 v65, -v61, v64, v63
	v_fmac_f32_e32 v64, v65, v62
	v_fma_f32 v61, -v61, v64, v63
	v_div_fmas_f32 v61, v61, v62, v64
	v_div_fixup_f32 v58, v61, v58, 1.0
.LBB96_512:
	s_or_b64 exec, exec, s[0:1]
	v_cmp_ne_u32_e32 vcc, v59, v56
	s_and_saveexec_b64 s[0:1], vcc
	s_xor_b64 s[0:1], exec, s[0:1]
	s_cbranch_execz .LBB96_518
; %bb.513:
	v_cmp_eq_u32_e32 vcc, 30, v59
	s_and_saveexec_b64 s[2:3], vcc
	s_cbranch_execz .LBB96_517
; %bb.514:
	v_cmp_ne_u32_e32 vcc, 30, v56
	s_xor_b64 s[12:13], s[20:21], -1
	s_and_b64 s[14:15], s[12:13], vcc
	s_and_saveexec_b64 s[12:13], s[14:15]
	s_cbranch_execz .LBB96_516
; %bb.515:
	v_ashrrev_i32_e32 v57, 31, v56
	v_lshl_add_u64 v[62:63], v[56:57], 2, v[4:5]
	global_load_dword v57, v[62:63], off
	global_load_dword v59, v[4:5], off offset:120
	s_waitcnt vmcnt(1)
	global_store_dword v[4:5], v57, off offset:120
	s_waitcnt vmcnt(1)
	global_store_dword v[62:63], v59, off
.LBB96_516:
	s_or_b64 exec, exec, s[12:13]
	v_mov_b32_e32 v57, v56
	v_mov_b32_e32 v59, v56
.LBB96_517:
	s_or_b64 exec, exec, s[2:3]
.LBB96_518:
	s_andn2_saveexec_b64 s[0:1], s[0:1]
	s_cbranch_execz .LBB96_520
; %bb.519:
	v_mov_b32_e32 v59, 30
	s_waitcnt vmcnt(16)
	ds_write2_b32 v55, v12, v13 offset0:31 offset1:32
	s_waitcnt vmcnt(14)
	ds_write2_b32 v55, v32, v33 offset0:33 offset1:34
	s_waitcnt vmcnt(12)
	ds_write2_b32 v55, v22, v23 offset0:35 offset1:36
	s_waitcnt vmcnt(10)
	ds_write2_b32 v55, v14, v15 offset0:37 offset1:38
	s_waitcnt vmcnt(8)
	ds_write2_b32 v55, v0, v1 offset0:39 offset1:40
	s_waitcnt vmcnt(6)
	ds_write2_b32 v55, v24, v25 offset0:41 offset1:42
	s_waitcnt vmcnt(4)
	ds_write2_b32 v55, v16, v17 offset0:43 offset1:44
	s_waitcnt vmcnt(2)
	ds_write2_b32 v55, v10, v11 offset0:45 offset1:46
	s_waitcnt vmcnt(0)
	ds_write2_b32 v55, v8, v9 offset0:47 offset1:48
.LBB96_520:
	s_or_b64 exec, exec, s[0:1]
	v_cmp_lt_i32_e32 vcc, 30, v59
	s_waitcnt lgkmcnt(0)
	s_barrier
	s_and_saveexec_b64 s[0:1], vcc
	s_cbranch_execz .LBB96_522
; %bb.521:
	ds_read2_b32 v[62:63], v55 offset0:31 offset1:32
	ds_read2_b32 v[64:65], v55 offset0:33 offset1:34
	ds_read2_b32 v[66:67], v55 offset0:35 offset1:36
	ds_read2_b32 v[68:69], v55 offset0:37 offset1:38
	v_mul_f32_e32 v56, v58, v21
	s_waitcnt vmcnt(16) lgkmcnt(3)
	v_pk_fma_f32 v[12:13], v[56:57], v[62:63], v[12:13] op_sel_hi:[0,1,1] neg_lo:[1,0,0] neg_hi:[1,0,0]
	s_waitcnt vmcnt(14) lgkmcnt(2)
	v_pk_fma_f32 v[32:33], v[56:57], v[64:65], v[32:33] op_sel_hi:[0,1,1] neg_lo:[1,0,0] neg_hi:[1,0,0]
	;; [unrolled: 2-line block ×4, first 2 shown]
	ds_read2_b32 v[62:63], v55 offset0:39 offset1:40
	ds_read2_b32 v[64:65], v55 offset0:41 offset1:42
	;; [unrolled: 1-line block ×5, first 2 shown]
	s_waitcnt vmcnt(8) lgkmcnt(4)
	v_pk_fma_f32 v[0:1], v[56:57], v[62:63], v[0:1] op_sel_hi:[0,1,1] neg_lo:[1,0,0] neg_hi:[1,0,0]
	s_waitcnt vmcnt(6) lgkmcnt(3)
	v_pk_fma_f32 v[24:25], v[56:57], v[64:65], v[24:25] op_sel_hi:[0,1,1] neg_lo:[1,0,0] neg_hi:[1,0,0]
	s_waitcnt vmcnt(4) lgkmcnt(2)
	v_pk_fma_f32 v[16:17], v[56:57], v[66:67], v[16:17] op_sel_hi:[0,1,1] neg_lo:[1,0,0] neg_hi:[1,0,0]
	s_waitcnt vmcnt(2) lgkmcnt(1)
	v_pk_fma_f32 v[10:11], v[56:57], v[68:69], v[10:11] op_sel_hi:[0,1,1] neg_lo:[1,0,0] neg_hi:[1,0,0]
	s_waitcnt vmcnt(0) lgkmcnt(0)
	v_pk_fma_f32 v[8:9], v[56:57], v[70:71], v[8:9] op_sel_hi:[0,1,1] neg_lo:[1,0,0] neg_hi:[1,0,0]
	v_mov_b32_e32 v21, v56
.LBB96_522:
	s_or_b64 exec, exec, s[0:1]
	v_lshl_add_u32 v56, v59, 2, v55
	s_barrier
	s_waitcnt vmcnt(17)
	ds_write_b32 v56, v12
	s_waitcnt lgkmcnt(0)
	s_barrier
	ds_read_b32 v58, v55 offset:124
	s_cmp_lt_i32 s22, 33
	v_mov_b32_e32 v56, 31
	s_cbranch_scc1 .LBB96_525
; %bb.523:
	v_add_u32_e32 v61, 0x80, v55
	v_mov_b32_e32 v56, 31
	s_mov_b32 s0, 32
.LBB96_524:                             ; =>This Inner Loop Header: Depth=1
	ds_read_b32 v62, v61
	v_mov_b32_e32 v63, s0
	s_add_i32 s0, s0, 1
	v_add_u32_e32 v61, 4, v61
	s_cmp_lg_u32 s22, s0
	s_waitcnt lgkmcnt(0)
	v_cmp_lt_f32_e64 vcc, |v58|, |v62|
	s_nop 1
	v_cndmask_b32_e32 v58, v58, v62, vcc
	v_cndmask_b32_e32 v56, v56, v63, vcc
	s_cbranch_scc1 .LBB96_524
.LBB96_525:
	s_waitcnt lgkmcnt(0)
	v_cmp_eq_f32_e32 vcc, 0, v58
	s_and_saveexec_b64 s[0:1], vcc
	s_xor_b64 s[0:1], exec, s[0:1]
; %bb.526:
	v_cmp_ne_u32_e32 vcc, 0, v60
	s_nop 1
	v_cndmask_b32_e32 v60, 32, v60, vcc
; %bb.527:
	s_andn2_saveexec_b64 s[0:1], s[0:1]
	s_cbranch_execz .LBB96_529
; %bb.528:
	v_div_scale_f32 v61, s[2:3], v58, v58, 1.0
	v_rcp_f32_e32 v62, v61
	v_div_scale_f32 v63, vcc, 1.0, v58, 1.0
	v_fma_f32 v64, -v61, v62, 1.0
	v_fmac_f32_e32 v62, v64, v62
	v_mul_f32_e32 v64, v63, v62
	v_fma_f32 v65, -v61, v64, v63
	v_fmac_f32_e32 v64, v65, v62
	v_fma_f32 v61, -v61, v64, v63
	v_div_fmas_f32 v61, v61, v62, v64
	v_div_fixup_f32 v58, v61, v58, 1.0
.LBB96_529:
	s_or_b64 exec, exec, s[0:1]
	v_cmp_ne_u32_e32 vcc, v59, v56
	s_and_saveexec_b64 s[0:1], vcc
	s_xor_b64 s[0:1], exec, s[0:1]
	s_cbranch_execz .LBB96_535
; %bb.530:
	v_cmp_eq_u32_e32 vcc, 31, v59
	s_and_saveexec_b64 s[2:3], vcc
	s_cbranch_execz .LBB96_534
; %bb.531:
	v_cmp_ne_u32_e32 vcc, 31, v56
	s_xor_b64 s[12:13], s[20:21], -1
	s_and_b64 s[14:15], s[12:13], vcc
	s_and_saveexec_b64 s[12:13], s[14:15]
	s_cbranch_execz .LBB96_533
; %bb.532:
	v_ashrrev_i32_e32 v57, 31, v56
	v_lshl_add_u64 v[62:63], v[56:57], 2, v[4:5]
	global_load_dword v57, v[62:63], off
	global_load_dword v59, v[4:5], off offset:124
	s_waitcnt vmcnt(1)
	global_store_dword v[4:5], v57, off offset:124
	s_waitcnt vmcnt(1)
	global_store_dword v[62:63], v59, off
.LBB96_533:
	s_or_b64 exec, exec, s[12:13]
	v_mov_b32_e32 v57, v56
	v_mov_b32_e32 v59, v56
.LBB96_534:
	s_or_b64 exec, exec, s[2:3]
.LBB96_535:
	s_andn2_saveexec_b64 s[0:1], s[0:1]
	s_cbranch_execz .LBB96_537
; %bb.536:
	s_waitcnt vmcnt(14)
	v_pk_mov_b32 v[62:63], v[12:13], v[32:33] op_sel:[1,0]
	ds_write2_b32 v55, v62, v63 offset0:32 offset1:33
	s_waitcnt vmcnt(12)
	v_pk_mov_b32 v[62:63], v[32:33], v[22:23] op_sel:[1,0]
	ds_write2_b32 v55, v62, v63 offset0:34 offset1:35
	s_waitcnt vmcnt(10)
	v_pk_mov_b32 v[62:63], v[22:23], v[14:15] op_sel:[1,0]
	ds_write2_b32 v55, v62, v63 offset0:36 offset1:37
	s_waitcnt vmcnt(8)
	v_pk_mov_b32 v[62:63], v[14:15], v[0:1] op_sel:[1,0]
	ds_write2_b32 v55, v62, v63 offset0:38 offset1:39
	s_waitcnt vmcnt(6)
	v_pk_mov_b32 v[62:63], v[0:1], v[24:25] op_sel:[1,0]
	ds_write2_b32 v55, v62, v63 offset0:40 offset1:41
	s_waitcnt vmcnt(4)
	v_pk_mov_b32 v[62:63], v[24:25], v[16:17] op_sel:[1,0]
	ds_write2_b32 v55, v62, v63 offset0:42 offset1:43
	s_waitcnt vmcnt(2)
	v_pk_mov_b32 v[62:63], v[16:17], v[10:11] op_sel:[1,0]
	ds_write2_b32 v55, v62, v63 offset0:44 offset1:45
	s_waitcnt vmcnt(0)
	v_pk_mov_b32 v[62:63], v[10:11], v[8:9] op_sel:[1,0]
	v_mov_b32_e32 v59, 31
	ds_write2_b32 v55, v62, v63 offset0:46 offset1:47
	ds_write_b32 v55, v9 offset:192
.LBB96_537:
	s_or_b64 exec, exec, s[0:1]
	v_cmp_lt_i32_e32 vcc, 31, v59
	s_waitcnt lgkmcnt(0)
	s_barrier
	s_and_saveexec_b64 s[0:1], vcc
	s_cbranch_execz .LBB96_539
; %bb.538:
	ds_read_b32 v56, v55 offset:128
	ds_read2_b32 v[62:63], v55 offset0:33 offset1:34
	ds_read2_b32 v[64:65], v55 offset0:35 offset1:36
	;; [unrolled: 1-line block ×3, first 2 shown]
	v_mul_f32_e32 v12, v58, v12
	s_waitcnt vmcnt(16) lgkmcnt(3)
	v_fma_f32 v13, -v12, v56, v13
	s_waitcnt vmcnt(14) lgkmcnt(2)
	v_pk_fma_f32 v[32:33], v[12:13], v[62:63], v[32:33] op_sel_hi:[0,1,1] neg_lo:[1,0,0] neg_hi:[1,0,0]
	s_waitcnt vmcnt(12) lgkmcnt(1)
	v_pk_fma_f32 v[22:23], v[12:13], v[64:65], v[22:23] op_sel_hi:[0,1,1] neg_lo:[1,0,0] neg_hi:[1,0,0]
	;; [unrolled: 2-line block ×3, first 2 shown]
	ds_read2_b32 v[62:63], v55 offset0:39 offset1:40
	ds_read2_b32 v[64:65], v55 offset0:41 offset1:42
	;; [unrolled: 1-line block ×5, first 2 shown]
	s_waitcnt vmcnt(8) lgkmcnt(4)
	v_pk_fma_f32 v[0:1], v[12:13], v[62:63], v[0:1] op_sel_hi:[0,1,1] neg_lo:[1,0,0] neg_hi:[1,0,0]
	s_waitcnt vmcnt(6) lgkmcnt(3)
	v_pk_fma_f32 v[24:25], v[12:13], v[64:65], v[24:25] op_sel_hi:[0,1,1] neg_lo:[1,0,0] neg_hi:[1,0,0]
	;; [unrolled: 2-line block ×5, first 2 shown]
.LBB96_539:
	s_or_b64 exec, exec, s[0:1]
	v_lshl_add_u32 v56, v59, 2, v55
	s_barrier
	s_waitcnt vmcnt(16)
	ds_write_b32 v56, v13
	s_waitcnt lgkmcnt(0)
	s_barrier
	ds_read_b32 v58, v55 offset:128
	s_cmp_lt_i32 s22, 34
	v_mov_b32_e32 v56, 32
	s_cbranch_scc1 .LBB96_542
; %bb.540:
	v_add_u32_e32 v61, 0x84, v55
	v_mov_b32_e32 v56, 32
	s_mov_b32 s0, 33
.LBB96_541:                             ; =>This Inner Loop Header: Depth=1
	ds_read_b32 v62, v61
	v_mov_b32_e32 v63, s0
	s_add_i32 s0, s0, 1
	v_add_u32_e32 v61, 4, v61
	s_cmp_lg_u32 s22, s0
	s_waitcnt lgkmcnt(0)
	v_cmp_lt_f32_e64 vcc, |v58|, |v62|
	s_nop 1
	v_cndmask_b32_e32 v58, v58, v62, vcc
	v_cndmask_b32_e32 v56, v56, v63, vcc
	s_cbranch_scc1 .LBB96_541
.LBB96_542:
	s_waitcnt lgkmcnt(0)
	v_cmp_eq_f32_e32 vcc, 0, v58
	s_and_saveexec_b64 s[0:1], vcc
	s_xor_b64 s[0:1], exec, s[0:1]
; %bb.543:
	v_cmp_ne_u32_e32 vcc, 0, v60
	s_nop 1
	v_cndmask_b32_e32 v60, 33, v60, vcc
; %bb.544:
	s_andn2_saveexec_b64 s[0:1], s[0:1]
	s_cbranch_execz .LBB96_546
; %bb.545:
	v_div_scale_f32 v61, s[2:3], v58, v58, 1.0
	v_rcp_f32_e32 v62, v61
	v_div_scale_f32 v63, vcc, 1.0, v58, 1.0
	v_fma_f32 v64, -v61, v62, 1.0
	v_fmac_f32_e32 v62, v64, v62
	v_mul_f32_e32 v64, v63, v62
	v_fma_f32 v65, -v61, v64, v63
	v_fmac_f32_e32 v64, v65, v62
	v_fma_f32 v61, -v61, v64, v63
	v_div_fmas_f32 v61, v61, v62, v64
	v_div_fixup_f32 v58, v61, v58, 1.0
.LBB96_546:
	s_or_b64 exec, exec, s[0:1]
	v_cmp_ne_u32_e32 vcc, v59, v56
	s_and_saveexec_b64 s[0:1], vcc
	s_xor_b64 s[0:1], exec, s[0:1]
	s_cbranch_execz .LBB96_552
; %bb.547:
	v_cmp_eq_u32_e32 vcc, 32, v59
	s_and_saveexec_b64 s[2:3], vcc
	s_cbranch_execz .LBB96_551
; %bb.548:
	v_cmp_ne_u32_e32 vcc, 32, v56
	s_xor_b64 s[12:13], s[20:21], -1
	s_and_b64 s[14:15], s[12:13], vcc
	s_and_saveexec_b64 s[12:13], s[14:15]
	s_cbranch_execz .LBB96_550
; %bb.549:
	v_ashrrev_i32_e32 v57, 31, v56
	v_lshl_add_u64 v[62:63], v[56:57], 2, v[4:5]
	global_load_dword v57, v[62:63], off
	global_load_dword v59, v[4:5], off offset:128
	s_waitcnt vmcnt(1)
	global_store_dword v[4:5], v57, off offset:128
	s_waitcnt vmcnt(1)
	global_store_dword v[62:63], v59, off
.LBB96_550:
	s_or_b64 exec, exec, s[12:13]
	v_mov_b32_e32 v57, v56
	v_mov_b32_e32 v59, v56
.LBB96_551:
	s_or_b64 exec, exec, s[2:3]
.LBB96_552:
	s_andn2_saveexec_b64 s[0:1], s[0:1]
	s_cbranch_execz .LBB96_554
; %bb.553:
	v_mov_b32_e32 v59, 32
	s_waitcnt vmcnt(14)
	ds_write2_b32 v55, v32, v33 offset0:33 offset1:34
	s_waitcnt vmcnt(12)
	ds_write2_b32 v55, v22, v23 offset0:35 offset1:36
	;; [unrolled: 2-line block ×8, first 2 shown]
.LBB96_554:
	s_or_b64 exec, exec, s[0:1]
	v_cmp_lt_i32_e32 vcc, 32, v59
	s_waitcnt lgkmcnt(0)
	s_barrier
	s_and_saveexec_b64 s[0:1], vcc
	s_cbranch_execz .LBB96_556
; %bb.555:
	ds_read2_b32 v[62:63], v55 offset0:33 offset1:34
	ds_read2_b32 v[64:65], v55 offset0:35 offset1:36
	;; [unrolled: 1-line block ×3, first 2 shown]
	v_mul_f32_e32 v56, v58, v13
	ds_read2_b32 v[68:69], v55 offset0:39 offset1:40
	s_waitcnt vmcnt(14) lgkmcnt(3)
	v_pk_fma_f32 v[32:33], v[56:57], v[62:63], v[32:33] op_sel_hi:[0,1,1] neg_lo:[1,0,0] neg_hi:[1,0,0]
	s_waitcnt vmcnt(12) lgkmcnt(2)
	v_pk_fma_f32 v[22:23], v[56:57], v[64:65], v[22:23] op_sel_hi:[0,1,1] neg_lo:[1,0,0] neg_hi:[1,0,0]
	;; [unrolled: 2-line block ×3, first 2 shown]
	ds_read2_b32 v[62:63], v55 offset0:41 offset1:42
	ds_read2_b32 v[64:65], v55 offset0:43 offset1:44
	;; [unrolled: 1-line block ×4, first 2 shown]
	s_waitcnt vmcnt(8) lgkmcnt(4)
	v_pk_fma_f32 v[0:1], v[56:57], v[68:69], v[0:1] op_sel_hi:[0,1,1] neg_lo:[1,0,0] neg_hi:[1,0,0]
	s_waitcnt vmcnt(6) lgkmcnt(3)
	v_pk_fma_f32 v[24:25], v[56:57], v[62:63], v[24:25] op_sel_hi:[0,1,1] neg_lo:[1,0,0] neg_hi:[1,0,0]
	;; [unrolled: 2-line block ×5, first 2 shown]
	v_mov_b32_e32 v13, v56
.LBB96_556:
	s_or_b64 exec, exec, s[0:1]
	v_lshl_add_u32 v56, v59, 2, v55
	s_barrier
	s_waitcnt vmcnt(15)
	ds_write_b32 v56, v32
	s_waitcnt lgkmcnt(0)
	s_barrier
	ds_read_b32 v58, v55 offset:132
	s_cmp_lt_i32 s22, 35
	v_mov_b32_e32 v56, 33
	s_cbranch_scc1 .LBB96_559
; %bb.557:
	v_add_u32_e32 v61, 0x88, v55
	v_mov_b32_e32 v56, 33
	s_mov_b32 s0, 34
.LBB96_558:                             ; =>This Inner Loop Header: Depth=1
	ds_read_b32 v62, v61
	v_mov_b32_e32 v63, s0
	s_add_i32 s0, s0, 1
	v_add_u32_e32 v61, 4, v61
	s_cmp_lg_u32 s22, s0
	s_waitcnt lgkmcnt(0)
	v_cmp_lt_f32_e64 vcc, |v58|, |v62|
	s_nop 1
	v_cndmask_b32_e32 v58, v58, v62, vcc
	v_cndmask_b32_e32 v56, v56, v63, vcc
	s_cbranch_scc1 .LBB96_558
.LBB96_559:
	s_waitcnt lgkmcnt(0)
	v_cmp_eq_f32_e32 vcc, 0, v58
	s_and_saveexec_b64 s[0:1], vcc
	s_xor_b64 s[0:1], exec, s[0:1]
; %bb.560:
	v_cmp_ne_u32_e32 vcc, 0, v60
	s_nop 1
	v_cndmask_b32_e32 v60, 34, v60, vcc
; %bb.561:
	s_andn2_saveexec_b64 s[0:1], s[0:1]
	s_cbranch_execz .LBB96_563
; %bb.562:
	v_div_scale_f32 v61, s[2:3], v58, v58, 1.0
	v_rcp_f32_e32 v62, v61
	v_div_scale_f32 v63, vcc, 1.0, v58, 1.0
	v_fma_f32 v64, -v61, v62, 1.0
	v_fmac_f32_e32 v62, v64, v62
	v_mul_f32_e32 v64, v63, v62
	v_fma_f32 v65, -v61, v64, v63
	v_fmac_f32_e32 v64, v65, v62
	v_fma_f32 v61, -v61, v64, v63
	v_div_fmas_f32 v61, v61, v62, v64
	v_div_fixup_f32 v58, v61, v58, 1.0
.LBB96_563:
	s_or_b64 exec, exec, s[0:1]
	v_cmp_ne_u32_e32 vcc, v59, v56
	s_and_saveexec_b64 s[0:1], vcc
	s_xor_b64 s[0:1], exec, s[0:1]
	s_cbranch_execz .LBB96_569
; %bb.564:
	v_cmp_eq_u32_e32 vcc, 33, v59
	s_and_saveexec_b64 s[2:3], vcc
	s_cbranch_execz .LBB96_568
; %bb.565:
	v_cmp_ne_u32_e32 vcc, 33, v56
	s_xor_b64 s[12:13], s[20:21], -1
	s_and_b64 s[14:15], s[12:13], vcc
	s_and_saveexec_b64 s[12:13], s[14:15]
	s_cbranch_execz .LBB96_567
; %bb.566:
	v_ashrrev_i32_e32 v57, 31, v56
	v_lshl_add_u64 v[62:63], v[56:57], 2, v[4:5]
	global_load_dword v57, v[62:63], off
	global_load_dword v59, v[4:5], off offset:132
	s_waitcnt vmcnt(1)
	global_store_dword v[4:5], v57, off offset:132
	s_waitcnt vmcnt(1)
	global_store_dword v[62:63], v59, off
.LBB96_567:
	s_or_b64 exec, exec, s[12:13]
	v_mov_b32_e32 v57, v56
	v_mov_b32_e32 v59, v56
.LBB96_568:
	s_or_b64 exec, exec, s[2:3]
.LBB96_569:
	s_andn2_saveexec_b64 s[0:1], s[0:1]
	s_cbranch_execz .LBB96_571
; %bb.570:
	s_waitcnt vmcnt(12)
	v_pk_mov_b32 v[62:63], v[32:33], v[22:23] op_sel:[1,0]
	ds_write2_b32 v55, v62, v63 offset0:34 offset1:35
	s_waitcnt vmcnt(10)
	v_pk_mov_b32 v[62:63], v[22:23], v[14:15] op_sel:[1,0]
	ds_write2_b32 v55, v62, v63 offset0:36 offset1:37
	;; [unrolled: 3-line block ×6, first 2 shown]
	s_waitcnt vmcnt(0)
	v_pk_mov_b32 v[62:63], v[10:11], v[8:9] op_sel:[1,0]
	v_mov_b32_e32 v59, 33
	ds_write2_b32 v55, v62, v63 offset0:46 offset1:47
	ds_write_b32 v55, v9 offset:192
.LBB96_571:
	s_or_b64 exec, exec, s[0:1]
	v_cmp_lt_i32_e32 vcc, 33, v59
	s_waitcnt lgkmcnt(0)
	s_barrier
	s_and_saveexec_b64 s[0:1], vcc
	s_cbranch_execz .LBB96_573
; %bb.572:
	ds_read_b32 v56, v55 offset:136
	ds_read2_b32 v[62:63], v55 offset0:35 offset1:36
	ds_read2_b32 v[64:65], v55 offset0:37 offset1:38
	v_mul_f32_e32 v32, v58, v32
	ds_read2_b32 v[66:67], v55 offset0:39 offset1:40
	s_waitcnt vmcnt(14) lgkmcnt(3)
	v_fma_f32 v33, -v32, v56, v33
	s_waitcnt vmcnt(12) lgkmcnt(2)
	v_pk_fma_f32 v[22:23], v[32:33], v[62:63], v[22:23] op_sel_hi:[0,1,1] neg_lo:[1,0,0] neg_hi:[1,0,0]
	s_waitcnt vmcnt(10) lgkmcnt(1)
	v_pk_fma_f32 v[14:15], v[32:33], v[64:65], v[14:15] op_sel_hi:[0,1,1] neg_lo:[1,0,0] neg_hi:[1,0,0]
	ds_read2_b32 v[62:63], v55 offset0:41 offset1:42
	ds_read2_b32 v[64:65], v55 offset0:43 offset1:44
	;; [unrolled: 1-line block ×4, first 2 shown]
	s_waitcnt vmcnt(8) lgkmcnt(4)
	v_pk_fma_f32 v[0:1], v[32:33], v[66:67], v[0:1] op_sel_hi:[0,1,1] neg_lo:[1,0,0] neg_hi:[1,0,0]
	s_waitcnt vmcnt(6) lgkmcnt(3)
	v_pk_fma_f32 v[24:25], v[32:33], v[62:63], v[24:25] op_sel_hi:[0,1,1] neg_lo:[1,0,0] neg_hi:[1,0,0]
	;; [unrolled: 2-line block ×5, first 2 shown]
.LBB96_573:
	s_or_b64 exec, exec, s[0:1]
	v_lshl_add_u32 v56, v59, 2, v55
	s_barrier
	s_waitcnt vmcnt(14)
	ds_write_b32 v56, v33
	s_waitcnt lgkmcnt(0)
	s_barrier
	ds_read_b32 v58, v55 offset:136
	s_cmp_lt_i32 s22, 36
	v_mov_b32_e32 v56, 34
	s_cbranch_scc1 .LBB96_576
; %bb.574:
	v_add_u32_e32 v61, 0x8c, v55
	v_mov_b32_e32 v56, 34
	s_mov_b32 s0, 35
.LBB96_575:                             ; =>This Inner Loop Header: Depth=1
	ds_read_b32 v62, v61
	v_mov_b32_e32 v63, s0
	s_add_i32 s0, s0, 1
	v_add_u32_e32 v61, 4, v61
	s_cmp_lg_u32 s22, s0
	s_waitcnt lgkmcnt(0)
	v_cmp_lt_f32_e64 vcc, |v58|, |v62|
	s_nop 1
	v_cndmask_b32_e32 v58, v58, v62, vcc
	v_cndmask_b32_e32 v56, v56, v63, vcc
	s_cbranch_scc1 .LBB96_575
.LBB96_576:
	s_waitcnt lgkmcnt(0)
	v_cmp_eq_f32_e32 vcc, 0, v58
	s_and_saveexec_b64 s[0:1], vcc
	s_xor_b64 s[0:1], exec, s[0:1]
; %bb.577:
	v_cmp_ne_u32_e32 vcc, 0, v60
	s_nop 1
	v_cndmask_b32_e32 v60, 35, v60, vcc
; %bb.578:
	s_andn2_saveexec_b64 s[0:1], s[0:1]
	s_cbranch_execz .LBB96_580
; %bb.579:
	v_div_scale_f32 v61, s[2:3], v58, v58, 1.0
	v_rcp_f32_e32 v62, v61
	v_div_scale_f32 v63, vcc, 1.0, v58, 1.0
	v_fma_f32 v64, -v61, v62, 1.0
	v_fmac_f32_e32 v62, v64, v62
	v_mul_f32_e32 v64, v63, v62
	v_fma_f32 v65, -v61, v64, v63
	v_fmac_f32_e32 v64, v65, v62
	v_fma_f32 v61, -v61, v64, v63
	v_div_fmas_f32 v61, v61, v62, v64
	v_div_fixup_f32 v58, v61, v58, 1.0
.LBB96_580:
	s_or_b64 exec, exec, s[0:1]
	v_cmp_ne_u32_e32 vcc, v59, v56
	s_and_saveexec_b64 s[0:1], vcc
	s_xor_b64 s[0:1], exec, s[0:1]
	s_cbranch_execz .LBB96_586
; %bb.581:
	v_cmp_eq_u32_e32 vcc, 34, v59
	s_and_saveexec_b64 s[2:3], vcc
	s_cbranch_execz .LBB96_585
; %bb.582:
	v_cmp_ne_u32_e32 vcc, 34, v56
	s_xor_b64 s[12:13], s[20:21], -1
	s_and_b64 s[14:15], s[12:13], vcc
	s_and_saveexec_b64 s[12:13], s[14:15]
	s_cbranch_execz .LBB96_584
; %bb.583:
	v_ashrrev_i32_e32 v57, 31, v56
	v_lshl_add_u64 v[62:63], v[56:57], 2, v[4:5]
	global_load_dword v57, v[62:63], off
	global_load_dword v59, v[4:5], off offset:136
	s_waitcnt vmcnt(1)
	global_store_dword v[4:5], v57, off offset:136
	s_waitcnt vmcnt(1)
	global_store_dword v[62:63], v59, off
.LBB96_584:
	s_or_b64 exec, exec, s[12:13]
	v_mov_b32_e32 v57, v56
	v_mov_b32_e32 v59, v56
.LBB96_585:
	s_or_b64 exec, exec, s[2:3]
.LBB96_586:
	s_andn2_saveexec_b64 s[0:1], s[0:1]
	s_cbranch_execz .LBB96_588
; %bb.587:
	v_mov_b32_e32 v59, 34
	s_waitcnt vmcnt(12)
	ds_write2_b32 v55, v22, v23 offset0:35 offset1:36
	s_waitcnt vmcnt(10)
	ds_write2_b32 v55, v14, v15 offset0:37 offset1:38
	;; [unrolled: 2-line block ×7, first 2 shown]
.LBB96_588:
	s_or_b64 exec, exec, s[0:1]
	v_cmp_lt_i32_e32 vcc, 34, v59
	s_waitcnt lgkmcnt(0)
	s_barrier
	s_and_saveexec_b64 s[0:1], vcc
	s_cbranch_execz .LBB96_590
; %bb.589:
	ds_read2_b32 v[62:63], v55 offset0:35 offset1:36
	ds_read2_b32 v[64:65], v55 offset0:37 offset1:38
	v_mul_f32_e32 v56, v58, v33
	ds_read2_b32 v[66:67], v55 offset0:39 offset1:40
	ds_read2_b32 v[68:69], v55 offset0:41 offset1:42
	v_mov_b32_e32 v33, v56
	s_waitcnt vmcnt(12) lgkmcnt(3)
	v_pk_fma_f32 v[22:23], v[56:57], v[62:63], v[22:23] op_sel_hi:[0,1,1] neg_lo:[1,0,0] neg_hi:[1,0,0]
	s_waitcnt vmcnt(10) lgkmcnt(2)
	v_pk_fma_f32 v[14:15], v[56:57], v[64:65], v[14:15] op_sel_hi:[0,1,1] neg_lo:[1,0,0] neg_hi:[1,0,0]
	ds_read2_b32 v[62:63], v55 offset0:43 offset1:44
	ds_read2_b32 v[64:65], v55 offset0:45 offset1:46
	;; [unrolled: 1-line block ×3, first 2 shown]
	s_waitcnt vmcnt(8) lgkmcnt(4)
	v_pk_fma_f32 v[0:1], v[56:57], v[66:67], v[0:1] op_sel_hi:[0,1,1] neg_lo:[1,0,0] neg_hi:[1,0,0]
	s_waitcnt vmcnt(6) lgkmcnt(3)
	v_pk_fma_f32 v[24:25], v[56:57], v[68:69], v[24:25] op_sel_hi:[0,1,1] neg_lo:[1,0,0] neg_hi:[1,0,0]
	;; [unrolled: 2-line block ×5, first 2 shown]
.LBB96_590:
	s_or_b64 exec, exec, s[0:1]
	v_lshl_add_u32 v56, v59, 2, v55
	s_barrier
	s_waitcnt vmcnt(13)
	ds_write_b32 v56, v22
	s_waitcnt lgkmcnt(0)
	s_barrier
	ds_read_b32 v58, v55 offset:140
	s_cmp_lt_i32 s22, 37
	v_mov_b32_e32 v56, 35
	s_cbranch_scc1 .LBB96_593
; %bb.591:
	v_add_u32_e32 v61, 0x90, v55
	v_mov_b32_e32 v56, 35
	s_mov_b32 s0, 36
.LBB96_592:                             ; =>This Inner Loop Header: Depth=1
	ds_read_b32 v62, v61
	v_mov_b32_e32 v63, s0
	s_add_i32 s0, s0, 1
	v_add_u32_e32 v61, 4, v61
	s_cmp_lg_u32 s22, s0
	s_waitcnt lgkmcnt(0)
	v_cmp_lt_f32_e64 vcc, |v58|, |v62|
	s_nop 1
	v_cndmask_b32_e32 v58, v58, v62, vcc
	v_cndmask_b32_e32 v56, v56, v63, vcc
	s_cbranch_scc1 .LBB96_592
.LBB96_593:
	s_waitcnt lgkmcnt(0)
	v_cmp_eq_f32_e32 vcc, 0, v58
	s_and_saveexec_b64 s[0:1], vcc
	s_xor_b64 s[0:1], exec, s[0:1]
; %bb.594:
	v_cmp_ne_u32_e32 vcc, 0, v60
	s_nop 1
	v_cndmask_b32_e32 v60, 36, v60, vcc
; %bb.595:
	s_andn2_saveexec_b64 s[0:1], s[0:1]
	s_cbranch_execz .LBB96_597
; %bb.596:
	v_div_scale_f32 v61, s[2:3], v58, v58, 1.0
	v_rcp_f32_e32 v62, v61
	v_div_scale_f32 v63, vcc, 1.0, v58, 1.0
	v_fma_f32 v64, -v61, v62, 1.0
	v_fmac_f32_e32 v62, v64, v62
	v_mul_f32_e32 v64, v63, v62
	v_fma_f32 v65, -v61, v64, v63
	v_fmac_f32_e32 v64, v65, v62
	v_fma_f32 v61, -v61, v64, v63
	v_div_fmas_f32 v61, v61, v62, v64
	v_div_fixup_f32 v58, v61, v58, 1.0
.LBB96_597:
	s_or_b64 exec, exec, s[0:1]
	v_cmp_ne_u32_e32 vcc, v59, v56
	s_and_saveexec_b64 s[0:1], vcc
	s_xor_b64 s[0:1], exec, s[0:1]
	s_cbranch_execz .LBB96_603
; %bb.598:
	v_cmp_eq_u32_e32 vcc, 35, v59
	s_and_saveexec_b64 s[2:3], vcc
	s_cbranch_execz .LBB96_602
; %bb.599:
	v_cmp_ne_u32_e32 vcc, 35, v56
	s_xor_b64 s[12:13], s[20:21], -1
	s_and_b64 s[14:15], s[12:13], vcc
	s_and_saveexec_b64 s[12:13], s[14:15]
	s_cbranch_execz .LBB96_601
; %bb.600:
	v_ashrrev_i32_e32 v57, 31, v56
	v_lshl_add_u64 v[62:63], v[56:57], 2, v[4:5]
	global_load_dword v57, v[62:63], off
	global_load_dword v59, v[4:5], off offset:140
	s_waitcnt vmcnt(1)
	global_store_dword v[4:5], v57, off offset:140
	s_waitcnt vmcnt(1)
	global_store_dword v[62:63], v59, off
.LBB96_601:
	s_or_b64 exec, exec, s[12:13]
	v_mov_b32_e32 v57, v56
	v_mov_b32_e32 v59, v56
.LBB96_602:
	s_or_b64 exec, exec, s[2:3]
.LBB96_603:
	s_andn2_saveexec_b64 s[0:1], s[0:1]
	s_cbranch_execz .LBB96_605
; %bb.604:
	s_waitcnt vmcnt(10)
	v_pk_mov_b32 v[62:63], v[22:23], v[14:15] op_sel:[1,0]
	ds_write2_b32 v55, v62, v63 offset0:36 offset1:37
	s_waitcnt vmcnt(8)
	v_pk_mov_b32 v[62:63], v[14:15], v[0:1] op_sel:[1,0]
	ds_write2_b32 v55, v62, v63 offset0:38 offset1:39
	;; [unrolled: 3-line block ×5, first 2 shown]
	s_waitcnt vmcnt(0)
	v_pk_mov_b32 v[62:63], v[10:11], v[8:9] op_sel:[1,0]
	v_mov_b32_e32 v59, 35
	ds_write2_b32 v55, v62, v63 offset0:46 offset1:47
	ds_write_b32 v55, v9 offset:192
.LBB96_605:
	s_or_b64 exec, exec, s[0:1]
	v_cmp_lt_i32_e32 vcc, 35, v59
	s_waitcnt lgkmcnt(0)
	s_barrier
	s_and_saveexec_b64 s[0:1], vcc
	s_cbranch_execz .LBB96_607
; %bb.606:
	ds_read_b32 v56, v55 offset:144
	ds_read2_b32 v[62:63], v55 offset0:37 offset1:38
	v_mul_f32_e32 v22, v58, v22
	ds_read2_b32 v[64:65], v55 offset0:39 offset1:40
	ds_read2_b32 v[66:67], v55 offset0:41 offset1:42
	s_waitcnt vmcnt(12) lgkmcnt(3)
	v_fma_f32 v23, -v22, v56, v23
	s_waitcnt vmcnt(10) lgkmcnt(2)
	v_pk_fma_f32 v[14:15], v[22:23], v[62:63], v[14:15] op_sel_hi:[0,1,1] neg_lo:[1,0,0] neg_hi:[1,0,0]
	ds_read2_b32 v[62:63], v55 offset0:43 offset1:44
	ds_read2_b32 v[68:69], v55 offset0:45 offset1:46
	;; [unrolled: 1-line block ×3, first 2 shown]
	s_waitcnt vmcnt(8) lgkmcnt(4)
	v_pk_fma_f32 v[0:1], v[22:23], v[64:65], v[0:1] op_sel_hi:[0,1,1] neg_lo:[1,0,0] neg_hi:[1,0,0]
	s_waitcnt vmcnt(6) lgkmcnt(3)
	v_pk_fma_f32 v[24:25], v[22:23], v[66:67], v[24:25] op_sel_hi:[0,1,1] neg_lo:[1,0,0] neg_hi:[1,0,0]
	;; [unrolled: 2-line block ×5, first 2 shown]
.LBB96_607:
	s_or_b64 exec, exec, s[0:1]
	v_lshl_add_u32 v56, v59, 2, v55
	s_barrier
	s_waitcnt vmcnt(12)
	ds_write_b32 v56, v23
	s_waitcnt lgkmcnt(0)
	s_barrier
	ds_read_b32 v58, v55 offset:144
	s_cmp_lt_i32 s22, 38
	v_mov_b32_e32 v56, 36
	s_cbranch_scc1 .LBB96_610
; %bb.608:
	v_add_u32_e32 v61, 0x94, v55
	v_mov_b32_e32 v56, 36
	s_mov_b32 s0, 37
.LBB96_609:                             ; =>This Inner Loop Header: Depth=1
	ds_read_b32 v62, v61
	v_mov_b32_e32 v63, s0
	s_add_i32 s0, s0, 1
	v_add_u32_e32 v61, 4, v61
	s_cmp_lg_u32 s22, s0
	s_waitcnt lgkmcnt(0)
	v_cmp_lt_f32_e64 vcc, |v58|, |v62|
	s_nop 1
	v_cndmask_b32_e32 v58, v58, v62, vcc
	v_cndmask_b32_e32 v56, v56, v63, vcc
	s_cbranch_scc1 .LBB96_609
.LBB96_610:
	s_waitcnt lgkmcnt(0)
	v_cmp_eq_f32_e32 vcc, 0, v58
	s_and_saveexec_b64 s[0:1], vcc
	s_xor_b64 s[0:1], exec, s[0:1]
; %bb.611:
	v_cmp_ne_u32_e32 vcc, 0, v60
	s_nop 1
	v_cndmask_b32_e32 v60, 37, v60, vcc
; %bb.612:
	s_andn2_saveexec_b64 s[0:1], s[0:1]
	s_cbranch_execz .LBB96_614
; %bb.613:
	v_div_scale_f32 v61, s[2:3], v58, v58, 1.0
	v_rcp_f32_e32 v62, v61
	v_div_scale_f32 v63, vcc, 1.0, v58, 1.0
	v_fma_f32 v64, -v61, v62, 1.0
	v_fmac_f32_e32 v62, v64, v62
	v_mul_f32_e32 v64, v63, v62
	v_fma_f32 v65, -v61, v64, v63
	v_fmac_f32_e32 v64, v65, v62
	v_fma_f32 v61, -v61, v64, v63
	v_div_fmas_f32 v61, v61, v62, v64
	v_div_fixup_f32 v58, v61, v58, 1.0
.LBB96_614:
	s_or_b64 exec, exec, s[0:1]
	v_cmp_ne_u32_e32 vcc, v59, v56
	s_and_saveexec_b64 s[0:1], vcc
	s_xor_b64 s[0:1], exec, s[0:1]
	s_cbranch_execz .LBB96_620
; %bb.615:
	v_cmp_eq_u32_e32 vcc, 36, v59
	s_and_saveexec_b64 s[2:3], vcc
	s_cbranch_execz .LBB96_619
; %bb.616:
	v_cmp_ne_u32_e32 vcc, 36, v56
	s_xor_b64 s[12:13], s[20:21], -1
	s_and_b64 s[14:15], s[12:13], vcc
	s_and_saveexec_b64 s[12:13], s[14:15]
	s_cbranch_execz .LBB96_618
; %bb.617:
	v_ashrrev_i32_e32 v57, 31, v56
	v_lshl_add_u64 v[62:63], v[56:57], 2, v[4:5]
	global_load_dword v57, v[62:63], off
	global_load_dword v59, v[4:5], off offset:144
	s_waitcnt vmcnt(1)
	global_store_dword v[4:5], v57, off offset:144
	s_waitcnt vmcnt(1)
	global_store_dword v[62:63], v59, off
.LBB96_618:
	s_or_b64 exec, exec, s[12:13]
	v_mov_b32_e32 v57, v56
	v_mov_b32_e32 v59, v56
.LBB96_619:
	s_or_b64 exec, exec, s[2:3]
.LBB96_620:
	s_andn2_saveexec_b64 s[0:1], s[0:1]
	s_cbranch_execz .LBB96_622
; %bb.621:
	v_mov_b32_e32 v59, 36
	s_waitcnt vmcnt(10)
	ds_write2_b32 v55, v14, v15 offset0:37 offset1:38
	s_waitcnt vmcnt(8)
	ds_write2_b32 v55, v0, v1 offset0:39 offset1:40
	;; [unrolled: 2-line block ×6, first 2 shown]
.LBB96_622:
	s_or_b64 exec, exec, s[0:1]
	v_cmp_lt_i32_e32 vcc, 36, v59
	s_waitcnt lgkmcnt(0)
	s_barrier
	s_and_saveexec_b64 s[0:1], vcc
	s_cbranch_execz .LBB96_624
; %bb.623:
	ds_read2_b32 v[62:63], v55 offset0:37 offset1:38
	v_mul_f32_e32 v56, v58, v23
	ds_read2_b32 v[64:65], v55 offset0:39 offset1:40
	ds_read2_b32 v[66:67], v55 offset0:41 offset1:42
	;; [unrolled: 1-line block ×3, first 2 shown]
	v_mov_b32_e32 v23, v56
	s_waitcnt vmcnt(8) lgkmcnt(2)
	v_pk_fma_f32 v[0:1], v[56:57], v[64:65], v[0:1] op_sel_hi:[0,1,1] neg_lo:[1,0,0] neg_hi:[1,0,0]
	v_pk_fma_f32 v[14:15], v[56:57], v[62:63], v[14:15] op_sel_hi:[0,1,1] neg_lo:[1,0,0] neg_hi:[1,0,0]
	ds_read2_b32 v[62:63], v55 offset0:45 offset1:46
	ds_read2_b32 v[70:71], v55 offset0:47 offset1:48
	s_waitcnt vmcnt(6) lgkmcnt(3)
	v_pk_fma_f32 v[24:25], v[56:57], v[66:67], v[24:25] op_sel_hi:[0,1,1] neg_lo:[1,0,0] neg_hi:[1,0,0]
	s_waitcnt vmcnt(4) lgkmcnt(2)
	v_pk_fma_f32 v[16:17], v[56:57], v[68:69], v[16:17] op_sel_hi:[0,1,1] neg_lo:[1,0,0] neg_hi:[1,0,0]
	;; [unrolled: 2-line block ×4, first 2 shown]
.LBB96_624:
	s_or_b64 exec, exec, s[0:1]
	v_lshl_add_u32 v56, v59, 2, v55
	s_barrier
	s_waitcnt vmcnt(11)
	ds_write_b32 v56, v14
	s_waitcnt lgkmcnt(0)
	s_barrier
	ds_read_b32 v58, v55 offset:148
	s_cmp_lt_i32 s22, 39
	v_mov_b32_e32 v56, 37
	s_cbranch_scc1 .LBB96_627
; %bb.625:
	v_add_u32_e32 v61, 0x98, v55
	v_mov_b32_e32 v56, 37
	s_mov_b32 s0, 38
.LBB96_626:                             ; =>This Inner Loop Header: Depth=1
	ds_read_b32 v62, v61
	v_mov_b32_e32 v63, s0
	s_add_i32 s0, s0, 1
	v_add_u32_e32 v61, 4, v61
	s_cmp_lg_u32 s22, s0
	s_waitcnt lgkmcnt(0)
	v_cmp_lt_f32_e64 vcc, |v58|, |v62|
	s_nop 1
	v_cndmask_b32_e32 v58, v58, v62, vcc
	v_cndmask_b32_e32 v56, v56, v63, vcc
	s_cbranch_scc1 .LBB96_626
.LBB96_627:
	s_waitcnt lgkmcnt(0)
	v_cmp_eq_f32_e32 vcc, 0, v58
	s_and_saveexec_b64 s[0:1], vcc
	s_xor_b64 s[0:1], exec, s[0:1]
; %bb.628:
	v_cmp_ne_u32_e32 vcc, 0, v60
	s_nop 1
	v_cndmask_b32_e32 v60, 38, v60, vcc
; %bb.629:
	s_andn2_saveexec_b64 s[0:1], s[0:1]
	s_cbranch_execz .LBB96_631
; %bb.630:
	v_div_scale_f32 v61, s[2:3], v58, v58, 1.0
	v_rcp_f32_e32 v62, v61
	v_div_scale_f32 v63, vcc, 1.0, v58, 1.0
	v_fma_f32 v64, -v61, v62, 1.0
	v_fmac_f32_e32 v62, v64, v62
	v_mul_f32_e32 v64, v63, v62
	v_fma_f32 v65, -v61, v64, v63
	v_fmac_f32_e32 v64, v65, v62
	v_fma_f32 v61, -v61, v64, v63
	v_div_fmas_f32 v61, v61, v62, v64
	v_div_fixup_f32 v58, v61, v58, 1.0
.LBB96_631:
	s_or_b64 exec, exec, s[0:1]
	v_cmp_ne_u32_e32 vcc, v59, v56
	s_and_saveexec_b64 s[0:1], vcc
	s_xor_b64 s[0:1], exec, s[0:1]
	s_cbranch_execz .LBB96_637
; %bb.632:
	v_cmp_eq_u32_e32 vcc, 37, v59
	s_and_saveexec_b64 s[2:3], vcc
	s_cbranch_execz .LBB96_636
; %bb.633:
	v_cmp_ne_u32_e32 vcc, 37, v56
	s_xor_b64 s[12:13], s[20:21], -1
	s_and_b64 s[14:15], s[12:13], vcc
	s_and_saveexec_b64 s[12:13], s[14:15]
	s_cbranch_execz .LBB96_635
; %bb.634:
	v_ashrrev_i32_e32 v57, 31, v56
	v_lshl_add_u64 v[62:63], v[56:57], 2, v[4:5]
	global_load_dword v57, v[62:63], off
	global_load_dword v59, v[4:5], off offset:148
	s_waitcnt vmcnt(1)
	global_store_dword v[4:5], v57, off offset:148
	s_waitcnt vmcnt(1)
	global_store_dword v[62:63], v59, off
.LBB96_635:
	s_or_b64 exec, exec, s[12:13]
	v_mov_b32_e32 v57, v56
	v_mov_b32_e32 v59, v56
.LBB96_636:
	s_or_b64 exec, exec, s[2:3]
.LBB96_637:
	s_andn2_saveexec_b64 s[0:1], s[0:1]
	s_cbranch_execz .LBB96_639
; %bb.638:
	s_waitcnt vmcnt(8)
	v_pk_mov_b32 v[62:63], v[14:15], v[0:1] op_sel:[1,0]
	ds_write2_b32 v55, v62, v63 offset0:38 offset1:39
	s_waitcnt vmcnt(6)
	v_pk_mov_b32 v[62:63], v[0:1], v[24:25] op_sel:[1,0]
	ds_write2_b32 v55, v62, v63 offset0:40 offset1:41
	;; [unrolled: 3-line block ×4, first 2 shown]
	s_waitcnt vmcnt(0)
	v_pk_mov_b32 v[62:63], v[10:11], v[8:9] op_sel:[1,0]
	v_mov_b32_e32 v59, 37
	ds_write2_b32 v55, v62, v63 offset0:46 offset1:47
	ds_write_b32 v55, v9 offset:192
.LBB96_639:
	s_or_b64 exec, exec, s[0:1]
	v_cmp_lt_i32_e32 vcc, 37, v59
	s_waitcnt lgkmcnt(0)
	s_barrier
	s_and_saveexec_b64 s[0:1], vcc
	s_cbranch_execz .LBB96_641
; %bb.640:
	ds_read_b32 v56, v55 offset:152
	ds_read2_b32 v[62:63], v55 offset0:39 offset1:40
	ds_read2_b32 v[64:65], v55 offset0:41 offset1:42
	;; [unrolled: 1-line block ×5, first 2 shown]
	v_mul_f32_e32 v14, v58, v14
	s_waitcnt vmcnt(10) lgkmcnt(5)
	v_fma_f32 v15, -v14, v56, v15
	s_waitcnt vmcnt(8) lgkmcnt(4)
	v_pk_fma_f32 v[0:1], v[14:15], v[62:63], v[0:1] op_sel_hi:[0,1,1] neg_lo:[1,0,0] neg_hi:[1,0,0]
	s_waitcnt vmcnt(6) lgkmcnt(3)
	v_pk_fma_f32 v[24:25], v[14:15], v[64:65], v[24:25] op_sel_hi:[0,1,1] neg_lo:[1,0,0] neg_hi:[1,0,0]
	;; [unrolled: 2-line block ×5, first 2 shown]
.LBB96_641:
	s_or_b64 exec, exec, s[0:1]
	v_lshl_add_u32 v56, v59, 2, v55
	s_barrier
	s_waitcnt vmcnt(10)
	ds_write_b32 v56, v15
	s_waitcnt lgkmcnt(0)
	s_barrier
	ds_read_b32 v58, v55 offset:152
	s_cmp_lt_i32 s22, 40
	v_mov_b32_e32 v56, 38
	s_cbranch_scc1 .LBB96_644
; %bb.642:
	v_add_u32_e32 v61, 0x9c, v55
	v_mov_b32_e32 v56, 38
	s_mov_b32 s0, 39
.LBB96_643:                             ; =>This Inner Loop Header: Depth=1
	ds_read_b32 v62, v61
	v_mov_b32_e32 v63, s0
	s_add_i32 s0, s0, 1
	v_add_u32_e32 v61, 4, v61
	s_cmp_lg_u32 s22, s0
	s_waitcnt lgkmcnt(0)
	v_cmp_lt_f32_e64 vcc, |v58|, |v62|
	s_nop 1
	v_cndmask_b32_e32 v58, v58, v62, vcc
	v_cndmask_b32_e32 v56, v56, v63, vcc
	s_cbranch_scc1 .LBB96_643
.LBB96_644:
	s_waitcnt lgkmcnt(0)
	v_cmp_eq_f32_e32 vcc, 0, v58
	s_and_saveexec_b64 s[0:1], vcc
	s_xor_b64 s[0:1], exec, s[0:1]
; %bb.645:
	v_cmp_ne_u32_e32 vcc, 0, v60
	s_nop 1
	v_cndmask_b32_e32 v60, 39, v60, vcc
; %bb.646:
	s_andn2_saveexec_b64 s[0:1], s[0:1]
	s_cbranch_execz .LBB96_648
; %bb.647:
	v_div_scale_f32 v61, s[2:3], v58, v58, 1.0
	v_rcp_f32_e32 v62, v61
	v_div_scale_f32 v63, vcc, 1.0, v58, 1.0
	v_fma_f32 v64, -v61, v62, 1.0
	v_fmac_f32_e32 v62, v64, v62
	v_mul_f32_e32 v64, v63, v62
	v_fma_f32 v65, -v61, v64, v63
	v_fmac_f32_e32 v64, v65, v62
	v_fma_f32 v61, -v61, v64, v63
	v_div_fmas_f32 v61, v61, v62, v64
	v_div_fixup_f32 v58, v61, v58, 1.0
.LBB96_648:
	s_or_b64 exec, exec, s[0:1]
	v_cmp_ne_u32_e32 vcc, v59, v56
	s_and_saveexec_b64 s[0:1], vcc
	s_xor_b64 s[0:1], exec, s[0:1]
	s_cbranch_execz .LBB96_654
; %bb.649:
	v_cmp_eq_u32_e32 vcc, 38, v59
	s_and_saveexec_b64 s[2:3], vcc
	s_cbranch_execz .LBB96_653
; %bb.650:
	v_cmp_ne_u32_e32 vcc, 38, v56
	s_xor_b64 s[12:13], s[20:21], -1
	s_and_b64 s[14:15], s[12:13], vcc
	s_and_saveexec_b64 s[12:13], s[14:15]
	s_cbranch_execz .LBB96_652
; %bb.651:
	v_ashrrev_i32_e32 v57, 31, v56
	v_lshl_add_u64 v[62:63], v[56:57], 2, v[4:5]
	global_load_dword v57, v[62:63], off
	global_load_dword v59, v[4:5], off offset:152
	s_waitcnt vmcnt(1)
	global_store_dword v[4:5], v57, off offset:152
	s_waitcnt vmcnt(1)
	global_store_dword v[62:63], v59, off
.LBB96_652:
	s_or_b64 exec, exec, s[12:13]
	v_mov_b32_e32 v57, v56
	v_mov_b32_e32 v59, v56
.LBB96_653:
	s_or_b64 exec, exec, s[2:3]
.LBB96_654:
	s_andn2_saveexec_b64 s[0:1], s[0:1]
	s_cbranch_execz .LBB96_656
; %bb.655:
	v_mov_b32_e32 v59, 38
	s_waitcnt vmcnt(8)
	ds_write2_b32 v55, v0, v1 offset0:39 offset1:40
	s_waitcnt vmcnt(6)
	ds_write2_b32 v55, v24, v25 offset0:41 offset1:42
	;; [unrolled: 2-line block ×5, first 2 shown]
.LBB96_656:
	s_or_b64 exec, exec, s[0:1]
	v_cmp_lt_i32_e32 vcc, 38, v59
	s_waitcnt lgkmcnt(0)
	s_barrier
	s_and_saveexec_b64 s[0:1], vcc
	s_cbranch_execz .LBB96_658
; %bb.657:
	ds_read2_b32 v[62:63], v55 offset0:39 offset1:40
	ds_read2_b32 v[64:65], v55 offset0:41 offset1:42
	ds_read2_b32 v[66:67], v55 offset0:43 offset1:44
	ds_read2_b32 v[68:69], v55 offset0:45 offset1:46
	ds_read2_b32 v[70:71], v55 offset0:47 offset1:48
	v_mul_f32_e32 v56, v58, v15
	s_waitcnt vmcnt(8) lgkmcnt(4)
	v_pk_fma_f32 v[0:1], v[56:57], v[62:63], v[0:1] op_sel_hi:[0,1,1] neg_lo:[1,0,0] neg_hi:[1,0,0]
	s_waitcnt vmcnt(6) lgkmcnt(3)
	v_pk_fma_f32 v[24:25], v[56:57], v[64:65], v[24:25] op_sel_hi:[0,1,1] neg_lo:[1,0,0] neg_hi:[1,0,0]
	;; [unrolled: 2-line block ×5, first 2 shown]
	v_mov_b32_e32 v15, v56
.LBB96_658:
	s_or_b64 exec, exec, s[0:1]
	v_lshl_add_u32 v56, v59, 2, v55
	s_barrier
	s_waitcnt vmcnt(9)
	ds_write_b32 v56, v0
	s_waitcnt lgkmcnt(0)
	s_barrier
	ds_read_b32 v58, v55 offset:156
	s_cmp_lt_i32 s22, 41
	v_mov_b32_e32 v56, 39
	s_cbranch_scc1 .LBB96_661
; %bb.659:
	v_add_u32_e32 v61, 0xa0, v55
	v_mov_b32_e32 v56, 39
	s_mov_b32 s0, 40
.LBB96_660:                             ; =>This Inner Loop Header: Depth=1
	ds_read_b32 v62, v61
	v_mov_b32_e32 v63, s0
	s_add_i32 s0, s0, 1
	v_add_u32_e32 v61, 4, v61
	s_cmp_lg_u32 s22, s0
	s_waitcnt lgkmcnt(0)
	v_cmp_lt_f32_e64 vcc, |v58|, |v62|
	s_nop 1
	v_cndmask_b32_e32 v58, v58, v62, vcc
	v_cndmask_b32_e32 v56, v56, v63, vcc
	s_cbranch_scc1 .LBB96_660
.LBB96_661:
	s_waitcnt lgkmcnt(0)
	v_cmp_eq_f32_e32 vcc, 0, v58
	s_and_saveexec_b64 s[0:1], vcc
	s_xor_b64 s[0:1], exec, s[0:1]
; %bb.662:
	v_cmp_ne_u32_e32 vcc, 0, v60
	s_nop 1
	v_cndmask_b32_e32 v60, 40, v60, vcc
; %bb.663:
	s_andn2_saveexec_b64 s[0:1], s[0:1]
	s_cbranch_execz .LBB96_665
; %bb.664:
	v_div_scale_f32 v61, s[2:3], v58, v58, 1.0
	v_rcp_f32_e32 v62, v61
	v_div_scale_f32 v63, vcc, 1.0, v58, 1.0
	v_fma_f32 v64, -v61, v62, 1.0
	v_fmac_f32_e32 v62, v64, v62
	v_mul_f32_e32 v64, v63, v62
	v_fma_f32 v65, -v61, v64, v63
	v_fmac_f32_e32 v64, v65, v62
	v_fma_f32 v61, -v61, v64, v63
	v_div_fmas_f32 v61, v61, v62, v64
	v_div_fixup_f32 v58, v61, v58, 1.0
.LBB96_665:
	s_or_b64 exec, exec, s[0:1]
	v_cmp_ne_u32_e32 vcc, v59, v56
	s_and_saveexec_b64 s[0:1], vcc
	s_xor_b64 s[0:1], exec, s[0:1]
	s_cbranch_execz .LBB96_671
; %bb.666:
	v_cmp_eq_u32_e32 vcc, 39, v59
	s_and_saveexec_b64 s[2:3], vcc
	s_cbranch_execz .LBB96_670
; %bb.667:
	v_cmp_ne_u32_e32 vcc, 39, v56
	s_xor_b64 s[12:13], s[20:21], -1
	s_and_b64 s[14:15], s[12:13], vcc
	s_and_saveexec_b64 s[12:13], s[14:15]
	s_cbranch_execz .LBB96_669
; %bb.668:
	v_ashrrev_i32_e32 v57, 31, v56
	v_lshl_add_u64 v[62:63], v[56:57], 2, v[4:5]
	global_load_dword v57, v[62:63], off
	global_load_dword v59, v[4:5], off offset:156
	s_waitcnt vmcnt(1)
	global_store_dword v[4:5], v57, off offset:156
	s_waitcnt vmcnt(1)
	global_store_dword v[62:63], v59, off
.LBB96_669:
	s_or_b64 exec, exec, s[12:13]
	v_mov_b32_e32 v57, v56
	v_mov_b32_e32 v59, v56
.LBB96_670:
	s_or_b64 exec, exec, s[2:3]
.LBB96_671:
	s_andn2_saveexec_b64 s[0:1], s[0:1]
	s_cbranch_execz .LBB96_673
; %bb.672:
	s_waitcnt vmcnt(6)
	v_pk_mov_b32 v[62:63], v[0:1], v[24:25] op_sel:[1,0]
	ds_write2_b32 v55, v62, v63 offset0:40 offset1:41
	s_waitcnt vmcnt(4)
	v_pk_mov_b32 v[62:63], v[24:25], v[16:17] op_sel:[1,0]
	ds_write2_b32 v55, v62, v63 offset0:42 offset1:43
	;; [unrolled: 3-line block ×3, first 2 shown]
	s_waitcnt vmcnt(0)
	v_pk_mov_b32 v[62:63], v[10:11], v[8:9] op_sel:[1,0]
	v_mov_b32_e32 v59, 39
	ds_write2_b32 v55, v62, v63 offset0:46 offset1:47
	ds_write_b32 v55, v9 offset:192
.LBB96_673:
	s_or_b64 exec, exec, s[0:1]
	v_cmp_lt_i32_e32 vcc, 39, v59
	s_waitcnt lgkmcnt(0)
	s_barrier
	s_and_saveexec_b64 s[0:1], vcc
	s_cbranch_execz .LBB96_675
; %bb.674:
	ds_read_b32 v56, v55 offset:160
	ds_read2_b32 v[62:63], v55 offset0:41 offset1:42
	ds_read2_b32 v[64:65], v55 offset0:43 offset1:44
	ds_read2_b32 v[66:67], v55 offset0:45 offset1:46
	ds_read2_b32 v[68:69], v55 offset0:47 offset1:48
	v_mul_f32_e32 v0, v58, v0
	s_waitcnt vmcnt(8) lgkmcnt(4)
	v_fma_f32 v1, -v0, v56, v1
	s_waitcnt vmcnt(6) lgkmcnt(3)
	v_pk_fma_f32 v[24:25], v[0:1], v[62:63], v[24:25] op_sel_hi:[0,1,1] neg_lo:[1,0,0] neg_hi:[1,0,0]
	s_waitcnt vmcnt(4) lgkmcnt(2)
	v_pk_fma_f32 v[16:17], v[0:1], v[64:65], v[16:17] op_sel_hi:[0,1,1] neg_lo:[1,0,0] neg_hi:[1,0,0]
	s_waitcnt vmcnt(2) lgkmcnt(1)
	v_pk_fma_f32 v[10:11], v[0:1], v[66:67], v[10:11] op_sel_hi:[0,1,1] neg_lo:[1,0,0] neg_hi:[1,0,0]
	s_waitcnt vmcnt(0) lgkmcnt(0)
	v_pk_fma_f32 v[8:9], v[0:1], v[68:69], v[8:9] op_sel_hi:[0,1,1] neg_lo:[1,0,0] neg_hi:[1,0,0]
.LBB96_675:
	s_or_b64 exec, exec, s[0:1]
	v_lshl_add_u32 v56, v59, 2, v55
	s_barrier
	s_waitcnt vmcnt(8)
	ds_write_b32 v56, v1
	s_waitcnt lgkmcnt(0)
	s_barrier
	ds_read_b32 v58, v55 offset:160
	s_cmp_lt_i32 s22, 42
	v_mov_b32_e32 v56, 40
	s_cbranch_scc1 .LBB96_678
; %bb.676:
	v_add_u32_e32 v61, 0xa4, v55
	v_mov_b32_e32 v56, 40
	s_mov_b32 s0, 41
.LBB96_677:                             ; =>This Inner Loop Header: Depth=1
	ds_read_b32 v62, v61
	v_mov_b32_e32 v63, s0
	s_add_i32 s0, s0, 1
	v_add_u32_e32 v61, 4, v61
	s_cmp_lg_u32 s22, s0
	s_waitcnt lgkmcnt(0)
	v_cmp_lt_f32_e64 vcc, |v58|, |v62|
	s_nop 1
	v_cndmask_b32_e32 v58, v58, v62, vcc
	v_cndmask_b32_e32 v56, v56, v63, vcc
	s_cbranch_scc1 .LBB96_677
.LBB96_678:
	s_waitcnt lgkmcnt(0)
	v_cmp_eq_f32_e32 vcc, 0, v58
	s_and_saveexec_b64 s[0:1], vcc
	s_xor_b64 s[0:1], exec, s[0:1]
; %bb.679:
	v_cmp_ne_u32_e32 vcc, 0, v60
	s_nop 1
	v_cndmask_b32_e32 v60, 41, v60, vcc
; %bb.680:
	s_andn2_saveexec_b64 s[0:1], s[0:1]
	s_cbranch_execz .LBB96_682
; %bb.681:
	v_div_scale_f32 v61, s[2:3], v58, v58, 1.0
	v_rcp_f32_e32 v62, v61
	v_div_scale_f32 v63, vcc, 1.0, v58, 1.0
	v_fma_f32 v64, -v61, v62, 1.0
	v_fmac_f32_e32 v62, v64, v62
	v_mul_f32_e32 v64, v63, v62
	v_fma_f32 v65, -v61, v64, v63
	v_fmac_f32_e32 v64, v65, v62
	v_fma_f32 v61, -v61, v64, v63
	v_div_fmas_f32 v61, v61, v62, v64
	v_div_fixup_f32 v58, v61, v58, 1.0
.LBB96_682:
	s_or_b64 exec, exec, s[0:1]
	v_cmp_ne_u32_e32 vcc, v59, v56
	s_and_saveexec_b64 s[0:1], vcc
	s_xor_b64 s[0:1], exec, s[0:1]
	s_cbranch_execz .LBB96_688
; %bb.683:
	v_cmp_eq_u32_e32 vcc, 40, v59
	s_and_saveexec_b64 s[2:3], vcc
	s_cbranch_execz .LBB96_687
; %bb.684:
	v_cmp_ne_u32_e32 vcc, 40, v56
	s_xor_b64 s[12:13], s[20:21], -1
	s_and_b64 s[14:15], s[12:13], vcc
	s_and_saveexec_b64 s[12:13], s[14:15]
	s_cbranch_execz .LBB96_686
; %bb.685:
	v_ashrrev_i32_e32 v57, 31, v56
	v_lshl_add_u64 v[62:63], v[56:57], 2, v[4:5]
	global_load_dword v57, v[62:63], off
	global_load_dword v59, v[4:5], off offset:160
	s_waitcnt vmcnt(1)
	global_store_dword v[4:5], v57, off offset:160
	s_waitcnt vmcnt(1)
	global_store_dword v[62:63], v59, off
.LBB96_686:
	s_or_b64 exec, exec, s[12:13]
	v_mov_b32_e32 v57, v56
	v_mov_b32_e32 v59, v56
.LBB96_687:
	s_or_b64 exec, exec, s[2:3]
.LBB96_688:
	s_andn2_saveexec_b64 s[0:1], s[0:1]
	s_cbranch_execz .LBB96_690
; %bb.689:
	v_mov_b32_e32 v59, 40
	s_waitcnt vmcnt(6)
	ds_write2_b32 v55, v24, v25 offset0:41 offset1:42
	s_waitcnt vmcnt(4)
	ds_write2_b32 v55, v16, v17 offset0:43 offset1:44
	;; [unrolled: 2-line block ×4, first 2 shown]
.LBB96_690:
	s_or_b64 exec, exec, s[0:1]
	v_cmp_lt_i32_e32 vcc, 40, v59
	s_waitcnt lgkmcnt(0)
	s_barrier
	s_and_saveexec_b64 s[0:1], vcc
	s_cbranch_execz .LBB96_692
; %bb.691:
	ds_read2_b32 v[62:63], v55 offset0:41 offset1:42
	ds_read2_b32 v[64:65], v55 offset0:43 offset1:44
	;; [unrolled: 1-line block ×4, first 2 shown]
	v_mul_f32_e32 v56, v58, v1
	s_waitcnt vmcnt(6) lgkmcnt(3)
	v_pk_fma_f32 v[24:25], v[56:57], v[62:63], v[24:25] op_sel_hi:[0,1,1] neg_lo:[1,0,0] neg_hi:[1,0,0]
	s_waitcnt vmcnt(4) lgkmcnt(2)
	v_pk_fma_f32 v[16:17], v[56:57], v[64:65], v[16:17] op_sel_hi:[0,1,1] neg_lo:[1,0,0] neg_hi:[1,0,0]
	;; [unrolled: 2-line block ×4, first 2 shown]
	v_mov_b32_e32 v1, v56
.LBB96_692:
	s_or_b64 exec, exec, s[0:1]
	v_lshl_add_u32 v56, v59, 2, v55
	s_barrier
	s_waitcnt vmcnt(7)
	ds_write_b32 v56, v24
	s_waitcnt lgkmcnt(0)
	s_barrier
	ds_read_b32 v58, v55 offset:164
	s_cmp_lt_i32 s22, 43
	v_mov_b32_e32 v56, 41
	s_cbranch_scc1 .LBB96_695
; %bb.693:
	v_add_u32_e32 v61, 0xa8, v55
	v_mov_b32_e32 v56, 41
	s_mov_b32 s0, 42
.LBB96_694:                             ; =>This Inner Loop Header: Depth=1
	ds_read_b32 v62, v61
	v_mov_b32_e32 v63, s0
	s_add_i32 s0, s0, 1
	v_add_u32_e32 v61, 4, v61
	s_cmp_lg_u32 s22, s0
	s_waitcnt lgkmcnt(0)
	v_cmp_lt_f32_e64 vcc, |v58|, |v62|
	s_nop 1
	v_cndmask_b32_e32 v58, v58, v62, vcc
	v_cndmask_b32_e32 v56, v56, v63, vcc
	s_cbranch_scc1 .LBB96_694
.LBB96_695:
	s_waitcnt lgkmcnt(0)
	v_cmp_eq_f32_e32 vcc, 0, v58
	s_and_saveexec_b64 s[0:1], vcc
	s_xor_b64 s[0:1], exec, s[0:1]
; %bb.696:
	v_cmp_ne_u32_e32 vcc, 0, v60
	s_nop 1
	v_cndmask_b32_e32 v60, 42, v60, vcc
; %bb.697:
	s_andn2_saveexec_b64 s[0:1], s[0:1]
	s_cbranch_execz .LBB96_699
; %bb.698:
	v_div_scale_f32 v61, s[2:3], v58, v58, 1.0
	v_rcp_f32_e32 v62, v61
	v_div_scale_f32 v63, vcc, 1.0, v58, 1.0
	v_fma_f32 v64, -v61, v62, 1.0
	v_fmac_f32_e32 v62, v64, v62
	v_mul_f32_e32 v64, v63, v62
	v_fma_f32 v65, -v61, v64, v63
	v_fmac_f32_e32 v64, v65, v62
	v_fma_f32 v61, -v61, v64, v63
	v_div_fmas_f32 v61, v61, v62, v64
	v_div_fixup_f32 v58, v61, v58, 1.0
.LBB96_699:
	s_or_b64 exec, exec, s[0:1]
	v_cmp_ne_u32_e32 vcc, v59, v56
	s_and_saveexec_b64 s[0:1], vcc
	s_xor_b64 s[0:1], exec, s[0:1]
	s_cbranch_execz .LBB96_705
; %bb.700:
	v_cmp_eq_u32_e32 vcc, 41, v59
	s_and_saveexec_b64 s[2:3], vcc
	s_cbranch_execz .LBB96_704
; %bb.701:
	v_cmp_ne_u32_e32 vcc, 41, v56
	s_xor_b64 s[12:13], s[20:21], -1
	s_and_b64 s[14:15], s[12:13], vcc
	s_and_saveexec_b64 s[12:13], s[14:15]
	s_cbranch_execz .LBB96_703
; %bb.702:
	v_ashrrev_i32_e32 v57, 31, v56
	v_lshl_add_u64 v[62:63], v[56:57], 2, v[4:5]
	global_load_dword v57, v[62:63], off
	global_load_dword v59, v[4:5], off offset:164
	s_waitcnt vmcnt(1)
	global_store_dword v[4:5], v57, off offset:164
	s_waitcnt vmcnt(1)
	global_store_dword v[62:63], v59, off
.LBB96_703:
	s_or_b64 exec, exec, s[12:13]
	v_mov_b32_e32 v57, v56
	v_mov_b32_e32 v59, v56
.LBB96_704:
	s_or_b64 exec, exec, s[2:3]
.LBB96_705:
	s_andn2_saveexec_b64 s[0:1], s[0:1]
	s_cbranch_execz .LBB96_707
; %bb.706:
	s_waitcnt vmcnt(4)
	v_pk_mov_b32 v[62:63], v[24:25], v[16:17] op_sel:[1,0]
	ds_write2_b32 v55, v62, v63 offset0:42 offset1:43
	s_waitcnt vmcnt(2)
	v_pk_mov_b32 v[62:63], v[16:17], v[10:11] op_sel:[1,0]
	ds_write2_b32 v55, v62, v63 offset0:44 offset1:45
	s_waitcnt vmcnt(0)
	v_pk_mov_b32 v[62:63], v[10:11], v[8:9] op_sel:[1,0]
	v_mov_b32_e32 v59, 41
	ds_write2_b32 v55, v62, v63 offset0:46 offset1:47
	ds_write_b32 v55, v9 offset:192
.LBB96_707:
	s_or_b64 exec, exec, s[0:1]
	v_cmp_lt_i32_e32 vcc, 41, v59
	s_waitcnt lgkmcnt(0)
	s_barrier
	s_and_saveexec_b64 s[0:1], vcc
	s_cbranch_execz .LBB96_709
; %bb.708:
	ds_read_b32 v56, v55 offset:168
	ds_read2_b32 v[62:63], v55 offset0:43 offset1:44
	ds_read2_b32 v[64:65], v55 offset0:45 offset1:46
	;; [unrolled: 1-line block ×3, first 2 shown]
	v_mul_f32_e32 v24, v58, v24
	s_waitcnt vmcnt(6) lgkmcnt(3)
	v_fma_f32 v25, -v24, v56, v25
	s_waitcnt vmcnt(4) lgkmcnt(2)
	v_pk_fma_f32 v[16:17], v[24:25], v[62:63], v[16:17] op_sel_hi:[0,1,1] neg_lo:[1,0,0] neg_hi:[1,0,0]
	s_waitcnt vmcnt(2) lgkmcnt(1)
	v_pk_fma_f32 v[10:11], v[24:25], v[64:65], v[10:11] op_sel_hi:[0,1,1] neg_lo:[1,0,0] neg_hi:[1,0,0]
	;; [unrolled: 2-line block ×3, first 2 shown]
.LBB96_709:
	s_or_b64 exec, exec, s[0:1]
	v_lshl_add_u32 v56, v59, 2, v55
	s_barrier
	s_waitcnt vmcnt(6)
	ds_write_b32 v56, v25
	s_waitcnt lgkmcnt(0)
	s_barrier
	ds_read_b32 v58, v55 offset:168
	s_cmp_lt_i32 s22, 44
	v_mov_b32_e32 v56, 42
	s_cbranch_scc1 .LBB96_712
; %bb.710:
	v_add_u32_e32 v61, 0xac, v55
	v_mov_b32_e32 v56, 42
	s_mov_b32 s0, 43
.LBB96_711:                             ; =>This Inner Loop Header: Depth=1
	ds_read_b32 v62, v61
	v_mov_b32_e32 v63, s0
	s_add_i32 s0, s0, 1
	v_add_u32_e32 v61, 4, v61
	s_cmp_lg_u32 s22, s0
	s_waitcnt lgkmcnt(0)
	v_cmp_lt_f32_e64 vcc, |v58|, |v62|
	s_nop 1
	v_cndmask_b32_e32 v58, v58, v62, vcc
	v_cndmask_b32_e32 v56, v56, v63, vcc
	s_cbranch_scc1 .LBB96_711
.LBB96_712:
	s_waitcnt lgkmcnt(0)
	v_cmp_eq_f32_e32 vcc, 0, v58
	s_and_saveexec_b64 s[0:1], vcc
	s_xor_b64 s[0:1], exec, s[0:1]
; %bb.713:
	v_cmp_ne_u32_e32 vcc, 0, v60
	s_nop 1
	v_cndmask_b32_e32 v60, 43, v60, vcc
; %bb.714:
	s_andn2_saveexec_b64 s[0:1], s[0:1]
	s_cbranch_execz .LBB96_716
; %bb.715:
	v_div_scale_f32 v61, s[2:3], v58, v58, 1.0
	v_rcp_f32_e32 v62, v61
	v_div_scale_f32 v63, vcc, 1.0, v58, 1.0
	v_fma_f32 v64, -v61, v62, 1.0
	v_fmac_f32_e32 v62, v64, v62
	v_mul_f32_e32 v64, v63, v62
	v_fma_f32 v65, -v61, v64, v63
	v_fmac_f32_e32 v64, v65, v62
	v_fma_f32 v61, -v61, v64, v63
	v_div_fmas_f32 v61, v61, v62, v64
	v_div_fixup_f32 v58, v61, v58, 1.0
.LBB96_716:
	s_or_b64 exec, exec, s[0:1]
	v_cmp_ne_u32_e32 vcc, v59, v56
	s_and_saveexec_b64 s[0:1], vcc
	s_xor_b64 s[0:1], exec, s[0:1]
	s_cbranch_execz .LBB96_722
; %bb.717:
	v_cmp_eq_u32_e32 vcc, 42, v59
	s_and_saveexec_b64 s[2:3], vcc
	s_cbranch_execz .LBB96_721
; %bb.718:
	v_cmp_ne_u32_e32 vcc, 42, v56
	s_xor_b64 s[12:13], s[20:21], -1
	s_and_b64 s[14:15], s[12:13], vcc
	s_and_saveexec_b64 s[12:13], s[14:15]
	s_cbranch_execz .LBB96_720
; %bb.719:
	v_ashrrev_i32_e32 v57, 31, v56
	v_lshl_add_u64 v[62:63], v[56:57], 2, v[4:5]
	global_load_dword v57, v[62:63], off
	global_load_dword v59, v[4:5], off offset:168
	s_waitcnt vmcnt(1)
	global_store_dword v[4:5], v57, off offset:168
	s_waitcnt vmcnt(1)
	global_store_dword v[62:63], v59, off
.LBB96_720:
	s_or_b64 exec, exec, s[12:13]
	v_mov_b32_e32 v57, v56
	v_mov_b32_e32 v59, v56
.LBB96_721:
	s_or_b64 exec, exec, s[2:3]
.LBB96_722:
	s_andn2_saveexec_b64 s[0:1], s[0:1]
	s_cbranch_execz .LBB96_724
; %bb.723:
	v_mov_b32_e32 v59, 42
	s_waitcnt vmcnt(4)
	ds_write2_b32 v55, v16, v17 offset0:43 offset1:44
	s_waitcnt vmcnt(2)
	ds_write2_b32 v55, v10, v11 offset0:45 offset1:46
	;; [unrolled: 2-line block ×3, first 2 shown]
.LBB96_724:
	s_or_b64 exec, exec, s[0:1]
	v_cmp_lt_i32_e32 vcc, 42, v59
	s_waitcnt lgkmcnt(0)
	s_barrier
	s_and_saveexec_b64 s[0:1], vcc
	s_cbranch_execz .LBB96_726
; %bb.725:
	ds_read2_b32 v[62:63], v55 offset0:43 offset1:44
	ds_read2_b32 v[64:65], v55 offset0:45 offset1:46
	;; [unrolled: 1-line block ×3, first 2 shown]
	v_mul_f32_e32 v56, v58, v25
	v_mov_b32_e32 v25, v56
	s_waitcnt vmcnt(4) lgkmcnt(2)
	v_pk_fma_f32 v[16:17], v[56:57], v[62:63], v[16:17] op_sel_hi:[0,1,1] neg_lo:[1,0,0] neg_hi:[1,0,0]
	s_waitcnt vmcnt(2) lgkmcnt(1)
	v_pk_fma_f32 v[10:11], v[56:57], v[64:65], v[10:11] op_sel_hi:[0,1,1] neg_lo:[1,0,0] neg_hi:[1,0,0]
	;; [unrolled: 2-line block ×3, first 2 shown]
.LBB96_726:
	s_or_b64 exec, exec, s[0:1]
	v_lshl_add_u32 v56, v59, 2, v55
	s_barrier
	s_waitcnt vmcnt(5)
	ds_write_b32 v56, v16
	s_waitcnt lgkmcnt(0)
	s_barrier
	ds_read_b32 v58, v55 offset:172
	s_cmp_lt_i32 s22, 45
	v_mov_b32_e32 v56, 43
	s_cbranch_scc1 .LBB96_729
; %bb.727:
	v_add_u32_e32 v61, 0xb0, v55
	v_mov_b32_e32 v56, 43
	s_mov_b32 s0, 44
.LBB96_728:                             ; =>This Inner Loop Header: Depth=1
	ds_read_b32 v62, v61
	v_mov_b32_e32 v63, s0
	s_add_i32 s0, s0, 1
	v_add_u32_e32 v61, 4, v61
	s_cmp_lg_u32 s22, s0
	s_waitcnt lgkmcnt(0)
	v_cmp_lt_f32_e64 vcc, |v58|, |v62|
	s_nop 1
	v_cndmask_b32_e32 v58, v58, v62, vcc
	v_cndmask_b32_e32 v56, v56, v63, vcc
	s_cbranch_scc1 .LBB96_728
.LBB96_729:
	s_waitcnt lgkmcnt(0)
	v_cmp_eq_f32_e32 vcc, 0, v58
	s_and_saveexec_b64 s[0:1], vcc
	s_xor_b64 s[0:1], exec, s[0:1]
; %bb.730:
	v_cmp_ne_u32_e32 vcc, 0, v60
	s_nop 1
	v_cndmask_b32_e32 v60, 44, v60, vcc
; %bb.731:
	s_andn2_saveexec_b64 s[0:1], s[0:1]
	s_cbranch_execz .LBB96_733
; %bb.732:
	v_div_scale_f32 v61, s[2:3], v58, v58, 1.0
	v_rcp_f32_e32 v62, v61
	v_div_scale_f32 v63, vcc, 1.0, v58, 1.0
	v_fma_f32 v64, -v61, v62, 1.0
	v_fmac_f32_e32 v62, v64, v62
	v_mul_f32_e32 v64, v63, v62
	v_fma_f32 v65, -v61, v64, v63
	v_fmac_f32_e32 v64, v65, v62
	v_fma_f32 v61, -v61, v64, v63
	v_div_fmas_f32 v61, v61, v62, v64
	v_div_fixup_f32 v58, v61, v58, 1.0
.LBB96_733:
	s_or_b64 exec, exec, s[0:1]
	v_cmp_ne_u32_e32 vcc, v59, v56
	s_and_saveexec_b64 s[0:1], vcc
	s_xor_b64 s[0:1], exec, s[0:1]
	s_cbranch_execz .LBB96_739
; %bb.734:
	v_cmp_eq_u32_e32 vcc, 43, v59
	s_and_saveexec_b64 s[2:3], vcc
	s_cbranch_execz .LBB96_738
; %bb.735:
	v_cmp_ne_u32_e32 vcc, 43, v56
	s_xor_b64 s[12:13], s[20:21], -1
	s_and_b64 s[14:15], s[12:13], vcc
	s_and_saveexec_b64 s[12:13], s[14:15]
	s_cbranch_execz .LBB96_737
; %bb.736:
	v_ashrrev_i32_e32 v57, 31, v56
	v_lshl_add_u64 v[62:63], v[56:57], 2, v[4:5]
	global_load_dword v57, v[62:63], off
	global_load_dword v59, v[4:5], off offset:172
	s_waitcnt vmcnt(1)
	global_store_dword v[4:5], v57, off offset:172
	s_waitcnt vmcnt(1)
	global_store_dword v[62:63], v59, off
.LBB96_737:
	s_or_b64 exec, exec, s[12:13]
	v_mov_b32_e32 v57, v56
	v_mov_b32_e32 v59, v56
.LBB96_738:
	s_or_b64 exec, exec, s[2:3]
.LBB96_739:
	s_andn2_saveexec_b64 s[0:1], s[0:1]
	s_cbranch_execz .LBB96_741
; %bb.740:
	s_waitcnt vmcnt(2)
	v_pk_mov_b32 v[62:63], v[16:17], v[10:11] op_sel:[1,0]
	ds_write2_b32 v55, v62, v63 offset0:44 offset1:45
	s_waitcnt vmcnt(0)
	v_pk_mov_b32 v[62:63], v[10:11], v[8:9] op_sel:[1,0]
	v_mov_b32_e32 v59, 43
	ds_write2_b32 v55, v62, v63 offset0:46 offset1:47
	ds_write_b32 v55, v9 offset:192
.LBB96_741:
	s_or_b64 exec, exec, s[0:1]
	v_cmp_lt_i32_e32 vcc, 43, v59
	s_waitcnt lgkmcnt(0)
	s_barrier
	s_and_saveexec_b64 s[0:1], vcc
	s_cbranch_execz .LBB96_743
; %bb.742:
	ds_read_b32 v56, v55 offset:176
	ds_read2_b32 v[62:63], v55 offset0:45 offset1:46
	ds_read2_b32 v[64:65], v55 offset0:47 offset1:48
	v_mul_f32_e32 v16, v58, v16
	s_waitcnt vmcnt(4) lgkmcnt(2)
	v_fma_f32 v17, -v16, v56, v17
	s_waitcnt vmcnt(2) lgkmcnt(1)
	v_pk_fma_f32 v[10:11], v[16:17], v[62:63], v[10:11] op_sel_hi:[0,1,1] neg_lo:[1,0,0] neg_hi:[1,0,0]
	s_waitcnt vmcnt(0) lgkmcnt(0)
	v_pk_fma_f32 v[8:9], v[16:17], v[64:65], v[8:9] op_sel_hi:[0,1,1] neg_lo:[1,0,0] neg_hi:[1,0,0]
.LBB96_743:
	s_or_b64 exec, exec, s[0:1]
	v_lshl_add_u32 v56, v59, 2, v55
	s_barrier
	s_waitcnt vmcnt(4)
	ds_write_b32 v56, v17
	s_waitcnt lgkmcnt(0)
	s_barrier
	ds_read_b32 v58, v55 offset:176
	s_cmp_lt_i32 s22, 46
	v_mov_b32_e32 v56, 44
	s_cbranch_scc1 .LBB96_746
; %bb.744:
	v_add_u32_e32 v61, 0xb4, v55
	v_mov_b32_e32 v56, 44
	s_mov_b32 s0, 45
.LBB96_745:                             ; =>This Inner Loop Header: Depth=1
	ds_read_b32 v62, v61
	v_mov_b32_e32 v63, s0
	s_add_i32 s0, s0, 1
	v_add_u32_e32 v61, 4, v61
	s_cmp_lg_u32 s22, s0
	s_waitcnt lgkmcnt(0)
	v_cmp_lt_f32_e64 vcc, |v58|, |v62|
	s_nop 1
	v_cndmask_b32_e32 v58, v58, v62, vcc
	v_cndmask_b32_e32 v56, v56, v63, vcc
	s_cbranch_scc1 .LBB96_745
.LBB96_746:
	s_waitcnt lgkmcnt(0)
	v_cmp_eq_f32_e32 vcc, 0, v58
	s_and_saveexec_b64 s[0:1], vcc
	s_xor_b64 s[0:1], exec, s[0:1]
; %bb.747:
	v_cmp_ne_u32_e32 vcc, 0, v60
	s_nop 1
	v_cndmask_b32_e32 v60, 45, v60, vcc
; %bb.748:
	s_andn2_saveexec_b64 s[0:1], s[0:1]
	s_cbranch_execz .LBB96_750
; %bb.749:
	v_div_scale_f32 v61, s[2:3], v58, v58, 1.0
	v_rcp_f32_e32 v62, v61
	v_div_scale_f32 v63, vcc, 1.0, v58, 1.0
	v_fma_f32 v64, -v61, v62, 1.0
	v_fmac_f32_e32 v62, v64, v62
	v_mul_f32_e32 v64, v63, v62
	v_fma_f32 v65, -v61, v64, v63
	v_fmac_f32_e32 v64, v65, v62
	v_fma_f32 v61, -v61, v64, v63
	v_div_fmas_f32 v61, v61, v62, v64
	v_div_fixup_f32 v58, v61, v58, 1.0
.LBB96_750:
	s_or_b64 exec, exec, s[0:1]
	v_cmp_ne_u32_e32 vcc, v59, v56
	s_and_saveexec_b64 s[0:1], vcc
	s_xor_b64 s[0:1], exec, s[0:1]
	s_cbranch_execz .LBB96_756
; %bb.751:
	v_cmp_eq_u32_e32 vcc, 44, v59
	s_and_saveexec_b64 s[2:3], vcc
	s_cbranch_execz .LBB96_755
; %bb.752:
	v_cmp_ne_u32_e32 vcc, 44, v56
	s_xor_b64 s[12:13], s[20:21], -1
	s_and_b64 s[14:15], s[12:13], vcc
	s_and_saveexec_b64 s[12:13], s[14:15]
	s_cbranch_execz .LBB96_754
; %bb.753:
	v_ashrrev_i32_e32 v57, 31, v56
	v_lshl_add_u64 v[62:63], v[56:57], 2, v[4:5]
	global_load_dword v57, v[62:63], off
	global_load_dword v59, v[4:5], off offset:176
	s_waitcnt vmcnt(1)
	global_store_dword v[4:5], v57, off offset:176
	s_waitcnt vmcnt(1)
	global_store_dword v[62:63], v59, off
.LBB96_754:
	s_or_b64 exec, exec, s[12:13]
	v_mov_b32_e32 v57, v56
	v_mov_b32_e32 v59, v56
.LBB96_755:
	s_or_b64 exec, exec, s[2:3]
.LBB96_756:
	s_andn2_saveexec_b64 s[0:1], s[0:1]
	s_cbranch_execz .LBB96_758
; %bb.757:
	v_mov_b32_e32 v59, 44
	s_waitcnt vmcnt(2)
	ds_write2_b32 v55, v10, v11 offset0:45 offset1:46
	s_waitcnt vmcnt(0)
	ds_write2_b32 v55, v8, v9 offset0:47 offset1:48
.LBB96_758:
	s_or_b64 exec, exec, s[0:1]
	v_cmp_lt_i32_e32 vcc, 44, v59
	s_waitcnt lgkmcnt(0)
	s_barrier
	s_and_saveexec_b64 s[0:1], vcc
	s_cbranch_execz .LBB96_760
; %bb.759:
	ds_read2_b32 v[62:63], v55 offset0:45 offset1:46
	ds_read2_b32 v[64:65], v55 offset0:47 offset1:48
	v_mul_f32_e32 v56, v58, v17
	v_mov_b32_e32 v17, v56
	s_waitcnt vmcnt(2) lgkmcnt(1)
	v_pk_fma_f32 v[10:11], v[56:57], v[62:63], v[10:11] op_sel_hi:[0,1,1] neg_lo:[1,0,0] neg_hi:[1,0,0]
	s_waitcnt vmcnt(0) lgkmcnt(0)
	v_pk_fma_f32 v[8:9], v[56:57], v[64:65], v[8:9] op_sel_hi:[0,1,1] neg_lo:[1,0,0] neg_hi:[1,0,0]
.LBB96_760:
	s_or_b64 exec, exec, s[0:1]
	v_lshl_add_u32 v56, v59, 2, v55
	s_barrier
	s_waitcnt vmcnt(3)
	ds_write_b32 v56, v10
	s_waitcnt lgkmcnt(0)
	s_barrier
	ds_read_b32 v58, v55 offset:180
	s_cmp_lt_i32 s22, 47
	v_mov_b32_e32 v56, 45
	s_cbranch_scc1 .LBB96_763
; %bb.761:
	v_add_u32_e32 v61, 0xb8, v55
	v_mov_b32_e32 v56, 45
	s_mov_b32 s0, 46
.LBB96_762:                             ; =>This Inner Loop Header: Depth=1
	ds_read_b32 v62, v61
	v_mov_b32_e32 v63, s0
	s_add_i32 s0, s0, 1
	v_add_u32_e32 v61, 4, v61
	s_cmp_lg_u32 s22, s0
	s_waitcnt lgkmcnt(0)
	v_cmp_lt_f32_e64 vcc, |v58|, |v62|
	s_nop 1
	v_cndmask_b32_e32 v58, v58, v62, vcc
	v_cndmask_b32_e32 v56, v56, v63, vcc
	s_cbranch_scc1 .LBB96_762
.LBB96_763:
	s_waitcnt lgkmcnt(0)
	v_cmp_eq_f32_e32 vcc, 0, v58
	s_and_saveexec_b64 s[0:1], vcc
	s_xor_b64 s[0:1], exec, s[0:1]
; %bb.764:
	v_cmp_ne_u32_e32 vcc, 0, v60
	s_nop 1
	v_cndmask_b32_e32 v60, 46, v60, vcc
; %bb.765:
	s_andn2_saveexec_b64 s[0:1], s[0:1]
	s_cbranch_execz .LBB96_767
; %bb.766:
	v_div_scale_f32 v61, s[2:3], v58, v58, 1.0
	v_rcp_f32_e32 v62, v61
	v_div_scale_f32 v63, vcc, 1.0, v58, 1.0
	v_fma_f32 v64, -v61, v62, 1.0
	v_fmac_f32_e32 v62, v64, v62
	v_mul_f32_e32 v64, v63, v62
	v_fma_f32 v65, -v61, v64, v63
	v_fmac_f32_e32 v64, v65, v62
	v_fma_f32 v61, -v61, v64, v63
	v_div_fmas_f32 v61, v61, v62, v64
	v_div_fixup_f32 v58, v61, v58, 1.0
.LBB96_767:
	s_or_b64 exec, exec, s[0:1]
	v_cmp_ne_u32_e32 vcc, v59, v56
	s_and_saveexec_b64 s[0:1], vcc
	s_xor_b64 s[0:1], exec, s[0:1]
	s_cbranch_execz .LBB96_773
; %bb.768:
	v_cmp_eq_u32_e32 vcc, 45, v59
	s_and_saveexec_b64 s[2:3], vcc
	s_cbranch_execz .LBB96_772
; %bb.769:
	v_cmp_ne_u32_e32 vcc, 45, v56
	s_xor_b64 s[12:13], s[20:21], -1
	s_and_b64 s[14:15], s[12:13], vcc
	s_and_saveexec_b64 s[12:13], s[14:15]
	s_cbranch_execz .LBB96_771
; %bb.770:
	v_ashrrev_i32_e32 v57, 31, v56
	v_lshl_add_u64 v[62:63], v[56:57], 2, v[4:5]
	global_load_dword v57, v[62:63], off
	global_load_dword v59, v[4:5], off offset:180
	s_waitcnt vmcnt(1)
	global_store_dword v[4:5], v57, off offset:180
	s_waitcnt vmcnt(1)
	global_store_dword v[62:63], v59, off
.LBB96_771:
	s_or_b64 exec, exec, s[12:13]
	v_mov_b32_e32 v57, v56
	v_mov_b32_e32 v59, v56
.LBB96_772:
	s_or_b64 exec, exec, s[2:3]
.LBB96_773:
	s_andn2_saveexec_b64 s[0:1], s[0:1]
	s_cbranch_execz .LBB96_775
; %bb.774:
	s_waitcnt vmcnt(0)
	v_pk_mov_b32 v[62:63], v[10:11], v[8:9] op_sel:[1,0]
	v_mov_b32_e32 v59, 45
	ds_write2_b32 v55, v62, v63 offset0:46 offset1:47
	ds_write_b32 v55, v9 offset:192
.LBB96_775:
	s_or_b64 exec, exec, s[0:1]
	v_cmp_lt_i32_e32 vcc, 45, v59
	s_waitcnt lgkmcnt(0)
	s_barrier
	s_and_saveexec_b64 s[0:1], vcc
	s_cbranch_execz .LBB96_777
; %bb.776:
	ds_read_b32 v56, v55 offset:184
	ds_read2_b32 v[62:63], v55 offset0:47 offset1:48
	v_mul_f32_e32 v10, v58, v10
	s_waitcnt vmcnt(2) lgkmcnt(1)
	v_fma_f32 v11, -v10, v56, v11
	s_waitcnt vmcnt(0) lgkmcnt(0)
	v_pk_fma_f32 v[8:9], v[10:11], v[62:63], v[8:9] op_sel_hi:[0,1,1] neg_lo:[1,0,0] neg_hi:[1,0,0]
.LBB96_777:
	s_or_b64 exec, exec, s[0:1]
	v_lshl_add_u32 v56, v59, 2, v55
	s_barrier
	s_waitcnt vmcnt(2)
	ds_write_b32 v56, v11
	s_waitcnt lgkmcnt(0)
	s_barrier
	ds_read_b32 v58, v55 offset:184
	s_cmp_lt_i32 s22, 48
	v_mov_b32_e32 v56, 46
	s_cbranch_scc1 .LBB96_780
; %bb.778:
	v_add_u32_e32 v61, 0xbc, v55
	v_mov_b32_e32 v56, 46
	s_mov_b32 s0, 47
.LBB96_779:                             ; =>This Inner Loop Header: Depth=1
	ds_read_b32 v62, v61
	v_mov_b32_e32 v63, s0
	s_add_i32 s0, s0, 1
	v_add_u32_e32 v61, 4, v61
	s_cmp_lg_u32 s22, s0
	s_waitcnt lgkmcnt(0)
	v_cmp_lt_f32_e64 vcc, |v58|, |v62|
	s_nop 1
	v_cndmask_b32_e32 v58, v58, v62, vcc
	v_cndmask_b32_e32 v56, v56, v63, vcc
	s_cbranch_scc1 .LBB96_779
.LBB96_780:
	s_waitcnt lgkmcnt(0)
	v_cmp_eq_f32_e32 vcc, 0, v58
	s_and_saveexec_b64 s[0:1], vcc
	s_xor_b64 s[0:1], exec, s[0:1]
; %bb.781:
	v_cmp_ne_u32_e32 vcc, 0, v60
	s_nop 1
	v_cndmask_b32_e32 v60, 47, v60, vcc
; %bb.782:
	s_andn2_saveexec_b64 s[0:1], s[0:1]
	s_cbranch_execz .LBB96_784
; %bb.783:
	v_div_scale_f32 v61, s[2:3], v58, v58, 1.0
	v_rcp_f32_e32 v62, v61
	v_div_scale_f32 v63, vcc, 1.0, v58, 1.0
	v_fma_f32 v64, -v61, v62, 1.0
	v_fmac_f32_e32 v62, v64, v62
	v_mul_f32_e32 v64, v63, v62
	v_fma_f32 v65, -v61, v64, v63
	v_fmac_f32_e32 v64, v65, v62
	v_fma_f32 v61, -v61, v64, v63
	v_div_fmas_f32 v61, v61, v62, v64
	v_div_fixup_f32 v58, v61, v58, 1.0
.LBB96_784:
	s_or_b64 exec, exec, s[0:1]
	v_cmp_ne_u32_e32 vcc, v59, v56
	s_and_saveexec_b64 s[0:1], vcc
	s_xor_b64 s[0:1], exec, s[0:1]
	s_cbranch_execz .LBB96_790
; %bb.785:
	v_cmp_eq_u32_e32 vcc, 46, v59
	s_and_saveexec_b64 s[2:3], vcc
	s_cbranch_execz .LBB96_789
; %bb.786:
	v_cmp_ne_u32_e32 vcc, 46, v56
	s_xor_b64 s[12:13], s[20:21], -1
	s_and_b64 s[14:15], s[12:13], vcc
	s_and_saveexec_b64 s[12:13], s[14:15]
	s_cbranch_execz .LBB96_788
; %bb.787:
	v_ashrrev_i32_e32 v57, 31, v56
	v_lshl_add_u64 v[62:63], v[56:57], 2, v[4:5]
	global_load_dword v57, v[62:63], off
	global_load_dword v59, v[4:5], off offset:184
	s_waitcnt vmcnt(1)
	global_store_dword v[4:5], v57, off offset:184
	s_waitcnt vmcnt(1)
	global_store_dword v[62:63], v59, off
.LBB96_788:
	s_or_b64 exec, exec, s[12:13]
	v_mov_b32_e32 v57, v56
	v_mov_b32_e32 v59, v56
.LBB96_789:
	s_or_b64 exec, exec, s[2:3]
.LBB96_790:
	s_andn2_saveexec_b64 s[0:1], s[0:1]
	s_cbranch_execz .LBB96_792
; %bb.791:
	v_mov_b32_e32 v59, 46
	s_waitcnt vmcnt(0)
	ds_write2_b32 v55, v8, v9 offset0:47 offset1:48
.LBB96_792:
	s_or_b64 exec, exec, s[0:1]
	v_cmp_lt_i32_e32 vcc, 46, v59
	s_waitcnt lgkmcnt(0)
	s_barrier
	s_and_saveexec_b64 s[0:1], vcc
	s_cbranch_execz .LBB96_794
; %bb.793:
	ds_read2_b32 v[62:63], v55 offset0:47 offset1:48
	v_mul_f32_e32 v56, v58, v11
	v_mov_b32_e32 v11, v56
	s_waitcnt vmcnt(0) lgkmcnt(0)
	v_pk_fma_f32 v[8:9], v[56:57], v[62:63], v[8:9] op_sel_hi:[0,1,1] neg_lo:[1,0,0] neg_hi:[1,0,0]
.LBB96_794:
	s_or_b64 exec, exec, s[0:1]
	v_lshl_add_u32 v56, v59, 2, v55
	s_barrier
	s_waitcnt vmcnt(1)
	ds_write_b32 v56, v8
	s_waitcnt lgkmcnt(0)
	s_barrier
	ds_read_b32 v58, v55 offset:188
	s_cmp_lt_i32 s22, 49
	v_mov_b32_e32 v56, 47
	s_cbranch_scc1 .LBB96_797
; %bb.795:
	v_add_u32_e32 v61, 0xc0, v55
	v_mov_b32_e32 v56, 47
	s_mov_b32 s0, 48
.LBB96_796:                             ; =>This Inner Loop Header: Depth=1
	ds_read_b32 v62, v61
	v_mov_b32_e32 v63, s0
	s_add_i32 s0, s0, 1
	v_add_u32_e32 v61, 4, v61
	s_cmp_lg_u32 s22, s0
	s_waitcnt lgkmcnt(0)
	v_cmp_lt_f32_e64 vcc, |v58|, |v62|
	s_nop 1
	v_cndmask_b32_e32 v58, v58, v62, vcc
	v_cndmask_b32_e32 v56, v56, v63, vcc
	s_cbranch_scc1 .LBB96_796
.LBB96_797:
	s_waitcnt lgkmcnt(0)
	v_cmp_eq_f32_e32 vcc, 0, v58
	s_and_saveexec_b64 s[0:1], vcc
	s_xor_b64 s[0:1], exec, s[0:1]
; %bb.798:
	v_cmp_ne_u32_e32 vcc, 0, v60
	s_nop 1
	v_cndmask_b32_e32 v60, 48, v60, vcc
; %bb.799:
	s_andn2_saveexec_b64 s[0:1], s[0:1]
	s_cbranch_execz .LBB96_801
; %bb.800:
	v_div_scale_f32 v61, s[2:3], v58, v58, 1.0
	v_rcp_f32_e32 v62, v61
	v_div_scale_f32 v63, vcc, 1.0, v58, 1.0
	v_fma_f32 v64, -v61, v62, 1.0
	v_fmac_f32_e32 v62, v64, v62
	v_mul_f32_e32 v64, v63, v62
	v_fma_f32 v65, -v61, v64, v63
	v_fmac_f32_e32 v64, v65, v62
	v_fma_f32 v61, -v61, v64, v63
	v_div_fmas_f32 v61, v61, v62, v64
	v_div_fixup_f32 v58, v61, v58, 1.0
.LBB96_801:
	s_or_b64 exec, exec, s[0:1]
	v_cmp_ne_u32_e32 vcc, v59, v56
	s_and_saveexec_b64 s[0:1], vcc
	s_xor_b64 s[0:1], exec, s[0:1]
	s_cbranch_execz .LBB96_807
; %bb.802:
	v_cmp_eq_u32_e32 vcc, 47, v59
	s_and_saveexec_b64 s[2:3], vcc
	s_cbranch_execz .LBB96_806
; %bb.803:
	v_cmp_ne_u32_e32 vcc, 47, v56
	s_xor_b64 s[12:13], s[20:21], -1
	s_and_b64 s[14:15], s[12:13], vcc
	s_and_saveexec_b64 s[12:13], s[14:15]
	s_cbranch_execz .LBB96_805
; %bb.804:
	v_ashrrev_i32_e32 v57, 31, v56
	v_lshl_add_u64 v[62:63], v[56:57], 2, v[4:5]
	global_load_dword v57, v[62:63], off
	global_load_dword v59, v[4:5], off offset:188
	s_waitcnt vmcnt(1)
	global_store_dword v[4:5], v57, off offset:188
	s_waitcnt vmcnt(1)
	global_store_dword v[62:63], v59, off
.LBB96_805:
	s_or_b64 exec, exec, s[12:13]
	v_mov_b32_e32 v57, v56
	v_mov_b32_e32 v59, v56
.LBB96_806:
	s_or_b64 exec, exec, s[2:3]
.LBB96_807:
	s_andn2_saveexec_b64 s[0:1], s[0:1]
	s_cbranch_execz .LBB96_809
; %bb.808:
	v_mov_b32_e32 v59, 47
	s_waitcnt vmcnt(0)
	ds_write_b32 v55, v9 offset:192
.LBB96_809:
	s_or_b64 exec, exec, s[0:1]
	v_cmp_lt_i32_e32 vcc, 47, v59
	s_waitcnt lgkmcnt(0)
	s_barrier
	s_and_saveexec_b64 s[0:1], vcc
	s_cbranch_execz .LBB96_811
; %bb.810:
	ds_read_b32 v56, v55 offset:192
	v_mul_f32_e32 v8, v58, v8
	s_waitcnt vmcnt(0) lgkmcnt(0)
	v_fma_f32 v9, -v8, v56, v9
.LBB96_811:
	s_or_b64 exec, exec, s[0:1]
	v_lshl_add_u32 v56, v59, 2, v55
	s_barrier
	s_waitcnt vmcnt(0)
	ds_write_b32 v56, v9
	s_waitcnt lgkmcnt(0)
	s_barrier
	ds_read_b32 v61, v55 offset:192
	s_cmp_lt_i32 s22, 50
	v_mov_b32_e32 v56, 48
	s_cbranch_scc1 .LBB96_814
; %bb.812:
	v_add_u32_e32 v55, 0xc4, v55
	v_mov_b32_e32 v56, 48
	s_mov_b32 s0, 49
.LBB96_813:                             ; =>This Inner Loop Header: Depth=1
	ds_read_b32 v58, v55
	v_mov_b32_e32 v62, s0
	s_add_i32 s0, s0, 1
	v_add_u32_e32 v55, 4, v55
	s_cmp_lg_u32 s22, s0
	s_waitcnt lgkmcnt(0)
	v_cmp_lt_f32_e64 vcc, |v61|, |v58|
	s_nop 1
	v_cndmask_b32_e32 v61, v61, v58, vcc
	v_cndmask_b32_e32 v56, v56, v62, vcc
	s_cbranch_scc1 .LBB96_813
.LBB96_814:
	s_waitcnt lgkmcnt(0)
	v_cmp_eq_f32_e32 vcc, 0, v61
	s_and_saveexec_b64 s[0:1], vcc
	s_xor_b64 s[0:1], exec, s[0:1]
; %bb.815:
	v_cmp_ne_u32_e32 vcc, 0, v60
	s_nop 1
	v_cndmask_b32_e32 v60, 49, v60, vcc
; %bb.816:
	s_andn2_saveexec_b64 s[0:1], s[0:1]
	s_cbranch_execz .LBB96_818
; %bb.817:
	v_div_scale_f32 v55, s[2:3], v61, v61, 1.0
	v_rcp_f32_e32 v58, v55
	v_div_scale_f32 v62, vcc, 1.0, v61, 1.0
	v_fma_f32 v63, -v55, v58, 1.0
	v_fmac_f32_e32 v58, v63, v58
	v_mul_f32_e32 v63, v62, v58
	v_fma_f32 v64, -v55, v63, v62
	v_fmac_f32_e32 v63, v64, v58
	v_fma_f32 v55, -v55, v63, v62
	v_div_fmas_f32 v55, v55, v58, v63
	v_div_fixup_f32 v61, v55, v61, 1.0
.LBB96_818:
	s_or_b64 exec, exec, s[0:1]
	v_cmp_ne_u32_e32 vcc, v59, v56
	v_mov_b32_e32 v58, 48
	s_and_saveexec_b64 s[0:1], vcc
	s_cbranch_execz .LBB96_824
; %bb.819:
	v_cmp_eq_u32_e32 vcc, 48, v59
	s_and_saveexec_b64 s[2:3], vcc
	s_cbranch_execz .LBB96_823
; %bb.820:
	v_cmp_ne_u32_e32 vcc, 48, v56
	s_xor_b64 s[12:13], s[20:21], -1
	s_and_b64 s[14:15], s[12:13], vcc
	s_and_saveexec_b64 s[12:13], s[14:15]
	s_cbranch_execz .LBB96_822
; %bb.821:
	v_ashrrev_i32_e32 v57, 31, v56
	v_lshl_add_u64 v[58:59], v[56:57], 2, v[4:5]
	global_load_dword v55, v[58:59], off
	global_load_dword v57, v[4:5], off offset:192
	s_waitcnt vmcnt(1)
	global_store_dword v[4:5], v55, off offset:192
	s_waitcnt vmcnt(1)
	global_store_dword v[58:59], v57, off
.LBB96_822:
	s_or_b64 exec, exec, s[12:13]
	v_mov_b32_e32 v57, v56
	v_mov_b32_e32 v59, v56
.LBB96_823:
	s_or_b64 exec, exec, s[2:3]
	v_mov_b32_e32 v58, v59
.LBB96_824:
	s_or_b64 exec, exec, s[0:1]
	v_cmp_gt_i32_e32 vcc, 49, v58
	v_ashrrev_i32_e32 v59, 31, v58
	s_barrier
	s_barrier
	s_and_saveexec_b64 s[0:1], vcc
	s_cbranch_execz .LBB96_826
; %bb.825:
	v_mul_lo_u32 v55, s11, v2
	v_mul_lo_u32 v56, s10, v3
	v_mad_u64_u32 v[62:63], s[2:3], s10, v2, 0
	v_mov_b32_e32 v4, s6
	v_mov_b32_e32 v5, s7
	v_add3_u32 v63, v63, v56, v55
	v_lshl_add_u64 v[4:5], v[62:63], 2, v[4:5]
	v_lshl_add_u64 v[4:5], s[8:9], 2, v[4:5]
	;; [unrolled: 1-line block ×3, first 2 shown]
	v_add3_u32 v55, v57, s19, 1
	global_store_dword v[4:5], v55, off
.LBB96_826:
	s_or_b64 exec, exec, s[0:1]
	v_cmp_eq_u32_e32 vcc, 0, v58
	s_and_saveexec_b64 s[2:3], vcc
	s_cbranch_execz .LBB96_829
; %bb.827:
	v_mov_b32_e32 v4, s4
	v_mov_b32_e32 v5, s5
	v_lshl_add_u64 v[2:3], v[2:3], 2, v[4:5]
	global_load_dword v4, v[2:3], off
	v_cmp_ne_u32_e64 s[0:1], 0, v60
	s_waitcnt vmcnt(0)
	v_cmp_eq_u32_e32 vcc, 0, v4
	s_and_b64 s[0:1], vcc, s[0:1]
	s_and_b64 exec, exec, s[0:1]
	s_cbranch_execz .LBB96_829
; %bb.828:
	v_add_u32_e32 v4, s19, v60
	global_store_dword v[2:3], v4, off
.LBB96_829:
	s_or_b64 exec, exec, s[2:3]
	v_mul_f32_e32 v2, v61, v9
	v_cmp_lt_i32_e32 vcc, 48, v58
	s_nop 1
	v_cndmask_b32_e32 v9, v9, v2, vcc
	v_lshl_add_u64 v[2:3], v[58:59], 2, v[6:7]
	global_store_dword v[2:3], v54, off
	v_lshl_add_u64 v[2:3], s[16:17], 2, v[2:3]
	global_store_dword v[2:3], v52, off
	v_add_u32_e32 v2, s18, v58
	v_ashrrev_i32_e32 v3, 31, v2
	v_lshl_add_u64 v[4:5], v[2:3], 2, v[6:7]
	v_add_u32_e32 v2, s16, v2
	v_ashrrev_i32_e32 v3, 31, v2
	global_store_dword v[4:5], v53, off
	v_lshl_add_u64 v[4:5], v[2:3], 2, v[6:7]
	v_add_u32_e32 v2, s16, v2
	v_ashrrev_i32_e32 v3, 31, v2
	global_store_dword v[4:5], v48, off
	;; [unrolled: 4-line block ×38, first 2 shown]
	v_lshl_add_u64 v[4:5], v[2:3], 2, v[6:7]
	v_add_u32_e32 v0, s16, v2
	global_store_dword v[4:5], v1, off
	v_ashrrev_i32_e32 v1, 31, v0
	v_lshl_add_u64 v[2:3], v[0:1], 2, v[6:7]
	v_add_u32_e32 v0, s16, v0
	v_ashrrev_i32_e32 v1, 31, v0
	global_store_dword v[2:3], v24, off
	v_lshl_add_u64 v[2:3], v[0:1], 2, v[6:7]
	v_add_u32_e32 v0, s16, v0
	v_ashrrev_i32_e32 v1, 31, v0
	global_store_dword v[2:3], v25, off
	;; [unrolled: 4-line block ×6, first 2 shown]
	v_lshl_add_u64 v[2:3], v[0:1], 2, v[6:7]
	v_add_u32_e32 v0, s16, v0
	v_ashrrev_i32_e32 v1, 31, v0
	v_lshl_add_u64 v[0:1], v[0:1], 2, v[6:7]
	global_store_dword v[2:3], v8, off
	global_store_dword v[0:1], v9, off
.LBB96_830:
	s_endpgm
	.section	.rodata,"a",@progbits
	.p2align	6, 0x0
	.amdhsa_kernel _ZN9rocsolver6v33100L18getf2_small_kernelILi49EfiiPfEEvT1_T3_lS3_lPS3_llPT2_S3_S3_S5_l
		.amdhsa_group_segment_fixed_size 0
		.amdhsa_private_segment_fixed_size 0
		.amdhsa_kernarg_size 352
		.amdhsa_user_sgpr_count 2
		.amdhsa_user_sgpr_dispatch_ptr 0
		.amdhsa_user_sgpr_queue_ptr 0
		.amdhsa_user_sgpr_kernarg_segment_ptr 1
		.amdhsa_user_sgpr_dispatch_id 0
		.amdhsa_user_sgpr_kernarg_preload_length 0
		.amdhsa_user_sgpr_kernarg_preload_offset 0
		.amdhsa_user_sgpr_private_segment_size 0
		.amdhsa_uses_dynamic_stack 0
		.amdhsa_enable_private_segment 0
		.amdhsa_system_sgpr_workgroup_id_x 1
		.amdhsa_system_sgpr_workgroup_id_y 1
		.amdhsa_system_sgpr_workgroup_id_z 0
		.amdhsa_system_sgpr_workgroup_info 0
		.amdhsa_system_vgpr_workitem_id 1
		.amdhsa_next_free_vgpr 76
		.amdhsa_next_free_sgpr 26
		.amdhsa_accum_offset 76
		.amdhsa_reserve_vcc 1
		.amdhsa_float_round_mode_32 0
		.amdhsa_float_round_mode_16_64 0
		.amdhsa_float_denorm_mode_32 3
		.amdhsa_float_denorm_mode_16_64 3
		.amdhsa_dx10_clamp 1
		.amdhsa_ieee_mode 1
		.amdhsa_fp16_overflow 0
		.amdhsa_tg_split 0
		.amdhsa_exception_fp_ieee_invalid_op 0
		.amdhsa_exception_fp_denorm_src 0
		.amdhsa_exception_fp_ieee_div_zero 0
		.amdhsa_exception_fp_ieee_overflow 0
		.amdhsa_exception_fp_ieee_underflow 0
		.amdhsa_exception_fp_ieee_inexact 0
		.amdhsa_exception_int_div_zero 0
	.end_amdhsa_kernel
	.section	.text._ZN9rocsolver6v33100L18getf2_small_kernelILi49EfiiPfEEvT1_T3_lS3_lPS3_llPT2_S3_S3_S5_l,"axG",@progbits,_ZN9rocsolver6v33100L18getf2_small_kernelILi49EfiiPfEEvT1_T3_lS3_lPS3_llPT2_S3_S3_S5_l,comdat
.Lfunc_end96:
	.size	_ZN9rocsolver6v33100L18getf2_small_kernelILi49EfiiPfEEvT1_T3_lS3_lPS3_llPT2_S3_S3_S5_l, .Lfunc_end96-_ZN9rocsolver6v33100L18getf2_small_kernelILi49EfiiPfEEvT1_T3_lS3_lPS3_llPT2_S3_S3_S5_l
                                        ; -- End function
	.set _ZN9rocsolver6v33100L18getf2_small_kernelILi49EfiiPfEEvT1_T3_lS3_lPS3_llPT2_S3_S3_S5_l.num_vgpr, 76
	.set _ZN9rocsolver6v33100L18getf2_small_kernelILi49EfiiPfEEvT1_T3_lS3_lPS3_llPT2_S3_S3_S5_l.num_agpr, 0
	.set _ZN9rocsolver6v33100L18getf2_small_kernelILi49EfiiPfEEvT1_T3_lS3_lPS3_llPT2_S3_S3_S5_l.numbered_sgpr, 26
	.set _ZN9rocsolver6v33100L18getf2_small_kernelILi49EfiiPfEEvT1_T3_lS3_lPS3_llPT2_S3_S3_S5_l.num_named_barrier, 0
	.set _ZN9rocsolver6v33100L18getf2_small_kernelILi49EfiiPfEEvT1_T3_lS3_lPS3_llPT2_S3_S3_S5_l.private_seg_size, 0
	.set _ZN9rocsolver6v33100L18getf2_small_kernelILi49EfiiPfEEvT1_T3_lS3_lPS3_llPT2_S3_S3_S5_l.uses_vcc, 1
	.set _ZN9rocsolver6v33100L18getf2_small_kernelILi49EfiiPfEEvT1_T3_lS3_lPS3_llPT2_S3_S3_S5_l.uses_flat_scratch, 0
	.set _ZN9rocsolver6v33100L18getf2_small_kernelILi49EfiiPfEEvT1_T3_lS3_lPS3_llPT2_S3_S3_S5_l.has_dyn_sized_stack, 0
	.set _ZN9rocsolver6v33100L18getf2_small_kernelILi49EfiiPfEEvT1_T3_lS3_lPS3_llPT2_S3_S3_S5_l.has_recursion, 0
	.set _ZN9rocsolver6v33100L18getf2_small_kernelILi49EfiiPfEEvT1_T3_lS3_lPS3_llPT2_S3_S3_S5_l.has_indirect_call, 0
	.section	.AMDGPU.csdata,"",@progbits
; Kernel info:
; codeLenInByte = 43364
; TotalNumSgprs: 32
; NumVgprs: 76
; NumAgprs: 0
; TotalNumVgprs: 76
; ScratchSize: 0
; MemoryBound: 0
; FloatMode: 240
; IeeeMode: 1
; LDSByteSize: 0 bytes/workgroup (compile time only)
; SGPRBlocks: 3
; VGPRBlocks: 9
; NumSGPRsForWavesPerEU: 32
; NumVGPRsForWavesPerEU: 76
; AccumOffset: 76
; Occupancy: 6
; WaveLimiterHint : 0
; COMPUTE_PGM_RSRC2:SCRATCH_EN: 0
; COMPUTE_PGM_RSRC2:USER_SGPR: 2
; COMPUTE_PGM_RSRC2:TRAP_HANDLER: 0
; COMPUTE_PGM_RSRC2:TGID_X_EN: 1
; COMPUTE_PGM_RSRC2:TGID_Y_EN: 1
; COMPUTE_PGM_RSRC2:TGID_Z_EN: 0
; COMPUTE_PGM_RSRC2:TIDIG_COMP_CNT: 1
; COMPUTE_PGM_RSRC3_GFX90A:ACCUM_OFFSET: 18
; COMPUTE_PGM_RSRC3_GFX90A:TG_SPLIT: 0
	.section	.text._ZN9rocsolver6v33100L23getf2_npvt_small_kernelILi49EfiiPfEEvT1_T3_lS3_lPT2_S3_S3_,"axG",@progbits,_ZN9rocsolver6v33100L23getf2_npvt_small_kernelILi49EfiiPfEEvT1_T3_lS3_lPT2_S3_S3_,comdat
	.globl	_ZN9rocsolver6v33100L23getf2_npvt_small_kernelILi49EfiiPfEEvT1_T3_lS3_lPT2_S3_S3_ ; -- Begin function _ZN9rocsolver6v33100L23getf2_npvt_small_kernelILi49EfiiPfEEvT1_T3_lS3_lPT2_S3_S3_
	.p2align	8
	.type	_ZN9rocsolver6v33100L23getf2_npvt_small_kernelILi49EfiiPfEEvT1_T3_lS3_lPT2_S3_S3_,@function
_ZN9rocsolver6v33100L23getf2_npvt_small_kernelILi49EfiiPfEEvT1_T3_lS3_lPT2_S3_S3_: ; @_ZN9rocsolver6v33100L23getf2_npvt_small_kernelILi49EfiiPfEEvT1_T3_lS3_lPT2_S3_S3_
; %bb.0:
	s_load_dword s2, s[0:1], 0x44
	s_load_dwordx2 s[8:9], s[0:1], 0x30
	v_bfe_u32 v150, v0, 10, 10
	s_waitcnt lgkmcnt(0)
	s_lshr_b32 s10, s2, 16
	s_mul_i32 s3, s3, s10
	v_add_u32_e32 v34, s3, v150
	v_cmp_gt_i32_e32 vcc, s8, v34
	s_and_saveexec_b64 s[2:3], vcc
	s_cbranch_execz .LBB97_272
; %bb.1:
	s_load_dwordx4 s[12:15], s[0:1], 0x8
	s_load_dword s2, s[0:1], 0x18
	s_load_dwordx4 s[4:7], s[0:1], 0x20
	v_and_b32_e32 v25, 0x3ff, v0
	v_ashrrev_i32_e32 v35, 31, v34
	s_waitcnt lgkmcnt(0)
	v_mov_b32_e32 v2, s12
	v_mov_b32_e32 v3, s13
	v_mad_u64_u32 v[0:1], s[0:1], s4, v34, 0
	s_add_i32 s0, s2, s2
	s_nop 0
	v_add_u32_e32 v6, s0, v25
	v_add_u32_e32 v8, s2, v6
	;; [unrolled: 1-line block ×42, first 2 shown]
	v_mul_lo_u32 v4, s5, v34
	v_mul_lo_u32 v5, s4, v35
	v_add_u32_e32 v134, s2, v132
	v_add3_u32 v1, v1, v5, v4
	v_add_u32_e32 v136, s2, v134
	v_lshl_add_u64 v[0:1], v[0:1], 2, v[2:3]
	v_add_u32_e32 v138, s2, v136
	v_lshl_add_u64 v[148:149], s[14:15], 2, v[0:1]
	v_lshlrev_b32_e32 v0, 2, v25
	v_mov_b32_e32 v1, 0
	v_ashrrev_i32_e32 v7, 31, v6
	v_ashrrev_i32_e32 v9, 31, v8
	;; [unrolled: 1-line block ×39, first 2 shown]
	v_add_u32_e32 v152, s2, v138
	s_ashr_i32 s3, s2, 31
	v_lshl_add_u64 v[0:1], v[148:149], 0, v[0:1]
	v_lshl_add_u64 v[4:5], v[6:7], 2, v[148:149]
	;; [unrolled: 1-line block ×40, first 2 shown]
	v_ashrrev_i32_e32 v129, 31, v128
	v_ashrrev_i32_e32 v131, 31, v130
	;; [unrolled: 1-line block ×7, first 2 shown]
	v_lshl_add_u64 v[2:3], s[2:3], 2, v[0:1]
	global_load_dword v24, v[0:1], off
	global_load_dword v18, v[2:3], off
	;; [unrolled: 1-line block ×40, first 2 shown]
	v_lshl_add_u64 v[126:127], v[128:129], 2, v[148:149]
	v_lshl_add_u64 v[128:129], v[130:131], 2, v[148:149]
	;; [unrolled: 1-line block ×7, first 2 shown]
	global_load_dword v121, v[124:125], off
	global_load_dword v144, v[126:127], off
	;; [unrolled: 1-line block ×8, first 2 shown]
	v_add_u32_e32 v152, s2, v152
	v_ashrrev_i32_e32 v153, 31, v152
	v_lshl_add_u64 v[148:149], v[152:153], 2, v[148:149]
	global_load_dword v147, v[148:149], off
	s_mulk_i32 s10, 0xc4
	v_cmp_eq_u32_e64 s[0:1], 0, v25
	v_cmp_ne_u32_e64 s[2:3], 0, v25
	s_movk_i32 s11, 0xc4
	s_add_i32 s8, s10, 0
	s_and_saveexec_b64 s[4:5], s[2:3]
	s_xor_b64 s[4:5], exec, s[4:5]
	s_or_saveexec_b64 s[4:5], s[4:5]
	v_mad_u32_u24 v151, v150, s11, 0
	v_lshl_add_u32 v150, v150, 2, s8
	s_xor_b64 exec, exec, s[4:5]
	s_cbranch_execz .LBB97_5
; %bb.2:
	s_waitcnt vmcnt(48)
	ds_write_b32 v150, v24
	s_waitcnt vmcnt(46)
	ds_write2_b32 v151, v18, v19 offset0:1 offset1:2
	s_waitcnt vmcnt(44)
	ds_write2_b32 v151, v20, v21 offset0:3 offset1:4
	;; [unrolled: 2-line block ×24, first 2 shown]
	ds_read_b32 v152, v150
	s_waitcnt lgkmcnt(0)
	v_cmp_neq_f32_e32 vcc, 0, v152
	s_and_saveexec_b64 s[10:11], vcc
	s_cbranch_execz .LBB97_4
; %bb.3:
	v_div_scale_f32 v153, s[12:13], v152, v152, 1.0
	v_rcp_f32_e32 v154, v153
	v_div_scale_f32 v155, vcc, 1.0, v152, 1.0
	v_fma_f32 v156, -v153, v154, 1.0
	v_fmac_f32_e32 v154, v156, v154
	v_mul_f32_e32 v156, v155, v154
	v_fma_f32 v157, -v153, v156, v155
	v_fmac_f32_e32 v156, v157, v154
	v_fma_f32 v153, -v153, v156, v155
	v_div_fmas_f32 v153, v153, v154, v156
	v_div_fixup_f32 v152, v153, v152, 1.0
	ds_write_b32 v150, v152
.LBB97_4:
	s_or_b64 exec, exec, s[10:11]
.LBB97_5:
	s_or_b64 exec, exec, s[4:5]
	s_waitcnt lgkmcnt(0)
	s_barrier
	ds_read_b32 v152, v150
	s_and_saveexec_b64 s[4:5], s[2:3]
	s_cbranch_execz .LBB97_7
; %bb.6:
	ds_read2_b32 v[154:155], v151 offset0:1 offset1:2
	ds_read2_b32 v[156:157], v151 offset0:3 offset1:4
	;; [unrolled: 1-line block ×3, first 2 shown]
	s_waitcnt vmcnt(48) lgkmcnt(3)
	v_mul_f32_e32 v24, v152, v24
	ds_read2_b32 v[160:161], v151 offset0:7 offset1:8
	s_waitcnt vmcnt(46) lgkmcnt(3)
	v_pk_fma_f32 v[18:19], v[24:25], v[154:155], v[18:19] op_sel_hi:[0,1,1] neg_lo:[1,0,0] neg_hi:[1,0,0]
	s_waitcnt vmcnt(44) lgkmcnt(2)
	v_pk_fma_f32 v[20:21], v[24:25], v[156:157], v[20:21] op_sel_hi:[0,1,1] neg_lo:[1,0,0] neg_hi:[1,0,0]
	s_waitcnt vmcnt(42) lgkmcnt(1)
	v_pk_fma_f32 v[22:23], v[24:25], v[158:159], v[22:23] op_sel_hi:[0,1,1] neg_lo:[1,0,0] neg_hi:[1,0,0]
	ds_read2_b32 v[154:155], v151 offset0:9 offset1:10
	ds_read2_b32 v[156:157], v151 offset0:11 offset1:12
	ds_read2_b32 v[158:159], v151 offset0:13 offset1:14
	s_waitcnt vmcnt(40) lgkmcnt(3)
	v_pk_fma_f32 v[16:17], v[24:25], v[160:161], v[16:17] op_sel_hi:[0,1,1] neg_lo:[1,0,0] neg_hi:[1,0,0]
	ds_read2_b32 v[160:161], v151 offset0:15 offset1:16
	s_waitcnt vmcnt(38) lgkmcnt(3)
	v_pk_fma_f32 v[46:47], v[24:25], v[154:155], v[46:47] op_sel_hi:[0,1,1] neg_lo:[1,0,0] neg_hi:[1,0,0]
	s_waitcnt vmcnt(36) lgkmcnt(2)
	v_pk_fma_f32 v[50:51], v[24:25], v[156:157], v[50:51] op_sel_hi:[0,1,1] neg_lo:[1,0,0] neg_hi:[1,0,0]
	s_waitcnt vmcnt(34) lgkmcnt(1)
	v_pk_fma_f32 v[44:45], v[24:25], v[158:159], v[44:45] op_sel_hi:[0,1,1] neg_lo:[1,0,0] neg_hi:[1,0,0]
	ds_read2_b32 v[154:155], v151 offset0:17 offset1:18
	ds_read2_b32 v[156:157], v151 offset0:19 offset1:20
	ds_read2_b32 v[158:159], v151 offset0:21 offset1:22
	s_waitcnt vmcnt(32) lgkmcnt(3)
	v_pk_fma_f32 v[48:49], v[24:25], v[160:161], v[48:49] op_sel_hi:[0,1,1] neg_lo:[1,0,0] neg_hi:[1,0,0]
	;; [unrolled: 12-line block ×4, first 2 shown]
	ds_read2_b32 v[160:161], v151 offset0:39 offset1:40
	s_waitcnt vmcnt(14) lgkmcnt(3)
	v_pk_fma_f32 v[118:119], v[24:25], v[154:155], v[118:119] op_sel_hi:[0,1,1] neg_lo:[1,0,0] neg_hi:[1,0,0]
	s_waitcnt vmcnt(12) lgkmcnt(2)
	v_pk_fma_f32 v[122:123], v[24:25], v[156:157], v[122:123] op_sel_hi:[0,1,1] neg_lo:[1,0,0] neg_hi:[1,0,0]
	;; [unrolled: 2-line block ×3, first 2 shown]
	ds_read2_b32 v[154:155], v151 offset0:41 offset1:42
	ds_read2_b32 v[156:157], v151 offset0:43 offset1:44
	;; [unrolled: 1-line block ×4, first 2 shown]
	s_waitcnt vmcnt(8) lgkmcnt(4)
	v_pk_fma_f32 v[120:121], v[24:25], v[160:161], v[120:121] op_sel_hi:[0,1,1] neg_lo:[1,0,0] neg_hi:[1,0,0]
	s_waitcnt vmcnt(6) lgkmcnt(3)
	v_pk_fma_f32 v[144:145], v[24:25], v[154:155], v[144:145] op_sel_hi:[0,1,1] neg_lo:[1,0,0] neg_hi:[1,0,0]
	;; [unrolled: 2-line block ×5, first 2 shown]
.LBB97_7:
	s_or_b64 exec, exec, s[4:5]
	v_cmp_eq_u32_e32 vcc, 1, v25
	s_waitcnt lgkmcnt(0)
	s_barrier
	s_and_saveexec_b64 s[2:3], vcc
	s_cbranch_execz .LBB97_10
; %bb.8:
	s_waitcnt vmcnt(44)
	v_pk_mov_b32 v[154:155], v[18:19], v[20:21] op_sel:[1,0]
	ds_write_b32 v150, v18
	ds_write2_b32 v151, v154, v155 offset0:2 offset1:3
	s_waitcnt vmcnt(42)
	v_pk_mov_b32 v[154:155], v[20:21], v[22:23] op_sel:[1,0]
	ds_write2_b32 v151, v154, v155 offset0:4 offset1:5
	s_waitcnt vmcnt(40)
	v_pk_mov_b32 v[154:155], v[22:23], v[16:17] op_sel:[1,0]
	;; [unrolled: 3-line block ×22, first 2 shown]
	ds_write2_b32 v151, v154, v155 offset0:46 offset1:47
	ds_write_b32 v151, v147 offset:192
	ds_read_b32 v153, v150
	s_waitcnt lgkmcnt(0)
	v_cmp_neq_f32_e32 vcc, 0, v153
	s_and_b64 exec, exec, vcc
	s_cbranch_execz .LBB97_10
; %bb.9:
	v_div_scale_f32 v154, s[4:5], v153, v153, 1.0
	v_rcp_f32_e32 v155, v154
	v_div_scale_f32 v156, vcc, 1.0, v153, 1.0
	v_fma_f32 v157, -v154, v155, 1.0
	v_fmac_f32_e32 v155, v157, v155
	v_mul_f32_e32 v157, v156, v155
	v_fma_f32 v158, -v154, v157, v156
	v_fmac_f32_e32 v157, v158, v155
	v_fma_f32 v154, -v154, v157, v156
	v_div_fmas_f32 v154, v154, v155, v157
	v_div_fixup_f32 v153, v154, v153, 1.0
	ds_write_b32 v150, v153
.LBB97_10:
	s_or_b64 exec, exec, s[2:3]
	s_waitcnt lgkmcnt(0)
	s_barrier
	ds_read_b32 v153, v150
	v_cmp_lt_u32_e32 vcc, 1, v25
	s_and_saveexec_b64 s[2:3], vcc
	s_cbranch_execz .LBB97_12
; %bb.11:
	ds_read_b32 v160, v151 offset:8
	ds_read2_b32 v[154:155], v151 offset0:3 offset1:4
	ds_read2_b32 v[156:157], v151 offset0:5 offset1:6
	s_waitcnt vmcnt(47) lgkmcnt(3)
	v_mul_f32_e32 v18, v153, v18
	ds_read2_b32 v[158:159], v151 offset0:7 offset1:8
	s_waitcnt vmcnt(46) lgkmcnt(3)
	v_fma_f32 v19, -v18, v160, v19
	s_waitcnt vmcnt(44) lgkmcnt(2)
	v_pk_fma_f32 v[20:21], v[18:19], v[154:155], v[20:21] op_sel_hi:[0,1,1] neg_lo:[1,0,0] neg_hi:[1,0,0]
	s_waitcnt vmcnt(42) lgkmcnt(1)
	v_pk_fma_f32 v[22:23], v[18:19], v[156:157], v[22:23] op_sel_hi:[0,1,1] neg_lo:[1,0,0] neg_hi:[1,0,0]
	ds_read2_b32 v[154:155], v151 offset0:9 offset1:10
	ds_read2_b32 v[156:157], v151 offset0:11 offset1:12
	ds_read2_b32 v[160:161], v151 offset0:13 offset1:14
	s_waitcnt vmcnt(40) lgkmcnt(3)
	v_pk_fma_f32 v[16:17], v[18:19], v[158:159], v[16:17] op_sel_hi:[0,1,1] neg_lo:[1,0,0] neg_hi:[1,0,0]
	ds_read2_b32 v[158:159], v151 offset0:15 offset1:16
	s_waitcnt vmcnt(38) lgkmcnt(3)
	v_pk_fma_f32 v[46:47], v[18:19], v[154:155], v[46:47] op_sel_hi:[0,1,1] neg_lo:[1,0,0] neg_hi:[1,0,0]
	s_waitcnt vmcnt(36) lgkmcnt(2)
	v_pk_fma_f32 v[50:51], v[18:19], v[156:157], v[50:51] op_sel_hi:[0,1,1] neg_lo:[1,0,0] neg_hi:[1,0,0]
	s_waitcnt vmcnt(34) lgkmcnt(1)
	v_pk_fma_f32 v[44:45], v[18:19], v[160:161], v[44:45] op_sel_hi:[0,1,1] neg_lo:[1,0,0] neg_hi:[1,0,0]
	ds_read2_b32 v[154:155], v151 offset0:17 offset1:18
	ds_read2_b32 v[156:157], v151 offset0:19 offset1:20
	ds_read2_b32 v[160:161], v151 offset0:21 offset1:22
	s_waitcnt vmcnt(32) lgkmcnt(3)
	v_pk_fma_f32 v[48:49], v[18:19], v[158:159], v[48:49] op_sel_hi:[0,1,1] neg_lo:[1,0,0] neg_hi:[1,0,0]
	ds_read2_b32 v[158:159], v151 offset0:23 offset1:24
	s_waitcnt vmcnt(30) lgkmcnt(3)
	v_pk_fma_f32 v[74:75], v[18:19], v[154:155], v[74:75] op_sel_hi:[0,1,1] neg_lo:[1,0,0] neg_hi:[1,0,0]
	;; [unrolled: 12-line block ×4, first 2 shown]
	s_waitcnt vmcnt(12) lgkmcnt(2)
	v_pk_fma_f32 v[122:123], v[18:19], v[156:157], v[122:123] op_sel_hi:[0,1,1] neg_lo:[1,0,0] neg_hi:[1,0,0]
	s_waitcnt vmcnt(10) lgkmcnt(1)
	v_pk_fma_f32 v[116:117], v[18:19], v[160:161], v[116:117] op_sel_hi:[0,1,1] neg_lo:[1,0,0] neg_hi:[1,0,0]
	ds_read2_b32 v[154:155], v151 offset0:41 offset1:42
	ds_read2_b32 v[156:157], v151 offset0:43 offset1:44
	;; [unrolled: 1-line block ×4, first 2 shown]
	s_waitcnt vmcnt(8) lgkmcnt(4)
	v_pk_fma_f32 v[120:121], v[18:19], v[158:159], v[120:121] op_sel_hi:[0,1,1] neg_lo:[1,0,0] neg_hi:[1,0,0]
	s_waitcnt vmcnt(6) lgkmcnt(3)
	v_pk_fma_f32 v[144:145], v[18:19], v[154:155], v[144:145] op_sel_hi:[0,1,1] neg_lo:[1,0,0] neg_hi:[1,0,0]
	;; [unrolled: 2-line block ×5, first 2 shown]
.LBB97_12:
	s_or_b64 exec, exec, s[2:3]
	v_cmp_eq_u32_e32 vcc, 2, v25
	s_waitcnt lgkmcnt(0)
	s_barrier
	s_and_saveexec_b64 s[2:3], vcc
	s_cbranch_execz .LBB97_15
; %bb.13:
	s_waitcnt vmcnt(46)
	ds_write_b32 v150, v19
	s_waitcnt vmcnt(44)
	ds_write2_b32 v151, v20, v21 offset0:3 offset1:4
	s_waitcnt vmcnt(42)
	ds_write2_b32 v151, v22, v23 offset0:5 offset1:6
	s_waitcnt vmcnt(40)
	ds_write2_b32 v151, v16, v17 offset0:7 offset1:8
	s_waitcnt vmcnt(38)
	ds_write2_b32 v151, v46, v47 offset0:9 offset1:10
	s_waitcnt vmcnt(36)
	ds_write2_b32 v151, v50, v51 offset0:11 offset1:12
	s_waitcnt vmcnt(34)
	ds_write2_b32 v151, v44, v45 offset0:13 offset1:14
	s_waitcnt vmcnt(32)
	ds_write2_b32 v151, v48, v49 offset0:15 offset1:16
	s_waitcnt vmcnt(30)
	ds_write2_b32 v151, v74, v75 offset0:17 offset1:18
	s_waitcnt vmcnt(28)
	ds_write2_b32 v151, v68, v69 offset0:19 offset1:20
	s_waitcnt vmcnt(26)
	ds_write2_b32 v151, v70, v71 offset0:21 offset1:22
	s_waitcnt vmcnt(24)
	ds_write2_b32 v151, v72, v73 offset0:23 offset1:24
	s_waitcnt vmcnt(22)
	ds_write2_b32 v151, v94, v95 offset0:25 offset1:26
	s_waitcnt vmcnt(20)
	ds_write2_b32 v151, v96, v97 offset0:27 offset1:28
	s_waitcnt vmcnt(18)
	ds_write2_b32 v151, v98, v99 offset0:29 offset1:30
	s_waitcnt vmcnt(16)
	ds_write2_b32 v151, v92, v93 offset0:31 offset1:32
	s_waitcnt vmcnt(14)
	ds_write2_b32 v151, v118, v119 offset0:33 offset1:34
	s_waitcnt vmcnt(12)
	ds_write2_b32 v151, v122, v123 offset0:35 offset1:36
	s_waitcnt vmcnt(10)
	ds_write2_b32 v151, v116, v117 offset0:37 offset1:38
	s_waitcnt vmcnt(8)
	ds_write2_b32 v151, v120, v121 offset0:39 offset1:40
	s_waitcnt vmcnt(6)
	ds_write2_b32 v151, v144, v145 offset0:41 offset1:42
	s_waitcnt vmcnt(4)
	ds_write2_b32 v151, v140, v141 offset0:43 offset1:44
	s_waitcnt vmcnt(2)
	ds_write2_b32 v151, v142, v143 offset0:45 offset1:46
	s_waitcnt vmcnt(0)
	ds_write2_b32 v151, v146, v147 offset0:47 offset1:48
	ds_read_b32 v154, v150
	s_waitcnt lgkmcnt(0)
	v_cmp_neq_f32_e32 vcc, 0, v154
	s_and_b64 exec, exec, vcc
	s_cbranch_execz .LBB97_15
; %bb.14:
	v_div_scale_f32 v155, s[4:5], v154, v154, 1.0
	v_rcp_f32_e32 v156, v155
	v_div_scale_f32 v157, vcc, 1.0, v154, 1.0
	v_fma_f32 v158, -v155, v156, 1.0
	v_fmac_f32_e32 v156, v158, v156
	v_mul_f32_e32 v158, v157, v156
	v_fma_f32 v159, -v155, v158, v157
	v_fmac_f32_e32 v158, v159, v156
	v_fma_f32 v155, -v155, v158, v157
	v_div_fmas_f32 v155, v155, v156, v158
	v_div_fixup_f32 v154, v155, v154, 1.0
	ds_write_b32 v150, v154
.LBB97_15:
	s_or_b64 exec, exec, s[2:3]
	s_waitcnt lgkmcnt(0)
	s_barrier
	ds_read_b32 v154, v150
	v_cmp_lt_u32_e32 vcc, 2, v25
	s_and_saveexec_b64 s[2:3], vcc
	s_cbranch_execz .LBB97_17
; %bb.16:
	ds_read2_b32 v[156:157], v151 offset0:3 offset1:4
	ds_read2_b32 v[158:159], v151 offset0:5 offset1:6
	;; [unrolled: 1-line block ×3, first 2 shown]
	s_waitcnt vmcnt(46) lgkmcnt(3)
	v_mul_f32_e32 v162, v154, v19
	ds_read2_b32 v[164:165], v151 offset0:9 offset1:10
	s_waitcnt vmcnt(44) lgkmcnt(3)
	v_pk_fma_f32 v[20:21], v[162:163], v[156:157], v[20:21] op_sel_hi:[0,1,1] neg_lo:[1,0,0] neg_hi:[1,0,0]
	s_waitcnt vmcnt(42) lgkmcnt(2)
	v_pk_fma_f32 v[22:23], v[162:163], v[158:159], v[22:23] op_sel_hi:[0,1,1] neg_lo:[1,0,0] neg_hi:[1,0,0]
	s_waitcnt vmcnt(40) lgkmcnt(1)
	v_pk_fma_f32 v[16:17], v[162:163], v[160:161], v[16:17] op_sel_hi:[0,1,1] neg_lo:[1,0,0] neg_hi:[1,0,0]
	ds_read2_b32 v[156:157], v151 offset0:11 offset1:12
	ds_read2_b32 v[158:159], v151 offset0:13 offset1:14
	ds_read2_b32 v[160:161], v151 offset0:15 offset1:16
	s_waitcnt vmcnt(38) lgkmcnt(3)
	v_pk_fma_f32 v[46:47], v[162:163], v[164:165], v[46:47] op_sel_hi:[0,1,1] neg_lo:[1,0,0] neg_hi:[1,0,0]
	ds_read2_b32 v[164:165], v151 offset0:17 offset1:18
	s_waitcnt vmcnt(36) lgkmcnt(3)
	v_pk_fma_f32 v[50:51], v[162:163], v[156:157], v[50:51] op_sel_hi:[0,1,1] neg_lo:[1,0,0] neg_hi:[1,0,0]
	s_waitcnt vmcnt(34) lgkmcnt(2)
	v_pk_fma_f32 v[44:45], v[162:163], v[158:159], v[44:45] op_sel_hi:[0,1,1] neg_lo:[1,0,0] neg_hi:[1,0,0]
	s_waitcnt vmcnt(32) lgkmcnt(1)
	v_pk_fma_f32 v[48:49], v[162:163], v[160:161], v[48:49] op_sel_hi:[0,1,1] neg_lo:[1,0,0] neg_hi:[1,0,0]
	ds_read2_b32 v[156:157], v151 offset0:19 offset1:20
	ds_read2_b32 v[158:159], v151 offset0:21 offset1:22
	ds_read2_b32 v[160:161], v151 offset0:23 offset1:24
	s_waitcnt vmcnt(30) lgkmcnt(3)
	v_pk_fma_f32 v[74:75], v[162:163], v[164:165], v[74:75] op_sel_hi:[0,1,1] neg_lo:[1,0,0] neg_hi:[1,0,0]
	;; [unrolled: 12-line block ×3, first 2 shown]
	ds_read2_b32 v[164:165], v151 offset0:33 offset1:34
	s_waitcnt vmcnt(20) lgkmcnt(3)
	v_pk_fma_f32 v[96:97], v[162:163], v[156:157], v[96:97] op_sel_hi:[0,1,1] neg_lo:[1,0,0] neg_hi:[1,0,0]
	s_waitcnt vmcnt(18) lgkmcnt(2)
	v_pk_fma_f32 v[98:99], v[162:163], v[158:159], v[98:99] op_sel_hi:[0,1,1] neg_lo:[1,0,0] neg_hi:[1,0,0]
	ds_read2_b32 v[156:157], v151 offset0:35 offset1:36
	ds_read2_b32 v[158:159], v151 offset0:37 offset1:38
	s_waitcnt vmcnt(16) lgkmcnt(3)
	v_pk_fma_f32 v[92:93], v[162:163], v[160:161], v[92:93] op_sel_hi:[0,1,1] neg_lo:[1,0,0] neg_hi:[1,0,0]
	s_waitcnt vmcnt(14) lgkmcnt(2)
	v_pk_fma_f32 v[118:119], v[162:163], v[164:165], v[118:119] op_sel_hi:[0,1,1] neg_lo:[1,0,0] neg_hi:[1,0,0]
	ds_read2_b32 v[160:161], v151 offset0:39 offset1:40
	;; [unrolled: 6-line block ×3, first 2 shown]
	ds_read2_b32 v[158:159], v151 offset0:45 offset1:46
	ds_read2_b32 v[166:167], v151 offset0:47 offset1:48
	s_waitcnt vmcnt(8) lgkmcnt(4)
	v_pk_fma_f32 v[120:121], v[162:163], v[160:161], v[120:121] op_sel_hi:[0,1,1] neg_lo:[1,0,0] neg_hi:[1,0,0]
	s_waitcnt vmcnt(6) lgkmcnt(3)
	v_pk_fma_f32 v[144:145], v[162:163], v[164:165], v[144:145] op_sel_hi:[0,1,1] neg_lo:[1,0,0] neg_hi:[1,0,0]
	;; [unrolled: 2-line block ×5, first 2 shown]
	v_mov_b32_e32 v19, v162
.LBB97_17:
	s_or_b64 exec, exec, s[2:3]
	v_cmp_eq_u32_e32 vcc, 3, v25
	s_waitcnt lgkmcnt(0)
	s_barrier
	s_and_saveexec_b64 s[2:3], vcc
	s_cbranch_execz .LBB97_20
; %bb.18:
	s_waitcnt vmcnt(42)
	v_pk_mov_b32 v[156:157], v[20:21], v[22:23] op_sel:[1,0]
	ds_write_b32 v150, v20
	ds_write2_b32 v151, v156, v157 offset0:4 offset1:5
	s_waitcnt vmcnt(40)
	v_pk_mov_b32 v[156:157], v[22:23], v[16:17] op_sel:[1,0]
	ds_write2_b32 v151, v156, v157 offset0:6 offset1:7
	s_waitcnt vmcnt(38)
	v_pk_mov_b32 v[156:157], v[16:17], v[46:47] op_sel:[1,0]
	;; [unrolled: 3-line block ×21, first 2 shown]
	ds_write2_b32 v151, v156, v157 offset0:46 offset1:47
	ds_write_b32 v151, v147 offset:192
	ds_read_b32 v155, v150
	s_waitcnt lgkmcnt(0)
	v_cmp_neq_f32_e32 vcc, 0, v155
	s_and_b64 exec, exec, vcc
	s_cbranch_execz .LBB97_20
; %bb.19:
	v_div_scale_f32 v156, s[4:5], v155, v155, 1.0
	v_rcp_f32_e32 v157, v156
	v_div_scale_f32 v158, vcc, 1.0, v155, 1.0
	v_fma_f32 v159, -v156, v157, 1.0
	v_fmac_f32_e32 v157, v159, v157
	v_mul_f32_e32 v159, v158, v157
	v_fma_f32 v160, -v156, v159, v158
	v_fmac_f32_e32 v159, v160, v157
	v_fma_f32 v156, -v156, v159, v158
	v_div_fmas_f32 v156, v156, v157, v159
	v_div_fixup_f32 v155, v156, v155, 1.0
	ds_write_b32 v150, v155
.LBB97_20:
	s_or_b64 exec, exec, s[2:3]
	s_waitcnt lgkmcnt(0)
	s_barrier
	ds_read_b32 v155, v150
	v_cmp_lt_u32_e32 vcc, 3, v25
	s_and_saveexec_b64 s[2:3], vcc
	s_cbranch_execz .LBB97_22
; %bb.21:
	ds_read_b32 v162, v151 offset:16
	ds_read2_b32 v[156:157], v151 offset0:5 offset1:6
	ds_read2_b32 v[158:159], v151 offset0:7 offset1:8
	s_waitcnt vmcnt(45) lgkmcnt(3)
	v_mul_f32_e32 v20, v155, v20
	ds_read2_b32 v[160:161], v151 offset0:9 offset1:10
	s_waitcnt vmcnt(44) lgkmcnt(3)
	v_fma_f32 v21, -v20, v162, v21
	s_waitcnt vmcnt(42) lgkmcnt(2)
	v_pk_fma_f32 v[22:23], v[20:21], v[156:157], v[22:23] op_sel_hi:[0,1,1] neg_lo:[1,0,0] neg_hi:[1,0,0]
	s_waitcnt vmcnt(40) lgkmcnt(1)
	v_pk_fma_f32 v[16:17], v[20:21], v[158:159], v[16:17] op_sel_hi:[0,1,1] neg_lo:[1,0,0] neg_hi:[1,0,0]
	ds_read2_b32 v[156:157], v151 offset0:11 offset1:12
	ds_read2_b32 v[158:159], v151 offset0:13 offset1:14
	ds_read2_b32 v[162:163], v151 offset0:15 offset1:16
	s_waitcnt vmcnt(38) lgkmcnt(3)
	v_pk_fma_f32 v[46:47], v[20:21], v[160:161], v[46:47] op_sel_hi:[0,1,1] neg_lo:[1,0,0] neg_hi:[1,0,0]
	ds_read2_b32 v[160:161], v151 offset0:17 offset1:18
	s_waitcnt vmcnt(36) lgkmcnt(3)
	v_pk_fma_f32 v[50:51], v[20:21], v[156:157], v[50:51] op_sel_hi:[0,1,1] neg_lo:[1,0,0] neg_hi:[1,0,0]
	s_waitcnt vmcnt(34) lgkmcnt(2)
	v_pk_fma_f32 v[44:45], v[20:21], v[158:159], v[44:45] op_sel_hi:[0,1,1] neg_lo:[1,0,0] neg_hi:[1,0,0]
	s_waitcnt vmcnt(32) lgkmcnt(1)
	v_pk_fma_f32 v[48:49], v[20:21], v[162:163], v[48:49] op_sel_hi:[0,1,1] neg_lo:[1,0,0] neg_hi:[1,0,0]
	ds_read2_b32 v[156:157], v151 offset0:19 offset1:20
	ds_read2_b32 v[158:159], v151 offset0:21 offset1:22
	ds_read2_b32 v[162:163], v151 offset0:23 offset1:24
	s_waitcnt vmcnt(30) lgkmcnt(3)
	v_pk_fma_f32 v[74:75], v[20:21], v[160:161], v[74:75] op_sel_hi:[0,1,1] neg_lo:[1,0,0] neg_hi:[1,0,0]
	ds_read2_b32 v[160:161], v151 offset0:25 offset1:26
	s_waitcnt vmcnt(28) lgkmcnt(3)
	v_pk_fma_f32 v[68:69], v[20:21], v[156:157], v[68:69] op_sel_hi:[0,1,1] neg_lo:[1,0,0] neg_hi:[1,0,0]
	;; [unrolled: 12-line block ×3, first 2 shown]
	s_waitcnt vmcnt(18) lgkmcnt(2)
	v_pk_fma_f32 v[98:99], v[20:21], v[158:159], v[98:99] op_sel_hi:[0,1,1] neg_lo:[1,0,0] neg_hi:[1,0,0]
	ds_read2_b32 v[156:157], v151 offset0:35 offset1:36
	ds_read2_b32 v[158:159], v151 offset0:37 offset1:38
	s_waitcnt vmcnt(16) lgkmcnt(3)
	v_pk_fma_f32 v[92:93], v[20:21], v[162:163], v[92:93] op_sel_hi:[0,1,1] neg_lo:[1,0,0] neg_hi:[1,0,0]
	s_waitcnt vmcnt(14) lgkmcnt(2)
	v_pk_fma_f32 v[118:119], v[20:21], v[160:161], v[118:119] op_sel_hi:[0,1,1] neg_lo:[1,0,0] neg_hi:[1,0,0]
	ds_read2_b32 v[160:161], v151 offset0:39 offset1:40
	ds_read2_b32 v[162:163], v151 offset0:41 offset1:42
	s_waitcnt vmcnt(12) lgkmcnt(3)
	v_pk_fma_f32 v[122:123], v[20:21], v[156:157], v[122:123] op_sel_hi:[0,1,1] neg_lo:[1,0,0] neg_hi:[1,0,0]
	s_waitcnt vmcnt(10) lgkmcnt(2)
	v_pk_fma_f32 v[116:117], v[20:21], v[158:159], v[116:117] op_sel_hi:[0,1,1] neg_lo:[1,0,0] neg_hi:[1,0,0]
	ds_read2_b32 v[156:157], v151 offset0:43 offset1:44
	ds_read2_b32 v[158:159], v151 offset0:45 offset1:46
	;; [unrolled: 1-line block ×3, first 2 shown]
	s_waitcnt vmcnt(8) lgkmcnt(4)
	v_pk_fma_f32 v[120:121], v[20:21], v[160:161], v[120:121] op_sel_hi:[0,1,1] neg_lo:[1,0,0] neg_hi:[1,0,0]
	s_waitcnt vmcnt(6) lgkmcnt(3)
	v_pk_fma_f32 v[144:145], v[20:21], v[162:163], v[144:145] op_sel_hi:[0,1,1] neg_lo:[1,0,0] neg_hi:[1,0,0]
	;; [unrolled: 2-line block ×5, first 2 shown]
.LBB97_22:
	s_or_b64 exec, exec, s[2:3]
	v_cmp_ne_u32_e32 vcc, 4, v25
	s_waitcnt lgkmcnt(0)
	s_barrier
	s_and_saveexec_b64 s[2:3], vcc
	s_xor_b64 s[2:3], exec, s[2:3]
	s_andn2_saveexec_b64 s[2:3], s[2:3]
	s_cbranch_execz .LBB97_26
; %bb.23:
	s_waitcnt vmcnt(44)
	ds_write_b32 v150, v21
	s_waitcnt vmcnt(42)
	ds_write2_b32 v151, v22, v23 offset0:5 offset1:6
	s_waitcnt vmcnt(40)
	ds_write2_b32 v151, v16, v17 offset0:7 offset1:8
	s_waitcnt vmcnt(38)
	ds_write2_b32 v151, v46, v47 offset0:9 offset1:10
	s_waitcnt vmcnt(36)
	ds_write2_b32 v151, v50, v51 offset0:11 offset1:12
	s_waitcnt vmcnt(34)
	ds_write2_b32 v151, v44, v45 offset0:13 offset1:14
	s_waitcnt vmcnt(32)
	ds_write2_b32 v151, v48, v49 offset0:15 offset1:16
	s_waitcnt vmcnt(30)
	ds_write2_b32 v151, v74, v75 offset0:17 offset1:18
	s_waitcnt vmcnt(28)
	ds_write2_b32 v151, v68, v69 offset0:19 offset1:20
	s_waitcnt vmcnt(26)
	ds_write2_b32 v151, v70, v71 offset0:21 offset1:22
	s_waitcnt vmcnt(24)
	ds_write2_b32 v151, v72, v73 offset0:23 offset1:24
	s_waitcnt vmcnt(22)
	ds_write2_b32 v151, v94, v95 offset0:25 offset1:26
	s_waitcnt vmcnt(20)
	ds_write2_b32 v151, v96, v97 offset0:27 offset1:28
	s_waitcnt vmcnt(18)
	ds_write2_b32 v151, v98, v99 offset0:29 offset1:30
	s_waitcnt vmcnt(16)
	ds_write2_b32 v151, v92, v93 offset0:31 offset1:32
	s_waitcnt vmcnt(14)
	ds_write2_b32 v151, v118, v119 offset0:33 offset1:34
	s_waitcnt vmcnt(12)
	ds_write2_b32 v151, v122, v123 offset0:35 offset1:36
	s_waitcnt vmcnt(10)
	ds_write2_b32 v151, v116, v117 offset0:37 offset1:38
	s_waitcnt vmcnt(8)
	ds_write2_b32 v151, v120, v121 offset0:39 offset1:40
	s_waitcnt vmcnt(6)
	ds_write2_b32 v151, v144, v145 offset0:41 offset1:42
	s_waitcnt vmcnt(4)
	ds_write2_b32 v151, v140, v141 offset0:43 offset1:44
	s_waitcnt vmcnt(2)
	ds_write2_b32 v151, v142, v143 offset0:45 offset1:46
	s_waitcnt vmcnt(0)
	ds_write2_b32 v151, v146, v147 offset0:47 offset1:48
	ds_read_b32 v156, v150
	s_waitcnt lgkmcnt(0)
	v_cmp_neq_f32_e32 vcc, 0, v156
	s_and_saveexec_b64 s[4:5], vcc
	s_cbranch_execz .LBB97_25
; %bb.24:
	v_div_scale_f32 v157, s[10:11], v156, v156, 1.0
	v_rcp_f32_e32 v158, v157
	v_div_scale_f32 v159, vcc, 1.0, v156, 1.0
	v_fma_f32 v160, -v157, v158, 1.0
	v_fmac_f32_e32 v158, v160, v158
	v_mul_f32_e32 v160, v159, v158
	v_fma_f32 v161, -v157, v160, v159
	v_fmac_f32_e32 v160, v161, v158
	v_fma_f32 v157, -v157, v160, v159
	v_div_fmas_f32 v157, v157, v158, v160
	v_div_fixup_f32 v156, v157, v156, 1.0
	ds_write_b32 v150, v156
.LBB97_25:
	s_or_b64 exec, exec, s[4:5]
.LBB97_26:
	s_or_b64 exec, exec, s[2:3]
	s_waitcnt lgkmcnt(0)
	s_barrier
	ds_read_b32 v156, v150
	v_cmp_lt_u32_e32 vcc, 4, v25
	s_and_saveexec_b64 s[2:3], vcc
	s_cbranch_execz .LBB97_28
; %bb.27:
	ds_read2_b32 v[158:159], v151 offset0:5 offset1:6
	ds_read2_b32 v[160:161], v151 offset0:7 offset1:8
	;; [unrolled: 1-line block ×4, first 2 shown]
	s_waitcnt vmcnt(44) lgkmcnt(4)
	v_mul_f32_e32 v164, v156, v21
	s_waitcnt vmcnt(42) lgkmcnt(3)
	v_pk_fma_f32 v[22:23], v[164:165], v[158:159], v[22:23] op_sel_hi:[0,1,1] neg_lo:[1,0,0] neg_hi:[1,0,0]
	s_waitcnt vmcnt(40) lgkmcnt(2)
	v_pk_fma_f32 v[16:17], v[164:165], v[160:161], v[16:17] op_sel_hi:[0,1,1] neg_lo:[1,0,0] neg_hi:[1,0,0]
	s_waitcnt vmcnt(38) lgkmcnt(1)
	v_pk_fma_f32 v[46:47], v[164:165], v[162:163], v[46:47] op_sel_hi:[0,1,1] neg_lo:[1,0,0] neg_hi:[1,0,0]
	ds_read2_b32 v[158:159], v151 offset0:13 offset1:14
	ds_read2_b32 v[160:161], v151 offset0:15 offset1:16
	ds_read2_b32 v[162:163], v151 offset0:17 offset1:18
	s_waitcnt vmcnt(36) lgkmcnt(3)
	v_pk_fma_f32 v[50:51], v[164:165], v[166:167], v[50:51] op_sel_hi:[0,1,1] neg_lo:[1,0,0] neg_hi:[1,0,0]
	ds_read2_b32 v[166:167], v151 offset0:19 offset1:20
	s_waitcnt vmcnt(34) lgkmcnt(3)
	v_pk_fma_f32 v[44:45], v[164:165], v[158:159], v[44:45] op_sel_hi:[0,1,1] neg_lo:[1,0,0] neg_hi:[1,0,0]
	s_waitcnt vmcnt(32) lgkmcnt(2)
	v_pk_fma_f32 v[48:49], v[164:165], v[160:161], v[48:49] op_sel_hi:[0,1,1] neg_lo:[1,0,0] neg_hi:[1,0,0]
	s_waitcnt vmcnt(30) lgkmcnt(1)
	v_pk_fma_f32 v[74:75], v[164:165], v[162:163], v[74:75] op_sel_hi:[0,1,1] neg_lo:[1,0,0] neg_hi:[1,0,0]
	ds_read2_b32 v[158:159], v151 offset0:21 offset1:22
	ds_read2_b32 v[160:161], v151 offset0:23 offset1:24
	ds_read2_b32 v[162:163], v151 offset0:25 offset1:26
	s_waitcnt vmcnt(28) lgkmcnt(3)
	v_pk_fma_f32 v[68:69], v[164:165], v[166:167], v[68:69] op_sel_hi:[0,1,1] neg_lo:[1,0,0] neg_hi:[1,0,0]
	ds_read2_b32 v[166:167], v151 offset0:27 offset1:28
	;; [unrolled: 12-line block ×3, first 2 shown]
	s_waitcnt vmcnt(18) lgkmcnt(3)
	v_pk_fma_f32 v[98:99], v[164:165], v[158:159], v[98:99] op_sel_hi:[0,1,1] neg_lo:[1,0,0] neg_hi:[1,0,0]
	ds_read2_b32 v[158:159], v151 offset0:37 offset1:38
	s_waitcnt vmcnt(16) lgkmcnt(3)
	v_pk_fma_f32 v[92:93], v[164:165], v[160:161], v[92:93] op_sel_hi:[0,1,1] neg_lo:[1,0,0] neg_hi:[1,0,0]
	s_waitcnt vmcnt(14) lgkmcnt(2)
	v_pk_fma_f32 v[118:119], v[164:165], v[162:163], v[118:119] op_sel_hi:[0,1,1] neg_lo:[1,0,0] neg_hi:[1,0,0]
	;; [unrolled: 2-line block ×3, first 2 shown]
	ds_read2_b32 v[160:161], v151 offset0:39 offset1:40
	ds_read2_b32 v[162:163], v151 offset0:41 offset1:42
	;; [unrolled: 1-line block ×3, first 2 shown]
	s_waitcnt vmcnt(10) lgkmcnt(3)
	v_pk_fma_f32 v[116:117], v[164:165], v[158:159], v[116:117] op_sel_hi:[0,1,1] neg_lo:[1,0,0] neg_hi:[1,0,0]
	ds_read2_b32 v[158:159], v151 offset0:45 offset1:46
	ds_read2_b32 v[168:169], v151 offset0:47 offset1:48
	s_waitcnt vmcnt(8) lgkmcnt(4)
	v_pk_fma_f32 v[120:121], v[164:165], v[160:161], v[120:121] op_sel_hi:[0,1,1] neg_lo:[1,0,0] neg_hi:[1,0,0]
	s_waitcnt vmcnt(6) lgkmcnt(3)
	v_pk_fma_f32 v[144:145], v[164:165], v[162:163], v[144:145] op_sel_hi:[0,1,1] neg_lo:[1,0,0] neg_hi:[1,0,0]
	s_waitcnt vmcnt(4) lgkmcnt(2)
	v_pk_fma_f32 v[140:141], v[164:165], v[166:167], v[140:141] op_sel_hi:[0,1,1] neg_lo:[1,0,0] neg_hi:[1,0,0]
	s_waitcnt vmcnt(2) lgkmcnt(1)
	v_pk_fma_f32 v[142:143], v[164:165], v[158:159], v[142:143] op_sel_hi:[0,1,1] neg_lo:[1,0,0] neg_hi:[1,0,0]
	s_waitcnt vmcnt(0) lgkmcnt(0)
	v_pk_fma_f32 v[146:147], v[164:165], v[168:169], v[146:147] op_sel_hi:[0,1,1] neg_lo:[1,0,0] neg_hi:[1,0,0]
	v_mov_b32_e32 v21, v164
.LBB97_28:
	s_or_b64 exec, exec, s[2:3]
	v_cmp_eq_u32_e32 vcc, 5, v25
	s_waitcnt lgkmcnt(0)
	s_barrier
	s_and_saveexec_b64 s[2:3], vcc
	s_cbranch_execz .LBB97_31
; %bb.29:
	s_waitcnt vmcnt(40)
	v_pk_mov_b32 v[158:159], v[22:23], v[16:17] op_sel:[1,0]
	ds_write_b32 v150, v22
	ds_write2_b32 v151, v158, v159 offset0:6 offset1:7
	s_waitcnt vmcnt(38)
	v_pk_mov_b32 v[158:159], v[16:17], v[46:47] op_sel:[1,0]
	ds_write2_b32 v151, v158, v159 offset0:8 offset1:9
	s_waitcnt vmcnt(36)
	v_pk_mov_b32 v[158:159], v[46:47], v[50:51] op_sel:[1,0]
	;; [unrolled: 3-line block ×20, first 2 shown]
	ds_write2_b32 v151, v158, v159 offset0:46 offset1:47
	ds_write_b32 v151, v147 offset:192
	ds_read_b32 v157, v150
	s_waitcnt lgkmcnt(0)
	v_cmp_neq_f32_e32 vcc, 0, v157
	s_and_b64 exec, exec, vcc
	s_cbranch_execz .LBB97_31
; %bb.30:
	v_div_scale_f32 v158, s[4:5], v157, v157, 1.0
	v_rcp_f32_e32 v159, v158
	v_div_scale_f32 v160, vcc, 1.0, v157, 1.0
	v_fma_f32 v161, -v158, v159, 1.0
	v_fmac_f32_e32 v159, v161, v159
	v_mul_f32_e32 v161, v160, v159
	v_fma_f32 v162, -v158, v161, v160
	v_fmac_f32_e32 v161, v162, v159
	v_fma_f32 v158, -v158, v161, v160
	v_div_fmas_f32 v158, v158, v159, v161
	v_div_fixup_f32 v157, v158, v157, 1.0
	ds_write_b32 v150, v157
.LBB97_31:
	s_or_b64 exec, exec, s[2:3]
	s_waitcnt lgkmcnt(0)
	s_barrier
	ds_read_b32 v157, v150
	v_cmp_lt_u32_e32 vcc, 5, v25
	s_and_saveexec_b64 s[2:3], vcc
	s_cbranch_execz .LBB97_33
; %bb.32:
	ds_read_b32 v164, v151 offset:24
	ds_read2_b32 v[158:159], v151 offset0:7 offset1:8
	ds_read2_b32 v[160:161], v151 offset0:9 offset1:10
	s_waitcnt vmcnt(43) lgkmcnt(3)
	v_mul_f32_e32 v22, v157, v22
	ds_read2_b32 v[162:163], v151 offset0:11 offset1:12
	s_waitcnt vmcnt(42) lgkmcnt(3)
	v_fma_f32 v23, -v22, v164, v23
	s_waitcnt vmcnt(40) lgkmcnt(2)
	v_pk_fma_f32 v[16:17], v[22:23], v[158:159], v[16:17] op_sel_hi:[0,1,1] neg_lo:[1,0,0] neg_hi:[1,0,0]
	s_waitcnt vmcnt(38) lgkmcnt(1)
	v_pk_fma_f32 v[46:47], v[22:23], v[160:161], v[46:47] op_sel_hi:[0,1,1] neg_lo:[1,0,0] neg_hi:[1,0,0]
	ds_read2_b32 v[158:159], v151 offset0:13 offset1:14
	ds_read2_b32 v[160:161], v151 offset0:15 offset1:16
	ds_read2_b32 v[164:165], v151 offset0:17 offset1:18
	s_waitcnt vmcnt(36) lgkmcnt(3)
	v_pk_fma_f32 v[50:51], v[22:23], v[162:163], v[50:51] op_sel_hi:[0,1,1] neg_lo:[1,0,0] neg_hi:[1,0,0]
	ds_read2_b32 v[162:163], v151 offset0:19 offset1:20
	s_waitcnt vmcnt(34) lgkmcnt(3)
	v_pk_fma_f32 v[44:45], v[22:23], v[158:159], v[44:45] op_sel_hi:[0,1,1] neg_lo:[1,0,0] neg_hi:[1,0,0]
	s_waitcnt vmcnt(32) lgkmcnt(2)
	v_pk_fma_f32 v[48:49], v[22:23], v[160:161], v[48:49] op_sel_hi:[0,1,1] neg_lo:[1,0,0] neg_hi:[1,0,0]
	s_waitcnt vmcnt(30) lgkmcnt(1)
	v_pk_fma_f32 v[74:75], v[22:23], v[164:165], v[74:75] op_sel_hi:[0,1,1] neg_lo:[1,0,0] neg_hi:[1,0,0]
	ds_read2_b32 v[158:159], v151 offset0:21 offset1:22
	ds_read2_b32 v[160:161], v151 offset0:23 offset1:24
	ds_read2_b32 v[164:165], v151 offset0:25 offset1:26
	s_waitcnt vmcnt(28) lgkmcnt(3)
	v_pk_fma_f32 v[68:69], v[22:23], v[162:163], v[68:69] op_sel_hi:[0,1,1] neg_lo:[1,0,0] neg_hi:[1,0,0]
	ds_read2_b32 v[162:163], v151 offset0:27 offset1:28
	s_waitcnt vmcnt(26) lgkmcnt(3)
	v_pk_fma_f32 v[70:71], v[22:23], v[158:159], v[70:71] op_sel_hi:[0,1,1] neg_lo:[1,0,0] neg_hi:[1,0,0]
	;; [unrolled: 12-line block ×3, first 2 shown]
	ds_read2_b32 v[158:159], v151 offset0:37 offset1:38
	s_waitcnt vmcnt(16) lgkmcnt(3)
	v_pk_fma_f32 v[92:93], v[22:23], v[160:161], v[92:93] op_sel_hi:[0,1,1] neg_lo:[1,0,0] neg_hi:[1,0,0]
	s_waitcnt vmcnt(14) lgkmcnt(2)
	v_pk_fma_f32 v[118:119], v[22:23], v[164:165], v[118:119] op_sel_hi:[0,1,1] neg_lo:[1,0,0] neg_hi:[1,0,0]
	;; [unrolled: 2-line block ×3, first 2 shown]
	ds_read2_b32 v[160:161], v151 offset0:39 offset1:40
	ds_read2_b32 v[162:163], v151 offset0:41 offset1:42
	;; [unrolled: 1-line block ×3, first 2 shown]
	s_waitcnt vmcnt(10) lgkmcnt(3)
	v_pk_fma_f32 v[116:117], v[22:23], v[158:159], v[116:117] op_sel_hi:[0,1,1] neg_lo:[1,0,0] neg_hi:[1,0,0]
	ds_read2_b32 v[158:159], v151 offset0:45 offset1:46
	ds_read2_b32 v[166:167], v151 offset0:47 offset1:48
	s_waitcnt vmcnt(8) lgkmcnt(4)
	v_pk_fma_f32 v[120:121], v[22:23], v[160:161], v[120:121] op_sel_hi:[0,1,1] neg_lo:[1,0,0] neg_hi:[1,0,0]
	s_waitcnt vmcnt(6) lgkmcnt(3)
	v_pk_fma_f32 v[144:145], v[22:23], v[162:163], v[144:145] op_sel_hi:[0,1,1] neg_lo:[1,0,0] neg_hi:[1,0,0]
	;; [unrolled: 2-line block ×5, first 2 shown]
.LBB97_33:
	s_or_b64 exec, exec, s[2:3]
	v_cmp_ne_u32_e32 vcc, 6, v25
	s_waitcnt lgkmcnt(0)
	s_barrier
	s_and_saveexec_b64 s[2:3], vcc
	s_xor_b64 s[2:3], exec, s[2:3]
	s_andn2_saveexec_b64 s[2:3], s[2:3]
	s_cbranch_execz .LBB97_37
; %bb.34:
	s_waitcnt vmcnt(42)
	ds_write_b32 v150, v23
	s_waitcnt vmcnt(40)
	ds_write2_b32 v151, v16, v17 offset0:7 offset1:8
	s_waitcnt vmcnt(38)
	ds_write2_b32 v151, v46, v47 offset0:9 offset1:10
	;; [unrolled: 2-line block ×21, first 2 shown]
	ds_read_b32 v158, v150
	s_waitcnt lgkmcnt(0)
	v_cmp_neq_f32_e32 vcc, 0, v158
	s_and_saveexec_b64 s[4:5], vcc
	s_cbranch_execz .LBB97_36
; %bb.35:
	v_div_scale_f32 v159, s[10:11], v158, v158, 1.0
	v_rcp_f32_e32 v160, v159
	v_div_scale_f32 v161, vcc, 1.0, v158, 1.0
	v_fma_f32 v162, -v159, v160, 1.0
	v_fmac_f32_e32 v160, v162, v160
	v_mul_f32_e32 v162, v161, v160
	v_fma_f32 v163, -v159, v162, v161
	v_fmac_f32_e32 v162, v163, v160
	v_fma_f32 v159, -v159, v162, v161
	v_div_fmas_f32 v159, v159, v160, v162
	v_div_fixup_f32 v158, v159, v158, 1.0
	ds_write_b32 v150, v158
.LBB97_36:
	s_or_b64 exec, exec, s[4:5]
.LBB97_37:
	s_or_b64 exec, exec, s[2:3]
	s_waitcnt lgkmcnt(0)
	s_barrier
	ds_read_b32 v158, v150
	v_cmp_lt_u32_e32 vcc, 6, v25
	s_and_saveexec_b64 s[2:3], vcc
	s_cbranch_execz .LBB97_39
; %bb.38:
	ds_read2_b32 v[162:163], v151 offset0:7 offset1:8
	s_waitcnt vmcnt(42) lgkmcnt(1)
	v_mul_f32_e32 v160, v158, v23
	v_mov_b32_e32 v23, v160
	s_waitcnt vmcnt(40) lgkmcnt(0)
	v_pk_fma_f32 v[16:17], v[160:161], v[162:163], v[16:17] op_sel_hi:[0,1,1] neg_lo:[1,0,0] neg_hi:[1,0,0]
	ds_read2_b32 v[162:163], v151 offset0:9 offset1:10
	s_waitcnt vmcnt(38) lgkmcnt(0)
	v_pk_fma_f32 v[46:47], v[160:161], v[162:163], v[46:47] op_sel_hi:[0,1,1] neg_lo:[1,0,0] neg_hi:[1,0,0]
	ds_read2_b32 v[162:163], v151 offset0:11 offset1:12
	;; [unrolled: 3-line block ×20, first 2 shown]
	s_waitcnt vmcnt(0) lgkmcnt(0)
	v_pk_fma_f32 v[146:147], v[160:161], v[162:163], v[146:147] op_sel_hi:[0,1,1] neg_lo:[1,0,0] neg_hi:[1,0,0]
.LBB97_39:
	s_or_b64 exec, exec, s[2:3]
	v_cmp_eq_u32_e32 vcc, 7, v25
	s_waitcnt lgkmcnt(0)
	s_barrier
	s_and_saveexec_b64 s[2:3], vcc
	s_cbranch_execz .LBB97_42
; %bb.40:
	s_waitcnt vmcnt(38)
	v_pk_mov_b32 v[160:161], v[16:17], v[46:47] op_sel:[1,0]
	ds_write_b32 v150, v16
	ds_write2_b32 v151, v160, v161 offset0:8 offset1:9
	s_waitcnt vmcnt(36)
	v_pk_mov_b32 v[160:161], v[46:47], v[50:51] op_sel:[1,0]
	ds_write2_b32 v151, v160, v161 offset0:10 offset1:11
	s_waitcnt vmcnt(34)
	v_pk_mov_b32 v[160:161], v[50:51], v[44:45] op_sel:[1,0]
	;; [unrolled: 3-line block ×19, first 2 shown]
	ds_write2_b32 v151, v160, v161 offset0:46 offset1:47
	ds_write_b32 v151, v147 offset:192
	ds_read_b32 v159, v150
	s_waitcnt lgkmcnt(0)
	v_cmp_neq_f32_e32 vcc, 0, v159
	s_and_b64 exec, exec, vcc
	s_cbranch_execz .LBB97_42
; %bb.41:
	v_div_scale_f32 v160, s[4:5], v159, v159, 1.0
	v_rcp_f32_e32 v161, v160
	v_div_scale_f32 v162, vcc, 1.0, v159, 1.0
	v_fma_f32 v163, -v160, v161, 1.0
	v_fmac_f32_e32 v161, v163, v161
	v_mul_f32_e32 v163, v162, v161
	v_fma_f32 v164, -v160, v163, v162
	v_fmac_f32_e32 v163, v164, v161
	v_fma_f32 v160, -v160, v163, v162
	v_div_fmas_f32 v160, v160, v161, v163
	v_div_fixup_f32 v159, v160, v159, 1.0
	ds_write_b32 v150, v159
.LBB97_42:
	s_or_b64 exec, exec, s[2:3]
	s_waitcnt lgkmcnt(0)
	s_barrier
	ds_read_b32 v159, v150
	v_cmp_lt_u32_e32 vcc, 7, v25
	s_and_saveexec_b64 s[2:3], vcc
	s_cbranch_execz .LBB97_44
; %bb.43:
	ds_read_b32 v160, v151 offset:32
	s_waitcnt vmcnt(41) lgkmcnt(1)
	v_mul_f32_e32 v16, v159, v16
	s_waitcnt vmcnt(40) lgkmcnt(0)
	v_fma_f32 v17, -v16, v160, v17
	ds_read2_b32 v[160:161], v151 offset0:9 offset1:10
	s_waitcnt vmcnt(38) lgkmcnt(0)
	v_pk_fma_f32 v[46:47], v[16:17], v[160:161], v[46:47] op_sel_hi:[0,1,1] neg_lo:[1,0,0] neg_hi:[1,0,0]
	ds_read2_b32 v[160:161], v151 offset0:11 offset1:12
	s_waitcnt vmcnt(36) lgkmcnt(0)
	v_pk_fma_f32 v[50:51], v[16:17], v[160:161], v[50:51] op_sel_hi:[0,1,1] neg_lo:[1,0,0] neg_hi:[1,0,0]
	;; [unrolled: 3-line block ×20, first 2 shown]
.LBB97_44:
	s_or_b64 exec, exec, s[2:3]
	v_cmp_ne_u32_e32 vcc, 8, v25
	s_waitcnt lgkmcnt(0)
	s_barrier
	s_and_saveexec_b64 s[2:3], vcc
	s_xor_b64 s[2:3], exec, s[2:3]
	s_andn2_saveexec_b64 s[2:3], s[2:3]
	s_cbranch_execz .LBB97_48
; %bb.45:
	s_waitcnt vmcnt(40)
	ds_write_b32 v150, v17
	s_waitcnt vmcnt(38)
	ds_write2_b32 v151, v46, v47 offset0:9 offset1:10
	s_waitcnt vmcnt(36)
	ds_write2_b32 v151, v50, v51 offset0:11 offset1:12
	;; [unrolled: 2-line block ×20, first 2 shown]
	ds_read_b32 v160, v150
	s_waitcnt lgkmcnt(0)
	v_cmp_neq_f32_e32 vcc, 0, v160
	s_and_saveexec_b64 s[4:5], vcc
	s_cbranch_execz .LBB97_47
; %bb.46:
	v_div_scale_f32 v161, s[10:11], v160, v160, 1.0
	v_rcp_f32_e32 v162, v161
	v_div_scale_f32 v163, vcc, 1.0, v160, 1.0
	v_fma_f32 v164, -v161, v162, 1.0
	v_fmac_f32_e32 v162, v164, v162
	v_mul_f32_e32 v164, v163, v162
	v_fma_f32 v165, -v161, v164, v163
	v_fmac_f32_e32 v164, v165, v162
	v_fma_f32 v161, -v161, v164, v163
	v_div_fmas_f32 v161, v161, v162, v164
	v_div_fixup_f32 v160, v161, v160, 1.0
	ds_write_b32 v150, v160
.LBB97_47:
	s_or_b64 exec, exec, s[4:5]
.LBB97_48:
	s_or_b64 exec, exec, s[2:3]
	s_waitcnt lgkmcnt(0)
	s_barrier
	ds_read_b32 v160, v150
	v_cmp_lt_u32_e32 vcc, 8, v25
	s_and_saveexec_b64 s[2:3], vcc
	s_cbranch_execz .LBB97_50
; %bb.49:
	ds_read2_b32 v[164:165], v151 offset0:9 offset1:10
	s_waitcnt vmcnt(40) lgkmcnt(1)
	v_mul_f32_e32 v162, v160, v17
	v_mov_b32_e32 v17, v162
	s_waitcnt vmcnt(38) lgkmcnt(0)
	v_pk_fma_f32 v[46:47], v[162:163], v[164:165], v[46:47] op_sel_hi:[0,1,1] neg_lo:[1,0,0] neg_hi:[1,0,0]
	ds_read2_b32 v[164:165], v151 offset0:11 offset1:12
	s_waitcnt vmcnt(36) lgkmcnt(0)
	v_pk_fma_f32 v[50:51], v[162:163], v[164:165], v[50:51] op_sel_hi:[0,1,1] neg_lo:[1,0,0] neg_hi:[1,0,0]
	ds_read2_b32 v[164:165], v151 offset0:13 offset1:14
	;; [unrolled: 3-line block ×19, first 2 shown]
	s_waitcnt vmcnt(0) lgkmcnt(0)
	v_pk_fma_f32 v[146:147], v[162:163], v[164:165], v[146:147] op_sel_hi:[0,1,1] neg_lo:[1,0,0] neg_hi:[1,0,0]
.LBB97_50:
	s_or_b64 exec, exec, s[2:3]
	v_cmp_eq_u32_e32 vcc, 9, v25
	s_waitcnt lgkmcnt(0)
	s_barrier
	s_and_saveexec_b64 s[2:3], vcc
	s_cbranch_execz .LBB97_53
; %bb.51:
	s_waitcnt vmcnt(36)
	v_pk_mov_b32 v[162:163], v[46:47], v[50:51] op_sel:[1,0]
	ds_write_b32 v150, v46
	ds_write2_b32 v151, v162, v163 offset0:10 offset1:11
	s_waitcnt vmcnt(34)
	v_pk_mov_b32 v[162:163], v[50:51], v[44:45] op_sel:[1,0]
	ds_write2_b32 v151, v162, v163 offset0:12 offset1:13
	s_waitcnt vmcnt(32)
	v_pk_mov_b32 v[162:163], v[44:45], v[48:49] op_sel:[1,0]
	;; [unrolled: 3-line block ×18, first 2 shown]
	ds_write2_b32 v151, v162, v163 offset0:46 offset1:47
	ds_write_b32 v151, v147 offset:192
	ds_read_b32 v161, v150
	s_waitcnt lgkmcnt(0)
	v_cmp_neq_f32_e32 vcc, 0, v161
	s_and_b64 exec, exec, vcc
	s_cbranch_execz .LBB97_53
; %bb.52:
	v_div_scale_f32 v162, s[4:5], v161, v161, 1.0
	v_rcp_f32_e32 v163, v162
	v_div_scale_f32 v164, vcc, 1.0, v161, 1.0
	v_fma_f32 v165, -v162, v163, 1.0
	v_fmac_f32_e32 v163, v165, v163
	v_mul_f32_e32 v165, v164, v163
	v_fma_f32 v166, -v162, v165, v164
	v_fmac_f32_e32 v165, v166, v163
	v_fma_f32 v162, -v162, v165, v164
	v_div_fmas_f32 v162, v162, v163, v165
	v_div_fixup_f32 v161, v162, v161, 1.0
	ds_write_b32 v150, v161
.LBB97_53:
	s_or_b64 exec, exec, s[2:3]
	s_waitcnt lgkmcnt(0)
	s_barrier
	ds_read_b32 v161, v150
	v_cmp_lt_u32_e32 vcc, 9, v25
	s_and_saveexec_b64 s[2:3], vcc
	s_cbranch_execz .LBB97_55
; %bb.54:
	ds_read_b32 v162, v151 offset:40
	s_waitcnt vmcnt(39) lgkmcnt(1)
	v_mul_f32_e32 v46, v161, v46
	s_waitcnt vmcnt(38) lgkmcnt(0)
	v_fma_f32 v47, -v46, v162, v47
	ds_read2_b32 v[162:163], v151 offset0:11 offset1:12
	s_waitcnt vmcnt(36) lgkmcnt(0)
	v_pk_fma_f32 v[50:51], v[46:47], v[162:163], v[50:51] op_sel_hi:[0,1,1] neg_lo:[1,0,0] neg_hi:[1,0,0]
	ds_read2_b32 v[162:163], v151 offset0:13 offset1:14
	s_waitcnt vmcnt(34) lgkmcnt(0)
	v_pk_fma_f32 v[44:45], v[46:47], v[162:163], v[44:45] op_sel_hi:[0,1,1] neg_lo:[1,0,0] neg_hi:[1,0,0]
	;; [unrolled: 3-line block ×19, first 2 shown]
.LBB97_55:
	s_or_b64 exec, exec, s[2:3]
	v_cmp_ne_u32_e32 vcc, 10, v25
	s_waitcnt lgkmcnt(0)
	s_barrier
	s_and_saveexec_b64 s[2:3], vcc
	s_xor_b64 s[2:3], exec, s[2:3]
	s_andn2_saveexec_b64 s[2:3], s[2:3]
	s_cbranch_execz .LBB97_59
; %bb.56:
	s_waitcnt vmcnt(38)
	ds_write_b32 v150, v47
	s_waitcnt vmcnt(36)
	ds_write2_b32 v151, v50, v51 offset0:11 offset1:12
	s_waitcnt vmcnt(34)
	ds_write2_b32 v151, v44, v45 offset0:13 offset1:14
	;; [unrolled: 2-line block ×19, first 2 shown]
	ds_read_b32 v162, v150
	s_waitcnt lgkmcnt(0)
	v_cmp_neq_f32_e32 vcc, 0, v162
	s_and_saveexec_b64 s[4:5], vcc
	s_cbranch_execz .LBB97_58
; %bb.57:
	v_div_scale_f32 v163, s[10:11], v162, v162, 1.0
	v_rcp_f32_e32 v164, v163
	v_div_scale_f32 v165, vcc, 1.0, v162, 1.0
	v_fma_f32 v166, -v163, v164, 1.0
	v_fmac_f32_e32 v164, v166, v164
	v_mul_f32_e32 v166, v165, v164
	v_fma_f32 v167, -v163, v166, v165
	v_fmac_f32_e32 v166, v167, v164
	v_fma_f32 v163, -v163, v166, v165
	v_div_fmas_f32 v163, v163, v164, v166
	v_div_fixup_f32 v162, v163, v162, 1.0
	ds_write_b32 v150, v162
.LBB97_58:
	s_or_b64 exec, exec, s[4:5]
.LBB97_59:
	s_or_b64 exec, exec, s[2:3]
	s_waitcnt lgkmcnt(0)
	s_barrier
	ds_read_b32 v162, v150
	v_cmp_lt_u32_e32 vcc, 10, v25
	s_and_saveexec_b64 s[2:3], vcc
	s_cbranch_execz .LBB97_61
; %bb.60:
	ds_read2_b32 v[166:167], v151 offset0:11 offset1:12
	s_waitcnt vmcnt(38) lgkmcnt(1)
	v_mul_f32_e32 v164, v162, v47
	v_mov_b32_e32 v47, v164
	s_waitcnt vmcnt(36) lgkmcnt(0)
	v_pk_fma_f32 v[50:51], v[164:165], v[166:167], v[50:51] op_sel_hi:[0,1,1] neg_lo:[1,0,0] neg_hi:[1,0,0]
	ds_read2_b32 v[166:167], v151 offset0:13 offset1:14
	s_waitcnt vmcnt(34) lgkmcnt(0)
	v_pk_fma_f32 v[44:45], v[164:165], v[166:167], v[44:45] op_sel_hi:[0,1,1] neg_lo:[1,0,0] neg_hi:[1,0,0]
	ds_read2_b32 v[166:167], v151 offset0:15 offset1:16
	;; [unrolled: 3-line block ×18, first 2 shown]
	s_waitcnt vmcnt(0) lgkmcnt(0)
	v_pk_fma_f32 v[146:147], v[164:165], v[166:167], v[146:147] op_sel_hi:[0,1,1] neg_lo:[1,0,0] neg_hi:[1,0,0]
.LBB97_61:
	s_or_b64 exec, exec, s[2:3]
	v_cmp_eq_u32_e32 vcc, 11, v25
	s_waitcnt lgkmcnt(0)
	s_barrier
	s_and_saveexec_b64 s[2:3], vcc
	s_cbranch_execz .LBB97_64
; %bb.62:
	s_waitcnt vmcnt(34)
	v_pk_mov_b32 v[164:165], v[50:51], v[44:45] op_sel:[1,0]
	ds_write_b32 v150, v50
	ds_write2_b32 v151, v164, v165 offset0:12 offset1:13
	s_waitcnt vmcnt(32)
	v_pk_mov_b32 v[164:165], v[44:45], v[48:49] op_sel:[1,0]
	ds_write2_b32 v151, v164, v165 offset0:14 offset1:15
	s_waitcnt vmcnt(30)
	v_pk_mov_b32 v[164:165], v[48:49], v[74:75] op_sel:[1,0]
	;; [unrolled: 3-line block ×17, first 2 shown]
	ds_write2_b32 v151, v164, v165 offset0:46 offset1:47
	ds_write_b32 v151, v147 offset:192
	ds_read_b32 v163, v150
	s_waitcnt lgkmcnt(0)
	v_cmp_neq_f32_e32 vcc, 0, v163
	s_and_b64 exec, exec, vcc
	s_cbranch_execz .LBB97_64
; %bb.63:
	v_div_scale_f32 v164, s[4:5], v163, v163, 1.0
	v_rcp_f32_e32 v165, v164
	v_div_scale_f32 v166, vcc, 1.0, v163, 1.0
	v_fma_f32 v167, -v164, v165, 1.0
	v_fmac_f32_e32 v165, v167, v165
	v_mul_f32_e32 v167, v166, v165
	v_fma_f32 v168, -v164, v167, v166
	v_fmac_f32_e32 v167, v168, v165
	v_fma_f32 v164, -v164, v167, v166
	v_div_fmas_f32 v164, v164, v165, v167
	v_div_fixup_f32 v163, v164, v163, 1.0
	ds_write_b32 v150, v163
.LBB97_64:
	s_or_b64 exec, exec, s[2:3]
	s_waitcnt lgkmcnt(0)
	s_barrier
	ds_read_b32 v163, v150
	v_cmp_lt_u32_e32 vcc, 11, v25
	s_and_saveexec_b64 s[2:3], vcc
	s_cbranch_execz .LBB97_66
; %bb.65:
	ds_read_b32 v170, v151 offset:48
	ds_read2_b32 v[164:165], v151 offset0:13 offset1:14
	ds_read2_b32 v[166:167], v151 offset0:15 offset1:16
	s_waitcnt vmcnt(37) lgkmcnt(3)
	v_mul_f32_e32 v50, v163, v50
	ds_read2_b32 v[168:169], v151 offset0:17 offset1:18
	s_waitcnt vmcnt(36) lgkmcnt(3)
	v_fma_f32 v51, -v50, v170, v51
	s_waitcnt vmcnt(34) lgkmcnt(2)
	v_pk_fma_f32 v[44:45], v[50:51], v[164:165], v[44:45] op_sel_hi:[0,1,1] neg_lo:[1,0,0] neg_hi:[1,0,0]
	s_waitcnt vmcnt(32) lgkmcnt(1)
	v_pk_fma_f32 v[48:49], v[50:51], v[166:167], v[48:49] op_sel_hi:[0,1,1] neg_lo:[1,0,0] neg_hi:[1,0,0]
	ds_read2_b32 v[164:165], v151 offset0:19 offset1:20
	ds_read2_b32 v[166:167], v151 offset0:21 offset1:22
	ds_read2_b32 v[170:171], v151 offset0:23 offset1:24
	s_waitcnt vmcnt(30) lgkmcnt(3)
	v_pk_fma_f32 v[74:75], v[50:51], v[168:169], v[74:75] op_sel_hi:[0,1,1] neg_lo:[1,0,0] neg_hi:[1,0,0]
	ds_read2_b32 v[168:169], v151 offset0:25 offset1:26
	s_waitcnt vmcnt(28) lgkmcnt(3)
	v_pk_fma_f32 v[68:69], v[50:51], v[164:165], v[68:69] op_sel_hi:[0,1,1] neg_lo:[1,0,0] neg_hi:[1,0,0]
	s_waitcnt vmcnt(26) lgkmcnt(2)
	v_pk_fma_f32 v[70:71], v[50:51], v[166:167], v[70:71] op_sel_hi:[0,1,1] neg_lo:[1,0,0] neg_hi:[1,0,0]
	;; [unrolled: 2-line block ×3, first 2 shown]
	ds_read2_b32 v[164:165], v151 offset0:27 offset1:28
	ds_read2_b32 v[166:167], v151 offset0:29 offset1:30
	;; [unrolled: 1-line block ×3, first 2 shown]
	s_waitcnt vmcnt(22) lgkmcnt(3)
	v_pk_fma_f32 v[94:95], v[50:51], v[168:169], v[94:95] op_sel_hi:[0,1,1] neg_lo:[1,0,0] neg_hi:[1,0,0]
	ds_read2_b32 v[168:169], v151 offset0:33 offset1:34
	s_waitcnt vmcnt(20) lgkmcnt(3)
	v_pk_fma_f32 v[96:97], v[50:51], v[164:165], v[96:97] op_sel_hi:[0,1,1] neg_lo:[1,0,0] neg_hi:[1,0,0]
	s_waitcnt vmcnt(18) lgkmcnt(2)
	v_pk_fma_f32 v[98:99], v[50:51], v[166:167], v[98:99] op_sel_hi:[0,1,1] neg_lo:[1,0,0] neg_hi:[1,0,0]
	ds_read2_b32 v[164:165], v151 offset0:35 offset1:36
	ds_read2_b32 v[166:167], v151 offset0:37 offset1:38
	s_waitcnt vmcnt(16) lgkmcnt(3)
	v_pk_fma_f32 v[92:93], v[50:51], v[170:171], v[92:93] op_sel_hi:[0,1,1] neg_lo:[1,0,0] neg_hi:[1,0,0]
	s_waitcnt vmcnt(14) lgkmcnt(2)
	v_pk_fma_f32 v[118:119], v[50:51], v[168:169], v[118:119] op_sel_hi:[0,1,1] neg_lo:[1,0,0] neg_hi:[1,0,0]
	ds_read2_b32 v[168:169], v151 offset0:39 offset1:40
	;; [unrolled: 6-line block ×3, first 2 shown]
	ds_read2_b32 v[166:167], v151 offset0:45 offset1:46
	ds_read2_b32 v[172:173], v151 offset0:47 offset1:48
	s_waitcnt vmcnt(8) lgkmcnt(4)
	v_pk_fma_f32 v[120:121], v[50:51], v[168:169], v[120:121] op_sel_hi:[0,1,1] neg_lo:[1,0,0] neg_hi:[1,0,0]
	s_waitcnt vmcnt(6) lgkmcnt(3)
	v_pk_fma_f32 v[144:145], v[50:51], v[170:171], v[144:145] op_sel_hi:[0,1,1] neg_lo:[1,0,0] neg_hi:[1,0,0]
	;; [unrolled: 2-line block ×5, first 2 shown]
.LBB97_66:
	s_or_b64 exec, exec, s[2:3]
	v_cmp_ne_u32_e32 vcc, 12, v25
	s_waitcnt lgkmcnt(0)
	s_barrier
	s_and_saveexec_b64 s[2:3], vcc
	s_xor_b64 s[2:3], exec, s[2:3]
	s_andn2_saveexec_b64 s[2:3], s[2:3]
	s_cbranch_execz .LBB97_70
; %bb.67:
	s_waitcnt vmcnt(36)
	ds_write_b32 v150, v51
	s_waitcnt vmcnt(34)
	ds_write2_b32 v151, v44, v45 offset0:13 offset1:14
	s_waitcnt vmcnt(32)
	ds_write2_b32 v151, v48, v49 offset0:15 offset1:16
	;; [unrolled: 2-line block ×18, first 2 shown]
	ds_read_b32 v164, v150
	s_waitcnt lgkmcnt(0)
	v_cmp_neq_f32_e32 vcc, 0, v164
	s_and_saveexec_b64 s[4:5], vcc
	s_cbranch_execz .LBB97_69
; %bb.68:
	v_div_scale_f32 v165, s[10:11], v164, v164, 1.0
	v_rcp_f32_e32 v166, v165
	v_div_scale_f32 v167, vcc, 1.0, v164, 1.0
	v_fma_f32 v168, -v165, v166, 1.0
	v_fmac_f32_e32 v166, v168, v166
	v_mul_f32_e32 v168, v167, v166
	v_fma_f32 v169, -v165, v168, v167
	v_fmac_f32_e32 v168, v169, v166
	v_fma_f32 v165, -v165, v168, v167
	v_div_fmas_f32 v165, v165, v166, v168
	v_div_fixup_f32 v164, v165, v164, 1.0
	ds_write_b32 v150, v164
.LBB97_69:
	s_or_b64 exec, exec, s[4:5]
.LBB97_70:
	s_or_b64 exec, exec, s[2:3]
	s_waitcnt lgkmcnt(0)
	s_barrier
	ds_read_b32 v164, v150
	v_cmp_lt_u32_e32 vcc, 12, v25
	s_and_saveexec_b64 s[2:3], vcc
	s_cbranch_execz .LBB97_72
; %bb.71:
	ds_read2_b32 v[166:167], v151 offset0:13 offset1:14
	ds_read2_b32 v[168:169], v151 offset0:15 offset1:16
	;; [unrolled: 1-line block ×4, first 2 shown]
	s_waitcnt vmcnt(36) lgkmcnt(4)
	v_mul_f32_e32 v172, v164, v51
	s_waitcnt vmcnt(34) lgkmcnt(3)
	v_pk_fma_f32 v[44:45], v[172:173], v[166:167], v[44:45] op_sel_hi:[0,1,1] neg_lo:[1,0,0] neg_hi:[1,0,0]
	s_waitcnt vmcnt(32) lgkmcnt(2)
	v_pk_fma_f32 v[48:49], v[172:173], v[168:169], v[48:49] op_sel_hi:[0,1,1] neg_lo:[1,0,0] neg_hi:[1,0,0]
	;; [unrolled: 2-line block ×3, first 2 shown]
	ds_read2_b32 v[166:167], v151 offset0:21 offset1:22
	ds_read2_b32 v[168:169], v151 offset0:23 offset1:24
	;; [unrolled: 1-line block ×3, first 2 shown]
	s_waitcnt vmcnt(28) lgkmcnt(3)
	v_pk_fma_f32 v[68:69], v[172:173], v[174:175], v[68:69] op_sel_hi:[0,1,1] neg_lo:[1,0,0] neg_hi:[1,0,0]
	ds_read2_b32 v[174:175], v151 offset0:27 offset1:28
	s_waitcnt vmcnt(26) lgkmcnt(3)
	v_pk_fma_f32 v[70:71], v[172:173], v[166:167], v[70:71] op_sel_hi:[0,1,1] neg_lo:[1,0,0] neg_hi:[1,0,0]
	s_waitcnt vmcnt(24) lgkmcnt(2)
	v_pk_fma_f32 v[72:73], v[172:173], v[168:169], v[72:73] op_sel_hi:[0,1,1] neg_lo:[1,0,0] neg_hi:[1,0,0]
	;; [unrolled: 2-line block ×3, first 2 shown]
	ds_read2_b32 v[166:167], v151 offset0:29 offset1:30
	ds_read2_b32 v[168:169], v151 offset0:31 offset1:32
	;; [unrolled: 1-line block ×3, first 2 shown]
	s_waitcnt vmcnt(20) lgkmcnt(3)
	v_pk_fma_f32 v[96:97], v[172:173], v[174:175], v[96:97] op_sel_hi:[0,1,1] neg_lo:[1,0,0] neg_hi:[1,0,0]
	ds_read2_b32 v[174:175], v151 offset0:35 offset1:36
	s_waitcnt vmcnt(18) lgkmcnt(3)
	v_pk_fma_f32 v[98:99], v[172:173], v[166:167], v[98:99] op_sel_hi:[0,1,1] neg_lo:[1,0,0] neg_hi:[1,0,0]
	ds_read2_b32 v[166:167], v151 offset0:37 offset1:38
	s_waitcnt vmcnt(16) lgkmcnt(3)
	v_pk_fma_f32 v[92:93], v[172:173], v[168:169], v[92:93] op_sel_hi:[0,1,1] neg_lo:[1,0,0] neg_hi:[1,0,0]
	s_waitcnt vmcnt(14) lgkmcnt(2)
	v_pk_fma_f32 v[118:119], v[172:173], v[170:171], v[118:119] op_sel_hi:[0,1,1] neg_lo:[1,0,0] neg_hi:[1,0,0]
	;; [unrolled: 2-line block ×3, first 2 shown]
	ds_read2_b32 v[168:169], v151 offset0:39 offset1:40
	ds_read2_b32 v[170:171], v151 offset0:41 offset1:42
	;; [unrolled: 1-line block ×3, first 2 shown]
	s_waitcnt vmcnt(10) lgkmcnt(3)
	v_pk_fma_f32 v[116:117], v[172:173], v[166:167], v[116:117] op_sel_hi:[0,1,1] neg_lo:[1,0,0] neg_hi:[1,0,0]
	ds_read2_b32 v[166:167], v151 offset0:45 offset1:46
	ds_read2_b32 v[176:177], v151 offset0:47 offset1:48
	s_waitcnt vmcnt(8) lgkmcnt(4)
	v_pk_fma_f32 v[120:121], v[172:173], v[168:169], v[120:121] op_sel_hi:[0,1,1] neg_lo:[1,0,0] neg_hi:[1,0,0]
	s_waitcnt vmcnt(6) lgkmcnt(3)
	v_pk_fma_f32 v[144:145], v[172:173], v[170:171], v[144:145] op_sel_hi:[0,1,1] neg_lo:[1,0,0] neg_hi:[1,0,0]
	;; [unrolled: 2-line block ×5, first 2 shown]
	v_mov_b32_e32 v51, v172
.LBB97_72:
	s_or_b64 exec, exec, s[2:3]
	v_cmp_eq_u32_e32 vcc, 13, v25
	s_waitcnt lgkmcnt(0)
	s_barrier
	s_and_saveexec_b64 s[2:3], vcc
	s_cbranch_execz .LBB97_75
; %bb.73:
	s_waitcnt vmcnt(32)
	v_pk_mov_b32 v[166:167], v[44:45], v[48:49] op_sel:[1,0]
	ds_write_b32 v150, v44
	ds_write2_b32 v151, v166, v167 offset0:14 offset1:15
	s_waitcnt vmcnt(30)
	v_pk_mov_b32 v[166:167], v[48:49], v[74:75] op_sel:[1,0]
	ds_write2_b32 v151, v166, v167 offset0:16 offset1:17
	s_waitcnt vmcnt(28)
	v_pk_mov_b32 v[166:167], v[74:75], v[68:69] op_sel:[1,0]
	;; [unrolled: 3-line block ×16, first 2 shown]
	ds_write2_b32 v151, v166, v167 offset0:46 offset1:47
	ds_write_b32 v151, v147 offset:192
	ds_read_b32 v165, v150
	s_waitcnt lgkmcnt(0)
	v_cmp_neq_f32_e32 vcc, 0, v165
	s_and_b64 exec, exec, vcc
	s_cbranch_execz .LBB97_75
; %bb.74:
	v_div_scale_f32 v166, s[4:5], v165, v165, 1.0
	v_rcp_f32_e32 v167, v166
	v_div_scale_f32 v168, vcc, 1.0, v165, 1.0
	v_fma_f32 v169, -v166, v167, 1.0
	v_fmac_f32_e32 v167, v169, v167
	v_mul_f32_e32 v169, v168, v167
	v_fma_f32 v170, -v166, v169, v168
	v_fmac_f32_e32 v169, v170, v167
	v_fma_f32 v166, -v166, v169, v168
	v_div_fmas_f32 v166, v166, v167, v169
	v_div_fixup_f32 v165, v166, v165, 1.0
	ds_write_b32 v150, v165
.LBB97_75:
	s_or_b64 exec, exec, s[2:3]
	s_waitcnt lgkmcnt(0)
	s_barrier
	ds_read_b32 v165, v150
	v_cmp_lt_u32_e32 vcc, 13, v25
	s_and_saveexec_b64 s[2:3], vcc
	s_cbranch_execz .LBB97_77
; %bb.76:
	ds_read_b32 v172, v151 offset:56
	ds_read2_b32 v[166:167], v151 offset0:15 offset1:16
	ds_read2_b32 v[168:169], v151 offset0:17 offset1:18
	s_waitcnt vmcnt(35) lgkmcnt(3)
	v_mul_f32_e32 v44, v165, v44
	ds_read2_b32 v[170:171], v151 offset0:19 offset1:20
	s_waitcnt vmcnt(34) lgkmcnt(3)
	v_fma_f32 v45, -v44, v172, v45
	s_waitcnt vmcnt(32) lgkmcnt(2)
	v_pk_fma_f32 v[48:49], v[44:45], v[166:167], v[48:49] op_sel_hi:[0,1,1] neg_lo:[1,0,0] neg_hi:[1,0,0]
	s_waitcnt vmcnt(30) lgkmcnt(1)
	v_pk_fma_f32 v[74:75], v[44:45], v[168:169], v[74:75] op_sel_hi:[0,1,1] neg_lo:[1,0,0] neg_hi:[1,0,0]
	ds_read2_b32 v[166:167], v151 offset0:21 offset1:22
	ds_read2_b32 v[168:169], v151 offset0:23 offset1:24
	;; [unrolled: 1-line block ×3, first 2 shown]
	s_waitcnt vmcnt(28) lgkmcnt(3)
	v_pk_fma_f32 v[68:69], v[44:45], v[170:171], v[68:69] op_sel_hi:[0,1,1] neg_lo:[1,0,0] neg_hi:[1,0,0]
	ds_read2_b32 v[170:171], v151 offset0:27 offset1:28
	s_waitcnt vmcnt(26) lgkmcnt(3)
	v_pk_fma_f32 v[70:71], v[44:45], v[166:167], v[70:71] op_sel_hi:[0,1,1] neg_lo:[1,0,0] neg_hi:[1,0,0]
	s_waitcnt vmcnt(24) lgkmcnt(2)
	v_pk_fma_f32 v[72:73], v[44:45], v[168:169], v[72:73] op_sel_hi:[0,1,1] neg_lo:[1,0,0] neg_hi:[1,0,0]
	;; [unrolled: 2-line block ×3, first 2 shown]
	ds_read2_b32 v[166:167], v151 offset0:29 offset1:30
	ds_read2_b32 v[168:169], v151 offset0:31 offset1:32
	;; [unrolled: 1-line block ×3, first 2 shown]
	s_waitcnt vmcnt(20) lgkmcnt(3)
	v_pk_fma_f32 v[96:97], v[44:45], v[170:171], v[96:97] op_sel_hi:[0,1,1] neg_lo:[1,0,0] neg_hi:[1,0,0]
	ds_read2_b32 v[170:171], v151 offset0:35 offset1:36
	s_waitcnt vmcnt(18) lgkmcnt(3)
	v_pk_fma_f32 v[98:99], v[44:45], v[166:167], v[98:99] op_sel_hi:[0,1,1] neg_lo:[1,0,0] neg_hi:[1,0,0]
	ds_read2_b32 v[166:167], v151 offset0:37 offset1:38
	s_waitcnt vmcnt(16) lgkmcnt(3)
	v_pk_fma_f32 v[92:93], v[44:45], v[168:169], v[92:93] op_sel_hi:[0,1,1] neg_lo:[1,0,0] neg_hi:[1,0,0]
	s_waitcnt vmcnt(14) lgkmcnt(2)
	v_pk_fma_f32 v[118:119], v[44:45], v[172:173], v[118:119] op_sel_hi:[0,1,1] neg_lo:[1,0,0] neg_hi:[1,0,0]
	;; [unrolled: 2-line block ×3, first 2 shown]
	ds_read2_b32 v[168:169], v151 offset0:39 offset1:40
	ds_read2_b32 v[170:171], v151 offset0:41 offset1:42
	;; [unrolled: 1-line block ×3, first 2 shown]
	s_waitcnt vmcnt(10) lgkmcnt(3)
	v_pk_fma_f32 v[116:117], v[44:45], v[166:167], v[116:117] op_sel_hi:[0,1,1] neg_lo:[1,0,0] neg_hi:[1,0,0]
	ds_read2_b32 v[166:167], v151 offset0:45 offset1:46
	ds_read2_b32 v[174:175], v151 offset0:47 offset1:48
	s_waitcnt vmcnt(8) lgkmcnt(4)
	v_pk_fma_f32 v[120:121], v[44:45], v[168:169], v[120:121] op_sel_hi:[0,1,1] neg_lo:[1,0,0] neg_hi:[1,0,0]
	s_waitcnt vmcnt(6) lgkmcnt(3)
	v_pk_fma_f32 v[144:145], v[44:45], v[170:171], v[144:145] op_sel_hi:[0,1,1] neg_lo:[1,0,0] neg_hi:[1,0,0]
	;; [unrolled: 2-line block ×5, first 2 shown]
.LBB97_77:
	s_or_b64 exec, exec, s[2:3]
	v_cmp_ne_u32_e32 vcc, 14, v25
	s_waitcnt lgkmcnt(0)
	s_barrier
	s_and_saveexec_b64 s[2:3], vcc
	s_xor_b64 s[2:3], exec, s[2:3]
	s_andn2_saveexec_b64 s[2:3], s[2:3]
	s_cbranch_execz .LBB97_81
; %bb.78:
	s_waitcnt vmcnt(34)
	ds_write_b32 v150, v45
	s_waitcnt vmcnt(32)
	ds_write2_b32 v151, v48, v49 offset0:15 offset1:16
	s_waitcnt vmcnt(30)
	ds_write2_b32 v151, v74, v75 offset0:17 offset1:18
	;; [unrolled: 2-line block ×17, first 2 shown]
	ds_read_b32 v166, v150
	s_waitcnt lgkmcnt(0)
	v_cmp_neq_f32_e32 vcc, 0, v166
	s_and_saveexec_b64 s[4:5], vcc
	s_cbranch_execz .LBB97_80
; %bb.79:
	v_div_scale_f32 v167, s[10:11], v166, v166, 1.0
	v_rcp_f32_e32 v168, v167
	v_div_scale_f32 v169, vcc, 1.0, v166, 1.0
	v_fma_f32 v170, -v167, v168, 1.0
	v_fmac_f32_e32 v168, v170, v168
	v_mul_f32_e32 v170, v169, v168
	v_fma_f32 v171, -v167, v170, v169
	v_fmac_f32_e32 v170, v171, v168
	v_fma_f32 v167, -v167, v170, v169
	v_div_fmas_f32 v167, v167, v168, v170
	v_div_fixup_f32 v166, v167, v166, 1.0
	ds_write_b32 v150, v166
.LBB97_80:
	s_or_b64 exec, exec, s[4:5]
.LBB97_81:
	s_or_b64 exec, exec, s[2:3]
	s_waitcnt lgkmcnt(0)
	s_barrier
	ds_read_b32 v166, v150
	v_cmp_lt_u32_e32 vcc, 14, v25
	s_and_saveexec_b64 s[2:3], vcc
	s_cbranch_execz .LBB97_83
; %bb.82:
	ds_read2_b32 v[168:169], v151 offset0:15 offset1:16
	ds_read2_b32 v[170:171], v151 offset0:17 offset1:18
	;; [unrolled: 1-line block ×3, first 2 shown]
	s_waitcnt vmcnt(34) lgkmcnt(3)
	v_mul_f32_e32 v174, v166, v45
	ds_read2_b32 v[176:177], v151 offset0:21 offset1:22
	s_waitcnt vmcnt(32) lgkmcnt(3)
	v_pk_fma_f32 v[48:49], v[174:175], v[168:169], v[48:49] op_sel_hi:[0,1,1] neg_lo:[1,0,0] neg_hi:[1,0,0]
	s_waitcnt vmcnt(30) lgkmcnt(2)
	v_pk_fma_f32 v[74:75], v[174:175], v[170:171], v[74:75] op_sel_hi:[0,1,1] neg_lo:[1,0,0] neg_hi:[1,0,0]
	;; [unrolled: 2-line block ×3, first 2 shown]
	ds_read2_b32 v[168:169], v151 offset0:23 offset1:24
	ds_read2_b32 v[170:171], v151 offset0:25 offset1:26
	;; [unrolled: 1-line block ×3, first 2 shown]
	s_waitcnt vmcnt(26) lgkmcnt(3)
	v_pk_fma_f32 v[70:71], v[174:175], v[176:177], v[70:71] op_sel_hi:[0,1,1] neg_lo:[1,0,0] neg_hi:[1,0,0]
	ds_read2_b32 v[176:177], v151 offset0:29 offset1:30
	s_waitcnt vmcnt(24) lgkmcnt(3)
	v_pk_fma_f32 v[72:73], v[174:175], v[168:169], v[72:73] op_sel_hi:[0,1,1] neg_lo:[1,0,0] neg_hi:[1,0,0]
	s_waitcnt vmcnt(22) lgkmcnt(2)
	v_pk_fma_f32 v[94:95], v[174:175], v[170:171], v[94:95] op_sel_hi:[0,1,1] neg_lo:[1,0,0] neg_hi:[1,0,0]
	;; [unrolled: 2-line block ×3, first 2 shown]
	ds_read2_b32 v[168:169], v151 offset0:31 offset1:32
	ds_read2_b32 v[170:171], v151 offset0:33 offset1:34
	;; [unrolled: 1-line block ×4, first 2 shown]
	s_waitcnt vmcnt(18) lgkmcnt(4)
	v_pk_fma_f32 v[98:99], v[174:175], v[176:177], v[98:99] op_sel_hi:[0,1,1] neg_lo:[1,0,0] neg_hi:[1,0,0]
	s_waitcnt vmcnt(16) lgkmcnt(3)
	v_pk_fma_f32 v[92:93], v[174:175], v[168:169], v[92:93] op_sel_hi:[0,1,1] neg_lo:[1,0,0] neg_hi:[1,0,0]
	;; [unrolled: 2-line block ×5, first 2 shown]
	ds_read2_b32 v[168:169], v151 offset0:39 offset1:40
	ds_read2_b32 v[170:171], v151 offset0:41 offset1:42
	;; [unrolled: 1-line block ×5, first 2 shown]
	s_waitcnt vmcnt(8) lgkmcnt(4)
	v_pk_fma_f32 v[120:121], v[174:175], v[168:169], v[120:121] op_sel_hi:[0,1,1] neg_lo:[1,0,0] neg_hi:[1,0,0]
	s_waitcnt vmcnt(6) lgkmcnt(3)
	v_pk_fma_f32 v[144:145], v[174:175], v[170:171], v[144:145] op_sel_hi:[0,1,1] neg_lo:[1,0,0] neg_hi:[1,0,0]
	;; [unrolled: 2-line block ×5, first 2 shown]
	v_mov_b32_e32 v45, v174
.LBB97_83:
	s_or_b64 exec, exec, s[2:3]
	v_cmp_eq_u32_e32 vcc, 15, v25
	s_waitcnt lgkmcnt(0)
	s_barrier
	s_and_saveexec_b64 s[2:3], vcc
	s_cbranch_execz .LBB97_86
; %bb.84:
	s_waitcnt vmcnt(30)
	v_pk_mov_b32 v[168:169], v[48:49], v[74:75] op_sel:[1,0]
	ds_write_b32 v150, v48
	ds_write2_b32 v151, v168, v169 offset0:16 offset1:17
	s_waitcnt vmcnt(28)
	v_pk_mov_b32 v[168:169], v[74:75], v[68:69] op_sel:[1,0]
	ds_write2_b32 v151, v168, v169 offset0:18 offset1:19
	s_waitcnt vmcnt(26)
	v_pk_mov_b32 v[168:169], v[68:69], v[70:71] op_sel:[1,0]
	;; [unrolled: 3-line block ×15, first 2 shown]
	ds_write2_b32 v151, v168, v169 offset0:46 offset1:47
	ds_write_b32 v151, v147 offset:192
	ds_read_b32 v167, v150
	s_waitcnt lgkmcnt(0)
	v_cmp_neq_f32_e32 vcc, 0, v167
	s_and_b64 exec, exec, vcc
	s_cbranch_execz .LBB97_86
; %bb.85:
	v_div_scale_f32 v168, s[4:5], v167, v167, 1.0
	v_rcp_f32_e32 v169, v168
	v_div_scale_f32 v170, vcc, 1.0, v167, 1.0
	v_fma_f32 v171, -v168, v169, 1.0
	v_fmac_f32_e32 v169, v171, v169
	v_mul_f32_e32 v171, v170, v169
	v_fma_f32 v172, -v168, v171, v170
	v_fmac_f32_e32 v171, v172, v169
	v_fma_f32 v168, -v168, v171, v170
	v_div_fmas_f32 v168, v168, v169, v171
	v_div_fixup_f32 v167, v168, v167, 1.0
	ds_write_b32 v150, v167
.LBB97_86:
	s_or_b64 exec, exec, s[2:3]
	s_waitcnt lgkmcnt(0)
	s_barrier
	ds_read_b32 v167, v150
	v_cmp_lt_u32_e32 vcc, 15, v25
	s_and_saveexec_b64 s[2:3], vcc
	s_cbranch_execz .LBB97_88
; %bb.87:
	ds_read_b32 v174, v151 offset:64
	ds_read2_b32 v[168:169], v151 offset0:17 offset1:18
	ds_read2_b32 v[170:171], v151 offset0:19 offset1:20
	s_waitcnt vmcnt(33) lgkmcnt(3)
	v_mul_f32_e32 v48, v167, v48
	ds_read2_b32 v[172:173], v151 offset0:21 offset1:22
	s_waitcnt vmcnt(32) lgkmcnt(3)
	v_fma_f32 v49, -v48, v174, v49
	s_waitcnt vmcnt(30) lgkmcnt(2)
	v_pk_fma_f32 v[74:75], v[48:49], v[168:169], v[74:75] op_sel_hi:[0,1,1] neg_lo:[1,0,0] neg_hi:[1,0,0]
	s_waitcnt vmcnt(28) lgkmcnt(1)
	v_pk_fma_f32 v[68:69], v[48:49], v[170:171], v[68:69] op_sel_hi:[0,1,1] neg_lo:[1,0,0] neg_hi:[1,0,0]
	ds_read2_b32 v[168:169], v151 offset0:23 offset1:24
	ds_read2_b32 v[170:171], v151 offset0:25 offset1:26
	;; [unrolled: 1-line block ×3, first 2 shown]
	s_waitcnt vmcnt(26) lgkmcnt(3)
	v_pk_fma_f32 v[70:71], v[48:49], v[172:173], v[70:71] op_sel_hi:[0,1,1] neg_lo:[1,0,0] neg_hi:[1,0,0]
	ds_read2_b32 v[172:173], v151 offset0:29 offset1:30
	s_waitcnt vmcnt(24) lgkmcnt(3)
	v_pk_fma_f32 v[72:73], v[48:49], v[168:169], v[72:73] op_sel_hi:[0,1,1] neg_lo:[1,0,0] neg_hi:[1,0,0]
	s_waitcnt vmcnt(22) lgkmcnt(2)
	v_pk_fma_f32 v[94:95], v[48:49], v[170:171], v[94:95] op_sel_hi:[0,1,1] neg_lo:[1,0,0] neg_hi:[1,0,0]
	;; [unrolled: 2-line block ×3, first 2 shown]
	ds_read2_b32 v[168:169], v151 offset0:31 offset1:32
	ds_read2_b32 v[170:171], v151 offset0:33 offset1:34
	;; [unrolled: 1-line block ×4, first 2 shown]
	s_waitcnt vmcnt(18) lgkmcnt(4)
	v_pk_fma_f32 v[98:99], v[48:49], v[172:173], v[98:99] op_sel_hi:[0,1,1] neg_lo:[1,0,0] neg_hi:[1,0,0]
	s_waitcnt vmcnt(16) lgkmcnt(3)
	v_pk_fma_f32 v[92:93], v[48:49], v[168:169], v[92:93] op_sel_hi:[0,1,1] neg_lo:[1,0,0] neg_hi:[1,0,0]
	;; [unrolled: 2-line block ×5, first 2 shown]
	ds_read2_b32 v[168:169], v151 offset0:39 offset1:40
	ds_read2_b32 v[170:171], v151 offset0:41 offset1:42
	ds_read2_b32 v[172:173], v151 offset0:43 offset1:44
	ds_read2_b32 v[174:175], v151 offset0:45 offset1:46
	ds_read2_b32 v[176:177], v151 offset0:47 offset1:48
	s_waitcnt vmcnt(8) lgkmcnt(4)
	v_pk_fma_f32 v[120:121], v[48:49], v[168:169], v[120:121] op_sel_hi:[0,1,1] neg_lo:[1,0,0] neg_hi:[1,0,0]
	s_waitcnt vmcnt(6) lgkmcnt(3)
	v_pk_fma_f32 v[144:145], v[48:49], v[170:171], v[144:145] op_sel_hi:[0,1,1] neg_lo:[1,0,0] neg_hi:[1,0,0]
	;; [unrolled: 2-line block ×5, first 2 shown]
.LBB97_88:
	s_or_b64 exec, exec, s[2:3]
	v_cmp_ne_u32_e32 vcc, 16, v25
	s_waitcnt lgkmcnt(0)
	s_barrier
	s_and_saveexec_b64 s[2:3], vcc
	s_xor_b64 s[2:3], exec, s[2:3]
	s_andn2_saveexec_b64 s[2:3], s[2:3]
	s_cbranch_execz .LBB97_92
; %bb.89:
	s_waitcnt vmcnt(32)
	ds_write_b32 v150, v49
	s_waitcnt vmcnt(30)
	ds_write2_b32 v151, v74, v75 offset0:17 offset1:18
	s_waitcnt vmcnt(28)
	ds_write2_b32 v151, v68, v69 offset0:19 offset1:20
	;; [unrolled: 2-line block ×16, first 2 shown]
	ds_read_b32 v168, v150
	s_waitcnt lgkmcnt(0)
	v_cmp_neq_f32_e32 vcc, 0, v168
	s_and_saveexec_b64 s[4:5], vcc
	s_cbranch_execz .LBB97_91
; %bb.90:
	v_div_scale_f32 v169, s[10:11], v168, v168, 1.0
	v_rcp_f32_e32 v170, v169
	v_div_scale_f32 v171, vcc, 1.0, v168, 1.0
	v_fma_f32 v172, -v169, v170, 1.0
	v_fmac_f32_e32 v170, v172, v170
	v_mul_f32_e32 v172, v171, v170
	v_fma_f32 v173, -v169, v172, v171
	v_fmac_f32_e32 v172, v173, v170
	v_fma_f32 v169, -v169, v172, v171
	v_div_fmas_f32 v169, v169, v170, v172
	v_div_fixup_f32 v168, v169, v168, 1.0
	ds_write_b32 v150, v168
.LBB97_91:
	s_or_b64 exec, exec, s[4:5]
.LBB97_92:
	s_or_b64 exec, exec, s[2:3]
	s_waitcnt lgkmcnt(0)
	s_barrier
	ds_read_b32 v168, v150
	v_cmp_lt_u32_e32 vcc, 16, v25
	s_and_saveexec_b64 s[2:3], vcc
	s_cbranch_execz .LBB97_94
; %bb.93:
	ds_read2_b32 v[170:171], v151 offset0:17 offset1:18
	ds_read2_b32 v[172:173], v151 offset0:19 offset1:20
	;; [unrolled: 1-line block ×3, first 2 shown]
	s_waitcnt vmcnt(32) lgkmcnt(3)
	v_mul_f32_e32 v176, v168, v49
	ds_read2_b32 v[178:179], v151 offset0:23 offset1:24
	s_waitcnt vmcnt(30) lgkmcnt(3)
	v_pk_fma_f32 v[74:75], v[176:177], v[170:171], v[74:75] op_sel_hi:[0,1,1] neg_lo:[1,0,0] neg_hi:[1,0,0]
	s_waitcnt vmcnt(28) lgkmcnt(2)
	v_pk_fma_f32 v[68:69], v[176:177], v[172:173], v[68:69] op_sel_hi:[0,1,1] neg_lo:[1,0,0] neg_hi:[1,0,0]
	;; [unrolled: 2-line block ×3, first 2 shown]
	ds_read2_b32 v[170:171], v151 offset0:25 offset1:26
	ds_read2_b32 v[172:173], v151 offset0:27 offset1:28
	ds_read2_b32 v[174:175], v151 offset0:29 offset1:30
	s_waitcnt vmcnt(24) lgkmcnt(3)
	v_pk_fma_f32 v[72:73], v[176:177], v[178:179], v[72:73] op_sel_hi:[0,1,1] neg_lo:[1,0,0] neg_hi:[1,0,0]
	ds_read2_b32 v[178:179], v151 offset0:31 offset1:32
	s_waitcnt vmcnt(22) lgkmcnt(3)
	v_pk_fma_f32 v[94:95], v[176:177], v[170:171], v[94:95] op_sel_hi:[0,1,1] neg_lo:[1,0,0] neg_hi:[1,0,0]
	s_waitcnt vmcnt(20) lgkmcnt(2)
	v_pk_fma_f32 v[96:97], v[176:177], v[172:173], v[96:97] op_sel_hi:[0,1,1] neg_lo:[1,0,0] neg_hi:[1,0,0]
	;; [unrolled: 2-line block ×3, first 2 shown]
	ds_read2_b32 v[170:171], v151 offset0:33 offset1:34
	ds_read2_b32 v[172:173], v151 offset0:35 offset1:36
	;; [unrolled: 1-line block ×3, first 2 shown]
	s_waitcnt vmcnt(16) lgkmcnt(3)
	v_pk_fma_f32 v[92:93], v[176:177], v[178:179], v[92:93] op_sel_hi:[0,1,1] neg_lo:[1,0,0] neg_hi:[1,0,0]
	ds_read2_b32 v[178:179], v151 offset0:39 offset1:40
	s_waitcnt vmcnt(14) lgkmcnt(3)
	v_pk_fma_f32 v[118:119], v[176:177], v[170:171], v[118:119] op_sel_hi:[0,1,1] neg_lo:[1,0,0] neg_hi:[1,0,0]
	s_waitcnt vmcnt(12) lgkmcnt(2)
	v_pk_fma_f32 v[122:123], v[176:177], v[172:173], v[122:123] op_sel_hi:[0,1,1] neg_lo:[1,0,0] neg_hi:[1,0,0]
	;; [unrolled: 2-line block ×3, first 2 shown]
	ds_read2_b32 v[170:171], v151 offset0:41 offset1:42
	ds_read2_b32 v[172:173], v151 offset0:43 offset1:44
	;; [unrolled: 1-line block ×4, first 2 shown]
	s_waitcnt vmcnt(8) lgkmcnt(4)
	v_pk_fma_f32 v[120:121], v[176:177], v[178:179], v[120:121] op_sel_hi:[0,1,1] neg_lo:[1,0,0] neg_hi:[1,0,0]
	s_waitcnt vmcnt(6) lgkmcnt(3)
	v_pk_fma_f32 v[144:145], v[176:177], v[170:171], v[144:145] op_sel_hi:[0,1,1] neg_lo:[1,0,0] neg_hi:[1,0,0]
	;; [unrolled: 2-line block ×5, first 2 shown]
	v_mov_b32_e32 v49, v176
.LBB97_94:
	s_or_b64 exec, exec, s[2:3]
	v_cmp_eq_u32_e32 vcc, 17, v25
	s_waitcnt lgkmcnt(0)
	s_barrier
	s_and_saveexec_b64 s[2:3], vcc
	s_cbranch_execz .LBB97_97
; %bb.95:
	s_waitcnt vmcnt(28)
	v_pk_mov_b32 v[170:171], v[74:75], v[68:69] op_sel:[1,0]
	ds_write_b32 v150, v74
	ds_write2_b32 v151, v170, v171 offset0:18 offset1:19
	s_waitcnt vmcnt(26)
	v_pk_mov_b32 v[170:171], v[68:69], v[70:71] op_sel:[1,0]
	ds_write2_b32 v151, v170, v171 offset0:20 offset1:21
	s_waitcnt vmcnt(24)
	v_pk_mov_b32 v[170:171], v[70:71], v[72:73] op_sel:[1,0]
	;; [unrolled: 3-line block ×14, first 2 shown]
	ds_write2_b32 v151, v170, v171 offset0:46 offset1:47
	ds_write_b32 v151, v147 offset:192
	ds_read_b32 v169, v150
	s_waitcnt lgkmcnt(0)
	v_cmp_neq_f32_e32 vcc, 0, v169
	s_and_b64 exec, exec, vcc
	s_cbranch_execz .LBB97_97
; %bb.96:
	v_div_scale_f32 v170, s[4:5], v169, v169, 1.0
	v_rcp_f32_e32 v171, v170
	v_div_scale_f32 v172, vcc, 1.0, v169, 1.0
	v_fma_f32 v173, -v170, v171, 1.0
	v_fmac_f32_e32 v171, v173, v171
	v_mul_f32_e32 v173, v172, v171
	v_fma_f32 v174, -v170, v173, v172
	v_fmac_f32_e32 v173, v174, v171
	v_fma_f32 v170, -v170, v173, v172
	v_div_fmas_f32 v170, v170, v171, v173
	v_div_fixup_f32 v169, v170, v169, 1.0
	ds_write_b32 v150, v169
.LBB97_97:
	s_or_b64 exec, exec, s[2:3]
	s_waitcnt lgkmcnt(0)
	s_barrier
	ds_read_b32 v169, v150
	v_cmp_lt_u32_e32 vcc, 17, v25
	s_and_saveexec_b64 s[2:3], vcc
	s_cbranch_execz .LBB97_99
; %bb.98:
	ds_read_b32 v176, v151 offset:72
	ds_read2_b32 v[170:171], v151 offset0:19 offset1:20
	ds_read2_b32 v[172:173], v151 offset0:21 offset1:22
	s_waitcnt vmcnt(31) lgkmcnt(3)
	v_mul_f32_e32 v74, v169, v74
	ds_read2_b32 v[174:175], v151 offset0:23 offset1:24
	s_waitcnt vmcnt(30) lgkmcnt(3)
	v_fma_f32 v75, -v74, v176, v75
	s_waitcnt vmcnt(28) lgkmcnt(2)
	v_pk_fma_f32 v[68:69], v[74:75], v[170:171], v[68:69] op_sel_hi:[0,1,1] neg_lo:[1,0,0] neg_hi:[1,0,0]
	s_waitcnt vmcnt(26) lgkmcnt(1)
	v_pk_fma_f32 v[70:71], v[74:75], v[172:173], v[70:71] op_sel_hi:[0,1,1] neg_lo:[1,0,0] neg_hi:[1,0,0]
	ds_read2_b32 v[170:171], v151 offset0:25 offset1:26
	ds_read2_b32 v[172:173], v151 offset0:27 offset1:28
	;; [unrolled: 1-line block ×3, first 2 shown]
	s_waitcnt vmcnt(24) lgkmcnt(3)
	v_pk_fma_f32 v[72:73], v[74:75], v[174:175], v[72:73] op_sel_hi:[0,1,1] neg_lo:[1,0,0] neg_hi:[1,0,0]
	ds_read2_b32 v[174:175], v151 offset0:31 offset1:32
	s_waitcnt vmcnt(22) lgkmcnt(3)
	v_pk_fma_f32 v[94:95], v[74:75], v[170:171], v[94:95] op_sel_hi:[0,1,1] neg_lo:[1,0,0] neg_hi:[1,0,0]
	s_waitcnt vmcnt(20) lgkmcnt(2)
	v_pk_fma_f32 v[96:97], v[74:75], v[172:173], v[96:97] op_sel_hi:[0,1,1] neg_lo:[1,0,0] neg_hi:[1,0,0]
	;; [unrolled: 2-line block ×3, first 2 shown]
	ds_read2_b32 v[170:171], v151 offset0:33 offset1:34
	ds_read2_b32 v[172:173], v151 offset0:35 offset1:36
	;; [unrolled: 1-line block ×3, first 2 shown]
	s_waitcnt vmcnt(16) lgkmcnt(3)
	v_pk_fma_f32 v[92:93], v[74:75], v[174:175], v[92:93] op_sel_hi:[0,1,1] neg_lo:[1,0,0] neg_hi:[1,0,0]
	ds_read2_b32 v[174:175], v151 offset0:39 offset1:40
	s_waitcnt vmcnt(14) lgkmcnt(3)
	v_pk_fma_f32 v[118:119], v[74:75], v[170:171], v[118:119] op_sel_hi:[0,1,1] neg_lo:[1,0,0] neg_hi:[1,0,0]
	s_waitcnt vmcnt(12) lgkmcnt(2)
	v_pk_fma_f32 v[122:123], v[74:75], v[172:173], v[122:123] op_sel_hi:[0,1,1] neg_lo:[1,0,0] neg_hi:[1,0,0]
	s_waitcnt vmcnt(10) lgkmcnt(1)
	v_pk_fma_f32 v[116:117], v[74:75], v[176:177], v[116:117] op_sel_hi:[0,1,1] neg_lo:[1,0,0] neg_hi:[1,0,0]
	ds_read2_b32 v[170:171], v151 offset0:41 offset1:42
	ds_read2_b32 v[172:173], v151 offset0:43 offset1:44
	;; [unrolled: 1-line block ×4, first 2 shown]
	s_waitcnt vmcnt(8) lgkmcnt(4)
	v_pk_fma_f32 v[120:121], v[74:75], v[174:175], v[120:121] op_sel_hi:[0,1,1] neg_lo:[1,0,0] neg_hi:[1,0,0]
	s_waitcnt vmcnt(6) lgkmcnt(3)
	v_pk_fma_f32 v[144:145], v[74:75], v[170:171], v[144:145] op_sel_hi:[0,1,1] neg_lo:[1,0,0] neg_hi:[1,0,0]
	;; [unrolled: 2-line block ×5, first 2 shown]
.LBB97_99:
	s_or_b64 exec, exec, s[2:3]
	v_cmp_ne_u32_e32 vcc, 18, v25
	s_waitcnt lgkmcnt(0)
	s_barrier
	s_and_saveexec_b64 s[2:3], vcc
	s_xor_b64 s[2:3], exec, s[2:3]
	s_andn2_saveexec_b64 s[2:3], s[2:3]
	s_cbranch_execz .LBB97_103
; %bb.100:
	s_waitcnt vmcnt(30)
	ds_write_b32 v150, v75
	s_waitcnt vmcnt(28)
	ds_write2_b32 v151, v68, v69 offset0:19 offset1:20
	s_waitcnt vmcnt(26)
	ds_write2_b32 v151, v70, v71 offset0:21 offset1:22
	;; [unrolled: 2-line block ×15, first 2 shown]
	ds_read_b32 v170, v150
	s_waitcnt lgkmcnt(0)
	v_cmp_neq_f32_e32 vcc, 0, v170
	s_and_saveexec_b64 s[4:5], vcc
	s_cbranch_execz .LBB97_102
; %bb.101:
	v_div_scale_f32 v171, s[10:11], v170, v170, 1.0
	v_rcp_f32_e32 v172, v171
	v_div_scale_f32 v173, vcc, 1.0, v170, 1.0
	v_fma_f32 v174, -v171, v172, 1.0
	v_fmac_f32_e32 v172, v174, v172
	v_mul_f32_e32 v174, v173, v172
	v_fma_f32 v175, -v171, v174, v173
	v_fmac_f32_e32 v174, v175, v172
	v_fma_f32 v171, -v171, v174, v173
	v_div_fmas_f32 v171, v171, v172, v174
	v_div_fixup_f32 v170, v171, v170, 1.0
	ds_write_b32 v150, v170
.LBB97_102:
	s_or_b64 exec, exec, s[4:5]
.LBB97_103:
	s_or_b64 exec, exec, s[2:3]
	s_waitcnt lgkmcnt(0)
	s_barrier
	ds_read_b32 v170, v150
	v_cmp_lt_u32_e32 vcc, 18, v25
	s_and_saveexec_b64 s[2:3], vcc
	s_cbranch_execz .LBB97_105
; %bb.104:
	ds_read2_b32 v[172:173], v151 offset0:19 offset1:20
	ds_read2_b32 v[174:175], v151 offset0:21 offset1:22
	;; [unrolled: 1-line block ×3, first 2 shown]
	s_waitcnt vmcnt(30) lgkmcnt(3)
	v_mul_f32_e32 v178, v170, v75
	ds_read2_b32 v[180:181], v151 offset0:25 offset1:26
	s_waitcnt vmcnt(28) lgkmcnt(3)
	v_pk_fma_f32 v[68:69], v[178:179], v[172:173], v[68:69] op_sel_hi:[0,1,1] neg_lo:[1,0,0] neg_hi:[1,0,0]
	s_waitcnt vmcnt(26) lgkmcnt(2)
	v_pk_fma_f32 v[70:71], v[178:179], v[174:175], v[70:71] op_sel_hi:[0,1,1] neg_lo:[1,0,0] neg_hi:[1,0,0]
	;; [unrolled: 2-line block ×3, first 2 shown]
	ds_read2_b32 v[172:173], v151 offset0:27 offset1:28
	ds_read2_b32 v[174:175], v151 offset0:29 offset1:30
	;; [unrolled: 1-line block ×3, first 2 shown]
	s_waitcnt vmcnt(22) lgkmcnt(3)
	v_pk_fma_f32 v[94:95], v[178:179], v[180:181], v[94:95] op_sel_hi:[0,1,1] neg_lo:[1,0,0] neg_hi:[1,0,0]
	ds_read2_b32 v[180:181], v151 offset0:33 offset1:34
	s_waitcnt vmcnt(20) lgkmcnt(3)
	v_pk_fma_f32 v[96:97], v[178:179], v[172:173], v[96:97] op_sel_hi:[0,1,1] neg_lo:[1,0,0] neg_hi:[1,0,0]
	s_waitcnt vmcnt(18) lgkmcnt(2)
	v_pk_fma_f32 v[98:99], v[178:179], v[174:175], v[98:99] op_sel_hi:[0,1,1] neg_lo:[1,0,0] neg_hi:[1,0,0]
	ds_read2_b32 v[172:173], v151 offset0:35 offset1:36
	ds_read2_b32 v[174:175], v151 offset0:37 offset1:38
	s_waitcnt vmcnt(16) lgkmcnt(3)
	v_pk_fma_f32 v[92:93], v[178:179], v[176:177], v[92:93] op_sel_hi:[0,1,1] neg_lo:[1,0,0] neg_hi:[1,0,0]
	s_waitcnt vmcnt(14) lgkmcnt(2)
	v_pk_fma_f32 v[118:119], v[178:179], v[180:181], v[118:119] op_sel_hi:[0,1,1] neg_lo:[1,0,0] neg_hi:[1,0,0]
	ds_read2_b32 v[176:177], v151 offset0:39 offset1:40
	ds_read2_b32 v[180:181], v151 offset0:41 offset1:42
	s_waitcnt vmcnt(12) lgkmcnt(3)
	v_pk_fma_f32 v[122:123], v[178:179], v[172:173], v[122:123] op_sel_hi:[0,1,1] neg_lo:[1,0,0] neg_hi:[1,0,0]
	s_waitcnt vmcnt(10) lgkmcnt(2)
	v_pk_fma_f32 v[116:117], v[178:179], v[174:175], v[116:117] op_sel_hi:[0,1,1] neg_lo:[1,0,0] neg_hi:[1,0,0]
	ds_read2_b32 v[172:173], v151 offset0:43 offset1:44
	ds_read2_b32 v[174:175], v151 offset0:45 offset1:46
	ds_read2_b32 v[182:183], v151 offset0:47 offset1:48
	s_waitcnt vmcnt(8) lgkmcnt(4)
	v_pk_fma_f32 v[120:121], v[178:179], v[176:177], v[120:121] op_sel_hi:[0,1,1] neg_lo:[1,0,0] neg_hi:[1,0,0]
	s_waitcnt vmcnt(6) lgkmcnt(3)
	v_pk_fma_f32 v[144:145], v[178:179], v[180:181], v[144:145] op_sel_hi:[0,1,1] neg_lo:[1,0,0] neg_hi:[1,0,0]
	;; [unrolled: 2-line block ×5, first 2 shown]
	v_mov_b32_e32 v75, v178
.LBB97_105:
	s_or_b64 exec, exec, s[2:3]
	v_cmp_eq_u32_e32 vcc, 19, v25
	s_waitcnt lgkmcnt(0)
	s_barrier
	s_and_saveexec_b64 s[2:3], vcc
	s_cbranch_execz .LBB97_108
; %bb.106:
	s_waitcnt vmcnt(26)
	v_pk_mov_b32 v[172:173], v[68:69], v[70:71] op_sel:[1,0]
	ds_write_b32 v150, v68
	ds_write2_b32 v151, v172, v173 offset0:20 offset1:21
	s_waitcnt vmcnt(24)
	v_pk_mov_b32 v[172:173], v[70:71], v[72:73] op_sel:[1,0]
	ds_write2_b32 v151, v172, v173 offset0:22 offset1:23
	s_waitcnt vmcnt(22)
	v_pk_mov_b32 v[172:173], v[72:73], v[94:95] op_sel:[1,0]
	;; [unrolled: 3-line block ×13, first 2 shown]
	ds_write2_b32 v151, v172, v173 offset0:46 offset1:47
	ds_write_b32 v151, v147 offset:192
	ds_read_b32 v171, v150
	s_waitcnt lgkmcnt(0)
	v_cmp_neq_f32_e32 vcc, 0, v171
	s_and_b64 exec, exec, vcc
	s_cbranch_execz .LBB97_108
; %bb.107:
	v_div_scale_f32 v172, s[4:5], v171, v171, 1.0
	v_rcp_f32_e32 v173, v172
	v_div_scale_f32 v174, vcc, 1.0, v171, 1.0
	v_fma_f32 v175, -v172, v173, 1.0
	v_fmac_f32_e32 v173, v175, v173
	v_mul_f32_e32 v175, v174, v173
	v_fma_f32 v176, -v172, v175, v174
	v_fmac_f32_e32 v175, v176, v173
	v_fma_f32 v172, -v172, v175, v174
	v_div_fmas_f32 v172, v172, v173, v175
	v_div_fixup_f32 v171, v172, v171, 1.0
	ds_write_b32 v150, v171
.LBB97_108:
	s_or_b64 exec, exec, s[2:3]
	s_waitcnt lgkmcnt(0)
	s_barrier
	ds_read_b32 v171, v150
	v_cmp_lt_u32_e32 vcc, 19, v25
	s_and_saveexec_b64 s[2:3], vcc
	s_cbranch_execz .LBB97_110
; %bb.109:
	ds_read_b32 v178, v151 offset:80
	ds_read2_b32 v[172:173], v151 offset0:21 offset1:22
	ds_read2_b32 v[174:175], v151 offset0:23 offset1:24
	s_waitcnt vmcnt(29) lgkmcnt(3)
	v_mul_f32_e32 v68, v171, v68
	ds_read2_b32 v[176:177], v151 offset0:25 offset1:26
	s_waitcnt vmcnt(28) lgkmcnt(3)
	v_fma_f32 v69, -v68, v178, v69
	s_waitcnt vmcnt(26) lgkmcnt(2)
	v_pk_fma_f32 v[70:71], v[68:69], v[172:173], v[70:71] op_sel_hi:[0,1,1] neg_lo:[1,0,0] neg_hi:[1,0,0]
	s_waitcnt vmcnt(24) lgkmcnt(1)
	v_pk_fma_f32 v[72:73], v[68:69], v[174:175], v[72:73] op_sel_hi:[0,1,1] neg_lo:[1,0,0] neg_hi:[1,0,0]
	ds_read2_b32 v[172:173], v151 offset0:27 offset1:28
	ds_read2_b32 v[174:175], v151 offset0:29 offset1:30
	;; [unrolled: 1-line block ×3, first 2 shown]
	s_waitcnt vmcnt(22) lgkmcnt(3)
	v_pk_fma_f32 v[94:95], v[68:69], v[176:177], v[94:95] op_sel_hi:[0,1,1] neg_lo:[1,0,0] neg_hi:[1,0,0]
	ds_read2_b32 v[176:177], v151 offset0:33 offset1:34
	s_waitcnt vmcnt(20) lgkmcnt(3)
	v_pk_fma_f32 v[96:97], v[68:69], v[172:173], v[96:97] op_sel_hi:[0,1,1] neg_lo:[1,0,0] neg_hi:[1,0,0]
	s_waitcnt vmcnt(18) lgkmcnt(2)
	v_pk_fma_f32 v[98:99], v[68:69], v[174:175], v[98:99] op_sel_hi:[0,1,1] neg_lo:[1,0,0] neg_hi:[1,0,0]
	ds_read2_b32 v[172:173], v151 offset0:35 offset1:36
	ds_read2_b32 v[174:175], v151 offset0:37 offset1:38
	s_waitcnt vmcnt(16) lgkmcnt(3)
	v_pk_fma_f32 v[92:93], v[68:69], v[178:179], v[92:93] op_sel_hi:[0,1,1] neg_lo:[1,0,0] neg_hi:[1,0,0]
	s_waitcnt vmcnt(14) lgkmcnt(2)
	v_pk_fma_f32 v[118:119], v[68:69], v[176:177], v[118:119] op_sel_hi:[0,1,1] neg_lo:[1,0,0] neg_hi:[1,0,0]
	ds_read2_b32 v[176:177], v151 offset0:39 offset1:40
	ds_read2_b32 v[178:179], v151 offset0:41 offset1:42
	s_waitcnt vmcnt(12) lgkmcnt(3)
	v_pk_fma_f32 v[122:123], v[68:69], v[172:173], v[122:123] op_sel_hi:[0,1,1] neg_lo:[1,0,0] neg_hi:[1,0,0]
	s_waitcnt vmcnt(10) lgkmcnt(2)
	v_pk_fma_f32 v[116:117], v[68:69], v[174:175], v[116:117] op_sel_hi:[0,1,1] neg_lo:[1,0,0] neg_hi:[1,0,0]
	ds_read2_b32 v[172:173], v151 offset0:43 offset1:44
	ds_read2_b32 v[174:175], v151 offset0:45 offset1:46
	ds_read2_b32 v[180:181], v151 offset0:47 offset1:48
	s_waitcnt vmcnt(8) lgkmcnt(4)
	v_pk_fma_f32 v[120:121], v[68:69], v[176:177], v[120:121] op_sel_hi:[0,1,1] neg_lo:[1,0,0] neg_hi:[1,0,0]
	s_waitcnt vmcnt(6) lgkmcnt(3)
	v_pk_fma_f32 v[144:145], v[68:69], v[178:179], v[144:145] op_sel_hi:[0,1,1] neg_lo:[1,0,0] neg_hi:[1,0,0]
	s_waitcnt vmcnt(4) lgkmcnt(2)
	v_pk_fma_f32 v[140:141], v[68:69], v[172:173], v[140:141] op_sel_hi:[0,1,1] neg_lo:[1,0,0] neg_hi:[1,0,0]
	s_waitcnt vmcnt(2) lgkmcnt(1)
	v_pk_fma_f32 v[142:143], v[68:69], v[174:175], v[142:143] op_sel_hi:[0,1,1] neg_lo:[1,0,0] neg_hi:[1,0,0]
	s_waitcnt vmcnt(0) lgkmcnt(0)
	v_pk_fma_f32 v[146:147], v[68:69], v[180:181], v[146:147] op_sel_hi:[0,1,1] neg_lo:[1,0,0] neg_hi:[1,0,0]
.LBB97_110:
	s_or_b64 exec, exec, s[2:3]
	v_cmp_ne_u32_e32 vcc, 20, v25
	s_waitcnt lgkmcnt(0)
	s_barrier
	s_and_saveexec_b64 s[2:3], vcc
	s_xor_b64 s[2:3], exec, s[2:3]
	s_andn2_saveexec_b64 s[2:3], s[2:3]
	s_cbranch_execz .LBB97_114
; %bb.111:
	s_waitcnt vmcnt(28)
	ds_write_b32 v150, v69
	s_waitcnt vmcnt(26)
	ds_write2_b32 v151, v70, v71 offset0:21 offset1:22
	s_waitcnt vmcnt(24)
	ds_write2_b32 v151, v72, v73 offset0:23 offset1:24
	s_waitcnt vmcnt(22)
	ds_write2_b32 v151, v94, v95 offset0:25 offset1:26
	s_waitcnt vmcnt(20)
	ds_write2_b32 v151, v96, v97 offset0:27 offset1:28
	s_waitcnt vmcnt(18)
	ds_write2_b32 v151, v98, v99 offset0:29 offset1:30
	s_waitcnt vmcnt(16)
	ds_write2_b32 v151, v92, v93 offset0:31 offset1:32
	s_waitcnt vmcnt(14)
	ds_write2_b32 v151, v118, v119 offset0:33 offset1:34
	s_waitcnt vmcnt(12)
	ds_write2_b32 v151, v122, v123 offset0:35 offset1:36
	s_waitcnt vmcnt(10)
	ds_write2_b32 v151, v116, v117 offset0:37 offset1:38
	s_waitcnt vmcnt(8)
	ds_write2_b32 v151, v120, v121 offset0:39 offset1:40
	s_waitcnt vmcnt(6)
	ds_write2_b32 v151, v144, v145 offset0:41 offset1:42
	s_waitcnt vmcnt(4)
	ds_write2_b32 v151, v140, v141 offset0:43 offset1:44
	s_waitcnt vmcnt(2)
	ds_write2_b32 v151, v142, v143 offset0:45 offset1:46
	s_waitcnt vmcnt(0)
	ds_write2_b32 v151, v146, v147 offset0:47 offset1:48
	ds_read_b32 v172, v150
	s_waitcnt lgkmcnt(0)
	v_cmp_neq_f32_e32 vcc, 0, v172
	s_and_saveexec_b64 s[4:5], vcc
	s_cbranch_execz .LBB97_113
; %bb.112:
	v_div_scale_f32 v173, s[10:11], v172, v172, 1.0
	v_rcp_f32_e32 v174, v173
	v_div_scale_f32 v175, vcc, 1.0, v172, 1.0
	v_fma_f32 v176, -v173, v174, 1.0
	v_fmac_f32_e32 v174, v176, v174
	v_mul_f32_e32 v176, v175, v174
	v_fma_f32 v177, -v173, v176, v175
	v_fmac_f32_e32 v176, v177, v174
	v_fma_f32 v173, -v173, v176, v175
	v_div_fmas_f32 v173, v173, v174, v176
	v_div_fixup_f32 v172, v173, v172, 1.0
	ds_write_b32 v150, v172
.LBB97_113:
	s_or_b64 exec, exec, s[4:5]
.LBB97_114:
	s_or_b64 exec, exec, s[2:3]
	s_waitcnt lgkmcnt(0)
	s_barrier
	ds_read_b32 v172, v150
	v_cmp_lt_u32_e32 vcc, 20, v25
	s_and_saveexec_b64 s[2:3], vcc
	s_cbranch_execz .LBB97_116
; %bb.115:
	ds_read2_b32 v[174:175], v151 offset0:21 offset1:22
	ds_read2_b32 v[176:177], v151 offset0:23 offset1:24
	;; [unrolled: 1-line block ×4, first 2 shown]
	s_waitcnt vmcnt(28) lgkmcnt(4)
	v_mul_f32_e32 v180, v172, v69
	s_waitcnt vmcnt(26) lgkmcnt(3)
	v_pk_fma_f32 v[70:71], v[180:181], v[174:175], v[70:71] op_sel_hi:[0,1,1] neg_lo:[1,0,0] neg_hi:[1,0,0]
	s_waitcnt vmcnt(24) lgkmcnt(2)
	v_pk_fma_f32 v[72:73], v[180:181], v[176:177], v[72:73] op_sel_hi:[0,1,1] neg_lo:[1,0,0] neg_hi:[1,0,0]
	;; [unrolled: 2-line block ×3, first 2 shown]
	ds_read2_b32 v[174:175], v151 offset0:29 offset1:30
	ds_read2_b32 v[176:177], v151 offset0:31 offset1:32
	;; [unrolled: 1-line block ×3, first 2 shown]
	s_waitcnt vmcnt(20) lgkmcnt(3)
	v_pk_fma_f32 v[96:97], v[180:181], v[182:183], v[96:97] op_sel_hi:[0,1,1] neg_lo:[1,0,0] neg_hi:[1,0,0]
	ds_read2_b32 v[182:183], v151 offset0:35 offset1:36
	s_waitcnt vmcnt(18) lgkmcnt(3)
	v_pk_fma_f32 v[98:99], v[180:181], v[174:175], v[98:99] op_sel_hi:[0,1,1] neg_lo:[1,0,0] neg_hi:[1,0,0]
	ds_read2_b32 v[174:175], v151 offset0:37 offset1:38
	s_waitcnt vmcnt(16) lgkmcnt(3)
	v_pk_fma_f32 v[92:93], v[180:181], v[176:177], v[92:93] op_sel_hi:[0,1,1] neg_lo:[1,0,0] neg_hi:[1,0,0]
	s_waitcnt vmcnt(14) lgkmcnt(2)
	v_pk_fma_f32 v[118:119], v[180:181], v[178:179], v[118:119] op_sel_hi:[0,1,1] neg_lo:[1,0,0] neg_hi:[1,0,0]
	;; [unrolled: 2-line block ×3, first 2 shown]
	ds_read2_b32 v[176:177], v151 offset0:39 offset1:40
	ds_read2_b32 v[178:179], v151 offset0:41 offset1:42
	;; [unrolled: 1-line block ×3, first 2 shown]
	s_waitcnt vmcnt(10) lgkmcnt(3)
	v_pk_fma_f32 v[116:117], v[180:181], v[174:175], v[116:117] op_sel_hi:[0,1,1] neg_lo:[1,0,0] neg_hi:[1,0,0]
	ds_read2_b32 v[174:175], v151 offset0:45 offset1:46
	ds_read2_b32 v[184:185], v151 offset0:47 offset1:48
	s_waitcnt vmcnt(8) lgkmcnt(4)
	v_pk_fma_f32 v[120:121], v[180:181], v[176:177], v[120:121] op_sel_hi:[0,1,1] neg_lo:[1,0,0] neg_hi:[1,0,0]
	s_waitcnt vmcnt(6) lgkmcnt(3)
	v_pk_fma_f32 v[144:145], v[180:181], v[178:179], v[144:145] op_sel_hi:[0,1,1] neg_lo:[1,0,0] neg_hi:[1,0,0]
	;; [unrolled: 2-line block ×5, first 2 shown]
	v_mov_b32_e32 v69, v180
.LBB97_116:
	s_or_b64 exec, exec, s[2:3]
	v_cmp_eq_u32_e32 vcc, 21, v25
	s_waitcnt lgkmcnt(0)
	s_barrier
	s_and_saveexec_b64 s[2:3], vcc
	s_cbranch_execz .LBB97_119
; %bb.117:
	s_waitcnt vmcnt(24)
	v_pk_mov_b32 v[174:175], v[70:71], v[72:73] op_sel:[1,0]
	ds_write_b32 v150, v70
	ds_write2_b32 v151, v174, v175 offset0:22 offset1:23
	s_waitcnt vmcnt(22)
	v_pk_mov_b32 v[174:175], v[72:73], v[94:95] op_sel:[1,0]
	ds_write2_b32 v151, v174, v175 offset0:24 offset1:25
	s_waitcnt vmcnt(20)
	v_pk_mov_b32 v[174:175], v[94:95], v[96:97] op_sel:[1,0]
	;; [unrolled: 3-line block ×12, first 2 shown]
	ds_write2_b32 v151, v174, v175 offset0:46 offset1:47
	ds_write_b32 v151, v147 offset:192
	ds_read_b32 v173, v150
	s_waitcnt lgkmcnt(0)
	v_cmp_neq_f32_e32 vcc, 0, v173
	s_and_b64 exec, exec, vcc
	s_cbranch_execz .LBB97_119
; %bb.118:
	v_div_scale_f32 v174, s[4:5], v173, v173, 1.0
	v_rcp_f32_e32 v175, v174
	v_div_scale_f32 v176, vcc, 1.0, v173, 1.0
	v_fma_f32 v177, -v174, v175, 1.0
	v_fmac_f32_e32 v175, v177, v175
	v_mul_f32_e32 v177, v176, v175
	v_fma_f32 v178, -v174, v177, v176
	v_fmac_f32_e32 v177, v178, v175
	v_fma_f32 v174, -v174, v177, v176
	v_div_fmas_f32 v174, v174, v175, v177
	v_div_fixup_f32 v173, v174, v173, 1.0
	ds_write_b32 v150, v173
.LBB97_119:
	s_or_b64 exec, exec, s[2:3]
	s_waitcnt lgkmcnt(0)
	s_barrier
	ds_read_b32 v173, v150
	v_cmp_lt_u32_e32 vcc, 21, v25
	s_and_saveexec_b64 s[2:3], vcc
	s_cbranch_execz .LBB97_121
; %bb.120:
	ds_read_b32 v180, v151 offset:88
	ds_read2_b32 v[174:175], v151 offset0:23 offset1:24
	ds_read2_b32 v[176:177], v151 offset0:25 offset1:26
	s_waitcnt vmcnt(27) lgkmcnt(3)
	v_mul_f32_e32 v70, v173, v70
	ds_read2_b32 v[178:179], v151 offset0:27 offset1:28
	s_waitcnt vmcnt(26) lgkmcnt(3)
	v_fma_f32 v71, -v70, v180, v71
	s_waitcnt vmcnt(24) lgkmcnt(2)
	v_pk_fma_f32 v[72:73], v[70:71], v[174:175], v[72:73] op_sel_hi:[0,1,1] neg_lo:[1,0,0] neg_hi:[1,0,0]
	s_waitcnt vmcnt(22) lgkmcnt(1)
	v_pk_fma_f32 v[94:95], v[70:71], v[176:177], v[94:95] op_sel_hi:[0,1,1] neg_lo:[1,0,0] neg_hi:[1,0,0]
	ds_read2_b32 v[174:175], v151 offset0:29 offset1:30
	ds_read2_b32 v[176:177], v151 offset0:31 offset1:32
	;; [unrolled: 1-line block ×3, first 2 shown]
	s_waitcnt vmcnt(20) lgkmcnt(3)
	v_pk_fma_f32 v[96:97], v[70:71], v[178:179], v[96:97] op_sel_hi:[0,1,1] neg_lo:[1,0,0] neg_hi:[1,0,0]
	ds_read2_b32 v[178:179], v151 offset0:35 offset1:36
	s_waitcnt vmcnt(18) lgkmcnt(3)
	v_pk_fma_f32 v[98:99], v[70:71], v[174:175], v[98:99] op_sel_hi:[0,1,1] neg_lo:[1,0,0] neg_hi:[1,0,0]
	ds_read2_b32 v[174:175], v151 offset0:37 offset1:38
	s_waitcnt vmcnt(16) lgkmcnt(3)
	v_pk_fma_f32 v[92:93], v[70:71], v[176:177], v[92:93] op_sel_hi:[0,1,1] neg_lo:[1,0,0] neg_hi:[1,0,0]
	s_waitcnt vmcnt(14) lgkmcnt(2)
	v_pk_fma_f32 v[118:119], v[70:71], v[180:181], v[118:119] op_sel_hi:[0,1,1] neg_lo:[1,0,0] neg_hi:[1,0,0]
	s_waitcnt vmcnt(12) lgkmcnt(1)
	v_pk_fma_f32 v[122:123], v[70:71], v[178:179], v[122:123] op_sel_hi:[0,1,1] neg_lo:[1,0,0] neg_hi:[1,0,0]
	ds_read2_b32 v[176:177], v151 offset0:39 offset1:40
	ds_read2_b32 v[178:179], v151 offset0:41 offset1:42
	;; [unrolled: 1-line block ×3, first 2 shown]
	s_waitcnt vmcnt(10) lgkmcnt(3)
	v_pk_fma_f32 v[116:117], v[70:71], v[174:175], v[116:117] op_sel_hi:[0,1,1] neg_lo:[1,0,0] neg_hi:[1,0,0]
	ds_read2_b32 v[174:175], v151 offset0:45 offset1:46
	ds_read2_b32 v[182:183], v151 offset0:47 offset1:48
	s_waitcnt vmcnt(8) lgkmcnt(4)
	v_pk_fma_f32 v[120:121], v[70:71], v[176:177], v[120:121] op_sel_hi:[0,1,1] neg_lo:[1,0,0] neg_hi:[1,0,0]
	s_waitcnt vmcnt(6) lgkmcnt(3)
	v_pk_fma_f32 v[144:145], v[70:71], v[178:179], v[144:145] op_sel_hi:[0,1,1] neg_lo:[1,0,0] neg_hi:[1,0,0]
	;; [unrolled: 2-line block ×5, first 2 shown]
.LBB97_121:
	s_or_b64 exec, exec, s[2:3]
	v_cmp_ne_u32_e32 vcc, 22, v25
	s_waitcnt lgkmcnt(0)
	s_barrier
	s_and_saveexec_b64 s[2:3], vcc
	s_xor_b64 s[2:3], exec, s[2:3]
	s_andn2_saveexec_b64 s[2:3], s[2:3]
	s_cbranch_execz .LBB97_125
; %bb.122:
	s_waitcnt vmcnt(26)
	ds_write_b32 v150, v71
	s_waitcnt vmcnt(24)
	ds_write2_b32 v151, v72, v73 offset0:23 offset1:24
	s_waitcnt vmcnt(22)
	ds_write2_b32 v151, v94, v95 offset0:25 offset1:26
	;; [unrolled: 2-line block ×13, first 2 shown]
	ds_read_b32 v174, v150
	s_waitcnt lgkmcnt(0)
	v_cmp_neq_f32_e32 vcc, 0, v174
	s_and_saveexec_b64 s[4:5], vcc
	s_cbranch_execz .LBB97_124
; %bb.123:
	v_div_scale_f32 v175, s[10:11], v174, v174, 1.0
	v_rcp_f32_e32 v176, v175
	v_div_scale_f32 v177, vcc, 1.0, v174, 1.0
	v_fma_f32 v178, -v175, v176, 1.0
	v_fmac_f32_e32 v176, v178, v176
	v_mul_f32_e32 v178, v177, v176
	v_fma_f32 v179, -v175, v178, v177
	v_fmac_f32_e32 v178, v179, v176
	v_fma_f32 v175, -v175, v178, v177
	v_div_fmas_f32 v175, v175, v176, v178
	v_div_fixup_f32 v174, v175, v174, 1.0
	ds_write_b32 v150, v174
.LBB97_124:
	s_or_b64 exec, exec, s[4:5]
.LBB97_125:
	s_or_b64 exec, exec, s[2:3]
	s_waitcnt lgkmcnt(0)
	s_barrier
	ds_read_b32 v174, v150
	v_cmp_lt_u32_e32 vcc, 22, v25
	s_and_saveexec_b64 s[2:3], vcc
	s_cbranch_execz .LBB97_127
; %bb.126:
	ds_read2_b32 v[176:177], v151 offset0:23 offset1:24
	ds_read2_b32 v[178:179], v151 offset0:25 offset1:26
	;; [unrolled: 1-line block ×3, first 2 shown]
	s_waitcnt vmcnt(26) lgkmcnt(3)
	v_mul_f32_e32 v182, v174, v71
	ds_read2_b32 v[184:185], v151 offset0:29 offset1:30
	s_waitcnt vmcnt(24) lgkmcnt(3)
	v_pk_fma_f32 v[72:73], v[182:183], v[176:177], v[72:73] op_sel_hi:[0,1,1] neg_lo:[1,0,0] neg_hi:[1,0,0]
	s_waitcnt vmcnt(22) lgkmcnt(2)
	v_pk_fma_f32 v[94:95], v[182:183], v[178:179], v[94:95] op_sel_hi:[0,1,1] neg_lo:[1,0,0] neg_hi:[1,0,0]
	;; [unrolled: 2-line block ×3, first 2 shown]
	ds_read2_b32 v[176:177], v151 offset0:31 offset1:32
	ds_read2_b32 v[178:179], v151 offset0:33 offset1:34
	;; [unrolled: 1-line block ×4, first 2 shown]
	s_waitcnt vmcnt(18) lgkmcnt(4)
	v_pk_fma_f32 v[98:99], v[182:183], v[184:185], v[98:99] op_sel_hi:[0,1,1] neg_lo:[1,0,0] neg_hi:[1,0,0]
	s_waitcnt vmcnt(16) lgkmcnt(3)
	v_pk_fma_f32 v[92:93], v[182:183], v[176:177], v[92:93] op_sel_hi:[0,1,1] neg_lo:[1,0,0] neg_hi:[1,0,0]
	;; [unrolled: 2-line block ×5, first 2 shown]
	ds_read2_b32 v[176:177], v151 offset0:39 offset1:40
	ds_read2_b32 v[178:179], v151 offset0:41 offset1:42
	;; [unrolled: 1-line block ×5, first 2 shown]
	s_waitcnt vmcnt(8) lgkmcnt(4)
	v_pk_fma_f32 v[120:121], v[182:183], v[176:177], v[120:121] op_sel_hi:[0,1,1] neg_lo:[1,0,0] neg_hi:[1,0,0]
	s_waitcnt vmcnt(6) lgkmcnt(3)
	v_pk_fma_f32 v[144:145], v[182:183], v[178:179], v[144:145] op_sel_hi:[0,1,1] neg_lo:[1,0,0] neg_hi:[1,0,0]
	;; [unrolled: 2-line block ×5, first 2 shown]
	v_mov_b32_e32 v71, v182
.LBB97_127:
	s_or_b64 exec, exec, s[2:3]
	v_cmp_eq_u32_e32 vcc, 23, v25
	s_waitcnt lgkmcnt(0)
	s_barrier
	s_and_saveexec_b64 s[2:3], vcc
	s_cbranch_execz .LBB97_130
; %bb.128:
	s_waitcnt vmcnt(22)
	v_pk_mov_b32 v[176:177], v[72:73], v[94:95] op_sel:[1,0]
	ds_write_b32 v150, v72
	ds_write2_b32 v151, v176, v177 offset0:24 offset1:25
	s_waitcnt vmcnt(20)
	v_pk_mov_b32 v[176:177], v[94:95], v[96:97] op_sel:[1,0]
	ds_write2_b32 v151, v176, v177 offset0:26 offset1:27
	s_waitcnt vmcnt(18)
	v_pk_mov_b32 v[176:177], v[96:97], v[98:99] op_sel:[1,0]
	;; [unrolled: 3-line block ×11, first 2 shown]
	ds_write2_b32 v151, v176, v177 offset0:46 offset1:47
	ds_write_b32 v151, v147 offset:192
	ds_read_b32 v175, v150
	s_waitcnt lgkmcnt(0)
	v_cmp_neq_f32_e32 vcc, 0, v175
	s_and_b64 exec, exec, vcc
	s_cbranch_execz .LBB97_130
; %bb.129:
	v_div_scale_f32 v176, s[4:5], v175, v175, 1.0
	v_rcp_f32_e32 v177, v176
	v_div_scale_f32 v178, vcc, 1.0, v175, 1.0
	v_fma_f32 v179, -v176, v177, 1.0
	v_fmac_f32_e32 v177, v179, v177
	v_mul_f32_e32 v179, v178, v177
	v_fma_f32 v180, -v176, v179, v178
	v_fmac_f32_e32 v179, v180, v177
	v_fma_f32 v176, -v176, v179, v178
	v_div_fmas_f32 v176, v176, v177, v179
	v_div_fixup_f32 v175, v176, v175, 1.0
	ds_write_b32 v150, v175
.LBB97_130:
	s_or_b64 exec, exec, s[2:3]
	s_waitcnt lgkmcnt(0)
	s_barrier
	ds_read_b32 v175, v150
	v_cmp_lt_u32_e32 vcc, 23, v25
	s_and_saveexec_b64 s[2:3], vcc
	s_cbranch_execz .LBB97_132
; %bb.131:
	ds_read_b32 v182, v151 offset:96
	ds_read2_b32 v[176:177], v151 offset0:25 offset1:26
	ds_read2_b32 v[178:179], v151 offset0:27 offset1:28
	s_waitcnt vmcnt(25) lgkmcnt(3)
	v_mul_f32_e32 v72, v175, v72
	ds_read2_b32 v[180:181], v151 offset0:29 offset1:30
	s_waitcnt vmcnt(24) lgkmcnt(3)
	v_fma_f32 v73, -v72, v182, v73
	s_waitcnt vmcnt(22) lgkmcnt(2)
	v_pk_fma_f32 v[94:95], v[72:73], v[176:177], v[94:95] op_sel_hi:[0,1,1] neg_lo:[1,0,0] neg_hi:[1,0,0]
	s_waitcnt vmcnt(20) lgkmcnt(1)
	v_pk_fma_f32 v[96:97], v[72:73], v[178:179], v[96:97] op_sel_hi:[0,1,1] neg_lo:[1,0,0] neg_hi:[1,0,0]
	ds_read2_b32 v[176:177], v151 offset0:31 offset1:32
	ds_read2_b32 v[178:179], v151 offset0:33 offset1:34
	ds_read2_b32 v[182:183], v151 offset0:35 offset1:36
	ds_read2_b32 v[184:185], v151 offset0:37 offset1:38
	s_waitcnt vmcnt(18) lgkmcnt(4)
	v_pk_fma_f32 v[98:99], v[72:73], v[180:181], v[98:99] op_sel_hi:[0,1,1] neg_lo:[1,0,0] neg_hi:[1,0,0]
	s_waitcnt vmcnt(16) lgkmcnt(3)
	v_pk_fma_f32 v[92:93], v[72:73], v[176:177], v[92:93] op_sel_hi:[0,1,1] neg_lo:[1,0,0] neg_hi:[1,0,0]
	;; [unrolled: 2-line block ×5, first 2 shown]
	ds_read2_b32 v[176:177], v151 offset0:39 offset1:40
	ds_read2_b32 v[178:179], v151 offset0:41 offset1:42
	ds_read2_b32 v[180:181], v151 offset0:43 offset1:44
	ds_read2_b32 v[182:183], v151 offset0:45 offset1:46
	ds_read2_b32 v[184:185], v151 offset0:47 offset1:48
	s_waitcnt vmcnt(8) lgkmcnt(4)
	v_pk_fma_f32 v[120:121], v[72:73], v[176:177], v[120:121] op_sel_hi:[0,1,1] neg_lo:[1,0,0] neg_hi:[1,0,0]
	s_waitcnt vmcnt(6) lgkmcnt(3)
	v_pk_fma_f32 v[144:145], v[72:73], v[178:179], v[144:145] op_sel_hi:[0,1,1] neg_lo:[1,0,0] neg_hi:[1,0,0]
	;; [unrolled: 2-line block ×5, first 2 shown]
.LBB97_132:
	s_or_b64 exec, exec, s[2:3]
	v_cmp_ne_u32_e32 vcc, 24, v25
	s_waitcnt lgkmcnt(0)
	s_barrier
	s_and_saveexec_b64 s[2:3], vcc
	s_xor_b64 s[2:3], exec, s[2:3]
	s_andn2_saveexec_b64 s[2:3], s[2:3]
	s_cbranch_execz .LBB97_136
; %bb.133:
	s_waitcnt vmcnt(24)
	ds_write_b32 v150, v73
	s_waitcnt vmcnt(22)
	ds_write2_b32 v151, v94, v95 offset0:25 offset1:26
	s_waitcnt vmcnt(20)
	ds_write2_b32 v151, v96, v97 offset0:27 offset1:28
	;; [unrolled: 2-line block ×12, first 2 shown]
	ds_read_b32 v176, v150
	s_waitcnt lgkmcnt(0)
	v_cmp_neq_f32_e32 vcc, 0, v176
	s_and_saveexec_b64 s[4:5], vcc
	s_cbranch_execz .LBB97_135
; %bb.134:
	v_div_scale_f32 v177, s[10:11], v176, v176, 1.0
	v_rcp_f32_e32 v178, v177
	v_div_scale_f32 v179, vcc, 1.0, v176, 1.0
	v_fma_f32 v180, -v177, v178, 1.0
	v_fmac_f32_e32 v178, v180, v178
	v_mul_f32_e32 v180, v179, v178
	v_fma_f32 v181, -v177, v180, v179
	v_fmac_f32_e32 v180, v181, v178
	v_fma_f32 v177, -v177, v180, v179
	v_div_fmas_f32 v177, v177, v178, v180
	v_div_fixup_f32 v176, v177, v176, 1.0
	ds_write_b32 v150, v176
.LBB97_135:
	s_or_b64 exec, exec, s[4:5]
.LBB97_136:
	s_or_b64 exec, exec, s[2:3]
	s_waitcnt lgkmcnt(0)
	s_barrier
	ds_read_b32 v176, v150
	v_cmp_lt_u32_e32 vcc, 24, v25
	s_and_saveexec_b64 s[2:3], vcc
	s_cbranch_execz .LBB97_138
; %bb.137:
	ds_read2_b32 v[178:179], v151 offset0:25 offset1:26
	ds_read2_b32 v[180:181], v151 offset0:27 offset1:28
	;; [unrolled: 1-line block ×3, first 2 shown]
	s_waitcnt vmcnt(24) lgkmcnt(3)
	v_mul_f32_e32 v184, v176, v73
	ds_read2_b32 v[186:187], v151 offset0:31 offset1:32
	s_waitcnt vmcnt(22) lgkmcnt(3)
	v_pk_fma_f32 v[94:95], v[184:185], v[178:179], v[94:95] op_sel_hi:[0,1,1] neg_lo:[1,0,0] neg_hi:[1,0,0]
	s_waitcnt vmcnt(20) lgkmcnt(2)
	v_pk_fma_f32 v[96:97], v[184:185], v[180:181], v[96:97] op_sel_hi:[0,1,1] neg_lo:[1,0,0] neg_hi:[1,0,0]
	;; [unrolled: 2-line block ×3, first 2 shown]
	ds_read2_b32 v[178:179], v151 offset0:33 offset1:34
	ds_read2_b32 v[180:181], v151 offset0:35 offset1:36
	;; [unrolled: 1-line block ×3, first 2 shown]
	s_waitcnt vmcnt(16) lgkmcnt(3)
	v_pk_fma_f32 v[92:93], v[184:185], v[186:187], v[92:93] op_sel_hi:[0,1,1] neg_lo:[1,0,0] neg_hi:[1,0,0]
	ds_read2_b32 v[186:187], v151 offset0:39 offset1:40
	s_waitcnt vmcnt(14) lgkmcnt(3)
	v_pk_fma_f32 v[118:119], v[184:185], v[178:179], v[118:119] op_sel_hi:[0,1,1] neg_lo:[1,0,0] neg_hi:[1,0,0]
	s_waitcnt vmcnt(12) lgkmcnt(2)
	v_pk_fma_f32 v[122:123], v[184:185], v[180:181], v[122:123] op_sel_hi:[0,1,1] neg_lo:[1,0,0] neg_hi:[1,0,0]
	;; [unrolled: 2-line block ×3, first 2 shown]
	ds_read2_b32 v[178:179], v151 offset0:41 offset1:42
	ds_read2_b32 v[180:181], v151 offset0:43 offset1:44
	;; [unrolled: 1-line block ×4, first 2 shown]
	s_waitcnt vmcnt(8) lgkmcnt(4)
	v_pk_fma_f32 v[120:121], v[184:185], v[186:187], v[120:121] op_sel_hi:[0,1,1] neg_lo:[1,0,0] neg_hi:[1,0,0]
	s_waitcnt vmcnt(6) lgkmcnt(3)
	v_pk_fma_f32 v[144:145], v[184:185], v[178:179], v[144:145] op_sel_hi:[0,1,1] neg_lo:[1,0,0] neg_hi:[1,0,0]
	;; [unrolled: 2-line block ×5, first 2 shown]
	v_mov_b32_e32 v73, v184
.LBB97_138:
	s_or_b64 exec, exec, s[2:3]
	v_cmp_eq_u32_e32 vcc, 25, v25
	s_waitcnt lgkmcnt(0)
	s_barrier
	s_and_saveexec_b64 s[2:3], vcc
	s_cbranch_execz .LBB97_141
; %bb.139:
	s_waitcnt vmcnt(20)
	v_pk_mov_b32 v[178:179], v[94:95], v[96:97] op_sel:[1,0]
	ds_write_b32 v150, v94
	ds_write2_b32 v151, v178, v179 offset0:26 offset1:27
	s_waitcnt vmcnt(18)
	v_pk_mov_b32 v[178:179], v[96:97], v[98:99] op_sel:[1,0]
	ds_write2_b32 v151, v178, v179 offset0:28 offset1:29
	s_waitcnt vmcnt(16)
	v_pk_mov_b32 v[178:179], v[98:99], v[92:93] op_sel:[1,0]
	;; [unrolled: 3-line block ×10, first 2 shown]
	ds_write2_b32 v151, v178, v179 offset0:46 offset1:47
	ds_write_b32 v151, v147 offset:192
	ds_read_b32 v177, v150
	s_waitcnt lgkmcnt(0)
	v_cmp_neq_f32_e32 vcc, 0, v177
	s_and_b64 exec, exec, vcc
	s_cbranch_execz .LBB97_141
; %bb.140:
	v_div_scale_f32 v178, s[4:5], v177, v177, 1.0
	v_rcp_f32_e32 v179, v178
	v_div_scale_f32 v180, vcc, 1.0, v177, 1.0
	v_fma_f32 v181, -v178, v179, 1.0
	v_fmac_f32_e32 v179, v181, v179
	v_mul_f32_e32 v181, v180, v179
	v_fma_f32 v182, -v178, v181, v180
	v_fmac_f32_e32 v181, v182, v179
	v_fma_f32 v178, -v178, v181, v180
	v_div_fmas_f32 v178, v178, v179, v181
	v_div_fixup_f32 v177, v178, v177, 1.0
	ds_write_b32 v150, v177
.LBB97_141:
	s_or_b64 exec, exec, s[2:3]
	s_waitcnt lgkmcnt(0)
	s_barrier
	ds_read_b32 v177, v150
	v_cmp_lt_u32_e32 vcc, 25, v25
	s_and_saveexec_b64 s[2:3], vcc
	s_cbranch_execz .LBB97_143
; %bb.142:
	ds_read_b32 v184, v151 offset:104
	ds_read2_b32 v[178:179], v151 offset0:27 offset1:28
	ds_read2_b32 v[180:181], v151 offset0:29 offset1:30
	s_waitcnt vmcnt(23) lgkmcnt(3)
	v_mul_f32_e32 v94, v177, v94
	ds_read2_b32 v[182:183], v151 offset0:31 offset1:32
	s_waitcnt vmcnt(22) lgkmcnt(3)
	v_fma_f32 v95, -v94, v184, v95
	s_waitcnt vmcnt(20) lgkmcnt(2)
	v_pk_fma_f32 v[96:97], v[94:95], v[178:179], v[96:97] op_sel_hi:[0,1,1] neg_lo:[1,0,0] neg_hi:[1,0,0]
	s_waitcnt vmcnt(18) lgkmcnt(1)
	v_pk_fma_f32 v[98:99], v[94:95], v[180:181], v[98:99] op_sel_hi:[0,1,1] neg_lo:[1,0,0] neg_hi:[1,0,0]
	ds_read2_b32 v[178:179], v151 offset0:33 offset1:34
	ds_read2_b32 v[180:181], v151 offset0:35 offset1:36
	;; [unrolled: 1-line block ×3, first 2 shown]
	s_waitcnt vmcnt(16) lgkmcnt(3)
	v_pk_fma_f32 v[92:93], v[94:95], v[182:183], v[92:93] op_sel_hi:[0,1,1] neg_lo:[1,0,0] neg_hi:[1,0,0]
	ds_read2_b32 v[182:183], v151 offset0:39 offset1:40
	s_waitcnt vmcnt(14) lgkmcnt(3)
	v_pk_fma_f32 v[118:119], v[94:95], v[178:179], v[118:119] op_sel_hi:[0,1,1] neg_lo:[1,0,0] neg_hi:[1,0,0]
	s_waitcnt vmcnt(12) lgkmcnt(2)
	v_pk_fma_f32 v[122:123], v[94:95], v[180:181], v[122:123] op_sel_hi:[0,1,1] neg_lo:[1,0,0] neg_hi:[1,0,0]
	;; [unrolled: 2-line block ×3, first 2 shown]
	ds_read2_b32 v[178:179], v151 offset0:41 offset1:42
	ds_read2_b32 v[180:181], v151 offset0:43 offset1:44
	;; [unrolled: 1-line block ×4, first 2 shown]
	s_waitcnt vmcnt(8) lgkmcnt(4)
	v_pk_fma_f32 v[120:121], v[94:95], v[182:183], v[120:121] op_sel_hi:[0,1,1] neg_lo:[1,0,0] neg_hi:[1,0,0]
	s_waitcnt vmcnt(6) lgkmcnt(3)
	v_pk_fma_f32 v[144:145], v[94:95], v[178:179], v[144:145] op_sel_hi:[0,1,1] neg_lo:[1,0,0] neg_hi:[1,0,0]
	;; [unrolled: 2-line block ×5, first 2 shown]
.LBB97_143:
	s_or_b64 exec, exec, s[2:3]
	v_cmp_ne_u32_e32 vcc, 26, v25
	s_waitcnt lgkmcnt(0)
	s_barrier
	s_and_saveexec_b64 s[2:3], vcc
	s_xor_b64 s[2:3], exec, s[2:3]
	s_andn2_saveexec_b64 s[2:3], s[2:3]
	s_cbranch_execz .LBB97_147
; %bb.144:
	s_waitcnt vmcnt(22)
	ds_write_b32 v150, v95
	s_waitcnt vmcnt(20)
	ds_write2_b32 v151, v96, v97 offset0:27 offset1:28
	s_waitcnt vmcnt(18)
	ds_write2_b32 v151, v98, v99 offset0:29 offset1:30
	;; [unrolled: 2-line block ×11, first 2 shown]
	ds_read_b32 v178, v150
	s_waitcnt lgkmcnt(0)
	v_cmp_neq_f32_e32 vcc, 0, v178
	s_and_saveexec_b64 s[4:5], vcc
	s_cbranch_execz .LBB97_146
; %bb.145:
	v_div_scale_f32 v179, s[10:11], v178, v178, 1.0
	v_rcp_f32_e32 v180, v179
	v_div_scale_f32 v181, vcc, 1.0, v178, 1.0
	v_fma_f32 v182, -v179, v180, 1.0
	v_fmac_f32_e32 v180, v182, v180
	v_mul_f32_e32 v182, v181, v180
	v_fma_f32 v183, -v179, v182, v181
	v_fmac_f32_e32 v182, v183, v180
	v_fma_f32 v179, -v179, v182, v181
	v_div_fmas_f32 v179, v179, v180, v182
	v_div_fixup_f32 v178, v179, v178, 1.0
	ds_write_b32 v150, v178
.LBB97_146:
	s_or_b64 exec, exec, s[4:5]
.LBB97_147:
	s_or_b64 exec, exec, s[2:3]
	s_waitcnt lgkmcnt(0)
	s_barrier
	ds_read_b32 v178, v150
	v_cmp_lt_u32_e32 vcc, 26, v25
	s_and_saveexec_b64 s[2:3], vcc
	s_cbranch_execz .LBB97_149
; %bb.148:
	ds_read2_b32 v[180:181], v151 offset0:27 offset1:28
	ds_read2_b32 v[182:183], v151 offset0:29 offset1:30
	;; [unrolled: 1-line block ×3, first 2 shown]
	s_waitcnt vmcnt(22) lgkmcnt(3)
	v_mul_f32_e32 v186, v178, v95
	ds_read2_b32 v[188:189], v151 offset0:33 offset1:34
	s_waitcnt vmcnt(20) lgkmcnt(3)
	v_pk_fma_f32 v[96:97], v[186:187], v[180:181], v[96:97] op_sel_hi:[0,1,1] neg_lo:[1,0,0] neg_hi:[1,0,0]
	s_waitcnt vmcnt(18) lgkmcnt(2)
	v_pk_fma_f32 v[98:99], v[186:187], v[182:183], v[98:99] op_sel_hi:[0,1,1] neg_lo:[1,0,0] neg_hi:[1,0,0]
	ds_read2_b32 v[180:181], v151 offset0:35 offset1:36
	ds_read2_b32 v[182:183], v151 offset0:37 offset1:38
	s_waitcnt vmcnt(16) lgkmcnt(3)
	v_pk_fma_f32 v[92:93], v[186:187], v[184:185], v[92:93] op_sel_hi:[0,1,1] neg_lo:[1,0,0] neg_hi:[1,0,0]
	s_waitcnt vmcnt(14) lgkmcnt(2)
	v_pk_fma_f32 v[118:119], v[186:187], v[188:189], v[118:119] op_sel_hi:[0,1,1] neg_lo:[1,0,0] neg_hi:[1,0,0]
	ds_read2_b32 v[184:185], v151 offset0:39 offset1:40
	;; [unrolled: 6-line block ×3, first 2 shown]
	ds_read2_b32 v[182:183], v151 offset0:45 offset1:46
	ds_read2_b32 v[190:191], v151 offset0:47 offset1:48
	s_waitcnt vmcnt(8) lgkmcnt(4)
	v_pk_fma_f32 v[120:121], v[186:187], v[184:185], v[120:121] op_sel_hi:[0,1,1] neg_lo:[1,0,0] neg_hi:[1,0,0]
	s_waitcnt vmcnt(6) lgkmcnt(3)
	v_pk_fma_f32 v[144:145], v[186:187], v[188:189], v[144:145] op_sel_hi:[0,1,1] neg_lo:[1,0,0] neg_hi:[1,0,0]
	s_waitcnt vmcnt(4) lgkmcnt(2)
	v_pk_fma_f32 v[140:141], v[186:187], v[180:181], v[140:141] op_sel_hi:[0,1,1] neg_lo:[1,0,0] neg_hi:[1,0,0]
	s_waitcnt vmcnt(2) lgkmcnt(1)
	v_pk_fma_f32 v[142:143], v[186:187], v[182:183], v[142:143] op_sel_hi:[0,1,1] neg_lo:[1,0,0] neg_hi:[1,0,0]
	s_waitcnt vmcnt(0) lgkmcnt(0)
	v_pk_fma_f32 v[146:147], v[186:187], v[190:191], v[146:147] op_sel_hi:[0,1,1] neg_lo:[1,0,0] neg_hi:[1,0,0]
	v_mov_b32_e32 v95, v186
.LBB97_149:
	s_or_b64 exec, exec, s[2:3]
	v_cmp_eq_u32_e32 vcc, 27, v25
	s_waitcnt lgkmcnt(0)
	s_barrier
	s_and_saveexec_b64 s[2:3], vcc
	s_cbranch_execz .LBB97_152
; %bb.150:
	s_waitcnt vmcnt(18)
	v_pk_mov_b32 v[180:181], v[96:97], v[98:99] op_sel:[1,0]
	ds_write_b32 v150, v96
	ds_write2_b32 v151, v180, v181 offset0:28 offset1:29
	s_waitcnt vmcnt(16)
	v_pk_mov_b32 v[180:181], v[98:99], v[92:93] op_sel:[1,0]
	ds_write2_b32 v151, v180, v181 offset0:30 offset1:31
	s_waitcnt vmcnt(14)
	v_pk_mov_b32 v[180:181], v[92:93], v[118:119] op_sel:[1,0]
	;; [unrolled: 3-line block ×9, first 2 shown]
	ds_write2_b32 v151, v180, v181 offset0:46 offset1:47
	ds_write_b32 v151, v147 offset:192
	ds_read_b32 v179, v150
	s_waitcnt lgkmcnt(0)
	v_cmp_neq_f32_e32 vcc, 0, v179
	s_and_b64 exec, exec, vcc
	s_cbranch_execz .LBB97_152
; %bb.151:
	v_div_scale_f32 v180, s[4:5], v179, v179, 1.0
	v_rcp_f32_e32 v181, v180
	v_div_scale_f32 v182, vcc, 1.0, v179, 1.0
	v_fma_f32 v183, -v180, v181, 1.0
	v_fmac_f32_e32 v181, v183, v181
	v_mul_f32_e32 v183, v182, v181
	v_fma_f32 v184, -v180, v183, v182
	v_fmac_f32_e32 v183, v184, v181
	v_fma_f32 v180, -v180, v183, v182
	v_div_fmas_f32 v180, v180, v181, v183
	v_div_fixup_f32 v179, v180, v179, 1.0
	ds_write_b32 v150, v179
.LBB97_152:
	s_or_b64 exec, exec, s[2:3]
	s_waitcnt lgkmcnt(0)
	s_barrier
	ds_read_b32 v179, v150
	v_cmp_lt_u32_e32 vcc, 27, v25
	s_and_saveexec_b64 s[2:3], vcc
	s_cbranch_execz .LBB97_154
; %bb.153:
	ds_read_b32 v186, v151 offset:112
	ds_read2_b32 v[180:181], v151 offset0:29 offset1:30
	ds_read2_b32 v[182:183], v151 offset0:31 offset1:32
	s_waitcnt vmcnt(21) lgkmcnt(3)
	v_mul_f32_e32 v96, v179, v96
	ds_read2_b32 v[184:185], v151 offset0:33 offset1:34
	s_waitcnt vmcnt(20) lgkmcnt(3)
	v_fma_f32 v97, -v96, v186, v97
	s_waitcnt vmcnt(18) lgkmcnt(2)
	v_pk_fma_f32 v[98:99], v[96:97], v[180:181], v[98:99] op_sel_hi:[0,1,1] neg_lo:[1,0,0] neg_hi:[1,0,0]
	s_waitcnt vmcnt(16) lgkmcnt(1)
	v_pk_fma_f32 v[92:93], v[96:97], v[182:183], v[92:93] op_sel_hi:[0,1,1] neg_lo:[1,0,0] neg_hi:[1,0,0]
	ds_read2_b32 v[180:181], v151 offset0:35 offset1:36
	ds_read2_b32 v[182:183], v151 offset0:37 offset1:38
	s_waitcnt vmcnt(14) lgkmcnt(2)
	v_pk_fma_f32 v[118:119], v[96:97], v[184:185], v[118:119] op_sel_hi:[0,1,1] neg_lo:[1,0,0] neg_hi:[1,0,0]
	ds_read2_b32 v[184:185], v151 offset0:39 offset1:40
	ds_read2_b32 v[186:187], v151 offset0:41 offset1:42
	s_waitcnt vmcnt(12) lgkmcnt(3)
	v_pk_fma_f32 v[122:123], v[96:97], v[180:181], v[122:123] op_sel_hi:[0,1,1] neg_lo:[1,0,0] neg_hi:[1,0,0]
	s_waitcnt vmcnt(10) lgkmcnt(2)
	v_pk_fma_f32 v[116:117], v[96:97], v[182:183], v[116:117] op_sel_hi:[0,1,1] neg_lo:[1,0,0] neg_hi:[1,0,0]
	ds_read2_b32 v[180:181], v151 offset0:43 offset1:44
	ds_read2_b32 v[182:183], v151 offset0:45 offset1:46
	;; [unrolled: 1-line block ×3, first 2 shown]
	s_waitcnt vmcnt(8) lgkmcnt(4)
	v_pk_fma_f32 v[120:121], v[96:97], v[184:185], v[120:121] op_sel_hi:[0,1,1] neg_lo:[1,0,0] neg_hi:[1,0,0]
	s_waitcnt vmcnt(6) lgkmcnt(3)
	v_pk_fma_f32 v[144:145], v[96:97], v[186:187], v[144:145] op_sel_hi:[0,1,1] neg_lo:[1,0,0] neg_hi:[1,0,0]
	;; [unrolled: 2-line block ×5, first 2 shown]
.LBB97_154:
	s_or_b64 exec, exec, s[2:3]
	v_cmp_ne_u32_e32 vcc, 28, v25
	s_waitcnt lgkmcnt(0)
	s_barrier
	s_and_saveexec_b64 s[2:3], vcc
	s_xor_b64 s[2:3], exec, s[2:3]
	s_andn2_saveexec_b64 s[2:3], s[2:3]
	s_cbranch_execz .LBB97_158
; %bb.155:
	s_waitcnt vmcnt(20)
	ds_write_b32 v150, v97
	s_waitcnt vmcnt(18)
	ds_write2_b32 v151, v98, v99 offset0:29 offset1:30
	s_waitcnt vmcnt(16)
	ds_write2_b32 v151, v92, v93 offset0:31 offset1:32
	s_waitcnt vmcnt(14)
	ds_write2_b32 v151, v118, v119 offset0:33 offset1:34
	s_waitcnt vmcnt(12)
	ds_write2_b32 v151, v122, v123 offset0:35 offset1:36
	s_waitcnt vmcnt(10)
	ds_write2_b32 v151, v116, v117 offset0:37 offset1:38
	s_waitcnt vmcnt(8)
	ds_write2_b32 v151, v120, v121 offset0:39 offset1:40
	s_waitcnt vmcnt(6)
	ds_write2_b32 v151, v144, v145 offset0:41 offset1:42
	s_waitcnt vmcnt(4)
	ds_write2_b32 v151, v140, v141 offset0:43 offset1:44
	s_waitcnt vmcnt(2)
	ds_write2_b32 v151, v142, v143 offset0:45 offset1:46
	s_waitcnt vmcnt(0)
	ds_write2_b32 v151, v146, v147 offset0:47 offset1:48
	ds_read_b32 v180, v150
	s_waitcnt lgkmcnt(0)
	v_cmp_neq_f32_e32 vcc, 0, v180
	s_and_saveexec_b64 s[4:5], vcc
	s_cbranch_execz .LBB97_157
; %bb.156:
	v_div_scale_f32 v181, s[10:11], v180, v180, 1.0
	v_rcp_f32_e32 v182, v181
	v_div_scale_f32 v183, vcc, 1.0, v180, 1.0
	v_fma_f32 v184, -v181, v182, 1.0
	v_fmac_f32_e32 v182, v184, v182
	v_mul_f32_e32 v184, v183, v182
	v_fma_f32 v185, -v181, v184, v183
	v_fmac_f32_e32 v184, v185, v182
	v_fma_f32 v181, -v181, v184, v183
	v_div_fmas_f32 v181, v181, v182, v184
	v_div_fixup_f32 v180, v181, v180, 1.0
	ds_write_b32 v150, v180
.LBB97_157:
	s_or_b64 exec, exec, s[4:5]
.LBB97_158:
	s_or_b64 exec, exec, s[2:3]
	s_waitcnt lgkmcnt(0)
	s_barrier
	ds_read_b32 v180, v150
	v_cmp_lt_u32_e32 vcc, 28, v25
	s_and_saveexec_b64 s[2:3], vcc
	s_cbranch_execz .LBB97_160
; %bb.159:
	ds_read2_b32 v[182:183], v151 offset0:29 offset1:30
	ds_read2_b32 v[184:185], v151 offset0:31 offset1:32
	;; [unrolled: 1-line block ×3, first 2 shown]
	s_waitcnt vmcnt(20) lgkmcnt(3)
	v_mul_f32_e32 v188, v180, v97
	ds_read2_b32 v[190:191], v151 offset0:35 offset1:36
	s_waitcnt vmcnt(18) lgkmcnt(3)
	v_pk_fma_f32 v[98:99], v[188:189], v[182:183], v[98:99] op_sel_hi:[0,1,1] neg_lo:[1,0,0] neg_hi:[1,0,0]
	ds_read2_b32 v[182:183], v151 offset0:37 offset1:38
	s_waitcnt vmcnt(16) lgkmcnt(3)
	v_pk_fma_f32 v[92:93], v[188:189], v[184:185], v[92:93] op_sel_hi:[0,1,1] neg_lo:[1,0,0] neg_hi:[1,0,0]
	s_waitcnt vmcnt(14) lgkmcnt(2)
	v_pk_fma_f32 v[118:119], v[188:189], v[186:187], v[118:119] op_sel_hi:[0,1,1] neg_lo:[1,0,0] neg_hi:[1,0,0]
	;; [unrolled: 2-line block ×3, first 2 shown]
	ds_read2_b32 v[184:185], v151 offset0:39 offset1:40
	ds_read2_b32 v[186:187], v151 offset0:41 offset1:42
	;; [unrolled: 1-line block ×3, first 2 shown]
	s_waitcnt vmcnt(10) lgkmcnt(3)
	v_pk_fma_f32 v[116:117], v[188:189], v[182:183], v[116:117] op_sel_hi:[0,1,1] neg_lo:[1,0,0] neg_hi:[1,0,0]
	ds_read2_b32 v[182:183], v151 offset0:45 offset1:46
	ds_read2_b32 v[192:193], v151 offset0:47 offset1:48
	s_waitcnt vmcnt(8) lgkmcnt(4)
	v_pk_fma_f32 v[120:121], v[188:189], v[184:185], v[120:121] op_sel_hi:[0,1,1] neg_lo:[1,0,0] neg_hi:[1,0,0]
	s_waitcnt vmcnt(6) lgkmcnt(3)
	v_pk_fma_f32 v[144:145], v[188:189], v[186:187], v[144:145] op_sel_hi:[0,1,1] neg_lo:[1,0,0] neg_hi:[1,0,0]
	;; [unrolled: 2-line block ×5, first 2 shown]
	v_mov_b32_e32 v97, v188
.LBB97_160:
	s_or_b64 exec, exec, s[2:3]
	v_cmp_eq_u32_e32 vcc, 29, v25
	s_waitcnt lgkmcnt(0)
	s_barrier
	s_and_saveexec_b64 s[2:3], vcc
	s_cbranch_execz .LBB97_163
; %bb.161:
	s_waitcnt vmcnt(16)
	v_pk_mov_b32 v[182:183], v[98:99], v[92:93] op_sel:[1,0]
	ds_write_b32 v150, v98
	ds_write2_b32 v151, v182, v183 offset0:30 offset1:31
	s_waitcnt vmcnt(14)
	v_pk_mov_b32 v[182:183], v[92:93], v[118:119] op_sel:[1,0]
	ds_write2_b32 v151, v182, v183 offset0:32 offset1:33
	s_waitcnt vmcnt(12)
	v_pk_mov_b32 v[182:183], v[118:119], v[122:123] op_sel:[1,0]
	;; [unrolled: 3-line block ×8, first 2 shown]
	ds_write2_b32 v151, v182, v183 offset0:46 offset1:47
	ds_write_b32 v151, v147 offset:192
	ds_read_b32 v181, v150
	s_waitcnt lgkmcnt(0)
	v_cmp_neq_f32_e32 vcc, 0, v181
	s_and_b64 exec, exec, vcc
	s_cbranch_execz .LBB97_163
; %bb.162:
	v_div_scale_f32 v182, s[4:5], v181, v181, 1.0
	v_rcp_f32_e32 v183, v182
	v_div_scale_f32 v184, vcc, 1.0, v181, 1.0
	v_fma_f32 v185, -v182, v183, 1.0
	v_fmac_f32_e32 v183, v185, v183
	v_mul_f32_e32 v185, v184, v183
	v_fma_f32 v186, -v182, v185, v184
	v_fmac_f32_e32 v185, v186, v183
	v_fma_f32 v182, -v182, v185, v184
	v_div_fmas_f32 v182, v182, v183, v185
	v_div_fixup_f32 v181, v182, v181, 1.0
	ds_write_b32 v150, v181
.LBB97_163:
	s_or_b64 exec, exec, s[2:3]
	s_waitcnt lgkmcnt(0)
	s_barrier
	ds_read_b32 v181, v150
	v_cmp_lt_u32_e32 vcc, 29, v25
	s_and_saveexec_b64 s[2:3], vcc
	s_cbranch_execz .LBB97_165
; %bb.164:
	ds_read_b32 v188, v151 offset:120
	ds_read2_b32 v[182:183], v151 offset0:31 offset1:32
	ds_read2_b32 v[184:185], v151 offset0:33 offset1:34
	s_waitcnt vmcnt(19) lgkmcnt(3)
	v_mul_f32_e32 v98, v181, v98
	ds_read2_b32 v[186:187], v151 offset0:35 offset1:36
	s_waitcnt vmcnt(18) lgkmcnt(3)
	v_fma_f32 v99, -v98, v188, v99
	s_waitcnt vmcnt(16) lgkmcnt(2)
	v_pk_fma_f32 v[92:93], v[98:99], v[182:183], v[92:93] op_sel_hi:[0,1,1] neg_lo:[1,0,0] neg_hi:[1,0,0]
	ds_read2_b32 v[182:183], v151 offset0:37 offset1:38
	s_waitcnt vmcnt(14) lgkmcnt(2)
	v_pk_fma_f32 v[118:119], v[98:99], v[184:185], v[118:119] op_sel_hi:[0,1,1] neg_lo:[1,0,0] neg_hi:[1,0,0]
	s_waitcnt vmcnt(12) lgkmcnt(1)
	v_pk_fma_f32 v[122:123], v[98:99], v[186:187], v[122:123] op_sel_hi:[0,1,1] neg_lo:[1,0,0] neg_hi:[1,0,0]
	ds_read2_b32 v[184:185], v151 offset0:39 offset1:40
	ds_read2_b32 v[186:187], v151 offset0:41 offset1:42
	;; [unrolled: 1-line block ×3, first 2 shown]
	s_waitcnt vmcnt(10) lgkmcnt(3)
	v_pk_fma_f32 v[116:117], v[98:99], v[182:183], v[116:117] op_sel_hi:[0,1,1] neg_lo:[1,0,0] neg_hi:[1,0,0]
	ds_read2_b32 v[182:183], v151 offset0:45 offset1:46
	ds_read2_b32 v[190:191], v151 offset0:47 offset1:48
	s_waitcnt vmcnt(8) lgkmcnt(4)
	v_pk_fma_f32 v[120:121], v[98:99], v[184:185], v[120:121] op_sel_hi:[0,1,1] neg_lo:[1,0,0] neg_hi:[1,0,0]
	s_waitcnt vmcnt(6) lgkmcnt(3)
	v_pk_fma_f32 v[144:145], v[98:99], v[186:187], v[144:145] op_sel_hi:[0,1,1] neg_lo:[1,0,0] neg_hi:[1,0,0]
	s_waitcnt vmcnt(4) lgkmcnt(2)
	v_pk_fma_f32 v[140:141], v[98:99], v[188:189], v[140:141] op_sel_hi:[0,1,1] neg_lo:[1,0,0] neg_hi:[1,0,0]
	s_waitcnt vmcnt(2) lgkmcnt(1)
	v_pk_fma_f32 v[142:143], v[98:99], v[182:183], v[142:143] op_sel_hi:[0,1,1] neg_lo:[1,0,0] neg_hi:[1,0,0]
	s_waitcnt vmcnt(0) lgkmcnt(0)
	v_pk_fma_f32 v[146:147], v[98:99], v[190:191], v[146:147] op_sel_hi:[0,1,1] neg_lo:[1,0,0] neg_hi:[1,0,0]
.LBB97_165:
	s_or_b64 exec, exec, s[2:3]
	v_cmp_ne_u32_e32 vcc, 30, v25
	s_waitcnt lgkmcnt(0)
	s_barrier
	s_and_saveexec_b64 s[2:3], vcc
	s_xor_b64 s[2:3], exec, s[2:3]
	s_andn2_saveexec_b64 s[2:3], s[2:3]
	s_cbranch_execz .LBB97_169
; %bb.166:
	s_waitcnt vmcnt(18)
	ds_write_b32 v150, v99
	s_waitcnt vmcnt(16)
	ds_write2_b32 v151, v92, v93 offset0:31 offset1:32
	s_waitcnt vmcnt(14)
	ds_write2_b32 v151, v118, v119 offset0:33 offset1:34
	;; [unrolled: 2-line block ×9, first 2 shown]
	ds_read_b32 v182, v150
	s_waitcnt lgkmcnt(0)
	v_cmp_neq_f32_e32 vcc, 0, v182
	s_and_saveexec_b64 s[4:5], vcc
	s_cbranch_execz .LBB97_168
; %bb.167:
	v_div_scale_f32 v183, s[10:11], v182, v182, 1.0
	v_rcp_f32_e32 v184, v183
	v_div_scale_f32 v185, vcc, 1.0, v182, 1.0
	v_fma_f32 v186, -v183, v184, 1.0
	v_fmac_f32_e32 v184, v186, v184
	v_mul_f32_e32 v186, v185, v184
	v_fma_f32 v187, -v183, v186, v185
	v_fmac_f32_e32 v186, v187, v184
	v_fma_f32 v183, -v183, v186, v185
	v_div_fmas_f32 v183, v183, v184, v186
	v_div_fixup_f32 v182, v183, v182, 1.0
	ds_write_b32 v150, v182
.LBB97_168:
	s_or_b64 exec, exec, s[4:5]
.LBB97_169:
	s_or_b64 exec, exec, s[2:3]
	s_waitcnt lgkmcnt(0)
	s_barrier
	ds_read_b32 v182, v150
	v_cmp_lt_u32_e32 vcc, 30, v25
	s_and_saveexec_b64 s[2:3], vcc
	s_cbranch_execz .LBB97_171
; %bb.170:
	ds_read2_b32 v[184:185], v151 offset0:31 offset1:32
	ds_read2_b32 v[186:187], v151 offset0:33 offset1:34
	;; [unrolled: 1-line block ×4, first 2 shown]
	s_waitcnt vmcnt(18) lgkmcnt(4)
	v_mul_f32_e32 v192, v182, v99
	s_waitcnt vmcnt(16) lgkmcnt(3)
	v_pk_fma_f32 v[92:93], v[192:193], v[184:185], v[92:93] op_sel_hi:[0,1,1] neg_lo:[1,0,0] neg_hi:[1,0,0]
	s_waitcnt vmcnt(14) lgkmcnt(2)
	v_pk_fma_f32 v[118:119], v[192:193], v[186:187], v[118:119] op_sel_hi:[0,1,1] neg_lo:[1,0,0] neg_hi:[1,0,0]
	;; [unrolled: 2-line block ×4, first 2 shown]
	ds_read2_b32 v[184:185], v151 offset0:39 offset1:40
	ds_read2_b32 v[186:187], v151 offset0:41 offset1:42
	;; [unrolled: 1-line block ×5, first 2 shown]
	s_waitcnt vmcnt(8) lgkmcnt(4)
	v_pk_fma_f32 v[120:121], v[192:193], v[184:185], v[120:121] op_sel_hi:[0,1,1] neg_lo:[1,0,0] neg_hi:[1,0,0]
	s_waitcnt vmcnt(6) lgkmcnt(3)
	v_pk_fma_f32 v[144:145], v[192:193], v[186:187], v[144:145] op_sel_hi:[0,1,1] neg_lo:[1,0,0] neg_hi:[1,0,0]
	;; [unrolled: 2-line block ×5, first 2 shown]
	v_mov_b32_e32 v99, v192
.LBB97_171:
	s_or_b64 exec, exec, s[2:3]
	v_cmp_eq_u32_e32 vcc, 31, v25
	s_waitcnt lgkmcnt(0)
	s_barrier
	s_and_saveexec_b64 s[2:3], vcc
	s_cbranch_execz .LBB97_174
; %bb.172:
	s_waitcnt vmcnt(14)
	v_pk_mov_b32 v[184:185], v[92:93], v[118:119] op_sel:[1,0]
	ds_write_b32 v150, v92
	ds_write2_b32 v151, v184, v185 offset0:32 offset1:33
	s_waitcnt vmcnt(12)
	v_pk_mov_b32 v[184:185], v[118:119], v[122:123] op_sel:[1,0]
	ds_write2_b32 v151, v184, v185 offset0:34 offset1:35
	s_waitcnt vmcnt(10)
	v_pk_mov_b32 v[184:185], v[122:123], v[116:117] op_sel:[1,0]
	;; [unrolled: 3-line block ×7, first 2 shown]
	ds_write2_b32 v151, v184, v185 offset0:46 offset1:47
	ds_write_b32 v151, v147 offset:192
	ds_read_b32 v183, v150
	s_waitcnt lgkmcnt(0)
	v_cmp_neq_f32_e32 vcc, 0, v183
	s_and_b64 exec, exec, vcc
	s_cbranch_execz .LBB97_174
; %bb.173:
	v_div_scale_f32 v184, s[4:5], v183, v183, 1.0
	v_rcp_f32_e32 v185, v184
	v_div_scale_f32 v186, vcc, 1.0, v183, 1.0
	v_fma_f32 v187, -v184, v185, 1.0
	v_fmac_f32_e32 v185, v187, v185
	v_mul_f32_e32 v187, v186, v185
	v_fma_f32 v188, -v184, v187, v186
	v_fmac_f32_e32 v187, v188, v185
	v_fma_f32 v184, -v184, v187, v186
	v_div_fmas_f32 v184, v184, v185, v187
	v_div_fixup_f32 v183, v184, v183, 1.0
	ds_write_b32 v150, v183
.LBB97_174:
	s_or_b64 exec, exec, s[2:3]
	s_waitcnt lgkmcnt(0)
	s_barrier
	ds_read_b32 v183, v150
	v_cmp_lt_u32_e32 vcc, 31, v25
	s_and_saveexec_b64 s[2:3], vcc
	s_cbranch_execz .LBB97_176
; %bb.175:
	ds_read_b32 v190, v151 offset:128
	ds_read2_b32 v[184:185], v151 offset0:33 offset1:34
	ds_read2_b32 v[186:187], v151 offset0:35 offset1:36
	;; [unrolled: 1-line block ×3, first 2 shown]
	s_waitcnt vmcnt(17) lgkmcnt(4)
	v_mul_f32_e32 v92, v183, v92
	s_waitcnt vmcnt(16) lgkmcnt(3)
	v_fma_f32 v93, -v92, v190, v93
	s_waitcnt vmcnt(14) lgkmcnt(2)
	v_pk_fma_f32 v[118:119], v[92:93], v[184:185], v[118:119] op_sel_hi:[0,1,1] neg_lo:[1,0,0] neg_hi:[1,0,0]
	s_waitcnt vmcnt(12) lgkmcnt(1)
	v_pk_fma_f32 v[122:123], v[92:93], v[186:187], v[122:123] op_sel_hi:[0,1,1] neg_lo:[1,0,0] neg_hi:[1,0,0]
	;; [unrolled: 2-line block ×3, first 2 shown]
	ds_read2_b32 v[184:185], v151 offset0:39 offset1:40
	ds_read2_b32 v[186:187], v151 offset0:41 offset1:42
	;; [unrolled: 1-line block ×5, first 2 shown]
	s_waitcnt vmcnt(8) lgkmcnt(4)
	v_pk_fma_f32 v[120:121], v[92:93], v[184:185], v[120:121] op_sel_hi:[0,1,1] neg_lo:[1,0,0] neg_hi:[1,0,0]
	s_waitcnt vmcnt(6) lgkmcnt(3)
	v_pk_fma_f32 v[144:145], v[92:93], v[186:187], v[144:145] op_sel_hi:[0,1,1] neg_lo:[1,0,0] neg_hi:[1,0,0]
	;; [unrolled: 2-line block ×5, first 2 shown]
.LBB97_176:
	s_or_b64 exec, exec, s[2:3]
	v_cmp_ne_u32_e32 vcc, 32, v25
	s_waitcnt lgkmcnt(0)
	s_barrier
	s_and_saveexec_b64 s[2:3], vcc
	s_xor_b64 s[2:3], exec, s[2:3]
	s_andn2_saveexec_b64 s[2:3], s[2:3]
	s_cbranch_execz .LBB97_180
; %bb.177:
	s_waitcnt vmcnt(16)
	ds_write_b32 v150, v93
	s_waitcnt vmcnt(14)
	ds_write2_b32 v151, v118, v119 offset0:33 offset1:34
	s_waitcnt vmcnt(12)
	ds_write2_b32 v151, v122, v123 offset0:35 offset1:36
	;; [unrolled: 2-line block ×8, first 2 shown]
	ds_read_b32 v184, v150
	s_waitcnt lgkmcnt(0)
	v_cmp_neq_f32_e32 vcc, 0, v184
	s_and_saveexec_b64 s[4:5], vcc
	s_cbranch_execz .LBB97_179
; %bb.178:
	v_div_scale_f32 v185, s[10:11], v184, v184, 1.0
	v_rcp_f32_e32 v186, v185
	v_div_scale_f32 v187, vcc, 1.0, v184, 1.0
	v_fma_f32 v188, -v185, v186, 1.0
	v_fmac_f32_e32 v186, v188, v186
	v_mul_f32_e32 v188, v187, v186
	v_fma_f32 v189, -v185, v188, v187
	v_fmac_f32_e32 v188, v189, v186
	v_fma_f32 v185, -v185, v188, v187
	v_div_fmas_f32 v185, v185, v186, v188
	v_div_fixup_f32 v184, v185, v184, 1.0
	ds_write_b32 v150, v184
.LBB97_179:
	s_or_b64 exec, exec, s[4:5]
.LBB97_180:
	s_or_b64 exec, exec, s[2:3]
	s_waitcnt lgkmcnt(0)
	s_barrier
	ds_read_b32 v184, v150
	v_cmp_lt_u32_e32 vcc, 32, v25
	s_and_saveexec_b64 s[2:3], vcc
	s_cbranch_execz .LBB97_182
; %bb.181:
	ds_read2_b32 v[186:187], v151 offset0:33 offset1:34
	ds_read2_b32 v[188:189], v151 offset0:35 offset1:36
	;; [unrolled: 1-line block ×3, first 2 shown]
	s_waitcnt vmcnt(16) lgkmcnt(3)
	v_mul_f32_e32 v192, v184, v93
	ds_read2_b32 v[194:195], v151 offset0:39 offset1:40
	s_waitcnt vmcnt(14) lgkmcnt(3)
	v_pk_fma_f32 v[118:119], v[192:193], v[186:187], v[118:119] op_sel_hi:[0,1,1] neg_lo:[1,0,0] neg_hi:[1,0,0]
	s_waitcnt vmcnt(12) lgkmcnt(2)
	v_pk_fma_f32 v[122:123], v[192:193], v[188:189], v[122:123] op_sel_hi:[0,1,1] neg_lo:[1,0,0] neg_hi:[1,0,0]
	;; [unrolled: 2-line block ×3, first 2 shown]
	ds_read2_b32 v[186:187], v151 offset0:41 offset1:42
	ds_read2_b32 v[188:189], v151 offset0:43 offset1:44
	;; [unrolled: 1-line block ×4, first 2 shown]
	s_waitcnt vmcnt(8) lgkmcnt(4)
	v_pk_fma_f32 v[120:121], v[192:193], v[194:195], v[120:121] op_sel_hi:[0,1,1] neg_lo:[1,0,0] neg_hi:[1,0,0]
	s_waitcnt vmcnt(6) lgkmcnt(3)
	v_pk_fma_f32 v[144:145], v[192:193], v[186:187], v[144:145] op_sel_hi:[0,1,1] neg_lo:[1,0,0] neg_hi:[1,0,0]
	;; [unrolled: 2-line block ×5, first 2 shown]
	v_mov_b32_e32 v93, v192
.LBB97_182:
	s_or_b64 exec, exec, s[2:3]
	v_cmp_eq_u32_e32 vcc, 33, v25
	s_waitcnt lgkmcnt(0)
	s_barrier
	s_and_saveexec_b64 s[2:3], vcc
	s_cbranch_execz .LBB97_185
; %bb.183:
	s_waitcnt vmcnt(12)
	v_pk_mov_b32 v[186:187], v[118:119], v[122:123] op_sel:[1,0]
	ds_write_b32 v150, v118
	ds_write2_b32 v151, v186, v187 offset0:34 offset1:35
	s_waitcnt vmcnt(10)
	v_pk_mov_b32 v[186:187], v[122:123], v[116:117] op_sel:[1,0]
	ds_write2_b32 v151, v186, v187 offset0:36 offset1:37
	s_waitcnt vmcnt(8)
	v_pk_mov_b32 v[186:187], v[116:117], v[120:121] op_sel:[1,0]
	ds_write2_b32 v151, v186, v187 offset0:38 offset1:39
	s_waitcnt vmcnt(6)
	v_pk_mov_b32 v[186:187], v[120:121], v[144:145] op_sel:[1,0]
	ds_write2_b32 v151, v186, v187 offset0:40 offset1:41
	s_waitcnt vmcnt(4)
	v_pk_mov_b32 v[186:187], v[144:145], v[140:141] op_sel:[1,0]
	ds_write2_b32 v151, v186, v187 offset0:42 offset1:43
	s_waitcnt vmcnt(2)
	v_pk_mov_b32 v[186:187], v[140:141], v[142:143] op_sel:[1,0]
	ds_write2_b32 v151, v186, v187 offset0:44 offset1:45
	s_waitcnt vmcnt(0)
	v_pk_mov_b32 v[186:187], v[142:143], v[146:147] op_sel:[1,0]
	ds_write2_b32 v151, v186, v187 offset0:46 offset1:47
	ds_write_b32 v151, v147 offset:192
	ds_read_b32 v185, v150
	s_waitcnt lgkmcnt(0)
	v_cmp_neq_f32_e32 vcc, 0, v185
	s_and_b64 exec, exec, vcc
	s_cbranch_execz .LBB97_185
; %bb.184:
	v_div_scale_f32 v186, s[4:5], v185, v185, 1.0
	v_rcp_f32_e32 v187, v186
	v_div_scale_f32 v188, vcc, 1.0, v185, 1.0
	v_fma_f32 v189, -v186, v187, 1.0
	v_fmac_f32_e32 v187, v189, v187
	v_mul_f32_e32 v189, v188, v187
	v_fma_f32 v190, -v186, v189, v188
	v_fmac_f32_e32 v189, v190, v187
	v_fma_f32 v186, -v186, v189, v188
	v_div_fmas_f32 v186, v186, v187, v189
	v_div_fixup_f32 v185, v186, v185, 1.0
	ds_write_b32 v150, v185
.LBB97_185:
	s_or_b64 exec, exec, s[2:3]
	s_waitcnt lgkmcnt(0)
	s_barrier
	ds_read_b32 v185, v150
	v_cmp_lt_u32_e32 vcc, 33, v25
	s_and_saveexec_b64 s[2:3], vcc
	s_cbranch_execz .LBB97_187
; %bb.186:
	ds_read_b32 v192, v151 offset:136
	ds_read2_b32 v[186:187], v151 offset0:35 offset1:36
	ds_read2_b32 v[188:189], v151 offset0:37 offset1:38
	s_waitcnt vmcnt(15) lgkmcnt(3)
	v_mul_f32_e32 v118, v185, v118
	ds_read2_b32 v[190:191], v151 offset0:39 offset1:40
	s_waitcnt vmcnt(14) lgkmcnt(3)
	v_fma_f32 v119, -v118, v192, v119
	s_waitcnt vmcnt(12) lgkmcnt(2)
	v_pk_fma_f32 v[122:123], v[118:119], v[186:187], v[122:123] op_sel_hi:[0,1,1] neg_lo:[1,0,0] neg_hi:[1,0,0]
	s_waitcnt vmcnt(10) lgkmcnt(1)
	v_pk_fma_f32 v[116:117], v[118:119], v[188:189], v[116:117] op_sel_hi:[0,1,1] neg_lo:[1,0,0] neg_hi:[1,0,0]
	ds_read2_b32 v[186:187], v151 offset0:41 offset1:42
	ds_read2_b32 v[188:189], v151 offset0:43 offset1:44
	;; [unrolled: 1-line block ×4, first 2 shown]
	s_waitcnt vmcnt(8) lgkmcnt(4)
	v_pk_fma_f32 v[120:121], v[118:119], v[190:191], v[120:121] op_sel_hi:[0,1,1] neg_lo:[1,0,0] neg_hi:[1,0,0]
	s_waitcnt vmcnt(6) lgkmcnt(3)
	v_pk_fma_f32 v[144:145], v[118:119], v[186:187], v[144:145] op_sel_hi:[0,1,1] neg_lo:[1,0,0] neg_hi:[1,0,0]
	;; [unrolled: 2-line block ×5, first 2 shown]
.LBB97_187:
	s_or_b64 exec, exec, s[2:3]
	v_cmp_ne_u32_e32 vcc, 34, v25
	s_waitcnt lgkmcnt(0)
	s_barrier
	s_and_saveexec_b64 s[2:3], vcc
	s_xor_b64 s[2:3], exec, s[2:3]
	s_andn2_saveexec_b64 s[2:3], s[2:3]
	s_cbranch_execz .LBB97_191
; %bb.188:
	s_waitcnt vmcnt(14)
	ds_write_b32 v150, v119
	s_waitcnt vmcnt(12)
	ds_write2_b32 v151, v122, v123 offset0:35 offset1:36
	s_waitcnt vmcnt(10)
	ds_write2_b32 v151, v116, v117 offset0:37 offset1:38
	;; [unrolled: 2-line block ×7, first 2 shown]
	ds_read_b32 v186, v150
	s_waitcnt lgkmcnt(0)
	v_cmp_neq_f32_e32 vcc, 0, v186
	s_and_saveexec_b64 s[4:5], vcc
	s_cbranch_execz .LBB97_190
; %bb.189:
	v_div_scale_f32 v187, s[10:11], v186, v186, 1.0
	v_rcp_f32_e32 v188, v187
	v_div_scale_f32 v189, vcc, 1.0, v186, 1.0
	v_fma_f32 v190, -v187, v188, 1.0
	v_fmac_f32_e32 v188, v190, v188
	v_mul_f32_e32 v190, v189, v188
	v_fma_f32 v191, -v187, v190, v189
	v_fmac_f32_e32 v190, v191, v188
	v_fma_f32 v187, -v187, v190, v189
	v_div_fmas_f32 v187, v187, v188, v190
	v_div_fixup_f32 v186, v187, v186, 1.0
	ds_write_b32 v150, v186
.LBB97_190:
	s_or_b64 exec, exec, s[4:5]
.LBB97_191:
	s_or_b64 exec, exec, s[2:3]
	s_waitcnt lgkmcnt(0)
	s_barrier
	ds_read_b32 v186, v150
	v_cmp_lt_u32_e32 vcc, 34, v25
	s_and_saveexec_b64 s[2:3], vcc
	s_cbranch_execz .LBB97_193
; %bb.192:
	ds_read2_b32 v[188:189], v151 offset0:35 offset1:36
	ds_read2_b32 v[190:191], v151 offset0:37 offset1:38
	s_waitcnt vmcnt(14) lgkmcnt(2)
	v_mul_f32_e32 v192, v186, v119
	ds_read2_b32 v[194:195], v151 offset0:39 offset1:40
	ds_read2_b32 v[196:197], v151 offset0:41 offset1:42
	v_mov_b32_e32 v119, v192
	s_waitcnt vmcnt(12) lgkmcnt(3)
	v_pk_fma_f32 v[122:123], v[192:193], v[188:189], v[122:123] op_sel_hi:[0,1,1] neg_lo:[1,0,0] neg_hi:[1,0,0]
	s_waitcnt vmcnt(10) lgkmcnt(2)
	v_pk_fma_f32 v[116:117], v[192:193], v[190:191], v[116:117] op_sel_hi:[0,1,1] neg_lo:[1,0,0] neg_hi:[1,0,0]
	ds_read2_b32 v[188:189], v151 offset0:43 offset1:44
	ds_read2_b32 v[190:191], v151 offset0:45 offset1:46
	;; [unrolled: 1-line block ×3, first 2 shown]
	s_waitcnt vmcnt(8) lgkmcnt(4)
	v_pk_fma_f32 v[120:121], v[192:193], v[194:195], v[120:121] op_sel_hi:[0,1,1] neg_lo:[1,0,0] neg_hi:[1,0,0]
	s_waitcnt vmcnt(6) lgkmcnt(3)
	v_pk_fma_f32 v[144:145], v[192:193], v[196:197], v[144:145] op_sel_hi:[0,1,1] neg_lo:[1,0,0] neg_hi:[1,0,0]
	;; [unrolled: 2-line block ×5, first 2 shown]
.LBB97_193:
	s_or_b64 exec, exec, s[2:3]
	v_cmp_eq_u32_e32 vcc, 35, v25
	s_waitcnt lgkmcnt(0)
	s_barrier
	s_and_saveexec_b64 s[2:3], vcc
	s_cbranch_execz .LBB97_196
; %bb.194:
	s_waitcnt vmcnt(10)
	v_pk_mov_b32 v[188:189], v[122:123], v[116:117] op_sel:[1,0]
	ds_write_b32 v150, v122
	ds_write2_b32 v151, v188, v189 offset0:36 offset1:37
	s_waitcnt vmcnt(8)
	v_pk_mov_b32 v[188:189], v[116:117], v[120:121] op_sel:[1,0]
	ds_write2_b32 v151, v188, v189 offset0:38 offset1:39
	s_waitcnt vmcnt(6)
	v_pk_mov_b32 v[188:189], v[120:121], v[144:145] op_sel:[1,0]
	;; [unrolled: 3-line block ×5, first 2 shown]
	ds_write2_b32 v151, v188, v189 offset0:46 offset1:47
	ds_write_b32 v151, v147 offset:192
	ds_read_b32 v187, v150
	s_waitcnt lgkmcnt(0)
	v_cmp_neq_f32_e32 vcc, 0, v187
	s_and_b64 exec, exec, vcc
	s_cbranch_execz .LBB97_196
; %bb.195:
	v_div_scale_f32 v188, s[4:5], v187, v187, 1.0
	v_rcp_f32_e32 v189, v188
	v_div_scale_f32 v190, vcc, 1.0, v187, 1.0
	v_fma_f32 v191, -v188, v189, 1.0
	v_fmac_f32_e32 v189, v191, v189
	v_mul_f32_e32 v191, v190, v189
	v_fma_f32 v192, -v188, v191, v190
	v_fmac_f32_e32 v191, v192, v189
	v_fma_f32 v188, -v188, v191, v190
	v_div_fmas_f32 v188, v188, v189, v191
	v_div_fixup_f32 v187, v188, v187, 1.0
	ds_write_b32 v150, v187
.LBB97_196:
	s_or_b64 exec, exec, s[2:3]
	s_waitcnt lgkmcnt(0)
	s_barrier
	ds_read_b32 v187, v150
	v_cmp_lt_u32_e32 vcc, 35, v25
	s_and_saveexec_b64 s[2:3], vcc
	s_cbranch_execz .LBB97_198
; %bb.197:
	ds_read_b32 v194, v151 offset:144
	ds_read2_b32 v[188:189], v151 offset0:37 offset1:38
	s_waitcnt vmcnt(13) lgkmcnt(2)
	v_mul_f32_e32 v122, v187, v122
	ds_read2_b32 v[190:191], v151 offset0:39 offset1:40
	ds_read2_b32 v[192:193], v151 offset0:41 offset1:42
	s_waitcnt vmcnt(12) lgkmcnt(3)
	v_fma_f32 v123, -v122, v194, v123
	s_waitcnt vmcnt(10) lgkmcnt(2)
	v_pk_fma_f32 v[116:117], v[122:123], v[188:189], v[116:117] op_sel_hi:[0,1,1] neg_lo:[1,0,0] neg_hi:[1,0,0]
	ds_read2_b32 v[188:189], v151 offset0:43 offset1:44
	ds_read2_b32 v[194:195], v151 offset0:45 offset1:46
	;; [unrolled: 1-line block ×3, first 2 shown]
	s_waitcnt vmcnt(8) lgkmcnt(4)
	v_pk_fma_f32 v[120:121], v[122:123], v[190:191], v[120:121] op_sel_hi:[0,1,1] neg_lo:[1,0,0] neg_hi:[1,0,0]
	s_waitcnt vmcnt(6) lgkmcnt(3)
	v_pk_fma_f32 v[144:145], v[122:123], v[192:193], v[144:145] op_sel_hi:[0,1,1] neg_lo:[1,0,0] neg_hi:[1,0,0]
	;; [unrolled: 2-line block ×5, first 2 shown]
.LBB97_198:
	s_or_b64 exec, exec, s[2:3]
	v_cmp_ne_u32_e32 vcc, 36, v25
	s_waitcnt lgkmcnt(0)
	s_barrier
	s_and_saveexec_b64 s[2:3], vcc
	s_xor_b64 s[2:3], exec, s[2:3]
	s_andn2_saveexec_b64 s[2:3], s[2:3]
	s_cbranch_execz .LBB97_202
; %bb.199:
	s_waitcnt vmcnt(12)
	ds_write_b32 v150, v123
	s_waitcnt vmcnt(10)
	ds_write2_b32 v151, v116, v117 offset0:37 offset1:38
	s_waitcnt vmcnt(8)
	ds_write2_b32 v151, v120, v121 offset0:39 offset1:40
	;; [unrolled: 2-line block ×6, first 2 shown]
	ds_read_b32 v188, v150
	s_waitcnt lgkmcnt(0)
	v_cmp_neq_f32_e32 vcc, 0, v188
	s_and_saveexec_b64 s[4:5], vcc
	s_cbranch_execz .LBB97_201
; %bb.200:
	v_div_scale_f32 v189, s[10:11], v188, v188, 1.0
	v_rcp_f32_e32 v190, v189
	v_div_scale_f32 v191, vcc, 1.0, v188, 1.0
	v_fma_f32 v192, -v189, v190, 1.0
	v_fmac_f32_e32 v190, v192, v190
	v_mul_f32_e32 v192, v191, v190
	v_fma_f32 v193, -v189, v192, v191
	v_fmac_f32_e32 v192, v193, v190
	v_fma_f32 v189, -v189, v192, v191
	v_div_fmas_f32 v189, v189, v190, v192
	v_div_fixup_f32 v188, v189, v188, 1.0
	ds_write_b32 v150, v188
.LBB97_201:
	s_or_b64 exec, exec, s[4:5]
.LBB97_202:
	s_or_b64 exec, exec, s[2:3]
	s_waitcnt lgkmcnt(0)
	s_barrier
	ds_read_b32 v188, v150
	v_cmp_lt_u32_e32 vcc, 36, v25
	s_and_saveexec_b64 s[2:3], vcc
	s_cbranch_execz .LBB97_204
; %bb.203:
	ds_read2_b32 v[190:191], v151 offset0:37 offset1:38
	s_waitcnt vmcnt(12) lgkmcnt(1)
	v_mul_f32_e32 v192, v188, v123
	ds_read2_b32 v[194:195], v151 offset0:39 offset1:40
	ds_read2_b32 v[196:197], v151 offset0:41 offset1:42
	;; [unrolled: 1-line block ×3, first 2 shown]
	v_mov_b32_e32 v123, v192
	s_waitcnt vmcnt(8) lgkmcnt(2)
	v_pk_fma_f32 v[120:121], v[192:193], v[194:195], v[120:121] op_sel_hi:[0,1,1] neg_lo:[1,0,0] neg_hi:[1,0,0]
	v_pk_fma_f32 v[116:117], v[192:193], v[190:191], v[116:117] op_sel_hi:[0,1,1] neg_lo:[1,0,0] neg_hi:[1,0,0]
	ds_read2_b32 v[190:191], v151 offset0:45 offset1:46
	ds_read2_b32 v[200:201], v151 offset0:47 offset1:48
	s_waitcnt vmcnt(6) lgkmcnt(3)
	v_pk_fma_f32 v[144:145], v[192:193], v[196:197], v[144:145] op_sel_hi:[0,1,1] neg_lo:[1,0,0] neg_hi:[1,0,0]
	s_waitcnt vmcnt(4) lgkmcnt(2)
	v_pk_fma_f32 v[140:141], v[192:193], v[198:199], v[140:141] op_sel_hi:[0,1,1] neg_lo:[1,0,0] neg_hi:[1,0,0]
	;; [unrolled: 2-line block ×4, first 2 shown]
.LBB97_204:
	s_or_b64 exec, exec, s[2:3]
	v_cmp_eq_u32_e32 vcc, 37, v25
	s_waitcnt lgkmcnt(0)
	s_barrier
	s_and_saveexec_b64 s[2:3], vcc
	s_cbranch_execz .LBB97_207
; %bb.205:
	s_waitcnt vmcnt(8)
	v_pk_mov_b32 v[190:191], v[116:117], v[120:121] op_sel:[1,0]
	ds_write_b32 v150, v116
	ds_write2_b32 v151, v190, v191 offset0:38 offset1:39
	s_waitcnt vmcnt(6)
	v_pk_mov_b32 v[190:191], v[120:121], v[144:145] op_sel:[1,0]
	ds_write2_b32 v151, v190, v191 offset0:40 offset1:41
	s_waitcnt vmcnt(4)
	v_pk_mov_b32 v[190:191], v[144:145], v[140:141] op_sel:[1,0]
	;; [unrolled: 3-line block ×4, first 2 shown]
	ds_write2_b32 v151, v190, v191 offset0:46 offset1:47
	ds_write_b32 v151, v147 offset:192
	ds_read_b32 v189, v150
	s_waitcnt lgkmcnt(0)
	v_cmp_neq_f32_e32 vcc, 0, v189
	s_and_b64 exec, exec, vcc
	s_cbranch_execz .LBB97_207
; %bb.206:
	v_div_scale_f32 v190, s[4:5], v189, v189, 1.0
	v_rcp_f32_e32 v191, v190
	v_div_scale_f32 v192, vcc, 1.0, v189, 1.0
	v_fma_f32 v193, -v190, v191, 1.0
	v_fmac_f32_e32 v191, v193, v191
	v_mul_f32_e32 v193, v192, v191
	v_fma_f32 v194, -v190, v193, v192
	v_fmac_f32_e32 v193, v194, v191
	v_fma_f32 v190, -v190, v193, v192
	v_div_fmas_f32 v190, v190, v191, v193
	v_div_fixup_f32 v189, v190, v189, 1.0
	ds_write_b32 v150, v189
.LBB97_207:
	s_or_b64 exec, exec, s[2:3]
	s_waitcnt lgkmcnt(0)
	s_barrier
	ds_read_b32 v189, v150
	v_cmp_lt_u32_e32 vcc, 37, v25
	s_and_saveexec_b64 s[2:3], vcc
	s_cbranch_execz .LBB97_209
; %bb.208:
	ds_read_b32 v196, v151 offset:152
	s_waitcnt vmcnt(11) lgkmcnt(1)
	v_mul_f32_e32 v116, v189, v116
	ds_read2_b32 v[190:191], v151 offset0:39 offset1:40
	ds_read2_b32 v[192:193], v151 offset0:41 offset1:42
	;; [unrolled: 1-line block ×3, first 2 shown]
	s_waitcnt vmcnt(10) lgkmcnt(3)
	v_fma_f32 v117, -v116, v196, v117
	ds_read2_b32 v[196:197], v151 offset0:45 offset1:46
	ds_read2_b32 v[198:199], v151 offset0:47 offset1:48
	s_waitcnt vmcnt(8) lgkmcnt(4)
	v_pk_fma_f32 v[120:121], v[116:117], v[190:191], v[120:121] op_sel_hi:[0,1,1] neg_lo:[1,0,0] neg_hi:[1,0,0]
	s_waitcnt vmcnt(6) lgkmcnt(3)
	v_pk_fma_f32 v[144:145], v[116:117], v[192:193], v[144:145] op_sel_hi:[0,1,1] neg_lo:[1,0,0] neg_hi:[1,0,0]
	;; [unrolled: 2-line block ×5, first 2 shown]
.LBB97_209:
	s_or_b64 exec, exec, s[2:3]
	v_cmp_ne_u32_e32 vcc, 38, v25
	s_waitcnt lgkmcnt(0)
	s_barrier
	s_and_saveexec_b64 s[2:3], vcc
	s_xor_b64 s[2:3], exec, s[2:3]
	s_andn2_saveexec_b64 s[2:3], s[2:3]
	s_cbranch_execz .LBB97_213
; %bb.210:
	s_waitcnt vmcnt(10)
	ds_write_b32 v150, v117
	s_waitcnt vmcnt(8)
	ds_write2_b32 v151, v120, v121 offset0:39 offset1:40
	s_waitcnt vmcnt(6)
	ds_write2_b32 v151, v144, v145 offset0:41 offset1:42
	;; [unrolled: 2-line block ×5, first 2 shown]
	ds_read_b32 v190, v150
	s_waitcnt lgkmcnt(0)
	v_cmp_neq_f32_e32 vcc, 0, v190
	s_and_saveexec_b64 s[4:5], vcc
	s_cbranch_execz .LBB97_212
; %bb.211:
	v_div_scale_f32 v191, s[10:11], v190, v190, 1.0
	v_rcp_f32_e32 v192, v191
	v_div_scale_f32 v193, vcc, 1.0, v190, 1.0
	v_fma_f32 v194, -v191, v192, 1.0
	v_fmac_f32_e32 v192, v194, v192
	v_mul_f32_e32 v194, v193, v192
	v_fma_f32 v195, -v191, v194, v193
	v_fmac_f32_e32 v194, v195, v192
	v_fma_f32 v191, -v191, v194, v193
	v_div_fmas_f32 v191, v191, v192, v194
	v_div_fixup_f32 v190, v191, v190, 1.0
	ds_write_b32 v150, v190
.LBB97_212:
	s_or_b64 exec, exec, s[4:5]
.LBB97_213:
	s_or_b64 exec, exec, s[2:3]
	s_waitcnt lgkmcnt(0)
	s_barrier
	ds_read_b32 v190, v150
	v_cmp_lt_u32_e32 vcc, 38, v25
	s_and_saveexec_b64 s[2:3], vcc
	s_cbranch_execz .LBB97_215
; %bb.214:
	ds_read2_b32 v[194:195], v151 offset0:39 offset1:40
	ds_read2_b32 v[196:197], v151 offset0:41 offset1:42
	ds_read2_b32 v[198:199], v151 offset0:43 offset1:44
	ds_read2_b32 v[200:201], v151 offset0:45 offset1:46
	ds_read2_b32 v[202:203], v151 offset0:47 offset1:48
	s_waitcnt vmcnt(10) lgkmcnt(5)
	v_mul_f32_e32 v192, v190, v117
	s_waitcnt vmcnt(8) lgkmcnt(4)
	v_pk_fma_f32 v[120:121], v[192:193], v[194:195], v[120:121] op_sel_hi:[0,1,1] neg_lo:[1,0,0] neg_hi:[1,0,0]
	s_waitcnt vmcnt(6) lgkmcnt(3)
	v_pk_fma_f32 v[144:145], v[192:193], v[196:197], v[144:145] op_sel_hi:[0,1,1] neg_lo:[1,0,0] neg_hi:[1,0,0]
	;; [unrolled: 2-line block ×5, first 2 shown]
	v_mov_b32_e32 v117, v192
.LBB97_215:
	s_or_b64 exec, exec, s[2:3]
	v_cmp_eq_u32_e32 vcc, 39, v25
	s_waitcnt lgkmcnt(0)
	s_barrier
	s_and_saveexec_b64 s[2:3], vcc
	s_cbranch_execz .LBB97_218
; %bb.216:
	s_waitcnt vmcnt(6)
	v_pk_mov_b32 v[192:193], v[120:121], v[144:145] op_sel:[1,0]
	ds_write_b32 v150, v120
	ds_write2_b32 v151, v192, v193 offset0:40 offset1:41
	s_waitcnt vmcnt(4)
	v_pk_mov_b32 v[192:193], v[144:145], v[140:141] op_sel:[1,0]
	ds_write2_b32 v151, v192, v193 offset0:42 offset1:43
	s_waitcnt vmcnt(2)
	v_pk_mov_b32 v[192:193], v[140:141], v[142:143] op_sel:[1,0]
	;; [unrolled: 3-line block ×3, first 2 shown]
	ds_write2_b32 v151, v192, v193 offset0:46 offset1:47
	ds_write_b32 v151, v147 offset:192
	ds_read_b32 v191, v150
	s_waitcnt lgkmcnt(0)
	v_cmp_neq_f32_e32 vcc, 0, v191
	s_and_b64 exec, exec, vcc
	s_cbranch_execz .LBB97_218
; %bb.217:
	v_div_scale_f32 v192, s[4:5], v191, v191, 1.0
	v_rcp_f32_e32 v193, v192
	v_div_scale_f32 v194, vcc, 1.0, v191, 1.0
	v_fma_f32 v195, -v192, v193, 1.0
	v_fmac_f32_e32 v193, v195, v193
	v_mul_f32_e32 v195, v194, v193
	v_fma_f32 v196, -v192, v195, v194
	v_fmac_f32_e32 v195, v196, v193
	v_fma_f32 v192, -v192, v195, v194
	v_div_fmas_f32 v192, v192, v193, v195
	v_div_fixup_f32 v191, v192, v191, 1.0
	ds_write_b32 v150, v191
.LBB97_218:
	s_or_b64 exec, exec, s[2:3]
	s_waitcnt lgkmcnt(0)
	s_barrier
	ds_read_b32 v191, v150
	v_cmp_lt_u32_e32 vcc, 39, v25
	s_and_saveexec_b64 s[2:3], vcc
	s_cbranch_execz .LBB97_220
; %bb.219:
	ds_read_b32 v200, v151 offset:160
	ds_read2_b32 v[192:193], v151 offset0:41 offset1:42
	ds_read2_b32 v[194:195], v151 offset0:43 offset1:44
	;; [unrolled: 1-line block ×4, first 2 shown]
	s_waitcnt vmcnt(9) lgkmcnt(5)
	v_mul_f32_e32 v120, v191, v120
	s_waitcnt vmcnt(8) lgkmcnt(4)
	v_fma_f32 v121, -v120, v200, v121
	s_waitcnt vmcnt(6) lgkmcnt(3)
	v_pk_fma_f32 v[144:145], v[120:121], v[192:193], v[144:145] op_sel_hi:[0,1,1] neg_lo:[1,0,0] neg_hi:[1,0,0]
	s_waitcnt vmcnt(4) lgkmcnt(2)
	v_pk_fma_f32 v[140:141], v[120:121], v[194:195], v[140:141] op_sel_hi:[0,1,1] neg_lo:[1,0,0] neg_hi:[1,0,0]
	;; [unrolled: 2-line block ×4, first 2 shown]
.LBB97_220:
	s_or_b64 exec, exec, s[2:3]
	v_cmp_ne_u32_e32 vcc, 40, v25
	s_waitcnt lgkmcnt(0)
	s_barrier
	s_and_saveexec_b64 s[2:3], vcc
	s_xor_b64 s[2:3], exec, s[2:3]
	s_andn2_saveexec_b64 s[2:3], s[2:3]
	s_cbranch_execz .LBB97_224
; %bb.221:
	s_waitcnt vmcnt(8)
	ds_write_b32 v150, v121
	s_waitcnt vmcnt(6)
	ds_write2_b32 v151, v144, v145 offset0:41 offset1:42
	s_waitcnt vmcnt(4)
	ds_write2_b32 v151, v140, v141 offset0:43 offset1:44
	s_waitcnt vmcnt(2)
	ds_write2_b32 v151, v142, v143 offset0:45 offset1:46
	s_waitcnt vmcnt(0)
	ds_write2_b32 v151, v146, v147 offset0:47 offset1:48
	ds_read_b32 v192, v150
	s_waitcnt lgkmcnt(0)
	v_cmp_neq_f32_e32 vcc, 0, v192
	s_and_saveexec_b64 s[4:5], vcc
	s_cbranch_execz .LBB97_223
; %bb.222:
	v_div_scale_f32 v193, s[10:11], v192, v192, 1.0
	v_rcp_f32_e32 v194, v193
	v_div_scale_f32 v195, vcc, 1.0, v192, 1.0
	v_fma_f32 v196, -v193, v194, 1.0
	v_fmac_f32_e32 v194, v196, v194
	v_mul_f32_e32 v196, v195, v194
	v_fma_f32 v197, -v193, v196, v195
	v_fmac_f32_e32 v196, v197, v194
	v_fma_f32 v193, -v193, v196, v195
	v_div_fmas_f32 v193, v193, v194, v196
	v_div_fixup_f32 v192, v193, v192, 1.0
	ds_write_b32 v150, v192
.LBB97_223:
	s_or_b64 exec, exec, s[4:5]
.LBB97_224:
	s_or_b64 exec, exec, s[2:3]
	s_waitcnt lgkmcnt(0)
	s_barrier
	ds_read_b32 v192, v150
	v_cmp_lt_u32_e32 vcc, 40, v25
	s_and_saveexec_b64 s[2:3], vcc
	s_cbranch_execz .LBB97_226
; %bb.225:
	ds_read2_b32 v[194:195], v151 offset0:41 offset1:42
	ds_read2_b32 v[196:197], v151 offset0:43 offset1:44
	;; [unrolled: 1-line block ×4, first 2 shown]
	s_waitcnt vmcnt(8) lgkmcnt(4)
	v_mul_f32_e32 v202, v192, v121
	s_waitcnt vmcnt(6) lgkmcnt(3)
	v_pk_fma_f32 v[144:145], v[202:203], v[194:195], v[144:145] op_sel_hi:[0,1,1] neg_lo:[1,0,0] neg_hi:[1,0,0]
	s_waitcnt vmcnt(4) lgkmcnt(2)
	v_pk_fma_f32 v[140:141], v[202:203], v[196:197], v[140:141] op_sel_hi:[0,1,1] neg_lo:[1,0,0] neg_hi:[1,0,0]
	;; [unrolled: 2-line block ×4, first 2 shown]
	v_mov_b32_e32 v121, v202
.LBB97_226:
	s_or_b64 exec, exec, s[2:3]
	v_cmp_eq_u32_e32 vcc, 41, v25
	s_waitcnt lgkmcnt(0)
	s_barrier
	s_and_saveexec_b64 s[2:3], vcc
	s_cbranch_execz .LBB97_229
; %bb.227:
	s_waitcnt vmcnt(4)
	v_pk_mov_b32 v[194:195], v[144:145], v[140:141] op_sel:[1,0]
	ds_write_b32 v150, v144
	ds_write2_b32 v151, v194, v195 offset0:42 offset1:43
	s_waitcnt vmcnt(2)
	v_pk_mov_b32 v[194:195], v[140:141], v[142:143] op_sel:[1,0]
	ds_write2_b32 v151, v194, v195 offset0:44 offset1:45
	s_waitcnt vmcnt(0)
	v_pk_mov_b32 v[194:195], v[142:143], v[146:147] op_sel:[1,0]
	ds_write2_b32 v151, v194, v195 offset0:46 offset1:47
	ds_write_b32 v151, v147 offset:192
	ds_read_b32 v193, v150
	s_waitcnt lgkmcnt(0)
	v_cmp_neq_f32_e32 vcc, 0, v193
	s_and_b64 exec, exec, vcc
	s_cbranch_execz .LBB97_229
; %bb.228:
	v_div_scale_f32 v194, s[4:5], v193, v193, 1.0
	v_rcp_f32_e32 v195, v194
	v_div_scale_f32 v196, vcc, 1.0, v193, 1.0
	v_fma_f32 v197, -v194, v195, 1.0
	v_fmac_f32_e32 v195, v197, v195
	v_mul_f32_e32 v197, v196, v195
	v_fma_f32 v198, -v194, v197, v196
	v_fmac_f32_e32 v197, v198, v195
	v_fma_f32 v194, -v194, v197, v196
	v_div_fmas_f32 v194, v194, v195, v197
	v_div_fixup_f32 v193, v194, v193, 1.0
	ds_write_b32 v150, v193
.LBB97_229:
	s_or_b64 exec, exec, s[2:3]
	s_waitcnt lgkmcnt(0)
	s_barrier
	ds_read_b32 v193, v150
	v_cmp_lt_u32_e32 vcc, 41, v25
	s_and_saveexec_b64 s[2:3], vcc
	s_cbranch_execz .LBB97_231
; %bb.230:
	ds_read_b32 v200, v151 offset:168
	ds_read2_b32 v[194:195], v151 offset0:43 offset1:44
	ds_read2_b32 v[196:197], v151 offset0:45 offset1:46
	;; [unrolled: 1-line block ×3, first 2 shown]
	s_waitcnt vmcnt(7) lgkmcnt(4)
	v_mul_f32_e32 v144, v193, v144
	s_waitcnt vmcnt(6) lgkmcnt(3)
	v_fma_f32 v145, -v144, v200, v145
	s_waitcnt vmcnt(4) lgkmcnt(2)
	v_pk_fma_f32 v[140:141], v[144:145], v[194:195], v[140:141] op_sel_hi:[0,1,1] neg_lo:[1,0,0] neg_hi:[1,0,0]
	s_waitcnt vmcnt(2) lgkmcnt(1)
	v_pk_fma_f32 v[142:143], v[144:145], v[196:197], v[142:143] op_sel_hi:[0,1,1] neg_lo:[1,0,0] neg_hi:[1,0,0]
	;; [unrolled: 2-line block ×3, first 2 shown]
.LBB97_231:
	s_or_b64 exec, exec, s[2:3]
	v_cmp_ne_u32_e32 vcc, 42, v25
	s_waitcnt lgkmcnt(0)
	s_barrier
	s_and_saveexec_b64 s[2:3], vcc
	s_xor_b64 s[2:3], exec, s[2:3]
	s_andn2_saveexec_b64 s[2:3], s[2:3]
	s_cbranch_execz .LBB97_235
; %bb.232:
	s_waitcnt vmcnt(6)
	ds_write_b32 v150, v145
	s_waitcnt vmcnt(4)
	ds_write2_b32 v151, v140, v141 offset0:43 offset1:44
	s_waitcnt vmcnt(2)
	ds_write2_b32 v151, v142, v143 offset0:45 offset1:46
	;; [unrolled: 2-line block ×3, first 2 shown]
	ds_read_b32 v194, v150
	s_waitcnt lgkmcnt(0)
	v_cmp_neq_f32_e32 vcc, 0, v194
	s_and_saveexec_b64 s[4:5], vcc
	s_cbranch_execz .LBB97_234
; %bb.233:
	v_div_scale_f32 v195, s[10:11], v194, v194, 1.0
	v_rcp_f32_e32 v196, v195
	v_div_scale_f32 v197, vcc, 1.0, v194, 1.0
	v_fma_f32 v198, -v195, v196, 1.0
	v_fmac_f32_e32 v196, v198, v196
	v_mul_f32_e32 v198, v197, v196
	v_fma_f32 v199, -v195, v198, v197
	v_fmac_f32_e32 v198, v199, v196
	v_fma_f32 v195, -v195, v198, v197
	v_div_fmas_f32 v195, v195, v196, v198
	v_div_fixup_f32 v194, v195, v194, 1.0
	ds_write_b32 v150, v194
.LBB97_234:
	s_or_b64 exec, exec, s[4:5]
.LBB97_235:
	s_or_b64 exec, exec, s[2:3]
	s_waitcnt lgkmcnt(0)
	s_barrier
	ds_read_b32 v194, v150
	v_cmp_lt_u32_e32 vcc, 42, v25
	s_and_saveexec_b64 s[2:3], vcc
	s_cbranch_execz .LBB97_237
; %bb.236:
	ds_read2_b32 v[196:197], v151 offset0:43 offset1:44
	ds_read2_b32 v[198:199], v151 offset0:45 offset1:46
	ds_read2_b32 v[200:201], v151 offset0:47 offset1:48
	s_waitcnt vmcnt(6) lgkmcnt(3)
	v_mul_f32_e32 v202, v194, v145
	v_mov_b32_e32 v145, v202
	s_waitcnt vmcnt(4) lgkmcnt(2)
	v_pk_fma_f32 v[140:141], v[202:203], v[196:197], v[140:141] op_sel_hi:[0,1,1] neg_lo:[1,0,0] neg_hi:[1,0,0]
	s_waitcnt vmcnt(2) lgkmcnt(1)
	v_pk_fma_f32 v[142:143], v[202:203], v[198:199], v[142:143] op_sel_hi:[0,1,1] neg_lo:[1,0,0] neg_hi:[1,0,0]
	;; [unrolled: 2-line block ×3, first 2 shown]
.LBB97_237:
	s_or_b64 exec, exec, s[2:3]
	v_cmp_eq_u32_e32 vcc, 43, v25
	s_waitcnt lgkmcnt(0)
	s_barrier
	s_and_saveexec_b64 s[2:3], vcc
	s_cbranch_execz .LBB97_240
; %bb.238:
	s_waitcnt vmcnt(2)
	v_pk_mov_b32 v[196:197], v[140:141], v[142:143] op_sel:[1,0]
	ds_write_b32 v150, v140
	ds_write2_b32 v151, v196, v197 offset0:44 offset1:45
	s_waitcnt vmcnt(0)
	v_pk_mov_b32 v[196:197], v[142:143], v[146:147] op_sel:[1,0]
	ds_write2_b32 v151, v196, v197 offset0:46 offset1:47
	ds_write_b32 v151, v147 offset:192
	ds_read_b32 v195, v150
	s_waitcnt lgkmcnt(0)
	v_cmp_neq_f32_e32 vcc, 0, v195
	s_and_b64 exec, exec, vcc
	s_cbranch_execz .LBB97_240
; %bb.239:
	v_div_scale_f32 v196, s[4:5], v195, v195, 1.0
	v_rcp_f32_e32 v197, v196
	v_div_scale_f32 v198, vcc, 1.0, v195, 1.0
	v_fma_f32 v199, -v196, v197, 1.0
	v_fmac_f32_e32 v197, v199, v197
	v_mul_f32_e32 v199, v198, v197
	v_fma_f32 v200, -v196, v199, v198
	v_fmac_f32_e32 v199, v200, v197
	v_fma_f32 v196, -v196, v199, v198
	v_div_fmas_f32 v196, v196, v197, v199
	v_div_fixup_f32 v195, v196, v195, 1.0
	ds_write_b32 v150, v195
.LBB97_240:
	s_or_b64 exec, exec, s[2:3]
	s_waitcnt lgkmcnt(0)
	s_barrier
	ds_read_b32 v195, v150
	v_cmp_lt_u32_e32 vcc, 43, v25
	s_and_saveexec_b64 s[2:3], vcc
	s_cbranch_execz .LBB97_242
; %bb.241:
	ds_read_b32 v200, v151 offset:176
	ds_read2_b32 v[196:197], v151 offset0:45 offset1:46
	ds_read2_b32 v[198:199], v151 offset0:47 offset1:48
	s_waitcnt vmcnt(5) lgkmcnt(3)
	v_mul_f32_e32 v140, v195, v140
	s_waitcnt vmcnt(4) lgkmcnt(2)
	v_fma_f32 v141, -v140, v200, v141
	s_waitcnt vmcnt(2) lgkmcnt(1)
	v_pk_fma_f32 v[142:143], v[140:141], v[196:197], v[142:143] op_sel_hi:[0,1,1] neg_lo:[1,0,0] neg_hi:[1,0,0]
	s_waitcnt vmcnt(0) lgkmcnt(0)
	v_pk_fma_f32 v[146:147], v[140:141], v[198:199], v[146:147] op_sel_hi:[0,1,1] neg_lo:[1,0,0] neg_hi:[1,0,0]
.LBB97_242:
	s_or_b64 exec, exec, s[2:3]
	v_cmp_ne_u32_e32 vcc, 44, v25
	s_waitcnt lgkmcnt(0)
	s_barrier
	s_and_saveexec_b64 s[2:3], vcc
	s_xor_b64 s[2:3], exec, s[2:3]
	s_andn2_saveexec_b64 s[2:3], s[2:3]
	s_cbranch_execz .LBB97_246
; %bb.243:
	s_waitcnt vmcnt(4)
	ds_write_b32 v150, v141
	s_waitcnt vmcnt(2)
	ds_write2_b32 v151, v142, v143 offset0:45 offset1:46
	s_waitcnt vmcnt(0)
	ds_write2_b32 v151, v146, v147 offset0:47 offset1:48
	ds_read_b32 v196, v150
	s_waitcnt lgkmcnt(0)
	v_cmp_neq_f32_e32 vcc, 0, v196
	s_and_saveexec_b64 s[4:5], vcc
	s_cbranch_execz .LBB97_245
; %bb.244:
	v_div_scale_f32 v197, s[10:11], v196, v196, 1.0
	v_rcp_f32_e32 v198, v197
	v_div_scale_f32 v199, vcc, 1.0, v196, 1.0
	v_fma_f32 v200, -v197, v198, 1.0
	v_fmac_f32_e32 v198, v200, v198
	v_mul_f32_e32 v200, v199, v198
	v_fma_f32 v201, -v197, v200, v199
	v_fmac_f32_e32 v200, v201, v198
	v_fma_f32 v197, -v197, v200, v199
	v_div_fmas_f32 v197, v197, v198, v200
	v_div_fixup_f32 v196, v197, v196, 1.0
	ds_write_b32 v150, v196
.LBB97_245:
	s_or_b64 exec, exec, s[4:5]
.LBB97_246:
	s_or_b64 exec, exec, s[2:3]
	s_waitcnt lgkmcnt(0)
	s_barrier
	ds_read_b32 v196, v150
	v_cmp_lt_u32_e32 vcc, 44, v25
	s_and_saveexec_b64 s[2:3], vcc
	s_cbranch_execz .LBB97_248
; %bb.247:
	ds_read2_b32 v[198:199], v151 offset0:45 offset1:46
	ds_read2_b32 v[200:201], v151 offset0:47 offset1:48
	s_waitcnt vmcnt(4) lgkmcnt(2)
	v_mul_f32_e32 v202, v196, v141
	v_mov_b32_e32 v141, v202
	s_waitcnt vmcnt(2) lgkmcnt(1)
	v_pk_fma_f32 v[142:143], v[202:203], v[198:199], v[142:143] op_sel_hi:[0,1,1] neg_lo:[1,0,0] neg_hi:[1,0,0]
	s_waitcnt vmcnt(0) lgkmcnt(0)
	v_pk_fma_f32 v[146:147], v[202:203], v[200:201], v[146:147] op_sel_hi:[0,1,1] neg_lo:[1,0,0] neg_hi:[1,0,0]
.LBB97_248:
	s_or_b64 exec, exec, s[2:3]
	v_cmp_eq_u32_e32 vcc, 45, v25
	s_waitcnt lgkmcnt(0)
	s_barrier
	s_and_saveexec_b64 s[2:3], vcc
	s_cbranch_execz .LBB97_251
; %bb.249:
	s_waitcnt vmcnt(0)
	v_pk_mov_b32 v[198:199], v[142:143], v[146:147] op_sel:[1,0]
	ds_write_b32 v150, v142
	ds_write2_b32 v151, v198, v199 offset0:46 offset1:47
	ds_write_b32 v151, v147 offset:192
	ds_read_b32 v197, v150
	s_waitcnt lgkmcnt(0)
	v_cmp_neq_f32_e32 vcc, 0, v197
	s_and_b64 exec, exec, vcc
	s_cbranch_execz .LBB97_251
; %bb.250:
	v_div_scale_f32 v198, s[4:5], v197, v197, 1.0
	v_rcp_f32_e32 v199, v198
	v_div_scale_f32 v200, vcc, 1.0, v197, 1.0
	v_fma_f32 v201, -v198, v199, 1.0
	v_fmac_f32_e32 v199, v201, v199
	v_mul_f32_e32 v201, v200, v199
	v_fma_f32 v202, -v198, v201, v200
	v_fmac_f32_e32 v201, v202, v199
	v_fma_f32 v198, -v198, v201, v200
	v_div_fmas_f32 v198, v198, v199, v201
	v_div_fixup_f32 v197, v198, v197, 1.0
	ds_write_b32 v150, v197
.LBB97_251:
	s_or_b64 exec, exec, s[2:3]
	s_waitcnt lgkmcnt(0)
	s_barrier
	ds_read_b32 v197, v150
	v_cmp_lt_u32_e32 vcc, 45, v25
	s_and_saveexec_b64 s[2:3], vcc
	s_cbranch_execz .LBB97_253
; %bb.252:
	ds_read_b32 v200, v151 offset:184
	ds_read2_b32 v[198:199], v151 offset0:47 offset1:48
	s_waitcnt vmcnt(3) lgkmcnt(2)
	v_mul_f32_e32 v142, v197, v142
	s_waitcnt vmcnt(2) lgkmcnt(1)
	v_fma_f32 v143, -v142, v200, v143
	s_waitcnt vmcnt(0) lgkmcnt(0)
	v_pk_fma_f32 v[146:147], v[142:143], v[198:199], v[146:147] op_sel_hi:[0,1,1] neg_lo:[1,0,0] neg_hi:[1,0,0]
.LBB97_253:
	s_or_b64 exec, exec, s[2:3]
	v_cmp_ne_u32_e32 vcc, 46, v25
	s_waitcnt lgkmcnt(0)
	s_barrier
	s_and_saveexec_b64 s[2:3], vcc
	s_xor_b64 s[2:3], exec, s[2:3]
	s_andn2_saveexec_b64 s[2:3], s[2:3]
	s_cbranch_execz .LBB97_257
; %bb.254:
	s_waitcnt vmcnt(2)
	ds_write_b32 v150, v143
	s_waitcnt vmcnt(0)
	ds_write2_b32 v151, v146, v147 offset0:47 offset1:48
	ds_read_b32 v198, v150
	s_waitcnt lgkmcnt(0)
	v_cmp_neq_f32_e32 vcc, 0, v198
	s_and_saveexec_b64 s[4:5], vcc
	s_cbranch_execz .LBB97_256
; %bb.255:
	v_div_scale_f32 v199, s[10:11], v198, v198, 1.0
	v_rcp_f32_e32 v200, v199
	v_div_scale_f32 v201, vcc, 1.0, v198, 1.0
	v_fma_f32 v202, -v199, v200, 1.0
	v_fmac_f32_e32 v200, v202, v200
	v_mul_f32_e32 v202, v201, v200
	v_fma_f32 v203, -v199, v202, v201
	v_fmac_f32_e32 v202, v203, v200
	v_fma_f32 v199, -v199, v202, v201
	v_div_fmas_f32 v199, v199, v200, v202
	v_div_fixup_f32 v198, v199, v198, 1.0
	ds_write_b32 v150, v198
.LBB97_256:
	s_or_b64 exec, exec, s[4:5]
.LBB97_257:
	s_or_b64 exec, exec, s[2:3]
	s_waitcnt lgkmcnt(0)
	s_barrier
	ds_read_b32 v198, v150
	v_cmp_lt_u32_e32 vcc, 46, v25
	s_and_saveexec_b64 s[2:3], vcc
	s_cbranch_execz .LBB97_259
; %bb.258:
	ds_read2_b32 v[200:201], v151 offset0:47 offset1:48
	s_waitcnt vmcnt(2) lgkmcnt(1)
	v_mul_f32_e32 v202, v198, v143
	v_mov_b32_e32 v143, v202
	s_waitcnt vmcnt(0) lgkmcnt(0)
	v_pk_fma_f32 v[146:147], v[202:203], v[200:201], v[146:147] op_sel_hi:[0,1,1] neg_lo:[1,0,0] neg_hi:[1,0,0]
.LBB97_259:
	s_or_b64 exec, exec, s[2:3]
	v_cmp_eq_u32_e32 vcc, 47, v25
	s_waitcnt lgkmcnt(0)
	s_barrier
	s_and_saveexec_b64 s[2:3], vcc
	s_cbranch_execz .LBB97_262
; %bb.260:
	s_waitcnt vmcnt(1)
	ds_write_b32 v150, v146
	s_waitcnt vmcnt(0)
	ds_write_b32 v151, v147 offset:192
	ds_read_b32 v199, v150
	s_waitcnt lgkmcnt(0)
	v_cmp_neq_f32_e32 vcc, 0, v199
	s_and_b64 exec, exec, vcc
	s_cbranch_execz .LBB97_262
; %bb.261:
	v_div_scale_f32 v200, s[4:5], v199, v199, 1.0
	v_rcp_f32_e32 v201, v200
	v_div_scale_f32 v202, vcc, 1.0, v199, 1.0
	v_fma_f32 v203, -v200, v201, 1.0
	v_fmac_f32_e32 v201, v203, v201
	v_mul_f32_e32 v203, v202, v201
	v_fma_f32 v204, -v200, v203, v202
	v_fmac_f32_e32 v203, v204, v201
	v_fma_f32 v200, -v200, v203, v202
	v_div_fmas_f32 v200, v200, v201, v203
	v_div_fixup_f32 v199, v200, v199, 1.0
	ds_write_b32 v150, v199
.LBB97_262:
	s_or_b64 exec, exec, s[2:3]
	s_waitcnt lgkmcnt(0)
	s_barrier
	ds_read_b32 v199, v150
	v_cmp_lt_u32_e32 vcc, 47, v25
	s_and_saveexec_b64 s[2:3], vcc
	s_cbranch_execz .LBB97_264
; %bb.263:
	ds_read_b32 v151, v151 offset:192
	s_waitcnt vmcnt(1) lgkmcnt(1)
	v_mul_f32_e32 v146, v199, v146
	s_waitcnt vmcnt(0) lgkmcnt(0)
	v_fma_f32 v147, -v146, v151, v147
.LBB97_264:
	s_or_b64 exec, exec, s[2:3]
	v_cmp_ne_u32_e32 vcc, 48, v25
	s_waitcnt lgkmcnt(0)
	s_barrier
	s_and_saveexec_b64 s[2:3], vcc
	s_xor_b64 s[2:3], exec, s[2:3]
	s_andn2_saveexec_b64 s[2:3], s[2:3]
	s_cbranch_execz .LBB97_268
; %bb.265:
	s_waitcnt vmcnt(0)
	v_cmp_neq_f32_e32 vcc, 0, v147
	ds_write_b32 v150, v147
	s_and_saveexec_b64 s[4:5], vcc
	s_cbranch_execz .LBB97_267
; %bb.266:
	v_div_scale_f32 v151, s[10:11], v147, v147, 1.0
	v_rcp_f32_e32 v200, v151
	v_div_scale_f32 v201, vcc, 1.0, v147, 1.0
	v_fma_f32 v202, -v151, v200, 1.0
	v_fmac_f32_e32 v200, v202, v200
	v_mul_f32_e32 v202, v201, v200
	v_fma_f32 v203, -v151, v202, v201
	v_fmac_f32_e32 v202, v203, v200
	v_fma_f32 v151, -v151, v202, v201
	v_div_fmas_f32 v151, v151, v200, v202
	v_div_fixup_f32 v151, v151, v147, 1.0
	ds_write_b32 v150, v151
.LBB97_267:
	s_or_b64 exec, exec, s[4:5]
.LBB97_268:
	s_or_b64 exec, exec, s[2:3]
	s_waitcnt lgkmcnt(0)
	s_barrier
	ds_read_b32 v150, v150
	s_waitcnt lgkmcnt(0)
	s_barrier
	s_and_saveexec_b64 s[2:3], s[0:1]
	s_cbranch_execz .LBB97_271
; %bb.269:
	v_cmp_eq_f32_e32 vcc, 0, v152
	v_cmp_neq_f32_e64 s[0:1], 0, v153
	v_mov_b32_e32 v152, s6
	v_cndmask_b32_e64 v151, 0, 1, vcc
	s_or_b64 vcc, s[0:1], vcc
	v_cndmask_b32_e32 v151, 2, v151, vcc
	v_cmp_eq_f32_e32 vcc, 0, v154
	v_cmp_eq_u32_e64 s[0:1], 0, v151
	s_and_b64 s[0:1], vcc, s[0:1]
	v_cmp_eq_f32_e32 vcc, 0, v155
	v_cndmask_b32_e64 v151, v151, 3, s[0:1]
	v_cmp_eq_u32_e64 s[0:1], 0, v151
	s_and_b64 s[0:1], vcc, s[0:1]
	v_cmp_eq_f32_e32 vcc, 0, v156
	v_cndmask_b32_e64 v151, v151, 4, s[0:1]
	;; [unrolled: 4-line block ×19, first 2 shown]
	v_cmp_eq_u32_e64 s[0:1], 0, v151
	s_and_b64 s[0:1], vcc, s[0:1]
	v_mov_b32_e32 v153, s7
	v_cndmask_b32_e64 v151, v151, 22, s[0:1]
	v_cmp_eq_f32_e32 vcc, 0, v174
	v_cmp_eq_u32_e64 s[0:1], 0, v151
	v_lshl_add_u64 v[34:35], v[34:35], 2, v[152:153]
	s_and_b64 s[0:1], vcc, s[0:1]
	global_load_dword v152, v[34:35], off
	v_cndmask_b32_e64 v151, v151, 23, s[0:1]
	v_cmp_eq_f32_e32 vcc, 0, v175
	v_cmp_eq_u32_e64 s[0:1], 0, v151
	s_and_b64 s[0:1], vcc, s[0:1]
	v_cmp_eq_f32_e32 vcc, 0, v176
	v_cndmask_b32_e64 v151, v151, 24, s[0:1]
	v_cmp_eq_u32_e64 s[0:1], 0, v151
	s_and_b64 s[0:1], vcc, s[0:1]
	v_cmp_eq_f32_e32 vcc, 0, v177
	v_cndmask_b32_e64 v151, v151, 25, s[0:1]
	;; [unrolled: 4-line block ×25, first 2 shown]
	v_cmp_eq_u32_e64 s[0:1], 0, v151
	s_and_b64 s[0:1], vcc, s[0:1]
	s_waitcnt vmcnt(0)
	v_cmp_eq_u32_e32 vcc, 0, v152
	v_cndmask_b32_e64 v151, v151, 49, s[0:1]
	v_cmp_ne_u32_e64 s[0:1], 0, v151
	s_and_b64 s[0:1], vcc, s[0:1]
	s_and_b64 exec, exec, s[0:1]
	s_cbranch_execz .LBB97_271
; %bb.270:
	v_add_u32_e32 v151, s9, v151
	global_store_dword v[34:35], v151, off
.LBB97_271:
	s_or_b64 exec, exec, s[2:3]
	s_waitcnt vmcnt(0)
	v_mul_f32_e32 v34, v150, v147
	v_cmp_lt_u32_e32 vcc, 48, v25
	s_nop 1
	v_cndmask_b32_e32 v25, v147, v34, vcc
	global_store_dword v[0:1], v24, off
	global_store_dword v[2:3], v18, off
	;; [unrolled: 1-line block ×49, first 2 shown]
.LBB97_272:
	s_endpgm
	.section	.rodata,"a",@progbits
	.p2align	6, 0x0
	.amdhsa_kernel _ZN9rocsolver6v33100L23getf2_npvt_small_kernelILi49EfiiPfEEvT1_T3_lS3_lPT2_S3_S3_
		.amdhsa_group_segment_fixed_size 0
		.amdhsa_private_segment_fixed_size 0
		.amdhsa_kernarg_size 312
		.amdhsa_user_sgpr_count 2
		.amdhsa_user_sgpr_dispatch_ptr 0
		.amdhsa_user_sgpr_queue_ptr 0
		.amdhsa_user_sgpr_kernarg_segment_ptr 1
		.amdhsa_user_sgpr_dispatch_id 0
		.amdhsa_user_sgpr_kernarg_preload_length 0
		.amdhsa_user_sgpr_kernarg_preload_offset 0
		.amdhsa_user_sgpr_private_segment_size 0
		.amdhsa_uses_dynamic_stack 0
		.amdhsa_enable_private_segment 0
		.amdhsa_system_sgpr_workgroup_id_x 1
		.amdhsa_system_sgpr_workgroup_id_y 1
		.amdhsa_system_sgpr_workgroup_id_z 0
		.amdhsa_system_sgpr_workgroup_info 0
		.amdhsa_system_vgpr_workitem_id 1
		.amdhsa_next_free_vgpr 205
		.amdhsa_next_free_sgpr 16
		.amdhsa_accum_offset 208
		.amdhsa_reserve_vcc 1
		.amdhsa_float_round_mode_32 0
		.amdhsa_float_round_mode_16_64 0
		.amdhsa_float_denorm_mode_32 3
		.amdhsa_float_denorm_mode_16_64 3
		.amdhsa_dx10_clamp 1
		.amdhsa_ieee_mode 1
		.amdhsa_fp16_overflow 0
		.amdhsa_tg_split 0
		.amdhsa_exception_fp_ieee_invalid_op 0
		.amdhsa_exception_fp_denorm_src 0
		.amdhsa_exception_fp_ieee_div_zero 0
		.amdhsa_exception_fp_ieee_overflow 0
		.amdhsa_exception_fp_ieee_underflow 0
		.amdhsa_exception_fp_ieee_inexact 0
		.amdhsa_exception_int_div_zero 0
	.end_amdhsa_kernel
	.section	.text._ZN9rocsolver6v33100L23getf2_npvt_small_kernelILi49EfiiPfEEvT1_T3_lS3_lPT2_S3_S3_,"axG",@progbits,_ZN9rocsolver6v33100L23getf2_npvt_small_kernelILi49EfiiPfEEvT1_T3_lS3_lPT2_S3_S3_,comdat
.Lfunc_end97:
	.size	_ZN9rocsolver6v33100L23getf2_npvt_small_kernelILi49EfiiPfEEvT1_T3_lS3_lPT2_S3_S3_, .Lfunc_end97-_ZN9rocsolver6v33100L23getf2_npvt_small_kernelILi49EfiiPfEEvT1_T3_lS3_lPT2_S3_S3_
                                        ; -- End function
	.set _ZN9rocsolver6v33100L23getf2_npvt_small_kernelILi49EfiiPfEEvT1_T3_lS3_lPT2_S3_S3_.num_vgpr, 205
	.set _ZN9rocsolver6v33100L23getf2_npvt_small_kernelILi49EfiiPfEEvT1_T3_lS3_lPT2_S3_S3_.num_agpr, 0
	.set _ZN9rocsolver6v33100L23getf2_npvt_small_kernelILi49EfiiPfEEvT1_T3_lS3_lPT2_S3_S3_.numbered_sgpr, 16
	.set _ZN9rocsolver6v33100L23getf2_npvt_small_kernelILi49EfiiPfEEvT1_T3_lS3_lPT2_S3_S3_.num_named_barrier, 0
	.set _ZN9rocsolver6v33100L23getf2_npvt_small_kernelILi49EfiiPfEEvT1_T3_lS3_lPT2_S3_S3_.private_seg_size, 0
	.set _ZN9rocsolver6v33100L23getf2_npvt_small_kernelILi49EfiiPfEEvT1_T3_lS3_lPT2_S3_S3_.uses_vcc, 1
	.set _ZN9rocsolver6v33100L23getf2_npvt_small_kernelILi49EfiiPfEEvT1_T3_lS3_lPT2_S3_S3_.uses_flat_scratch, 0
	.set _ZN9rocsolver6v33100L23getf2_npvt_small_kernelILi49EfiiPfEEvT1_T3_lS3_lPT2_S3_S3_.has_dyn_sized_stack, 0
	.set _ZN9rocsolver6v33100L23getf2_npvt_small_kernelILi49EfiiPfEEvT1_T3_lS3_lPT2_S3_S3_.has_recursion, 0
	.set _ZN9rocsolver6v33100L23getf2_npvt_small_kernelILi49EfiiPfEEvT1_T3_lS3_lPT2_S3_S3_.has_indirect_call, 0
	.section	.AMDGPU.csdata,"",@progbits
; Kernel info:
; codeLenInByte = 33400
; TotalNumSgprs: 22
; NumVgprs: 205
; NumAgprs: 0
; TotalNumVgprs: 205
; ScratchSize: 0
; MemoryBound: 0
; FloatMode: 240
; IeeeMode: 1
; LDSByteSize: 0 bytes/workgroup (compile time only)
; SGPRBlocks: 2
; VGPRBlocks: 25
; NumSGPRsForWavesPerEU: 22
; NumVGPRsForWavesPerEU: 205
; AccumOffset: 208
; Occupancy: 2
; WaveLimiterHint : 0
; COMPUTE_PGM_RSRC2:SCRATCH_EN: 0
; COMPUTE_PGM_RSRC2:USER_SGPR: 2
; COMPUTE_PGM_RSRC2:TRAP_HANDLER: 0
; COMPUTE_PGM_RSRC2:TGID_X_EN: 1
; COMPUTE_PGM_RSRC2:TGID_Y_EN: 1
; COMPUTE_PGM_RSRC2:TGID_Z_EN: 0
; COMPUTE_PGM_RSRC2:TIDIG_COMP_CNT: 1
; COMPUTE_PGM_RSRC3_GFX90A:ACCUM_OFFSET: 51
; COMPUTE_PGM_RSRC3_GFX90A:TG_SPLIT: 0
	.section	.text._ZN9rocsolver6v33100L18getf2_small_kernelILi50EfiiPfEEvT1_T3_lS3_lPS3_llPT2_S3_S3_S5_l,"axG",@progbits,_ZN9rocsolver6v33100L18getf2_small_kernelILi50EfiiPfEEvT1_T3_lS3_lPS3_llPT2_S3_S3_S5_l,comdat
	.globl	_ZN9rocsolver6v33100L18getf2_small_kernelILi50EfiiPfEEvT1_T3_lS3_lPS3_llPT2_S3_S3_S5_l ; -- Begin function _ZN9rocsolver6v33100L18getf2_small_kernelILi50EfiiPfEEvT1_T3_lS3_lPS3_llPT2_S3_S3_S5_l
	.p2align	8
	.type	_ZN9rocsolver6v33100L18getf2_small_kernelILi50EfiiPfEEvT1_T3_lS3_lPS3_llPT2_S3_S3_S5_l,@function
_ZN9rocsolver6v33100L18getf2_small_kernelILi50EfiiPfEEvT1_T3_lS3_lPS3_llPT2_S3_S3_S5_l: ; @_ZN9rocsolver6v33100L18getf2_small_kernelILi50EfiiPfEEvT1_T3_lS3_lPS3_llPT2_S3_S3_S5_l
; %bb.0:
	s_load_dword s2, s[0:1], 0x6c
	s_load_dwordx2 s[18:19], s[0:1], 0x48
	v_bfe_u32 v55, v0, 10, 10
	s_waitcnt lgkmcnt(0)
	s_lshr_b32 s2, s2, 16
	s_mul_i32 s3, s3, s2
	v_add_u32_e32 v2, s3, v55
	v_cmp_gt_i32_e32 vcc, s18, v2
	s_and_saveexec_b64 s[2:3], vcc
	s_cbranch_execz .LBB98_847
; %bb.1:
	s_load_dwordx4 s[4:7], s[0:1], 0x50
	v_ashrrev_i32_e32 v3, 31, v2
	v_mov_b64_e32 v[4:5], 0
	s_waitcnt lgkmcnt(0)
	s_cmp_eq_u64 s[4:5], 0
	s_cselect_b64 s[20:21], -1, 0
	s_and_b64 vcc, exec, s[20:21]
	s_cbranch_vccnz .LBB98_3
; %bb.2:
	v_mul_lo_u32 v1, s7, v2
	v_mul_lo_u32 v6, s6, v3
	v_mad_u64_u32 v[4:5], s[2:3], s6, v2, 0
	v_add3_u32 v5, v5, v6, v1
	v_lshl_add_u64 v[4:5], v[4:5], 2, s[4:5]
.LBB98_3:
	s_load_dwordx4 s[12:15], s[0:1], 0x8
	s_load_dwordx8 s[4:11], s[0:1], 0x20
	s_load_dword s16, s[0:1], 0x18
	s_load_dword s22, s[0:1], 0x0
	v_and_b32_e32 v57, 0x3ff, v0
	s_waitcnt lgkmcnt(0)
	v_mov_b32_e32 v6, s12
	v_mul_lo_u32 v1, s5, v2
	v_mul_lo_u32 v10, s4, v3
	v_mad_u64_u32 v[8:9], s[2:3], s4, v2, 0
	v_mov_b32_e32 v7, s13
	v_add3_u32 v9, v9, v10, v1
	s_add_i32 s18, s16, s16
	v_lshl_add_u64 v[6:7], v[8:9], 2, v[6:7]
	v_add_u32_e32 v0, s18, v57
	v_lshl_add_u64 v[6:7], s[14:15], 2, v[6:7]
	v_ashrrev_i32_e32 v1, 31, v0
	v_lshl_add_u64 v[60:61], v[0:1], 2, v[6:7]
	v_add_u32_e32 v0, s16, v0
	v_ashrrev_i32_e32 v1, 31, v0
	v_lshl_add_u64 v[62:63], v[0:1], 2, v[6:7]
	v_add_u32_e32 v0, s16, v0
	;; [unrolled: 3-line block ×3, first 2 shown]
	v_add_u32_e32 v48, s16, v0
	v_ashrrev_i32_e32 v1, 31, v0
	v_add_u32_e32 v50, s16, v48
	v_lshl_add_u64 v[66:67], v[0:1], 2, v[6:7]
	v_add_u32_e32 v0, s16, v50
	v_ashrrev_i32_e32 v1, 31, v0
	v_lshl_add_u64 v[8:9], v[0:1], 2, v[6:7]
	v_add_u32_e32 v0, s16, v0
	v_ashrrev_i32_e32 v1, 31, v0
	;; [unrolled: 3-line block ×9, first 2 shown]
	global_load_dword v46, v[8:9], off
	global_load_dword v47, v[10:11], off
	global_load_dword v42, v[12:13], off
	global_load_dword v43, v[14:15], off
	global_load_dword v36, v[16:17], off
	global_load_dword v37, v[18:19], off
	global_load_dword v28, v[20:21], off
	global_load_dword v29, v[22:23], off
	v_lshl_add_u64 v[8:9], v[0:1], 2, v[6:7]
	v_add_u32_e32 v0, s16, v0
	v_ashrrev_i32_e32 v1, 31, v0
	v_lshl_add_u64 v[10:11], v[0:1], 2, v[6:7]
	v_add_u32_e32 v0, s16, v0
	v_ashrrev_i32_e32 v1, 31, v0
	v_lshl_add_u64 v[12:13], v[0:1], 2, v[6:7]
	v_add_u32_e32 v0, s16, v0
	v_ashrrev_i32_e32 v1, 31, v0
	v_lshl_add_u64 v[14:15], v[0:1], 2, v[6:7]
	v_add_u32_e32 v0, s16, v0
	v_ashrrev_i32_e32 v1, 31, v0
	v_lshl_add_u64 v[16:17], v[0:1], 2, v[6:7]
	v_add_u32_e32 v0, s16, v0
	v_ashrrev_i32_e32 v1, 31, v0
	v_lshl_add_u64 v[18:19], v[0:1], 2, v[6:7]
	v_add_u32_e32 v0, s16, v0
	v_ashrrev_i32_e32 v1, 31, v0
	v_lshl_add_u64 v[20:21], v[0:1], 2, v[6:7]
	v_add_u32_e32 v0, s16, v0
	v_ashrrev_i32_e32 v1, 31, v0
	v_lshl_add_u64 v[24:25], v[0:1], 2, v[6:7]
	v_add_u32_e32 v0, s16, v0
	v_ashrrev_i32_e32 v1, 31, v0
	global_load_dword v44, v[8:9], off
	global_load_dword v45, v[10:11], off
	global_load_dword v38, v[12:13], off
	global_load_dword v39, v[14:15], off
	global_load_dword v30, v[16:17], off
	global_load_dword v31, v[18:19], off
	global_load_dword v22, v[20:21], off
	global_load_dword v23, v[24:25], off
	v_lshl_add_u64 v[8:9], v[0:1], 2, v[6:7]
	v_add_u32_e32 v0, s16, v0
	v_ashrrev_i32_e32 v1, 31, v0
	v_lshl_add_u64 v[10:11], v[0:1], 2, v[6:7]
	v_add_u32_e32 v0, s16, v0
	v_ashrrev_i32_e32 v1, 31, v0
	v_lshl_add_u64 v[12:13], v[0:1], 2, v[6:7]
	v_add_u32_e32 v0, s16, v0
	v_ashrrev_i32_e32 v1, 31, v0
	v_lshl_add_u64 v[14:15], v[0:1], 2, v[6:7]
	v_add_u32_e32 v0, s16, v0
	v_ashrrev_i32_e32 v1, 31, v0
	v_lshl_add_u64 v[18:19], v[0:1], 2, v[6:7]
	v_add_u32_e32 v0, s16, v0
	v_ashrrev_i32_e32 v1, 31, v0
	v_lshl_add_u64 v[20:21], v[0:1], 2, v[6:7]
	v_add_u32_e32 v0, s16, v0
	v_ashrrev_i32_e32 v1, 31, v0
	v_lshl_add_u64 v[26:27], v[0:1], 2, v[6:7]
	v_add_u32_e32 v0, s16, v0
	v_ashrrev_i32_e32 v1, 31, v0
	v_lshl_add_u64 v[34:35], v[0:1], 2, v[6:7]
	v_add_u32_e32 v0, s16, v0
	v_ashrrev_i32_e32 v1, 31, v0
	;; [unrolled: 32-line block ×3, first 2 shown]
	global_load_dword v34, v[10:11], off
	global_load_dword v35, v[12:13], off
	;; [unrolled: 1-line block ×8, first 2 shown]
	v_lshl_add_u64 v[10:11], v[0:1], 2, v[6:7]
	v_add_u32_e32 v0, s16, v0
	v_ashrrev_i32_e32 v1, 31, v0
	v_lshl_add_u64 v[14:15], v[0:1], 2, v[6:7]
	v_add_u32_e32 v0, s16, v0
	v_ashrrev_i32_e32 v1, 31, v0
	global_load_dword v12, v[10:11], off
	global_load_dword v13, v[14:15], off
	v_lshl_add_u64 v[10:11], v[0:1], 2, v[6:7]
	v_add_u32_e32 v0, s16, v0
	v_ashrrev_i32_e32 v1, 31, v0
	v_lshl_add_u64 v[52:53], v[0:1], 2, v[6:7]
	v_add_u32_e32 v0, s16, v0
	v_ashrrev_i32_e32 v1, 31, v0
	;; [unrolled: 3-line block ×3, first 2 shown]
	v_lshl_add_u64 v[70:71], v[0:1], 2, v[6:7]
	v_add_u32_e32 v0, s16, v0
	v_add_u32_e32 v74, s16, v0
	v_ashrrev_i32_e32 v1, 31, v0
	v_ashrrev_i32_e32 v75, 31, v74
	v_lshl_add_u64 v[72:73], v[0:1], 2, v[6:7]
	v_lshl_add_u64 v[76:77], v[74:75], 2, v[6:7]
	global_load_dword v20, v[10:11], off
	global_load_dword v21, v[52:53], off
	;; [unrolled: 1-line block ×5, first 2 shown]
                                        ; kill: killed $vgpr52_vgpr53
                                        ; kill: killed $vgpr68_vgpr69
                                        ; kill: killed $vgpr70_vgpr71
                                        ; kill: killed $vgpr72_vgpr73
                                        ; kill: killed $vgpr10_vgpr11
	global_load_dword v1, v[76:77], off
	v_add_u32_e32 v10, s16, v74
	v_ashrrev_i32_e32 v11, 31, v10
	v_lshl_add_u64 v[52:53], v[10:11], 2, v[6:7]
	v_add_u32_e32 v10, s16, v10
	v_lshlrev_b32_e32 v58, 2, v57
	v_mov_b32_e32 v59, 0
	v_ashrrev_i32_e32 v11, 31, v10
	v_lshl_add_u64 v[68:69], v[10:11], 2, v[6:7]
	global_load_dword v10, v[52:53], off
	global_load_dword v11, v[68:69], off
	v_lshl_add_u64 v[52:53], v[6:7], 0, v[58:59]
	v_ashrrev_i32_e32 v49, 31, v48
	v_ashrrev_i32_e32 v51, 31, v50
	s_ashr_i32 s17, s16, 31
	v_lshl_add_u64 v[68:69], v[48:49], 2, v[6:7]
	global_load_dword v54, v[52:53], off
	v_lshl_add_u64 v[70:71], v[50:51], 2, v[6:7]
	v_lshl_add_u64 v[72:73], s[16:17], 2, v[52:53]
	global_load_dword v52, v[60:61], off
	global_load_dword v53, v[62:63], off
	;; [unrolled: 1-line block ×5, first 2 shown]
                                        ; kill: killed $vgpr60_vgpr61
                                        ; kill: killed $vgpr62_vgpr63
                                        ; kill: killed $vgpr64_vgpr65
                                        ; kill: killed $vgpr66_vgpr67
                                        ; kill: killed $vgpr68_vgpr69
	global_load_dword v49, v[70:71], off
	global_load_dword v56, v[72:73], off
	s_max_i32 s2, s22, 50
	v_mul_lo_u32 v60, s2, v55
	v_lshl_add_u32 v55, v60, 2, 0
	v_add_u32_e32 v58, v55, v58
	s_load_dwordx2 s[4:5], s[0:1], 0x40
	s_cmp_lt_i32 s22, 2
	v_lshlrev_b32_e32 v60, 2, v60
	s_waitcnt vmcnt(7)
	ds_write_b32 v58, v54
	s_waitcnt lgkmcnt(0)
	s_barrier
	ds_read_b32 v58, v55
	s_cbranch_scc1 .LBB98_6
; %bb.4:
	v_add3_u32 v61, v60, 0, 4
	v_mov_b32_e32 v59, 0
	s_mov_b32 s0, 1
.LBB98_5:                               ; =>This Inner Loop Header: Depth=1
	ds_read_b32 v62, v61
	v_mov_b32_e32 v63, s0
	s_add_i32 s0, s0, 1
	v_add_u32_e32 v61, 4, v61
	s_cmp_eq_u32 s22, s0
	s_waitcnt lgkmcnt(0)
	v_cmp_lt_f32_e64 vcc, |v58|, |v62|
	s_nop 1
	v_cndmask_b32_e32 v58, v58, v62, vcc
	v_cndmask_b32_e32 v59, v59, v63, vcc
	s_cbranch_scc0 .LBB98_5
.LBB98_6:
	v_cmp_ne_u32_e32 vcc, v57, v59
                                        ; implicit-def: $vgpr61
	s_and_saveexec_b64 s[0:1], vcc
	s_xor_b64 s[0:1], exec, s[0:1]
	s_cbranch_execz .LBB98_12
; %bb.7:
	v_cmp_eq_u32_e32 vcc, 0, v57
	s_and_saveexec_b64 s[2:3], vcc
	s_cbranch_execz .LBB98_11
; %bb.8:
	v_cmp_ne_u32_e32 vcc, 0, v59
	s_xor_b64 s[12:13], s[20:21], -1
	s_and_b64 s[14:15], s[12:13], vcc
	s_and_saveexec_b64 s[12:13], s[14:15]
	s_cbranch_execz .LBB98_10
; %bb.9:
	v_ashrrev_i32_e32 v63, 31, v59
	v_mov_b32_e32 v62, v59
	v_lshl_add_u64 v[62:63], v[62:63], 2, v[4:5]
	global_load_dword v57, v[62:63], off
	global_load_dword v61, v[4:5], off
	s_waitcnt vmcnt(1)
	global_store_dword v[4:5], v57, off
	s_waitcnt vmcnt(1)
	global_store_dword v[62:63], v61, off
.LBB98_10:
	s_or_b64 exec, exec, s[12:13]
	v_mov_b32_e32 v57, v59
.LBB98_11:
	s_or_b64 exec, exec, s[2:3]
	v_mov_b32_e32 v61, v57
                                        ; implicit-def: $vgpr57
.LBB98_12:
	s_or_saveexec_b64 s[0:1], s[0:1]
	v_mov_b32_e32 v59, v61
	s_xor_b64 exec, exec, s[0:1]
	s_cbranch_execz .LBB98_14
; %bb.13:
	v_mov_b32_e32 v61, 0
	v_mov_b32_e32 v59, v57
	s_waitcnt vmcnt(0)
	ds_write2_b32 v55, v56, v52 offset0:1 offset1:2
	ds_write2_b32 v55, v53, v50 offset0:3 offset1:4
	;; [unrolled: 1-line block ×24, first 2 shown]
	ds_write_b32 v55, v11 offset:196
.LBB98_14:
	s_or_b64 exec, exec, s[0:1]
	s_waitcnt lgkmcnt(0)
	v_cmp_eq_f32_e64 s[0:1], 0, v58
	v_cmp_lt_i32_e32 vcc, 0, v61
	s_barrier
	s_and_saveexec_b64 s[2:3], vcc
	s_cbranch_execz .LBB98_16
; %bb.15:
	v_div_scale_f32 v57, s[12:13], v58, v58, 1.0
	v_rcp_f32_e32 v62, v57
	v_div_scale_f32 v63, vcc, 1.0, v58, 1.0
	v_fma_f32 v64, -v57, v62, 1.0
	v_fmac_f32_e32 v62, v64, v62
	v_mul_f32_e32 v64, v63, v62
	v_fma_f32 v65, -v57, v64, v63
	v_fmac_f32_e32 v64, v65, v62
	v_fma_f32 v57, -v57, v64, v63
	v_div_fmas_f32 v57, v57, v62, v64
	ds_read2_b32 v[62:63], v55 offset0:2 offset1:3
	ds_read2_b32 v[64:65], v55 offset0:4 offset1:5
	v_div_fixup_f32 v57, v57, v58, 1.0
	v_cndmask_b32_e64 v57, v57, v58, s[0:1]
	v_mul_f32_e32 v54, v57, v54
	ds_read2_b32 v[66:67], v55 offset0:6 offset1:7
	ds_read_b32 v57, v55 offset:4
	s_waitcnt vmcnt(5) lgkmcnt(3)
	v_pk_fma_f32 v[52:53], v[54:55], v[62:63], v[52:53] op_sel_hi:[0,1,1] neg_lo:[1,0,0] neg_hi:[1,0,0]
	s_waitcnt vmcnt(3) lgkmcnt(2)
	v_pk_fma_f32 v[50:51], v[54:55], v[64:65], v[50:51] op_sel_hi:[0,1,1] neg_lo:[1,0,0] neg_hi:[1,0,0]
	ds_read2_b32 v[62:63], v55 offset0:8 offset1:9
	ds_read2_b32 v[64:65], v55 offset0:10 offset1:11
	;; [unrolled: 1-line block ×3, first 2 shown]
	s_waitcnt vmcnt(1) lgkmcnt(4)
	v_pk_fma_f32 v[48:49], v[54:55], v[66:67], v[48:49] op_sel_hi:[0,1,1] neg_lo:[1,0,0] neg_hi:[1,0,0]
	ds_read2_b32 v[66:67], v55 offset0:14 offset1:15
	s_waitcnt lgkmcnt(3)
	v_pk_fma_f32 v[46:47], v[54:55], v[62:63], v[46:47] op_sel_hi:[0,1,1] neg_lo:[1,0,0] neg_hi:[1,0,0]
	s_waitcnt lgkmcnt(2)
	v_pk_fma_f32 v[42:43], v[54:55], v[64:65], v[42:43] op_sel_hi:[0,1,1] neg_lo:[1,0,0] neg_hi:[1,0,0]
	s_waitcnt lgkmcnt(1)
	v_pk_fma_f32 v[36:37], v[54:55], v[68:69], v[36:37] op_sel_hi:[0,1,1] neg_lo:[1,0,0] neg_hi:[1,0,0]
	ds_read2_b32 v[62:63], v55 offset0:16 offset1:17
	ds_read2_b32 v[64:65], v55 offset0:18 offset1:19
	ds_read2_b32 v[68:69], v55 offset0:20 offset1:21
	s_waitcnt lgkmcnt(3)
	v_pk_fma_f32 v[28:29], v[54:55], v[66:67], v[28:29] op_sel_hi:[0,1,1] neg_lo:[1,0,0] neg_hi:[1,0,0]
	ds_read2_b32 v[66:67], v55 offset0:22 offset1:23
	s_waitcnt lgkmcnt(3)
	v_pk_fma_f32 v[44:45], v[54:55], v[62:63], v[44:45] op_sel_hi:[0,1,1] neg_lo:[1,0,0] neg_hi:[1,0,0]
	s_waitcnt lgkmcnt(2)
	v_pk_fma_f32 v[38:39], v[54:55], v[64:65], v[38:39] op_sel_hi:[0,1,1] neg_lo:[1,0,0] neg_hi:[1,0,0]
	s_waitcnt lgkmcnt(1)
	v_pk_fma_f32 v[30:31], v[54:55], v[68:69], v[30:31] op_sel_hi:[0,1,1] neg_lo:[1,0,0] neg_hi:[1,0,0]
	ds_read2_b32 v[62:63], v55 offset0:24 offset1:25
	ds_read2_b32 v[64:65], v55 offset0:26 offset1:27
	ds_read2_b32 v[68:69], v55 offset0:28 offset1:29
	s_waitcnt lgkmcnt(3)
	;; [unrolled: 12-line block ×3, first 2 shown]
	v_pk_fma_f32 v[16:17], v[54:55], v[66:67], v[16:17] op_sel_hi:[0,1,1] neg_lo:[1,0,0] neg_hi:[1,0,0]
	ds_read2_b32 v[66:67], v55 offset0:38 offset1:39
	s_waitcnt lgkmcnt(3)
	v_pk_fma_f32 v[34:35], v[54:55], v[62:63], v[34:35] op_sel_hi:[0,1,1] neg_lo:[1,0,0] neg_hi:[1,0,0]
	ds_read2_b32 v[62:63], v55 offset0:40 offset1:41
	s_waitcnt lgkmcnt(3)
	v_pk_fma_f32 v[26:27], v[54:55], v[64:65], v[26:27] op_sel_hi:[0,1,1] neg_lo:[1,0,0] neg_hi:[1,0,0]
	s_waitcnt lgkmcnt(2)
	v_pk_fma_f32 v[18:19], v[54:55], v[68:69], v[18:19] op_sel_hi:[0,1,1] neg_lo:[1,0,0] neg_hi:[1,0,0]
	;; [unrolled: 2-line block ×3, first 2 shown]
	ds_read2_b32 v[64:65], v55 offset0:42 offset1:43
	ds_read2_b32 v[66:67], v55 offset0:44 offset1:45
	;; [unrolled: 1-line block ×3, first 2 shown]
	s_waitcnt lgkmcnt(3)
	v_pk_fma_f32 v[12:13], v[54:55], v[62:63], v[12:13] op_sel_hi:[0,1,1] neg_lo:[1,0,0] neg_hi:[1,0,0]
	ds_read2_b32 v[62:63], v55 offset0:48 offset1:49
	s_waitcnt lgkmcnt(3)
	v_pk_fma_f32 v[20:21], v[54:55], v[64:65], v[20:21] op_sel_hi:[0,1,1] neg_lo:[1,0,0] neg_hi:[1,0,0]
	s_waitcnt vmcnt(0)
	v_fma_f32 v56, -v54, v57, v56
	s_waitcnt lgkmcnt(2)
	v_pk_fma_f32 v[14:15], v[54:55], v[66:67], v[14:15] op_sel_hi:[0,1,1] neg_lo:[1,0,0] neg_hi:[1,0,0]
	s_waitcnt lgkmcnt(1)
	v_pk_fma_f32 v[0:1], v[54:55], v[68:69], v[0:1] op_sel_hi:[0,1,1] neg_lo:[1,0,0] neg_hi:[1,0,0]
	;; [unrolled: 2-line block ×3, first 2 shown]
.LBB98_16:
	s_or_b64 exec, exec, s[2:3]
	v_lshl_add_u32 v57, v61, 2, v55
	s_barrier
	s_waitcnt vmcnt(0)
	ds_write_b32 v57, v56
	s_waitcnt lgkmcnt(0)
	s_barrier
	ds_read_b32 v57, v55 offset:4
	s_mov_b32 s2, 2
	s_cmp_lt_i32 s22, 3
	v_mov_b32_e32 v58, 1
	s_cbranch_scc1 .LBB98_19
; %bb.17:
	v_add3_u32 v62, v60, 0, 8
	v_mov_b32_e32 v58, 1
.LBB98_18:                              ; =>This Inner Loop Header: Depth=1
	ds_read_b32 v63, v62
	v_mov_b32_e32 v64, s2
	s_add_i32 s2, s2, 1
	v_add_u32_e32 v62, 4, v62
	s_cmp_lg_u32 s22, s2
	s_waitcnt lgkmcnt(0)
	v_cmp_lt_f32_e64 vcc, |v57|, |v63|
	s_nop 1
	v_cndmask_b32_e32 v57, v57, v63, vcc
	v_cndmask_b32_e32 v58, v58, v64, vcc
	s_cbranch_scc1 .LBB98_18
.LBB98_19:
	v_cmp_ne_u32_e32 vcc, v61, v58
	s_and_saveexec_b64 s[2:3], vcc
	s_xor_b64 s[2:3], exec, s[2:3]
	s_cbranch_execz .LBB98_25
; %bb.20:
	v_cmp_eq_u32_e32 vcc, 1, v61
	s_and_saveexec_b64 s[12:13], vcc
	s_cbranch_execz .LBB98_24
; %bb.21:
	v_cmp_ne_u32_e32 vcc, 1, v58
	s_xor_b64 s[14:15], s[20:21], -1
	s_and_b64 s[24:25], s[14:15], vcc
	s_and_saveexec_b64 s[14:15], s[24:25]
	s_cbranch_execz .LBB98_23
; %bb.22:
	v_ashrrev_i32_e32 v59, 31, v58
	v_lshl_add_u64 v[62:63], v[58:59], 2, v[4:5]
	global_load_dword v59, v[62:63], off
	global_load_dword v61, v[4:5], off offset:4
	s_waitcnt vmcnt(1)
	global_store_dword v[4:5], v59, off offset:4
	s_waitcnt vmcnt(1)
	global_store_dword v[62:63], v61, off
.LBB98_23:
	s_or_b64 exec, exec, s[14:15]
	v_mov_b32_e32 v59, v58
	v_mov_b32_e32 v61, v58
.LBB98_24:
	s_or_b64 exec, exec, s[12:13]
.LBB98_25:
	s_andn2_saveexec_b64 s[2:3], s[2:3]
	s_cbranch_execz .LBB98_27
; %bb.26:
	v_mov_b32_e32 v61, 1
	ds_write2_b32 v55, v52, v53 offset0:2 offset1:3
	ds_write2_b32 v55, v50, v51 offset0:4 offset1:5
	;; [unrolled: 1-line block ×24, first 2 shown]
.LBB98_27:
	s_or_b64 exec, exec, s[2:3]
	s_waitcnt lgkmcnt(0)
	v_cmp_neq_f32_e64 s[2:3], 0, v57
	v_cmp_lt_i32_e32 vcc, 1, v61
	s_barrier
	s_and_saveexec_b64 s[12:13], vcc
	s_cbranch_execz .LBB98_29
; %bb.28:
	v_div_scale_f32 v58, s[14:15], v57, v57, 1.0
	v_rcp_f32_e32 v62, v58
	v_div_scale_f32 v63, vcc, 1.0, v57, 1.0
	v_fma_f32 v64, -v58, v62, 1.0
	v_fmac_f32_e32 v62, v64, v62
	v_mul_f32_e32 v64, v63, v62
	v_fma_f32 v65, -v58, v64, v63
	v_fmac_f32_e32 v64, v65, v62
	v_fma_f32 v58, -v58, v64, v63
	v_div_fmas_f32 v58, v58, v62, v64
	ds_read2_b32 v[62:63], v55 offset0:2 offset1:3
	ds_read2_b32 v[64:65], v55 offset0:4 offset1:5
	;; [unrolled: 1-line block ×3, first 2 shown]
	v_div_fixup_f32 v58, v58, v57, 1.0
	v_cndmask_b32_e64 v57, v57, v58, s[2:3]
	v_mul_f32_e32 v56, v57, v56
	ds_read2_b32 v[68:69], v55 offset0:8 offset1:9
	s_waitcnt lgkmcnt(3)
	v_pk_fma_f32 v[52:53], v[56:57], v[62:63], v[52:53] op_sel_hi:[0,1,1] neg_lo:[1,0,0] neg_hi:[1,0,0]
	s_waitcnt lgkmcnt(2)
	v_pk_fma_f32 v[50:51], v[56:57], v[64:65], v[50:51] op_sel_hi:[0,1,1] neg_lo:[1,0,0] neg_hi:[1,0,0]
	s_waitcnt lgkmcnt(1)
	v_pk_fma_f32 v[48:49], v[56:57], v[66:67], v[48:49] op_sel_hi:[0,1,1] neg_lo:[1,0,0] neg_hi:[1,0,0]
	ds_read2_b32 v[62:63], v55 offset0:10 offset1:11
	ds_read2_b32 v[64:65], v55 offset0:12 offset1:13
	ds_read2_b32 v[66:67], v55 offset0:14 offset1:15
	s_waitcnt lgkmcnt(3)
	v_pk_fma_f32 v[46:47], v[56:57], v[68:69], v[46:47] op_sel_hi:[0,1,1] neg_lo:[1,0,0] neg_hi:[1,0,0]
	ds_read2_b32 v[68:69], v55 offset0:16 offset1:17
	s_waitcnt lgkmcnt(3)
	v_pk_fma_f32 v[42:43], v[56:57], v[62:63], v[42:43] op_sel_hi:[0,1,1] neg_lo:[1,0,0] neg_hi:[1,0,0]
	s_waitcnt lgkmcnt(2)
	v_pk_fma_f32 v[36:37], v[56:57], v[64:65], v[36:37] op_sel_hi:[0,1,1] neg_lo:[1,0,0] neg_hi:[1,0,0]
	s_waitcnt lgkmcnt(1)
	v_pk_fma_f32 v[28:29], v[56:57], v[66:67], v[28:29] op_sel_hi:[0,1,1] neg_lo:[1,0,0] neg_hi:[1,0,0]
	ds_read2_b32 v[62:63], v55 offset0:18 offset1:19
	ds_read2_b32 v[64:65], v55 offset0:20 offset1:21
	ds_read2_b32 v[66:67], v55 offset0:22 offset1:23
	s_waitcnt lgkmcnt(3)
	v_pk_fma_f32 v[44:45], v[56:57], v[68:69], v[44:45] op_sel_hi:[0,1,1] neg_lo:[1,0,0] neg_hi:[1,0,0]
	;; [unrolled: 12-line block ×4, first 2 shown]
	ds_read2_b32 v[68:69], v55 offset0:40 offset1:41
	s_waitcnt lgkmcnt(3)
	v_pk_fma_f32 v[26:27], v[56:57], v[62:63], v[26:27] op_sel_hi:[0,1,1] neg_lo:[1,0,0] neg_hi:[1,0,0]
	s_waitcnt lgkmcnt(2)
	v_pk_fma_f32 v[18:19], v[56:57], v[64:65], v[18:19] op_sel_hi:[0,1,1] neg_lo:[1,0,0] neg_hi:[1,0,0]
	;; [unrolled: 2-line block ×3, first 2 shown]
	ds_read2_b32 v[62:63], v55 offset0:42 offset1:43
	ds_read2_b32 v[64:65], v55 offset0:44 offset1:45
	;; [unrolled: 1-line block ×4, first 2 shown]
	s_waitcnt lgkmcnt(4)
	v_pk_fma_f32 v[12:13], v[56:57], v[68:69], v[12:13] op_sel_hi:[0,1,1] neg_lo:[1,0,0] neg_hi:[1,0,0]
	s_waitcnt lgkmcnt(3)
	v_pk_fma_f32 v[20:21], v[56:57], v[62:63], v[20:21] op_sel_hi:[0,1,1] neg_lo:[1,0,0] neg_hi:[1,0,0]
	;; [unrolled: 2-line block ×5, first 2 shown]
.LBB98_29:
	s_or_b64 exec, exec, s[12:13]
	v_lshl_add_u32 v57, v61, 2, v55
	s_barrier
	ds_write_b32 v57, v52
	s_waitcnt lgkmcnt(0)
	s_barrier
	ds_read_b32 v62, v55 offset:8
	s_cmp_lt_i32 s22, 4
	v_mov_b32_e32 v58, 2
	s_cbranch_scc1 .LBB98_32
; %bb.30:
	v_mov_b32_e32 v58, 2
	v_add3_u32 v57, v60, 0, 12
	s_mov_b32 s12, 3
.LBB98_31:                              ; =>This Inner Loop Header: Depth=1
	ds_read_b32 v63, v57
	v_mov_b32_e32 v64, s12
	s_add_i32 s12, s12, 1
	v_add_u32_e32 v57, 4, v57
	s_cmp_lg_u32 s22, s12
	s_waitcnt lgkmcnt(0)
	v_cmp_lt_f32_e64 vcc, |v62|, |v63|
	s_nop 1
	v_cndmask_b32_e32 v62, v62, v63, vcc
	v_cndmask_b32_e32 v58, v58, v64, vcc
	s_cbranch_scc1 .LBB98_31
.LBB98_32:
	v_cndmask_b32_e64 v57, 2, 1, s[0:1]
	v_cndmask_b32_e64 v63, 0, 1, s[0:1]
	;; [unrolled: 1-line block ×3, first 2 shown]
	s_waitcnt lgkmcnt(0)
	v_cmp_eq_f32_e32 vcc, 0, v62
	s_and_saveexec_b64 s[0:1], vcc
	s_xor_b64 s[0:1], exec, s[0:1]
; %bb.33:
	v_cmp_ne_u32_e32 vcc, 0, v57
	s_nop 1
	v_cndmask_b32_e32 v57, 3, v57, vcc
; %bb.34:
	s_andn2_saveexec_b64 s[0:1], s[0:1]
	s_cbranch_execz .LBB98_36
; %bb.35:
	v_div_scale_f32 v63, s[2:3], v62, v62, 1.0
	v_rcp_f32_e32 v64, v63
	v_div_scale_f32 v65, vcc, 1.0, v62, 1.0
	v_fma_f32 v66, -v63, v64, 1.0
	v_fmac_f32_e32 v64, v66, v64
	v_mul_f32_e32 v66, v65, v64
	v_fma_f32 v67, -v63, v66, v65
	v_fmac_f32_e32 v66, v67, v64
	v_fma_f32 v63, -v63, v66, v65
	v_div_fmas_f32 v63, v63, v64, v66
	v_div_fixup_f32 v62, v63, v62, 1.0
.LBB98_36:
	s_or_b64 exec, exec, s[0:1]
	v_cmp_ne_u32_e32 vcc, v61, v58
	s_and_saveexec_b64 s[0:1], vcc
	s_xor_b64 s[0:1], exec, s[0:1]
	s_cbranch_execz .LBB98_42
; %bb.37:
	v_cmp_eq_u32_e32 vcc, 2, v61
	s_and_saveexec_b64 s[2:3], vcc
	s_cbranch_execz .LBB98_41
; %bb.38:
	v_cmp_ne_u32_e32 vcc, 2, v58
	s_xor_b64 s[12:13], s[20:21], -1
	s_and_b64 s[14:15], s[12:13], vcc
	s_and_saveexec_b64 s[12:13], s[14:15]
	s_cbranch_execz .LBB98_40
; %bb.39:
	v_ashrrev_i32_e32 v59, 31, v58
	v_lshl_add_u64 v[64:65], v[58:59], 2, v[4:5]
	global_load_dword v59, v[64:65], off
	global_load_dword v61, v[4:5], off offset:8
	s_waitcnt vmcnt(1)
	global_store_dword v[4:5], v59, off offset:8
	s_waitcnt vmcnt(1)
	global_store_dword v[64:65], v61, off
.LBB98_40:
	s_or_b64 exec, exec, s[12:13]
	v_mov_b32_e32 v59, v58
	v_mov_b32_e32 v61, v58
.LBB98_41:
	s_or_b64 exec, exec, s[2:3]
.LBB98_42:
	s_andn2_saveexec_b64 s[0:1], s[0:1]
	s_cbranch_execz .LBB98_44
; %bb.43:
	v_pk_mov_b32 v[64:65], v[52:53], v[50:51] op_sel:[1,0]
	ds_write2_b32 v55, v64, v65 offset0:3 offset1:4
	v_pk_mov_b32 v[64:65], v[50:51], v[48:49] op_sel:[1,0]
	ds_write2_b32 v55, v64, v65 offset0:5 offset1:6
	;; [unrolled: 2-line block ×22, first 2 shown]
	v_pk_mov_b32 v[64:65], v[0:1], v[10:11] op_sel:[1,0]
	v_mov_b32_e32 v61, 2
	ds_write2_b32 v55, v64, v65 offset0:47 offset1:48
	ds_write_b32 v55, v11 offset:196
.LBB98_44:
	s_or_b64 exec, exec, s[0:1]
	v_cmp_lt_i32_e32 vcc, 2, v61
	s_waitcnt lgkmcnt(0)
	s_barrier
	s_and_saveexec_b64 s[0:1], vcc
	s_cbranch_execz .LBB98_46
; %bb.45:
	ds_read_b32 v58, v55 offset:12
	ds_read2_b32 v[64:65], v55 offset0:4 offset1:5
	ds_read2_b32 v[66:67], v55 offset0:6 offset1:7
	v_mul_f32_e32 v52, v62, v52
	ds_read2_b32 v[62:63], v55 offset0:8 offset1:9
	s_waitcnt lgkmcnt(3)
	v_fma_f32 v53, -v52, v58, v53
	s_waitcnt lgkmcnt(2)
	v_pk_fma_f32 v[50:51], v[52:53], v[64:65], v[50:51] op_sel_hi:[0,1,1] neg_lo:[1,0,0] neg_hi:[1,0,0]
	s_waitcnt lgkmcnt(1)
	v_pk_fma_f32 v[48:49], v[52:53], v[66:67], v[48:49] op_sel_hi:[0,1,1] neg_lo:[1,0,0] neg_hi:[1,0,0]
	ds_read2_b32 v[64:65], v55 offset0:10 offset1:11
	ds_read2_b32 v[66:67], v55 offset0:12 offset1:13
	ds_read2_b32 v[68:69], v55 offset0:14 offset1:15
	s_waitcnt lgkmcnt(3)
	v_pk_fma_f32 v[46:47], v[52:53], v[62:63], v[46:47] op_sel_hi:[0,1,1] neg_lo:[1,0,0] neg_hi:[1,0,0]
	ds_read2_b32 v[62:63], v55 offset0:16 offset1:17
	s_waitcnt lgkmcnt(3)
	v_pk_fma_f32 v[42:43], v[52:53], v[64:65], v[42:43] op_sel_hi:[0,1,1] neg_lo:[1,0,0] neg_hi:[1,0,0]
	s_waitcnt lgkmcnt(2)
	v_pk_fma_f32 v[36:37], v[52:53], v[66:67], v[36:37] op_sel_hi:[0,1,1] neg_lo:[1,0,0] neg_hi:[1,0,0]
	s_waitcnt lgkmcnt(1)
	v_pk_fma_f32 v[28:29], v[52:53], v[68:69], v[28:29] op_sel_hi:[0,1,1] neg_lo:[1,0,0] neg_hi:[1,0,0]
	ds_read2_b32 v[64:65], v55 offset0:18 offset1:19
	ds_read2_b32 v[66:67], v55 offset0:20 offset1:21
	ds_read2_b32 v[68:69], v55 offset0:22 offset1:23
	s_waitcnt lgkmcnt(3)
	v_pk_fma_f32 v[44:45], v[52:53], v[62:63], v[44:45] op_sel_hi:[0,1,1] neg_lo:[1,0,0] neg_hi:[1,0,0]
	ds_read2_b32 v[62:63], v55 offset0:24 offset1:25
	s_waitcnt lgkmcnt(3)
	v_pk_fma_f32 v[38:39], v[52:53], v[64:65], v[38:39] op_sel_hi:[0,1,1] neg_lo:[1,0,0] neg_hi:[1,0,0]
	;; [unrolled: 12-line block ×4, first 2 shown]
	s_waitcnt lgkmcnt(2)
	v_pk_fma_f32 v[18:19], v[52:53], v[66:67], v[18:19] op_sel_hi:[0,1,1] neg_lo:[1,0,0] neg_hi:[1,0,0]
	s_waitcnt lgkmcnt(1)
	v_pk_fma_f32 v[8:9], v[52:53], v[68:69], v[8:9] op_sel_hi:[0,1,1] neg_lo:[1,0,0] neg_hi:[1,0,0]
	ds_read2_b32 v[64:65], v55 offset0:42 offset1:43
	ds_read2_b32 v[66:67], v55 offset0:44 offset1:45
	;; [unrolled: 1-line block ×4, first 2 shown]
	s_waitcnt lgkmcnt(4)
	v_pk_fma_f32 v[12:13], v[52:53], v[62:63], v[12:13] op_sel_hi:[0,1,1] neg_lo:[1,0,0] neg_hi:[1,0,0]
	s_waitcnt lgkmcnt(3)
	v_pk_fma_f32 v[20:21], v[52:53], v[64:65], v[20:21] op_sel_hi:[0,1,1] neg_lo:[1,0,0] neg_hi:[1,0,0]
	;; [unrolled: 2-line block ×5, first 2 shown]
.LBB98_46:
	s_or_b64 exec, exec, s[0:1]
	v_lshl_add_u32 v58, v61, 2, v55
	s_barrier
	ds_write_b32 v58, v53
	s_waitcnt lgkmcnt(0)
	s_barrier
	ds_read_b32 v62, v55 offset:12
	s_cmp_lt_i32 s22, 5
	v_mov_b32_e32 v58, 3
	s_cbranch_scc1 .LBB98_49
; %bb.47:
	v_add3_u32 v63, v60, 0, 16
	v_mov_b32_e32 v58, 3
	s_mov_b32 s0, 4
.LBB98_48:                              ; =>This Inner Loop Header: Depth=1
	ds_read_b32 v64, v63
	v_mov_b32_e32 v65, s0
	s_add_i32 s0, s0, 1
	v_add_u32_e32 v63, 4, v63
	s_cmp_lg_u32 s22, s0
	s_waitcnt lgkmcnt(0)
	v_cmp_lt_f32_e64 vcc, |v62|, |v64|
	s_nop 1
	v_cndmask_b32_e32 v62, v62, v64, vcc
	v_cndmask_b32_e32 v58, v58, v65, vcc
	s_cbranch_scc1 .LBB98_48
.LBB98_49:
	s_waitcnt lgkmcnt(0)
	v_cmp_eq_f32_e32 vcc, 0, v62
	s_and_saveexec_b64 s[0:1], vcc
	s_xor_b64 s[0:1], exec, s[0:1]
; %bb.50:
	v_cmp_ne_u32_e32 vcc, 0, v57
	s_nop 1
	v_cndmask_b32_e32 v57, 4, v57, vcc
; %bb.51:
	s_andn2_saveexec_b64 s[0:1], s[0:1]
	s_cbranch_execz .LBB98_53
; %bb.52:
	v_div_scale_f32 v63, s[2:3], v62, v62, 1.0
	v_rcp_f32_e32 v64, v63
	v_div_scale_f32 v65, vcc, 1.0, v62, 1.0
	v_fma_f32 v66, -v63, v64, 1.0
	v_fmac_f32_e32 v64, v66, v64
	v_mul_f32_e32 v66, v65, v64
	v_fma_f32 v67, -v63, v66, v65
	v_fmac_f32_e32 v66, v67, v64
	v_fma_f32 v63, -v63, v66, v65
	v_div_fmas_f32 v63, v63, v64, v66
	v_div_fixup_f32 v62, v63, v62, 1.0
.LBB98_53:
	s_or_b64 exec, exec, s[0:1]
	v_cmp_ne_u32_e32 vcc, v61, v58
	s_and_saveexec_b64 s[0:1], vcc
	s_xor_b64 s[0:1], exec, s[0:1]
	s_cbranch_execz .LBB98_59
; %bb.54:
	v_cmp_eq_u32_e32 vcc, 3, v61
	s_and_saveexec_b64 s[2:3], vcc
	s_cbranch_execz .LBB98_58
; %bb.55:
	v_cmp_ne_u32_e32 vcc, 3, v58
	s_xor_b64 s[12:13], s[20:21], -1
	s_and_b64 s[14:15], s[12:13], vcc
	s_and_saveexec_b64 s[12:13], s[14:15]
	s_cbranch_execz .LBB98_57
; %bb.56:
	v_ashrrev_i32_e32 v59, 31, v58
	v_lshl_add_u64 v[64:65], v[58:59], 2, v[4:5]
	global_load_dword v59, v[64:65], off
	global_load_dword v61, v[4:5], off offset:12
	s_waitcnt vmcnt(1)
	global_store_dword v[4:5], v59, off offset:12
	s_waitcnt vmcnt(1)
	global_store_dword v[64:65], v61, off
.LBB98_57:
	s_or_b64 exec, exec, s[12:13]
	v_mov_b32_e32 v59, v58
	v_mov_b32_e32 v61, v58
.LBB98_58:
	s_or_b64 exec, exec, s[2:3]
.LBB98_59:
	s_andn2_saveexec_b64 s[0:1], s[0:1]
	s_cbranch_execz .LBB98_61
; %bb.60:
	v_mov_b32_e32 v61, 3
	ds_write2_b32 v55, v50, v51 offset0:4 offset1:5
	ds_write2_b32 v55, v48, v49 offset0:6 offset1:7
	;; [unrolled: 1-line block ×23, first 2 shown]
.LBB98_61:
	s_or_b64 exec, exec, s[0:1]
	v_cmp_lt_i32_e32 vcc, 3, v61
	s_waitcnt lgkmcnt(0)
	s_barrier
	s_and_saveexec_b64 s[0:1], vcc
	s_cbranch_execz .LBB98_63
; %bb.62:
	ds_read2_b32 v[64:65], v55 offset0:4 offset1:5
	ds_read2_b32 v[66:67], v55 offset0:6 offset1:7
	;; [unrolled: 1-line block ×3, first 2 shown]
	v_mul_f32_e32 v58, v62, v53
	ds_read2_b32 v[62:63], v55 offset0:10 offset1:11
	s_waitcnt lgkmcnt(3)
	v_pk_fma_f32 v[50:51], v[58:59], v[64:65], v[50:51] op_sel_hi:[0,1,1] neg_lo:[1,0,0] neg_hi:[1,0,0]
	s_waitcnt lgkmcnt(2)
	v_pk_fma_f32 v[48:49], v[58:59], v[66:67], v[48:49] op_sel_hi:[0,1,1] neg_lo:[1,0,0] neg_hi:[1,0,0]
	s_waitcnt lgkmcnt(1)
	v_pk_fma_f32 v[46:47], v[58:59], v[68:69], v[46:47] op_sel_hi:[0,1,1] neg_lo:[1,0,0] neg_hi:[1,0,0]
	ds_read2_b32 v[64:65], v55 offset0:12 offset1:13
	ds_read2_b32 v[66:67], v55 offset0:14 offset1:15
	ds_read2_b32 v[68:69], v55 offset0:16 offset1:17
	s_waitcnt lgkmcnt(3)
	v_pk_fma_f32 v[42:43], v[58:59], v[62:63], v[42:43] op_sel_hi:[0,1,1] neg_lo:[1,0,0] neg_hi:[1,0,0]
	ds_read2_b32 v[62:63], v55 offset0:18 offset1:19
	s_waitcnt lgkmcnt(3)
	v_pk_fma_f32 v[36:37], v[58:59], v[64:65], v[36:37] op_sel_hi:[0,1,1] neg_lo:[1,0,0] neg_hi:[1,0,0]
	s_waitcnt lgkmcnt(2)
	v_pk_fma_f32 v[28:29], v[58:59], v[66:67], v[28:29] op_sel_hi:[0,1,1] neg_lo:[1,0,0] neg_hi:[1,0,0]
	s_waitcnt lgkmcnt(1)
	v_pk_fma_f32 v[44:45], v[58:59], v[68:69], v[44:45] op_sel_hi:[0,1,1] neg_lo:[1,0,0] neg_hi:[1,0,0]
	ds_read2_b32 v[64:65], v55 offset0:20 offset1:21
	ds_read2_b32 v[66:67], v55 offset0:22 offset1:23
	ds_read2_b32 v[68:69], v55 offset0:24 offset1:25
	s_waitcnt lgkmcnt(3)
	v_pk_fma_f32 v[38:39], v[58:59], v[62:63], v[38:39] op_sel_hi:[0,1,1] neg_lo:[1,0,0] neg_hi:[1,0,0]
	;; [unrolled: 12-line block ×3, first 2 shown]
	ds_read2_b32 v[62:63], v55 offset0:34 offset1:35
	s_waitcnt lgkmcnt(3)
	v_pk_fma_f32 v[24:25], v[58:59], v[64:65], v[24:25] op_sel_hi:[0,1,1] neg_lo:[1,0,0] neg_hi:[1,0,0]
	s_waitcnt lgkmcnt(2)
	v_pk_fma_f32 v[16:17], v[58:59], v[66:67], v[16:17] op_sel_hi:[0,1,1] neg_lo:[1,0,0] neg_hi:[1,0,0]
	ds_read2_b32 v[64:65], v55 offset0:36 offset1:37
	ds_read2_b32 v[66:67], v55 offset0:38 offset1:39
	s_waitcnt lgkmcnt(3)
	v_pk_fma_f32 v[34:35], v[58:59], v[68:69], v[34:35] op_sel_hi:[0,1,1] neg_lo:[1,0,0] neg_hi:[1,0,0]
	s_waitcnt lgkmcnt(2)
	v_pk_fma_f32 v[26:27], v[58:59], v[62:63], v[26:27] op_sel_hi:[0,1,1] neg_lo:[1,0,0] neg_hi:[1,0,0]
	ds_read2_b32 v[62:63], v55 offset0:40 offset1:41
	;; [unrolled: 6-line block ×3, first 2 shown]
	ds_read2_b32 v[66:67], v55 offset0:46 offset1:47
	ds_read2_b32 v[70:71], v55 offset0:48 offset1:49
	s_waitcnt lgkmcnt(4)
	v_pk_fma_f32 v[12:13], v[58:59], v[62:63], v[12:13] op_sel_hi:[0,1,1] neg_lo:[1,0,0] neg_hi:[1,0,0]
	s_waitcnt lgkmcnt(3)
	v_pk_fma_f32 v[20:21], v[58:59], v[68:69], v[20:21] op_sel_hi:[0,1,1] neg_lo:[1,0,0] neg_hi:[1,0,0]
	;; [unrolled: 2-line block ×5, first 2 shown]
	v_mov_b32_e32 v53, v58
.LBB98_63:
	s_or_b64 exec, exec, s[0:1]
	v_lshl_add_u32 v58, v61, 2, v55
	s_barrier
	ds_write_b32 v58, v50
	s_waitcnt lgkmcnt(0)
	s_barrier
	ds_read_b32 v62, v55 offset:16
	s_cmp_lt_i32 s22, 6
	v_mov_b32_e32 v58, 4
	s_cbranch_scc1 .LBB98_66
; %bb.64:
	v_add3_u32 v63, v60, 0, 20
	v_mov_b32_e32 v58, 4
	s_mov_b32 s0, 5
.LBB98_65:                              ; =>This Inner Loop Header: Depth=1
	ds_read_b32 v64, v63
	v_mov_b32_e32 v65, s0
	s_add_i32 s0, s0, 1
	v_add_u32_e32 v63, 4, v63
	s_cmp_lg_u32 s22, s0
	s_waitcnt lgkmcnt(0)
	v_cmp_lt_f32_e64 vcc, |v62|, |v64|
	s_nop 1
	v_cndmask_b32_e32 v62, v62, v64, vcc
	v_cndmask_b32_e32 v58, v58, v65, vcc
	s_cbranch_scc1 .LBB98_65
.LBB98_66:
	s_waitcnt lgkmcnt(0)
	v_cmp_eq_f32_e32 vcc, 0, v62
	s_and_saveexec_b64 s[0:1], vcc
	s_xor_b64 s[0:1], exec, s[0:1]
; %bb.67:
	v_cmp_ne_u32_e32 vcc, 0, v57
	s_nop 1
	v_cndmask_b32_e32 v57, 5, v57, vcc
; %bb.68:
	s_andn2_saveexec_b64 s[0:1], s[0:1]
	s_cbranch_execz .LBB98_70
; %bb.69:
	v_div_scale_f32 v63, s[2:3], v62, v62, 1.0
	v_rcp_f32_e32 v64, v63
	v_div_scale_f32 v65, vcc, 1.0, v62, 1.0
	v_fma_f32 v66, -v63, v64, 1.0
	v_fmac_f32_e32 v64, v66, v64
	v_mul_f32_e32 v66, v65, v64
	v_fma_f32 v67, -v63, v66, v65
	v_fmac_f32_e32 v66, v67, v64
	v_fma_f32 v63, -v63, v66, v65
	v_div_fmas_f32 v63, v63, v64, v66
	v_div_fixup_f32 v62, v63, v62, 1.0
.LBB98_70:
	s_or_b64 exec, exec, s[0:1]
	v_cmp_ne_u32_e32 vcc, v61, v58
	s_and_saveexec_b64 s[0:1], vcc
	s_xor_b64 s[0:1], exec, s[0:1]
	s_cbranch_execz .LBB98_76
; %bb.71:
	v_cmp_eq_u32_e32 vcc, 4, v61
	s_and_saveexec_b64 s[2:3], vcc
	s_cbranch_execz .LBB98_75
; %bb.72:
	v_cmp_ne_u32_e32 vcc, 4, v58
	s_xor_b64 s[12:13], s[20:21], -1
	s_and_b64 s[14:15], s[12:13], vcc
	s_and_saveexec_b64 s[12:13], s[14:15]
	s_cbranch_execz .LBB98_74
; %bb.73:
	v_ashrrev_i32_e32 v59, 31, v58
	v_lshl_add_u64 v[64:65], v[58:59], 2, v[4:5]
	global_load_dword v59, v[64:65], off
	global_load_dword v61, v[4:5], off offset:16
	s_waitcnt vmcnt(1)
	global_store_dword v[4:5], v59, off offset:16
	s_waitcnt vmcnt(1)
	global_store_dword v[64:65], v61, off
.LBB98_74:
	s_or_b64 exec, exec, s[12:13]
	v_mov_b32_e32 v59, v58
	v_mov_b32_e32 v61, v58
.LBB98_75:
	s_or_b64 exec, exec, s[2:3]
.LBB98_76:
	s_andn2_saveexec_b64 s[0:1], s[0:1]
	s_cbranch_execz .LBB98_78
; %bb.77:
	v_pk_mov_b32 v[64:65], v[50:51], v[48:49] op_sel:[1,0]
	ds_write2_b32 v55, v64, v65 offset0:5 offset1:6
	v_pk_mov_b32 v[64:65], v[48:49], v[46:47] op_sel:[1,0]
	ds_write2_b32 v55, v64, v65 offset0:7 offset1:8
	v_pk_mov_b32 v[64:65], v[46:47], v[42:43] op_sel:[1,0]
	ds_write2_b32 v55, v64, v65 offset0:9 offset1:10
	v_pk_mov_b32 v[64:65], v[42:43], v[36:37] op_sel:[1,0]
	ds_write2_b32 v55, v64, v65 offset0:11 offset1:12
	v_pk_mov_b32 v[64:65], v[36:37], v[28:29] op_sel:[1,0]
	ds_write2_b32 v55, v64, v65 offset0:13 offset1:14
	v_pk_mov_b32 v[64:65], v[28:29], v[44:45] op_sel:[1,0]
	ds_write2_b32 v55, v64, v65 offset0:15 offset1:16
	v_pk_mov_b32 v[64:65], v[44:45], v[38:39] op_sel:[1,0]
	ds_write2_b32 v55, v64, v65 offset0:17 offset1:18
	v_pk_mov_b32 v[64:65], v[38:39], v[30:31] op_sel:[1,0]
	ds_write2_b32 v55, v64, v65 offset0:19 offset1:20
	v_pk_mov_b32 v[64:65], v[30:31], v[22:23] op_sel:[1,0]
	ds_write2_b32 v55, v64, v65 offset0:21 offset1:22
	v_pk_mov_b32 v[64:65], v[22:23], v[40:41] op_sel:[1,0]
	ds_write2_b32 v55, v64, v65 offset0:23 offset1:24
	v_pk_mov_b32 v[64:65], v[40:41], v[32:33] op_sel:[1,0]
	ds_write2_b32 v55, v64, v65 offset0:25 offset1:26
	v_pk_mov_b32 v[64:65], v[32:33], v[24:25] op_sel:[1,0]
	ds_write2_b32 v55, v64, v65 offset0:27 offset1:28
	v_pk_mov_b32 v[64:65], v[24:25], v[16:17] op_sel:[1,0]
	ds_write2_b32 v55, v64, v65 offset0:29 offset1:30
	v_pk_mov_b32 v[64:65], v[16:17], v[34:35] op_sel:[1,0]
	ds_write2_b32 v55, v64, v65 offset0:31 offset1:32
	v_pk_mov_b32 v[64:65], v[34:35], v[26:27] op_sel:[1,0]
	ds_write2_b32 v55, v64, v65 offset0:33 offset1:34
	v_pk_mov_b32 v[64:65], v[26:27], v[18:19] op_sel:[1,0]
	ds_write2_b32 v55, v64, v65 offset0:35 offset1:36
	v_pk_mov_b32 v[64:65], v[18:19], v[8:9] op_sel:[1,0]
	ds_write2_b32 v55, v64, v65 offset0:37 offset1:38
	v_pk_mov_b32 v[64:65], v[8:9], v[12:13] op_sel:[1,0]
	ds_write2_b32 v55, v64, v65 offset0:39 offset1:40
	v_pk_mov_b32 v[64:65], v[12:13], v[20:21] op_sel:[1,0]
	ds_write2_b32 v55, v64, v65 offset0:41 offset1:42
	v_pk_mov_b32 v[64:65], v[20:21], v[14:15] op_sel:[1,0]
	ds_write2_b32 v55, v64, v65 offset0:43 offset1:44
	v_pk_mov_b32 v[64:65], v[14:15], v[0:1] op_sel:[1,0]
	ds_write2_b32 v55, v64, v65 offset0:45 offset1:46
	v_pk_mov_b32 v[64:65], v[0:1], v[10:11] op_sel:[1,0]
	v_mov_b32_e32 v61, 4
	ds_write2_b32 v55, v64, v65 offset0:47 offset1:48
	ds_write_b32 v55, v11 offset:196
.LBB98_78:
	s_or_b64 exec, exec, s[0:1]
	v_cmp_lt_i32_e32 vcc, 4, v61
	s_waitcnt lgkmcnt(0)
	s_barrier
	s_and_saveexec_b64 s[0:1], vcc
	s_cbranch_execz .LBB98_80
; %bb.79:
	ds_read_b32 v58, v55 offset:20
	ds_read2_b32 v[64:65], v55 offset0:6 offset1:7
	ds_read2_b32 v[66:67], v55 offset0:8 offset1:9
	v_mul_f32_e32 v50, v62, v50
	ds_read2_b32 v[62:63], v55 offset0:10 offset1:11
	s_waitcnt lgkmcnt(3)
	v_fma_f32 v51, -v50, v58, v51
	s_waitcnt lgkmcnt(2)
	v_pk_fma_f32 v[48:49], v[50:51], v[64:65], v[48:49] op_sel_hi:[0,1,1] neg_lo:[1,0,0] neg_hi:[1,0,0]
	s_waitcnt lgkmcnt(1)
	v_pk_fma_f32 v[46:47], v[50:51], v[66:67], v[46:47] op_sel_hi:[0,1,1] neg_lo:[1,0,0] neg_hi:[1,0,0]
	ds_read2_b32 v[64:65], v55 offset0:12 offset1:13
	ds_read2_b32 v[66:67], v55 offset0:14 offset1:15
	ds_read2_b32 v[68:69], v55 offset0:16 offset1:17
	s_waitcnt lgkmcnt(3)
	v_pk_fma_f32 v[42:43], v[50:51], v[62:63], v[42:43] op_sel_hi:[0,1,1] neg_lo:[1,0,0] neg_hi:[1,0,0]
	ds_read2_b32 v[62:63], v55 offset0:18 offset1:19
	s_waitcnt lgkmcnt(3)
	v_pk_fma_f32 v[36:37], v[50:51], v[64:65], v[36:37] op_sel_hi:[0,1,1] neg_lo:[1,0,0] neg_hi:[1,0,0]
	s_waitcnt lgkmcnt(2)
	v_pk_fma_f32 v[28:29], v[50:51], v[66:67], v[28:29] op_sel_hi:[0,1,1] neg_lo:[1,0,0] neg_hi:[1,0,0]
	s_waitcnt lgkmcnt(1)
	v_pk_fma_f32 v[44:45], v[50:51], v[68:69], v[44:45] op_sel_hi:[0,1,1] neg_lo:[1,0,0] neg_hi:[1,0,0]
	ds_read2_b32 v[64:65], v55 offset0:20 offset1:21
	ds_read2_b32 v[66:67], v55 offset0:22 offset1:23
	ds_read2_b32 v[68:69], v55 offset0:24 offset1:25
	s_waitcnt lgkmcnt(3)
	v_pk_fma_f32 v[38:39], v[50:51], v[62:63], v[38:39] op_sel_hi:[0,1,1] neg_lo:[1,0,0] neg_hi:[1,0,0]
	ds_read2_b32 v[62:63], v55 offset0:26 offset1:27
	s_waitcnt lgkmcnt(3)
	v_pk_fma_f32 v[30:31], v[50:51], v[64:65], v[30:31] op_sel_hi:[0,1,1] neg_lo:[1,0,0] neg_hi:[1,0,0]
	;; [unrolled: 12-line block ×3, first 2 shown]
	s_waitcnt lgkmcnt(2)
	v_pk_fma_f32 v[16:17], v[50:51], v[66:67], v[16:17] op_sel_hi:[0,1,1] neg_lo:[1,0,0] neg_hi:[1,0,0]
	ds_read2_b32 v[64:65], v55 offset0:36 offset1:37
	ds_read2_b32 v[66:67], v55 offset0:38 offset1:39
	s_waitcnt lgkmcnt(3)
	v_pk_fma_f32 v[34:35], v[50:51], v[68:69], v[34:35] op_sel_hi:[0,1,1] neg_lo:[1,0,0] neg_hi:[1,0,0]
	s_waitcnt lgkmcnt(2)
	v_pk_fma_f32 v[26:27], v[50:51], v[62:63], v[26:27] op_sel_hi:[0,1,1] neg_lo:[1,0,0] neg_hi:[1,0,0]
	ds_read2_b32 v[62:63], v55 offset0:40 offset1:41
	ds_read2_b32 v[68:69], v55 offset0:42 offset1:43
	s_waitcnt lgkmcnt(3)
	v_pk_fma_f32 v[18:19], v[50:51], v[64:65], v[18:19] op_sel_hi:[0,1,1] neg_lo:[1,0,0] neg_hi:[1,0,0]
	s_waitcnt lgkmcnt(2)
	v_pk_fma_f32 v[8:9], v[50:51], v[66:67], v[8:9] op_sel_hi:[0,1,1] neg_lo:[1,0,0] neg_hi:[1,0,0]
	ds_read2_b32 v[64:65], v55 offset0:44 offset1:45
	ds_read2_b32 v[66:67], v55 offset0:46 offset1:47
	;; [unrolled: 1-line block ×3, first 2 shown]
	s_waitcnt lgkmcnt(4)
	v_pk_fma_f32 v[12:13], v[50:51], v[62:63], v[12:13] op_sel_hi:[0,1,1] neg_lo:[1,0,0] neg_hi:[1,0,0]
	s_waitcnt lgkmcnt(3)
	v_pk_fma_f32 v[20:21], v[50:51], v[68:69], v[20:21] op_sel_hi:[0,1,1] neg_lo:[1,0,0] neg_hi:[1,0,0]
	;; [unrolled: 2-line block ×5, first 2 shown]
.LBB98_80:
	s_or_b64 exec, exec, s[0:1]
	v_lshl_add_u32 v58, v61, 2, v55
	s_barrier
	ds_write_b32 v58, v51
	s_waitcnt lgkmcnt(0)
	s_barrier
	ds_read_b32 v62, v55 offset:20
	s_cmp_lt_i32 s22, 7
	v_mov_b32_e32 v58, 5
	s_cbranch_scc1 .LBB98_83
; %bb.81:
	v_add3_u32 v63, v60, 0, 24
	v_mov_b32_e32 v58, 5
	s_mov_b32 s0, 6
.LBB98_82:                              ; =>This Inner Loop Header: Depth=1
	ds_read_b32 v64, v63
	v_mov_b32_e32 v65, s0
	s_add_i32 s0, s0, 1
	v_add_u32_e32 v63, 4, v63
	s_cmp_lg_u32 s22, s0
	s_waitcnt lgkmcnt(0)
	v_cmp_lt_f32_e64 vcc, |v62|, |v64|
	s_nop 1
	v_cndmask_b32_e32 v62, v62, v64, vcc
	v_cndmask_b32_e32 v58, v58, v65, vcc
	s_cbranch_scc1 .LBB98_82
.LBB98_83:
	s_waitcnt lgkmcnt(0)
	v_cmp_eq_f32_e32 vcc, 0, v62
	s_and_saveexec_b64 s[0:1], vcc
	s_xor_b64 s[0:1], exec, s[0:1]
; %bb.84:
	v_cmp_ne_u32_e32 vcc, 0, v57
	s_nop 1
	v_cndmask_b32_e32 v57, 6, v57, vcc
; %bb.85:
	s_andn2_saveexec_b64 s[0:1], s[0:1]
	s_cbranch_execz .LBB98_87
; %bb.86:
	v_div_scale_f32 v63, s[2:3], v62, v62, 1.0
	v_rcp_f32_e32 v64, v63
	v_div_scale_f32 v65, vcc, 1.0, v62, 1.0
	v_fma_f32 v66, -v63, v64, 1.0
	v_fmac_f32_e32 v64, v66, v64
	v_mul_f32_e32 v66, v65, v64
	v_fma_f32 v67, -v63, v66, v65
	v_fmac_f32_e32 v66, v67, v64
	v_fma_f32 v63, -v63, v66, v65
	v_div_fmas_f32 v63, v63, v64, v66
	v_div_fixup_f32 v62, v63, v62, 1.0
.LBB98_87:
	s_or_b64 exec, exec, s[0:1]
	v_cmp_ne_u32_e32 vcc, v61, v58
	s_and_saveexec_b64 s[0:1], vcc
	s_xor_b64 s[0:1], exec, s[0:1]
	s_cbranch_execz .LBB98_93
; %bb.88:
	v_cmp_eq_u32_e32 vcc, 5, v61
	s_and_saveexec_b64 s[2:3], vcc
	s_cbranch_execz .LBB98_92
; %bb.89:
	v_cmp_ne_u32_e32 vcc, 5, v58
	s_xor_b64 s[12:13], s[20:21], -1
	s_and_b64 s[14:15], s[12:13], vcc
	s_and_saveexec_b64 s[12:13], s[14:15]
	s_cbranch_execz .LBB98_91
; %bb.90:
	v_ashrrev_i32_e32 v59, 31, v58
	v_lshl_add_u64 v[64:65], v[58:59], 2, v[4:5]
	global_load_dword v59, v[64:65], off
	global_load_dword v61, v[4:5], off offset:20
	s_waitcnt vmcnt(1)
	global_store_dword v[4:5], v59, off offset:20
	s_waitcnt vmcnt(1)
	global_store_dword v[64:65], v61, off
.LBB98_91:
	s_or_b64 exec, exec, s[12:13]
	v_mov_b32_e32 v59, v58
	v_mov_b32_e32 v61, v58
.LBB98_92:
	s_or_b64 exec, exec, s[2:3]
.LBB98_93:
	s_andn2_saveexec_b64 s[0:1], s[0:1]
	s_cbranch_execz .LBB98_95
; %bb.94:
	v_mov_b32_e32 v61, 5
	ds_write2_b32 v55, v48, v49 offset0:6 offset1:7
	ds_write2_b32 v55, v46, v47 offset0:8 offset1:9
	;; [unrolled: 1-line block ×22, first 2 shown]
.LBB98_95:
	s_or_b64 exec, exec, s[0:1]
	v_cmp_lt_i32_e32 vcc, 5, v61
	s_waitcnt lgkmcnt(0)
	s_barrier
	s_and_saveexec_b64 s[0:1], vcc
	s_cbranch_execz .LBB98_97
; %bb.96:
	ds_read2_b32 v[64:65], v55 offset0:6 offset1:7
	ds_read2_b32 v[66:67], v55 offset0:8 offset1:9
	;; [unrolled: 1-line block ×3, first 2 shown]
	v_mul_f32_e32 v58, v62, v51
	ds_read2_b32 v[62:63], v55 offset0:12 offset1:13
	s_waitcnt lgkmcnt(3)
	v_pk_fma_f32 v[48:49], v[58:59], v[64:65], v[48:49] op_sel_hi:[0,1,1] neg_lo:[1,0,0] neg_hi:[1,0,0]
	s_waitcnt lgkmcnt(2)
	v_pk_fma_f32 v[46:47], v[58:59], v[66:67], v[46:47] op_sel_hi:[0,1,1] neg_lo:[1,0,0] neg_hi:[1,0,0]
	s_waitcnt lgkmcnt(1)
	v_pk_fma_f32 v[42:43], v[58:59], v[68:69], v[42:43] op_sel_hi:[0,1,1] neg_lo:[1,0,0] neg_hi:[1,0,0]
	ds_read2_b32 v[64:65], v55 offset0:14 offset1:15
	ds_read2_b32 v[66:67], v55 offset0:16 offset1:17
	ds_read2_b32 v[68:69], v55 offset0:18 offset1:19
	s_waitcnt lgkmcnt(3)
	v_pk_fma_f32 v[36:37], v[58:59], v[62:63], v[36:37] op_sel_hi:[0,1,1] neg_lo:[1,0,0] neg_hi:[1,0,0]
	ds_read2_b32 v[62:63], v55 offset0:20 offset1:21
	s_waitcnt lgkmcnt(3)
	v_pk_fma_f32 v[28:29], v[58:59], v[64:65], v[28:29] op_sel_hi:[0,1,1] neg_lo:[1,0,0] neg_hi:[1,0,0]
	s_waitcnt lgkmcnt(2)
	v_pk_fma_f32 v[44:45], v[58:59], v[66:67], v[44:45] op_sel_hi:[0,1,1] neg_lo:[1,0,0] neg_hi:[1,0,0]
	s_waitcnt lgkmcnt(1)
	v_pk_fma_f32 v[38:39], v[58:59], v[68:69], v[38:39] op_sel_hi:[0,1,1] neg_lo:[1,0,0] neg_hi:[1,0,0]
	ds_read2_b32 v[64:65], v55 offset0:22 offset1:23
	ds_read2_b32 v[66:67], v55 offset0:24 offset1:25
	ds_read2_b32 v[68:69], v55 offset0:26 offset1:27
	s_waitcnt lgkmcnt(3)
	v_pk_fma_f32 v[30:31], v[58:59], v[62:63], v[30:31] op_sel_hi:[0,1,1] neg_lo:[1,0,0] neg_hi:[1,0,0]
	;; [unrolled: 12-line block ×3, first 2 shown]
	ds_read2_b32 v[62:63], v55 offset0:36 offset1:37
	s_waitcnt lgkmcnt(3)
	v_pk_fma_f32 v[16:17], v[58:59], v[64:65], v[16:17] op_sel_hi:[0,1,1] neg_lo:[1,0,0] neg_hi:[1,0,0]
	ds_read2_b32 v[64:65], v55 offset0:38 offset1:39
	s_waitcnt lgkmcnt(3)
	v_pk_fma_f32 v[34:35], v[58:59], v[66:67], v[34:35] op_sel_hi:[0,1,1] neg_lo:[1,0,0] neg_hi:[1,0,0]
	s_waitcnt lgkmcnt(2)
	v_pk_fma_f32 v[26:27], v[58:59], v[68:69], v[26:27] op_sel_hi:[0,1,1] neg_lo:[1,0,0] neg_hi:[1,0,0]
	;; [unrolled: 2-line block ×3, first 2 shown]
	ds_read2_b32 v[62:63], v55 offset0:40 offset1:41
	ds_read2_b32 v[66:67], v55 offset0:42 offset1:43
	;; [unrolled: 1-line block ×3, first 2 shown]
	s_waitcnt lgkmcnt(3)
	v_pk_fma_f32 v[8:9], v[58:59], v[64:65], v[8:9] op_sel_hi:[0,1,1] neg_lo:[1,0,0] neg_hi:[1,0,0]
	ds_read2_b32 v[64:65], v55 offset0:46 offset1:47
	ds_read2_b32 v[70:71], v55 offset0:48 offset1:49
	s_waitcnt lgkmcnt(4)
	v_pk_fma_f32 v[12:13], v[58:59], v[62:63], v[12:13] op_sel_hi:[0,1,1] neg_lo:[1,0,0] neg_hi:[1,0,0]
	s_waitcnt lgkmcnt(3)
	v_pk_fma_f32 v[20:21], v[58:59], v[66:67], v[20:21] op_sel_hi:[0,1,1] neg_lo:[1,0,0] neg_hi:[1,0,0]
	;; [unrolled: 2-line block ×5, first 2 shown]
	v_mov_b32_e32 v51, v58
.LBB98_97:
	s_or_b64 exec, exec, s[0:1]
	v_lshl_add_u32 v58, v61, 2, v55
	s_barrier
	ds_write_b32 v58, v48
	s_waitcnt lgkmcnt(0)
	s_barrier
	ds_read_b32 v62, v55 offset:24
	s_cmp_lt_i32 s22, 8
	v_mov_b32_e32 v58, 6
	s_cbranch_scc1 .LBB98_100
; %bb.98:
	v_add3_u32 v63, v60, 0, 28
	v_mov_b32_e32 v58, 6
	s_mov_b32 s0, 7
.LBB98_99:                              ; =>This Inner Loop Header: Depth=1
	ds_read_b32 v64, v63
	v_mov_b32_e32 v65, s0
	s_add_i32 s0, s0, 1
	v_add_u32_e32 v63, 4, v63
	s_cmp_lg_u32 s22, s0
	s_waitcnt lgkmcnt(0)
	v_cmp_lt_f32_e64 vcc, |v62|, |v64|
	s_nop 1
	v_cndmask_b32_e32 v62, v62, v64, vcc
	v_cndmask_b32_e32 v58, v58, v65, vcc
	s_cbranch_scc1 .LBB98_99
.LBB98_100:
	s_waitcnt lgkmcnt(0)
	v_cmp_eq_f32_e32 vcc, 0, v62
	s_and_saveexec_b64 s[0:1], vcc
	s_xor_b64 s[0:1], exec, s[0:1]
; %bb.101:
	v_cmp_ne_u32_e32 vcc, 0, v57
	s_nop 1
	v_cndmask_b32_e32 v57, 7, v57, vcc
; %bb.102:
	s_andn2_saveexec_b64 s[0:1], s[0:1]
	s_cbranch_execz .LBB98_104
; %bb.103:
	v_div_scale_f32 v63, s[2:3], v62, v62, 1.0
	v_rcp_f32_e32 v64, v63
	v_div_scale_f32 v65, vcc, 1.0, v62, 1.0
	v_fma_f32 v66, -v63, v64, 1.0
	v_fmac_f32_e32 v64, v66, v64
	v_mul_f32_e32 v66, v65, v64
	v_fma_f32 v67, -v63, v66, v65
	v_fmac_f32_e32 v66, v67, v64
	v_fma_f32 v63, -v63, v66, v65
	v_div_fmas_f32 v63, v63, v64, v66
	v_div_fixup_f32 v62, v63, v62, 1.0
.LBB98_104:
	s_or_b64 exec, exec, s[0:1]
	v_cmp_ne_u32_e32 vcc, v61, v58
	s_and_saveexec_b64 s[0:1], vcc
	s_xor_b64 s[0:1], exec, s[0:1]
	s_cbranch_execz .LBB98_110
; %bb.105:
	v_cmp_eq_u32_e32 vcc, 6, v61
	s_and_saveexec_b64 s[2:3], vcc
	s_cbranch_execz .LBB98_109
; %bb.106:
	v_cmp_ne_u32_e32 vcc, 6, v58
	s_xor_b64 s[12:13], s[20:21], -1
	s_and_b64 s[14:15], s[12:13], vcc
	s_and_saveexec_b64 s[12:13], s[14:15]
	s_cbranch_execz .LBB98_108
; %bb.107:
	v_ashrrev_i32_e32 v59, 31, v58
	v_lshl_add_u64 v[64:65], v[58:59], 2, v[4:5]
	global_load_dword v59, v[64:65], off
	global_load_dword v61, v[4:5], off offset:24
	s_waitcnt vmcnt(1)
	global_store_dword v[4:5], v59, off offset:24
	s_waitcnt vmcnt(1)
	global_store_dword v[64:65], v61, off
.LBB98_108:
	s_or_b64 exec, exec, s[12:13]
	v_mov_b32_e32 v59, v58
	v_mov_b32_e32 v61, v58
.LBB98_109:
	s_or_b64 exec, exec, s[2:3]
.LBB98_110:
	s_andn2_saveexec_b64 s[0:1], s[0:1]
	s_cbranch_execz .LBB98_112
; %bb.111:
	v_pk_mov_b32 v[64:65], v[48:49], v[46:47] op_sel:[1,0]
	ds_write2_b32 v55, v64, v65 offset0:7 offset1:8
	v_pk_mov_b32 v[64:65], v[46:47], v[42:43] op_sel:[1,0]
	ds_write2_b32 v55, v64, v65 offset0:9 offset1:10
	;; [unrolled: 2-line block ×20, first 2 shown]
	v_pk_mov_b32 v[64:65], v[0:1], v[10:11] op_sel:[1,0]
	v_mov_b32_e32 v61, 6
	ds_write2_b32 v55, v64, v65 offset0:47 offset1:48
	ds_write_b32 v55, v11 offset:196
.LBB98_112:
	s_or_b64 exec, exec, s[0:1]
	v_cmp_lt_i32_e32 vcc, 6, v61
	s_waitcnt lgkmcnt(0)
	s_barrier
	s_and_saveexec_b64 s[0:1], vcc
	s_cbranch_execz .LBB98_114
; %bb.113:
	ds_read_b32 v58, v55 offset:28
	ds_read2_b32 v[64:65], v55 offset0:8 offset1:9
	ds_read2_b32 v[66:67], v55 offset0:10 offset1:11
	v_mul_f32_e32 v48, v62, v48
	ds_read2_b32 v[62:63], v55 offset0:12 offset1:13
	s_waitcnt lgkmcnt(3)
	v_fma_f32 v49, -v48, v58, v49
	s_waitcnt lgkmcnt(2)
	v_pk_fma_f32 v[46:47], v[48:49], v[64:65], v[46:47] op_sel_hi:[0,1,1] neg_lo:[1,0,0] neg_hi:[1,0,0]
	s_waitcnt lgkmcnt(1)
	v_pk_fma_f32 v[42:43], v[48:49], v[66:67], v[42:43] op_sel_hi:[0,1,1] neg_lo:[1,0,0] neg_hi:[1,0,0]
	ds_read2_b32 v[64:65], v55 offset0:14 offset1:15
	ds_read2_b32 v[66:67], v55 offset0:16 offset1:17
	ds_read2_b32 v[68:69], v55 offset0:18 offset1:19
	s_waitcnt lgkmcnt(3)
	v_pk_fma_f32 v[36:37], v[48:49], v[62:63], v[36:37] op_sel_hi:[0,1,1] neg_lo:[1,0,0] neg_hi:[1,0,0]
	ds_read2_b32 v[62:63], v55 offset0:20 offset1:21
	s_waitcnt lgkmcnt(3)
	v_pk_fma_f32 v[28:29], v[48:49], v[64:65], v[28:29] op_sel_hi:[0,1,1] neg_lo:[1,0,0] neg_hi:[1,0,0]
	s_waitcnt lgkmcnt(2)
	v_pk_fma_f32 v[44:45], v[48:49], v[66:67], v[44:45] op_sel_hi:[0,1,1] neg_lo:[1,0,0] neg_hi:[1,0,0]
	s_waitcnt lgkmcnt(1)
	v_pk_fma_f32 v[38:39], v[48:49], v[68:69], v[38:39] op_sel_hi:[0,1,1] neg_lo:[1,0,0] neg_hi:[1,0,0]
	ds_read2_b32 v[64:65], v55 offset0:22 offset1:23
	ds_read2_b32 v[66:67], v55 offset0:24 offset1:25
	ds_read2_b32 v[68:69], v55 offset0:26 offset1:27
	s_waitcnt lgkmcnt(3)
	v_pk_fma_f32 v[30:31], v[48:49], v[62:63], v[30:31] op_sel_hi:[0,1,1] neg_lo:[1,0,0] neg_hi:[1,0,0]
	ds_read2_b32 v[62:63], v55 offset0:28 offset1:29
	s_waitcnt lgkmcnt(3)
	v_pk_fma_f32 v[22:23], v[48:49], v[64:65], v[22:23] op_sel_hi:[0,1,1] neg_lo:[1,0,0] neg_hi:[1,0,0]
	s_waitcnt lgkmcnt(2)
	v_pk_fma_f32 v[40:41], v[48:49], v[66:67], v[40:41] op_sel_hi:[0,1,1] neg_lo:[1,0,0] neg_hi:[1,0,0]
	s_waitcnt lgkmcnt(1)
	v_pk_fma_f32 v[32:33], v[48:49], v[68:69], v[32:33] op_sel_hi:[0,1,1] neg_lo:[1,0,0] neg_hi:[1,0,0]
	ds_read2_b32 v[64:65], v55 offset0:30 offset1:31
	ds_read2_b32 v[66:67], v55 offset0:32 offset1:33
	ds_read2_b32 v[68:69], v55 offset0:34 offset1:35
	s_waitcnt lgkmcnt(3)
	v_pk_fma_f32 v[24:25], v[48:49], v[62:63], v[24:25] op_sel_hi:[0,1,1] neg_lo:[1,0,0] neg_hi:[1,0,0]
	ds_read2_b32 v[62:63], v55 offset0:36 offset1:37
	s_waitcnt lgkmcnt(3)
	v_pk_fma_f32 v[16:17], v[48:49], v[64:65], v[16:17] op_sel_hi:[0,1,1] neg_lo:[1,0,0] neg_hi:[1,0,0]
	ds_read2_b32 v[64:65], v55 offset0:38 offset1:39
	s_waitcnt lgkmcnt(3)
	v_pk_fma_f32 v[34:35], v[48:49], v[66:67], v[34:35] op_sel_hi:[0,1,1] neg_lo:[1,0,0] neg_hi:[1,0,0]
	s_waitcnt lgkmcnt(2)
	v_pk_fma_f32 v[26:27], v[48:49], v[68:69], v[26:27] op_sel_hi:[0,1,1] neg_lo:[1,0,0] neg_hi:[1,0,0]
	;; [unrolled: 2-line block ×3, first 2 shown]
	ds_read2_b32 v[62:63], v55 offset0:40 offset1:41
	ds_read2_b32 v[66:67], v55 offset0:42 offset1:43
	;; [unrolled: 1-line block ×3, first 2 shown]
	s_waitcnt lgkmcnt(3)
	v_pk_fma_f32 v[8:9], v[48:49], v[64:65], v[8:9] op_sel_hi:[0,1,1] neg_lo:[1,0,0] neg_hi:[1,0,0]
	ds_read2_b32 v[64:65], v55 offset0:46 offset1:47
	ds_read2_b32 v[70:71], v55 offset0:48 offset1:49
	s_waitcnt lgkmcnt(4)
	v_pk_fma_f32 v[12:13], v[48:49], v[62:63], v[12:13] op_sel_hi:[0,1,1] neg_lo:[1,0,0] neg_hi:[1,0,0]
	s_waitcnt lgkmcnt(3)
	v_pk_fma_f32 v[20:21], v[48:49], v[66:67], v[20:21] op_sel_hi:[0,1,1] neg_lo:[1,0,0] neg_hi:[1,0,0]
	;; [unrolled: 2-line block ×5, first 2 shown]
.LBB98_114:
	s_or_b64 exec, exec, s[0:1]
	v_lshl_add_u32 v58, v61, 2, v55
	s_barrier
	ds_write_b32 v58, v49
	s_waitcnt lgkmcnt(0)
	s_barrier
	ds_read_b32 v62, v55 offset:28
	s_cmp_lt_i32 s22, 9
	v_mov_b32_e32 v58, 7
	s_cbranch_scc1 .LBB98_117
; %bb.115:
	v_add3_u32 v63, v60, 0, 32
	v_mov_b32_e32 v58, 7
	s_mov_b32 s0, 8
.LBB98_116:                             ; =>This Inner Loop Header: Depth=1
	ds_read_b32 v64, v63
	v_mov_b32_e32 v65, s0
	s_add_i32 s0, s0, 1
	v_add_u32_e32 v63, 4, v63
	s_cmp_lg_u32 s22, s0
	s_waitcnt lgkmcnt(0)
	v_cmp_lt_f32_e64 vcc, |v62|, |v64|
	s_nop 1
	v_cndmask_b32_e32 v62, v62, v64, vcc
	v_cndmask_b32_e32 v58, v58, v65, vcc
	s_cbranch_scc1 .LBB98_116
.LBB98_117:
	s_waitcnt lgkmcnt(0)
	v_cmp_eq_f32_e32 vcc, 0, v62
	s_and_saveexec_b64 s[0:1], vcc
	s_xor_b64 s[0:1], exec, s[0:1]
; %bb.118:
	v_cmp_ne_u32_e32 vcc, 0, v57
	s_nop 1
	v_cndmask_b32_e32 v57, 8, v57, vcc
; %bb.119:
	s_andn2_saveexec_b64 s[0:1], s[0:1]
	s_cbranch_execz .LBB98_121
; %bb.120:
	v_div_scale_f32 v63, s[2:3], v62, v62, 1.0
	v_rcp_f32_e32 v64, v63
	v_div_scale_f32 v65, vcc, 1.0, v62, 1.0
	v_fma_f32 v66, -v63, v64, 1.0
	v_fmac_f32_e32 v64, v66, v64
	v_mul_f32_e32 v66, v65, v64
	v_fma_f32 v67, -v63, v66, v65
	v_fmac_f32_e32 v66, v67, v64
	v_fma_f32 v63, -v63, v66, v65
	v_div_fmas_f32 v63, v63, v64, v66
	v_div_fixup_f32 v62, v63, v62, 1.0
.LBB98_121:
	s_or_b64 exec, exec, s[0:1]
	v_cmp_ne_u32_e32 vcc, v61, v58
	s_and_saveexec_b64 s[0:1], vcc
	s_xor_b64 s[0:1], exec, s[0:1]
	s_cbranch_execz .LBB98_127
; %bb.122:
	v_cmp_eq_u32_e32 vcc, 7, v61
	s_and_saveexec_b64 s[2:3], vcc
	s_cbranch_execz .LBB98_126
; %bb.123:
	v_cmp_ne_u32_e32 vcc, 7, v58
	s_xor_b64 s[12:13], s[20:21], -1
	s_and_b64 s[14:15], s[12:13], vcc
	s_and_saveexec_b64 s[12:13], s[14:15]
	s_cbranch_execz .LBB98_125
; %bb.124:
	v_ashrrev_i32_e32 v59, 31, v58
	v_lshl_add_u64 v[64:65], v[58:59], 2, v[4:5]
	global_load_dword v59, v[64:65], off
	global_load_dword v61, v[4:5], off offset:28
	s_waitcnt vmcnt(1)
	global_store_dword v[4:5], v59, off offset:28
	s_waitcnt vmcnt(1)
	global_store_dword v[64:65], v61, off
.LBB98_125:
	s_or_b64 exec, exec, s[12:13]
	v_mov_b32_e32 v59, v58
	v_mov_b32_e32 v61, v58
.LBB98_126:
	s_or_b64 exec, exec, s[2:3]
.LBB98_127:
	s_andn2_saveexec_b64 s[0:1], s[0:1]
	s_cbranch_execz .LBB98_129
; %bb.128:
	v_mov_b32_e32 v61, 7
	ds_write2_b32 v55, v46, v47 offset0:8 offset1:9
	ds_write2_b32 v55, v42, v43 offset0:10 offset1:11
	;; [unrolled: 1-line block ×21, first 2 shown]
.LBB98_129:
	s_or_b64 exec, exec, s[0:1]
	v_cmp_lt_i32_e32 vcc, 7, v61
	s_waitcnt lgkmcnt(0)
	s_barrier
	s_and_saveexec_b64 s[0:1], vcc
	s_cbranch_execz .LBB98_131
; %bb.130:
	ds_read2_b32 v[64:65], v55 offset0:8 offset1:9
	ds_read2_b32 v[66:67], v55 offset0:10 offset1:11
	;; [unrolled: 1-line block ×3, first 2 shown]
	v_mul_f32_e32 v58, v62, v49
	ds_read2_b32 v[62:63], v55 offset0:14 offset1:15
	s_waitcnt lgkmcnt(3)
	v_pk_fma_f32 v[46:47], v[58:59], v[64:65], v[46:47] op_sel_hi:[0,1,1] neg_lo:[1,0,0] neg_hi:[1,0,0]
	s_waitcnt lgkmcnt(2)
	v_pk_fma_f32 v[42:43], v[58:59], v[66:67], v[42:43] op_sel_hi:[0,1,1] neg_lo:[1,0,0] neg_hi:[1,0,0]
	;; [unrolled: 2-line block ×3, first 2 shown]
	ds_read2_b32 v[64:65], v55 offset0:16 offset1:17
	ds_read2_b32 v[66:67], v55 offset0:18 offset1:19
	;; [unrolled: 1-line block ×3, first 2 shown]
	s_waitcnt lgkmcnt(3)
	v_pk_fma_f32 v[28:29], v[58:59], v[62:63], v[28:29] op_sel_hi:[0,1,1] neg_lo:[1,0,0] neg_hi:[1,0,0]
	ds_read2_b32 v[62:63], v55 offset0:22 offset1:23
	s_waitcnt lgkmcnt(3)
	v_pk_fma_f32 v[44:45], v[58:59], v[64:65], v[44:45] op_sel_hi:[0,1,1] neg_lo:[1,0,0] neg_hi:[1,0,0]
	s_waitcnt lgkmcnt(2)
	v_pk_fma_f32 v[38:39], v[58:59], v[66:67], v[38:39] op_sel_hi:[0,1,1] neg_lo:[1,0,0] neg_hi:[1,0,0]
	;; [unrolled: 2-line block ×3, first 2 shown]
	ds_read2_b32 v[64:65], v55 offset0:24 offset1:25
	ds_read2_b32 v[66:67], v55 offset0:26 offset1:27
	;; [unrolled: 1-line block ×3, first 2 shown]
	s_waitcnt lgkmcnt(3)
	v_pk_fma_f32 v[22:23], v[58:59], v[62:63], v[22:23] op_sel_hi:[0,1,1] neg_lo:[1,0,0] neg_hi:[1,0,0]
	ds_read2_b32 v[62:63], v55 offset0:30 offset1:31
	s_waitcnt lgkmcnt(3)
	v_pk_fma_f32 v[40:41], v[58:59], v[64:65], v[40:41] op_sel_hi:[0,1,1] neg_lo:[1,0,0] neg_hi:[1,0,0]
	s_waitcnt lgkmcnt(2)
	v_pk_fma_f32 v[32:33], v[58:59], v[66:67], v[32:33] op_sel_hi:[0,1,1] neg_lo:[1,0,0] neg_hi:[1,0,0]
	;; [unrolled: 2-line block ×3, first 2 shown]
	ds_read2_b32 v[64:65], v55 offset0:32 offset1:33
	ds_read2_b32 v[66:67], v55 offset0:34 offset1:35
	;; [unrolled: 1-line block ×4, first 2 shown]
	s_waitcnt lgkmcnt(4)
	v_pk_fma_f32 v[16:17], v[58:59], v[62:63], v[16:17] op_sel_hi:[0,1,1] neg_lo:[1,0,0] neg_hi:[1,0,0]
	s_waitcnt lgkmcnt(3)
	v_pk_fma_f32 v[34:35], v[58:59], v[64:65], v[34:35] op_sel_hi:[0,1,1] neg_lo:[1,0,0] neg_hi:[1,0,0]
	;; [unrolled: 2-line block ×5, first 2 shown]
	ds_read2_b32 v[62:63], v55 offset0:40 offset1:41
	ds_read2_b32 v[64:65], v55 offset0:42 offset1:43
	;; [unrolled: 1-line block ×5, first 2 shown]
	s_waitcnt lgkmcnt(4)
	v_pk_fma_f32 v[12:13], v[58:59], v[62:63], v[12:13] op_sel_hi:[0,1,1] neg_lo:[1,0,0] neg_hi:[1,0,0]
	s_waitcnt lgkmcnt(3)
	v_pk_fma_f32 v[20:21], v[58:59], v[64:65], v[20:21] op_sel_hi:[0,1,1] neg_lo:[1,0,0] neg_hi:[1,0,0]
	;; [unrolled: 2-line block ×5, first 2 shown]
	v_mov_b32_e32 v49, v58
.LBB98_131:
	s_or_b64 exec, exec, s[0:1]
	v_lshl_add_u32 v58, v61, 2, v55
	s_barrier
	ds_write_b32 v58, v46
	s_waitcnt lgkmcnt(0)
	s_barrier
	ds_read_b32 v62, v55 offset:32
	s_cmp_lt_i32 s22, 10
	v_mov_b32_e32 v58, 8
	s_cbranch_scc1 .LBB98_134
; %bb.132:
	v_add3_u32 v63, v60, 0, 36
	v_mov_b32_e32 v58, 8
	s_mov_b32 s0, 9
.LBB98_133:                             ; =>This Inner Loop Header: Depth=1
	ds_read_b32 v64, v63
	v_mov_b32_e32 v65, s0
	s_add_i32 s0, s0, 1
	v_add_u32_e32 v63, 4, v63
	s_cmp_lg_u32 s22, s0
	s_waitcnt lgkmcnt(0)
	v_cmp_lt_f32_e64 vcc, |v62|, |v64|
	s_nop 1
	v_cndmask_b32_e32 v62, v62, v64, vcc
	v_cndmask_b32_e32 v58, v58, v65, vcc
	s_cbranch_scc1 .LBB98_133
.LBB98_134:
	s_waitcnt lgkmcnt(0)
	v_cmp_eq_f32_e32 vcc, 0, v62
	s_and_saveexec_b64 s[0:1], vcc
	s_xor_b64 s[0:1], exec, s[0:1]
; %bb.135:
	v_cmp_ne_u32_e32 vcc, 0, v57
	s_nop 1
	v_cndmask_b32_e32 v57, 9, v57, vcc
; %bb.136:
	s_andn2_saveexec_b64 s[0:1], s[0:1]
	s_cbranch_execz .LBB98_138
; %bb.137:
	v_div_scale_f32 v63, s[2:3], v62, v62, 1.0
	v_rcp_f32_e32 v64, v63
	v_div_scale_f32 v65, vcc, 1.0, v62, 1.0
	v_fma_f32 v66, -v63, v64, 1.0
	v_fmac_f32_e32 v64, v66, v64
	v_mul_f32_e32 v66, v65, v64
	v_fma_f32 v67, -v63, v66, v65
	v_fmac_f32_e32 v66, v67, v64
	v_fma_f32 v63, -v63, v66, v65
	v_div_fmas_f32 v63, v63, v64, v66
	v_div_fixup_f32 v62, v63, v62, 1.0
.LBB98_138:
	s_or_b64 exec, exec, s[0:1]
	v_cmp_ne_u32_e32 vcc, v61, v58
	s_and_saveexec_b64 s[0:1], vcc
	s_xor_b64 s[0:1], exec, s[0:1]
	s_cbranch_execz .LBB98_144
; %bb.139:
	v_cmp_eq_u32_e32 vcc, 8, v61
	s_and_saveexec_b64 s[2:3], vcc
	s_cbranch_execz .LBB98_143
; %bb.140:
	v_cmp_ne_u32_e32 vcc, 8, v58
	s_xor_b64 s[12:13], s[20:21], -1
	s_and_b64 s[14:15], s[12:13], vcc
	s_and_saveexec_b64 s[12:13], s[14:15]
	s_cbranch_execz .LBB98_142
; %bb.141:
	v_ashrrev_i32_e32 v59, 31, v58
	v_lshl_add_u64 v[64:65], v[58:59], 2, v[4:5]
	global_load_dword v59, v[64:65], off
	global_load_dword v61, v[4:5], off offset:32
	s_waitcnt vmcnt(1)
	global_store_dword v[4:5], v59, off offset:32
	s_waitcnt vmcnt(1)
	global_store_dword v[64:65], v61, off
.LBB98_142:
	s_or_b64 exec, exec, s[12:13]
	v_mov_b32_e32 v59, v58
	v_mov_b32_e32 v61, v58
.LBB98_143:
	s_or_b64 exec, exec, s[2:3]
.LBB98_144:
	s_andn2_saveexec_b64 s[0:1], s[0:1]
	s_cbranch_execz .LBB98_146
; %bb.145:
	v_pk_mov_b32 v[64:65], v[46:47], v[42:43] op_sel:[1,0]
	ds_write2_b32 v55, v64, v65 offset0:9 offset1:10
	v_pk_mov_b32 v[64:65], v[42:43], v[36:37] op_sel:[1,0]
	ds_write2_b32 v55, v64, v65 offset0:11 offset1:12
	;; [unrolled: 2-line block ×19, first 2 shown]
	v_pk_mov_b32 v[64:65], v[0:1], v[10:11] op_sel:[1,0]
	v_mov_b32_e32 v61, 8
	ds_write2_b32 v55, v64, v65 offset0:47 offset1:48
	ds_write_b32 v55, v11 offset:196
.LBB98_146:
	s_or_b64 exec, exec, s[0:1]
	v_cmp_lt_i32_e32 vcc, 8, v61
	s_waitcnt lgkmcnt(0)
	s_barrier
	s_and_saveexec_b64 s[0:1], vcc
	s_cbranch_execz .LBB98_148
; %bb.147:
	ds_read_b32 v58, v55 offset:36
	ds_read2_b32 v[64:65], v55 offset0:10 offset1:11
	ds_read2_b32 v[66:67], v55 offset0:12 offset1:13
	v_mul_f32_e32 v46, v62, v46
	ds_read2_b32 v[62:63], v55 offset0:14 offset1:15
	s_waitcnt lgkmcnt(3)
	v_fma_f32 v47, -v46, v58, v47
	s_waitcnt lgkmcnt(2)
	v_pk_fma_f32 v[42:43], v[46:47], v[64:65], v[42:43] op_sel_hi:[0,1,1] neg_lo:[1,0,0] neg_hi:[1,0,0]
	s_waitcnt lgkmcnt(1)
	v_pk_fma_f32 v[36:37], v[46:47], v[66:67], v[36:37] op_sel_hi:[0,1,1] neg_lo:[1,0,0] neg_hi:[1,0,0]
	ds_read2_b32 v[64:65], v55 offset0:16 offset1:17
	ds_read2_b32 v[66:67], v55 offset0:18 offset1:19
	;; [unrolled: 1-line block ×3, first 2 shown]
	s_waitcnt lgkmcnt(3)
	v_pk_fma_f32 v[28:29], v[46:47], v[62:63], v[28:29] op_sel_hi:[0,1,1] neg_lo:[1,0,0] neg_hi:[1,0,0]
	ds_read2_b32 v[62:63], v55 offset0:22 offset1:23
	s_waitcnt lgkmcnt(3)
	v_pk_fma_f32 v[44:45], v[46:47], v[64:65], v[44:45] op_sel_hi:[0,1,1] neg_lo:[1,0,0] neg_hi:[1,0,0]
	s_waitcnt lgkmcnt(2)
	v_pk_fma_f32 v[38:39], v[46:47], v[66:67], v[38:39] op_sel_hi:[0,1,1] neg_lo:[1,0,0] neg_hi:[1,0,0]
	;; [unrolled: 2-line block ×3, first 2 shown]
	ds_read2_b32 v[64:65], v55 offset0:24 offset1:25
	ds_read2_b32 v[66:67], v55 offset0:26 offset1:27
	;; [unrolled: 1-line block ×3, first 2 shown]
	s_waitcnt lgkmcnt(3)
	v_pk_fma_f32 v[22:23], v[46:47], v[62:63], v[22:23] op_sel_hi:[0,1,1] neg_lo:[1,0,0] neg_hi:[1,0,0]
	ds_read2_b32 v[62:63], v55 offset0:30 offset1:31
	s_waitcnt lgkmcnt(3)
	v_pk_fma_f32 v[40:41], v[46:47], v[64:65], v[40:41] op_sel_hi:[0,1,1] neg_lo:[1,0,0] neg_hi:[1,0,0]
	s_waitcnt lgkmcnt(2)
	v_pk_fma_f32 v[32:33], v[46:47], v[66:67], v[32:33] op_sel_hi:[0,1,1] neg_lo:[1,0,0] neg_hi:[1,0,0]
	;; [unrolled: 2-line block ×3, first 2 shown]
	ds_read2_b32 v[64:65], v55 offset0:32 offset1:33
	ds_read2_b32 v[66:67], v55 offset0:34 offset1:35
	;; [unrolled: 1-line block ×4, first 2 shown]
	s_waitcnt lgkmcnt(4)
	v_pk_fma_f32 v[16:17], v[46:47], v[62:63], v[16:17] op_sel_hi:[0,1,1] neg_lo:[1,0,0] neg_hi:[1,0,0]
	s_waitcnt lgkmcnt(3)
	v_pk_fma_f32 v[34:35], v[46:47], v[64:65], v[34:35] op_sel_hi:[0,1,1] neg_lo:[1,0,0] neg_hi:[1,0,0]
	;; [unrolled: 2-line block ×5, first 2 shown]
	ds_read2_b32 v[62:63], v55 offset0:40 offset1:41
	ds_read2_b32 v[64:65], v55 offset0:42 offset1:43
	;; [unrolled: 1-line block ×5, first 2 shown]
	s_waitcnt lgkmcnt(4)
	v_pk_fma_f32 v[12:13], v[46:47], v[62:63], v[12:13] op_sel_hi:[0,1,1] neg_lo:[1,0,0] neg_hi:[1,0,0]
	s_waitcnt lgkmcnt(3)
	v_pk_fma_f32 v[20:21], v[46:47], v[64:65], v[20:21] op_sel_hi:[0,1,1] neg_lo:[1,0,0] neg_hi:[1,0,0]
	;; [unrolled: 2-line block ×5, first 2 shown]
.LBB98_148:
	s_or_b64 exec, exec, s[0:1]
	v_lshl_add_u32 v58, v61, 2, v55
	s_barrier
	ds_write_b32 v58, v47
	s_waitcnt lgkmcnt(0)
	s_barrier
	ds_read_b32 v62, v55 offset:36
	s_cmp_lt_i32 s22, 11
	v_mov_b32_e32 v58, 9
	s_cbranch_scc1 .LBB98_151
; %bb.149:
	v_add3_u32 v63, v60, 0, 40
	v_mov_b32_e32 v58, 9
	s_mov_b32 s0, 10
.LBB98_150:                             ; =>This Inner Loop Header: Depth=1
	ds_read_b32 v64, v63
	v_mov_b32_e32 v65, s0
	s_add_i32 s0, s0, 1
	v_add_u32_e32 v63, 4, v63
	s_cmp_lg_u32 s22, s0
	s_waitcnt lgkmcnt(0)
	v_cmp_lt_f32_e64 vcc, |v62|, |v64|
	s_nop 1
	v_cndmask_b32_e32 v62, v62, v64, vcc
	v_cndmask_b32_e32 v58, v58, v65, vcc
	s_cbranch_scc1 .LBB98_150
.LBB98_151:
	s_waitcnt lgkmcnt(0)
	v_cmp_eq_f32_e32 vcc, 0, v62
	s_and_saveexec_b64 s[0:1], vcc
	s_xor_b64 s[0:1], exec, s[0:1]
; %bb.152:
	v_cmp_ne_u32_e32 vcc, 0, v57
	s_nop 1
	v_cndmask_b32_e32 v57, 10, v57, vcc
; %bb.153:
	s_andn2_saveexec_b64 s[0:1], s[0:1]
	s_cbranch_execz .LBB98_155
; %bb.154:
	v_div_scale_f32 v63, s[2:3], v62, v62, 1.0
	v_rcp_f32_e32 v64, v63
	v_div_scale_f32 v65, vcc, 1.0, v62, 1.0
	v_fma_f32 v66, -v63, v64, 1.0
	v_fmac_f32_e32 v64, v66, v64
	v_mul_f32_e32 v66, v65, v64
	v_fma_f32 v67, -v63, v66, v65
	v_fmac_f32_e32 v66, v67, v64
	v_fma_f32 v63, -v63, v66, v65
	v_div_fmas_f32 v63, v63, v64, v66
	v_div_fixup_f32 v62, v63, v62, 1.0
.LBB98_155:
	s_or_b64 exec, exec, s[0:1]
	v_cmp_ne_u32_e32 vcc, v61, v58
	s_and_saveexec_b64 s[0:1], vcc
	s_xor_b64 s[0:1], exec, s[0:1]
	s_cbranch_execz .LBB98_161
; %bb.156:
	v_cmp_eq_u32_e32 vcc, 9, v61
	s_and_saveexec_b64 s[2:3], vcc
	s_cbranch_execz .LBB98_160
; %bb.157:
	v_cmp_ne_u32_e32 vcc, 9, v58
	s_xor_b64 s[12:13], s[20:21], -1
	s_and_b64 s[14:15], s[12:13], vcc
	s_and_saveexec_b64 s[12:13], s[14:15]
	s_cbranch_execz .LBB98_159
; %bb.158:
	v_ashrrev_i32_e32 v59, 31, v58
	v_lshl_add_u64 v[64:65], v[58:59], 2, v[4:5]
	global_load_dword v59, v[64:65], off
	global_load_dword v61, v[4:5], off offset:36
	s_waitcnt vmcnt(1)
	global_store_dword v[4:5], v59, off offset:36
	s_waitcnt vmcnt(1)
	global_store_dword v[64:65], v61, off
.LBB98_159:
	s_or_b64 exec, exec, s[12:13]
	v_mov_b32_e32 v59, v58
	v_mov_b32_e32 v61, v58
.LBB98_160:
	s_or_b64 exec, exec, s[2:3]
.LBB98_161:
	s_andn2_saveexec_b64 s[0:1], s[0:1]
	s_cbranch_execz .LBB98_163
; %bb.162:
	v_mov_b32_e32 v61, 9
	ds_write2_b32 v55, v42, v43 offset0:10 offset1:11
	ds_write2_b32 v55, v36, v37 offset0:12 offset1:13
	;; [unrolled: 1-line block ×20, first 2 shown]
.LBB98_163:
	s_or_b64 exec, exec, s[0:1]
	v_cmp_lt_i32_e32 vcc, 9, v61
	s_waitcnt lgkmcnt(0)
	s_barrier
	s_and_saveexec_b64 s[0:1], vcc
	s_cbranch_execz .LBB98_165
; %bb.164:
	ds_read2_b32 v[64:65], v55 offset0:10 offset1:11
	ds_read2_b32 v[66:67], v55 offset0:12 offset1:13
	;; [unrolled: 1-line block ×3, first 2 shown]
	v_mul_f32_e32 v58, v62, v47
	ds_read2_b32 v[62:63], v55 offset0:16 offset1:17
	s_waitcnt lgkmcnt(3)
	v_pk_fma_f32 v[42:43], v[58:59], v[64:65], v[42:43] op_sel_hi:[0,1,1] neg_lo:[1,0,0] neg_hi:[1,0,0]
	s_waitcnt lgkmcnt(2)
	v_pk_fma_f32 v[36:37], v[58:59], v[66:67], v[36:37] op_sel_hi:[0,1,1] neg_lo:[1,0,0] neg_hi:[1,0,0]
	s_waitcnt lgkmcnt(1)
	v_pk_fma_f32 v[28:29], v[58:59], v[68:69], v[28:29] op_sel_hi:[0,1,1] neg_lo:[1,0,0] neg_hi:[1,0,0]
	ds_read2_b32 v[64:65], v55 offset0:18 offset1:19
	ds_read2_b32 v[66:67], v55 offset0:20 offset1:21
	ds_read2_b32 v[68:69], v55 offset0:22 offset1:23
	s_waitcnt lgkmcnt(3)
	v_pk_fma_f32 v[44:45], v[58:59], v[62:63], v[44:45] op_sel_hi:[0,1,1] neg_lo:[1,0,0] neg_hi:[1,0,0]
	ds_read2_b32 v[62:63], v55 offset0:24 offset1:25
	s_waitcnt lgkmcnt(3)
	v_pk_fma_f32 v[38:39], v[58:59], v[64:65], v[38:39] op_sel_hi:[0,1,1] neg_lo:[1,0,0] neg_hi:[1,0,0]
	s_waitcnt lgkmcnt(2)
	v_pk_fma_f32 v[30:31], v[58:59], v[66:67], v[30:31] op_sel_hi:[0,1,1] neg_lo:[1,0,0] neg_hi:[1,0,0]
	s_waitcnt lgkmcnt(1)
	v_pk_fma_f32 v[22:23], v[58:59], v[68:69], v[22:23] op_sel_hi:[0,1,1] neg_lo:[1,0,0] neg_hi:[1,0,0]
	ds_read2_b32 v[64:65], v55 offset0:26 offset1:27
	ds_read2_b32 v[66:67], v55 offset0:28 offset1:29
	ds_read2_b32 v[68:69], v55 offset0:30 offset1:31
	s_waitcnt lgkmcnt(3)
	v_pk_fma_f32 v[40:41], v[58:59], v[62:63], v[40:41] op_sel_hi:[0,1,1] neg_lo:[1,0,0] neg_hi:[1,0,0]
	;; [unrolled: 12-line block ×3, first 2 shown]
	ds_read2_b32 v[62:63], v55 offset0:40 offset1:41
	s_waitcnt lgkmcnt(3)
	v_pk_fma_f32 v[26:27], v[58:59], v[64:65], v[26:27] op_sel_hi:[0,1,1] neg_lo:[1,0,0] neg_hi:[1,0,0]
	s_waitcnt lgkmcnt(2)
	v_pk_fma_f32 v[18:19], v[58:59], v[66:67], v[18:19] op_sel_hi:[0,1,1] neg_lo:[1,0,0] neg_hi:[1,0,0]
	;; [unrolled: 2-line block ×3, first 2 shown]
	ds_read2_b32 v[64:65], v55 offset0:42 offset1:43
	ds_read2_b32 v[66:67], v55 offset0:44 offset1:45
	;; [unrolled: 1-line block ×4, first 2 shown]
	s_waitcnt lgkmcnt(4)
	v_pk_fma_f32 v[12:13], v[58:59], v[62:63], v[12:13] op_sel_hi:[0,1,1] neg_lo:[1,0,0] neg_hi:[1,0,0]
	s_waitcnt lgkmcnt(3)
	v_pk_fma_f32 v[20:21], v[58:59], v[64:65], v[20:21] op_sel_hi:[0,1,1] neg_lo:[1,0,0] neg_hi:[1,0,0]
	;; [unrolled: 2-line block ×5, first 2 shown]
	v_mov_b32_e32 v47, v58
.LBB98_165:
	s_or_b64 exec, exec, s[0:1]
	v_lshl_add_u32 v58, v61, 2, v55
	s_barrier
	ds_write_b32 v58, v42
	s_waitcnt lgkmcnt(0)
	s_barrier
	ds_read_b32 v62, v55 offset:40
	s_cmp_lt_i32 s22, 12
	v_mov_b32_e32 v58, 10
	s_cbranch_scc1 .LBB98_168
; %bb.166:
	v_add3_u32 v63, v60, 0, 44
	v_mov_b32_e32 v58, 10
	s_mov_b32 s0, 11
.LBB98_167:                             ; =>This Inner Loop Header: Depth=1
	ds_read_b32 v64, v63
	v_mov_b32_e32 v65, s0
	s_add_i32 s0, s0, 1
	v_add_u32_e32 v63, 4, v63
	s_cmp_lg_u32 s22, s0
	s_waitcnt lgkmcnt(0)
	v_cmp_lt_f32_e64 vcc, |v62|, |v64|
	s_nop 1
	v_cndmask_b32_e32 v62, v62, v64, vcc
	v_cndmask_b32_e32 v58, v58, v65, vcc
	s_cbranch_scc1 .LBB98_167
.LBB98_168:
	s_waitcnt lgkmcnt(0)
	v_cmp_eq_f32_e32 vcc, 0, v62
	s_and_saveexec_b64 s[0:1], vcc
	s_xor_b64 s[0:1], exec, s[0:1]
; %bb.169:
	v_cmp_ne_u32_e32 vcc, 0, v57
	s_nop 1
	v_cndmask_b32_e32 v57, 11, v57, vcc
; %bb.170:
	s_andn2_saveexec_b64 s[0:1], s[0:1]
	s_cbranch_execz .LBB98_172
; %bb.171:
	v_div_scale_f32 v63, s[2:3], v62, v62, 1.0
	v_rcp_f32_e32 v64, v63
	v_div_scale_f32 v65, vcc, 1.0, v62, 1.0
	v_fma_f32 v66, -v63, v64, 1.0
	v_fmac_f32_e32 v64, v66, v64
	v_mul_f32_e32 v66, v65, v64
	v_fma_f32 v67, -v63, v66, v65
	v_fmac_f32_e32 v66, v67, v64
	v_fma_f32 v63, -v63, v66, v65
	v_div_fmas_f32 v63, v63, v64, v66
	v_div_fixup_f32 v62, v63, v62, 1.0
.LBB98_172:
	s_or_b64 exec, exec, s[0:1]
	v_cmp_ne_u32_e32 vcc, v61, v58
	s_and_saveexec_b64 s[0:1], vcc
	s_xor_b64 s[0:1], exec, s[0:1]
	s_cbranch_execz .LBB98_178
; %bb.173:
	v_cmp_eq_u32_e32 vcc, 10, v61
	s_and_saveexec_b64 s[2:3], vcc
	s_cbranch_execz .LBB98_177
; %bb.174:
	v_cmp_ne_u32_e32 vcc, 10, v58
	s_xor_b64 s[12:13], s[20:21], -1
	s_and_b64 s[14:15], s[12:13], vcc
	s_and_saveexec_b64 s[12:13], s[14:15]
	s_cbranch_execz .LBB98_176
; %bb.175:
	v_ashrrev_i32_e32 v59, 31, v58
	v_lshl_add_u64 v[64:65], v[58:59], 2, v[4:5]
	global_load_dword v59, v[64:65], off
	global_load_dword v61, v[4:5], off offset:40
	s_waitcnt vmcnt(1)
	global_store_dword v[4:5], v59, off offset:40
	s_waitcnt vmcnt(1)
	global_store_dword v[64:65], v61, off
.LBB98_176:
	s_or_b64 exec, exec, s[12:13]
	v_mov_b32_e32 v59, v58
	v_mov_b32_e32 v61, v58
.LBB98_177:
	s_or_b64 exec, exec, s[2:3]
.LBB98_178:
	s_andn2_saveexec_b64 s[0:1], s[0:1]
	s_cbranch_execz .LBB98_180
; %bb.179:
	v_pk_mov_b32 v[64:65], v[42:43], v[36:37] op_sel:[1,0]
	ds_write2_b32 v55, v64, v65 offset0:11 offset1:12
	v_pk_mov_b32 v[64:65], v[36:37], v[28:29] op_sel:[1,0]
	ds_write2_b32 v55, v64, v65 offset0:13 offset1:14
	;; [unrolled: 2-line block ×18, first 2 shown]
	v_pk_mov_b32 v[64:65], v[0:1], v[10:11] op_sel:[1,0]
	v_mov_b32_e32 v61, 10
	ds_write2_b32 v55, v64, v65 offset0:47 offset1:48
	ds_write_b32 v55, v11 offset:196
.LBB98_180:
	s_or_b64 exec, exec, s[0:1]
	v_cmp_lt_i32_e32 vcc, 10, v61
	s_waitcnt lgkmcnt(0)
	s_barrier
	s_and_saveexec_b64 s[0:1], vcc
	s_cbranch_execz .LBB98_182
; %bb.181:
	ds_read_b32 v58, v55 offset:44
	ds_read2_b32 v[64:65], v55 offset0:12 offset1:13
	ds_read2_b32 v[66:67], v55 offset0:14 offset1:15
	v_mul_f32_e32 v42, v62, v42
	ds_read2_b32 v[62:63], v55 offset0:16 offset1:17
	s_waitcnt lgkmcnt(3)
	v_fma_f32 v43, -v42, v58, v43
	s_waitcnt lgkmcnt(2)
	v_pk_fma_f32 v[36:37], v[42:43], v[64:65], v[36:37] op_sel_hi:[0,1,1] neg_lo:[1,0,0] neg_hi:[1,0,0]
	s_waitcnt lgkmcnt(1)
	v_pk_fma_f32 v[28:29], v[42:43], v[66:67], v[28:29] op_sel_hi:[0,1,1] neg_lo:[1,0,0] neg_hi:[1,0,0]
	ds_read2_b32 v[64:65], v55 offset0:18 offset1:19
	ds_read2_b32 v[66:67], v55 offset0:20 offset1:21
	ds_read2_b32 v[68:69], v55 offset0:22 offset1:23
	s_waitcnt lgkmcnt(3)
	v_pk_fma_f32 v[44:45], v[42:43], v[62:63], v[44:45] op_sel_hi:[0,1,1] neg_lo:[1,0,0] neg_hi:[1,0,0]
	ds_read2_b32 v[62:63], v55 offset0:24 offset1:25
	s_waitcnt lgkmcnt(3)
	v_pk_fma_f32 v[38:39], v[42:43], v[64:65], v[38:39] op_sel_hi:[0,1,1] neg_lo:[1,0,0] neg_hi:[1,0,0]
	s_waitcnt lgkmcnt(2)
	v_pk_fma_f32 v[30:31], v[42:43], v[66:67], v[30:31] op_sel_hi:[0,1,1] neg_lo:[1,0,0] neg_hi:[1,0,0]
	s_waitcnt lgkmcnt(1)
	v_pk_fma_f32 v[22:23], v[42:43], v[68:69], v[22:23] op_sel_hi:[0,1,1] neg_lo:[1,0,0] neg_hi:[1,0,0]
	ds_read2_b32 v[64:65], v55 offset0:26 offset1:27
	ds_read2_b32 v[66:67], v55 offset0:28 offset1:29
	ds_read2_b32 v[68:69], v55 offset0:30 offset1:31
	s_waitcnt lgkmcnt(3)
	v_pk_fma_f32 v[40:41], v[42:43], v[62:63], v[40:41] op_sel_hi:[0,1,1] neg_lo:[1,0,0] neg_hi:[1,0,0]
	ds_read2_b32 v[62:63], v55 offset0:32 offset1:33
	s_waitcnt lgkmcnt(3)
	v_pk_fma_f32 v[32:33], v[42:43], v[64:65], v[32:33] op_sel_hi:[0,1,1] neg_lo:[1,0,0] neg_hi:[1,0,0]
	;; [unrolled: 12-line block ×3, first 2 shown]
	s_waitcnt lgkmcnt(2)
	v_pk_fma_f32 v[18:19], v[42:43], v[66:67], v[18:19] op_sel_hi:[0,1,1] neg_lo:[1,0,0] neg_hi:[1,0,0]
	s_waitcnt lgkmcnt(1)
	v_pk_fma_f32 v[8:9], v[42:43], v[68:69], v[8:9] op_sel_hi:[0,1,1] neg_lo:[1,0,0] neg_hi:[1,0,0]
	ds_read2_b32 v[64:65], v55 offset0:42 offset1:43
	ds_read2_b32 v[66:67], v55 offset0:44 offset1:45
	;; [unrolled: 1-line block ×4, first 2 shown]
	s_waitcnt lgkmcnt(4)
	v_pk_fma_f32 v[12:13], v[42:43], v[62:63], v[12:13] op_sel_hi:[0,1,1] neg_lo:[1,0,0] neg_hi:[1,0,0]
	s_waitcnt lgkmcnt(3)
	v_pk_fma_f32 v[20:21], v[42:43], v[64:65], v[20:21] op_sel_hi:[0,1,1] neg_lo:[1,0,0] neg_hi:[1,0,0]
	;; [unrolled: 2-line block ×5, first 2 shown]
.LBB98_182:
	s_or_b64 exec, exec, s[0:1]
	v_lshl_add_u32 v58, v61, 2, v55
	s_barrier
	ds_write_b32 v58, v43
	s_waitcnt lgkmcnt(0)
	s_barrier
	ds_read_b32 v62, v55 offset:44
	s_cmp_lt_i32 s22, 13
	v_mov_b32_e32 v58, 11
	s_cbranch_scc1 .LBB98_185
; %bb.183:
	v_add3_u32 v63, v60, 0, 48
	v_mov_b32_e32 v58, 11
	s_mov_b32 s0, 12
.LBB98_184:                             ; =>This Inner Loop Header: Depth=1
	ds_read_b32 v64, v63
	v_mov_b32_e32 v65, s0
	s_add_i32 s0, s0, 1
	v_add_u32_e32 v63, 4, v63
	s_cmp_lg_u32 s22, s0
	s_waitcnt lgkmcnt(0)
	v_cmp_lt_f32_e64 vcc, |v62|, |v64|
	s_nop 1
	v_cndmask_b32_e32 v62, v62, v64, vcc
	v_cndmask_b32_e32 v58, v58, v65, vcc
	s_cbranch_scc1 .LBB98_184
.LBB98_185:
	s_waitcnt lgkmcnt(0)
	v_cmp_eq_f32_e32 vcc, 0, v62
	s_and_saveexec_b64 s[0:1], vcc
	s_xor_b64 s[0:1], exec, s[0:1]
; %bb.186:
	v_cmp_ne_u32_e32 vcc, 0, v57
	s_nop 1
	v_cndmask_b32_e32 v57, 12, v57, vcc
; %bb.187:
	s_andn2_saveexec_b64 s[0:1], s[0:1]
	s_cbranch_execz .LBB98_189
; %bb.188:
	v_div_scale_f32 v63, s[2:3], v62, v62, 1.0
	v_rcp_f32_e32 v64, v63
	v_div_scale_f32 v65, vcc, 1.0, v62, 1.0
	v_fma_f32 v66, -v63, v64, 1.0
	v_fmac_f32_e32 v64, v66, v64
	v_mul_f32_e32 v66, v65, v64
	v_fma_f32 v67, -v63, v66, v65
	v_fmac_f32_e32 v66, v67, v64
	v_fma_f32 v63, -v63, v66, v65
	v_div_fmas_f32 v63, v63, v64, v66
	v_div_fixup_f32 v62, v63, v62, 1.0
.LBB98_189:
	s_or_b64 exec, exec, s[0:1]
	v_cmp_ne_u32_e32 vcc, v61, v58
	s_and_saveexec_b64 s[0:1], vcc
	s_xor_b64 s[0:1], exec, s[0:1]
	s_cbranch_execz .LBB98_195
; %bb.190:
	v_cmp_eq_u32_e32 vcc, 11, v61
	s_and_saveexec_b64 s[2:3], vcc
	s_cbranch_execz .LBB98_194
; %bb.191:
	v_cmp_ne_u32_e32 vcc, 11, v58
	s_xor_b64 s[12:13], s[20:21], -1
	s_and_b64 s[14:15], s[12:13], vcc
	s_and_saveexec_b64 s[12:13], s[14:15]
	s_cbranch_execz .LBB98_193
; %bb.192:
	v_ashrrev_i32_e32 v59, 31, v58
	v_lshl_add_u64 v[64:65], v[58:59], 2, v[4:5]
	global_load_dword v59, v[64:65], off
	global_load_dword v61, v[4:5], off offset:44
	s_waitcnt vmcnt(1)
	global_store_dword v[4:5], v59, off offset:44
	s_waitcnt vmcnt(1)
	global_store_dword v[64:65], v61, off
.LBB98_193:
	s_or_b64 exec, exec, s[12:13]
	v_mov_b32_e32 v59, v58
	v_mov_b32_e32 v61, v58
.LBB98_194:
	s_or_b64 exec, exec, s[2:3]
.LBB98_195:
	s_andn2_saveexec_b64 s[0:1], s[0:1]
	s_cbranch_execz .LBB98_197
; %bb.196:
	v_mov_b32_e32 v61, 11
	ds_write2_b32 v55, v36, v37 offset0:12 offset1:13
	ds_write2_b32 v55, v28, v29 offset0:14 offset1:15
	;; [unrolled: 1-line block ×19, first 2 shown]
.LBB98_197:
	s_or_b64 exec, exec, s[0:1]
	v_cmp_lt_i32_e32 vcc, 11, v61
	s_waitcnt lgkmcnt(0)
	s_barrier
	s_and_saveexec_b64 s[0:1], vcc
	s_cbranch_execz .LBB98_199
; %bb.198:
	ds_read2_b32 v[64:65], v55 offset0:12 offset1:13
	ds_read2_b32 v[66:67], v55 offset0:14 offset1:15
	ds_read2_b32 v[68:69], v55 offset0:16 offset1:17
	v_mul_f32_e32 v58, v62, v43
	ds_read2_b32 v[62:63], v55 offset0:18 offset1:19
	s_waitcnt lgkmcnt(3)
	v_pk_fma_f32 v[36:37], v[58:59], v[64:65], v[36:37] op_sel_hi:[0,1,1] neg_lo:[1,0,0] neg_hi:[1,0,0]
	s_waitcnt lgkmcnt(2)
	v_pk_fma_f32 v[28:29], v[58:59], v[66:67], v[28:29] op_sel_hi:[0,1,1] neg_lo:[1,0,0] neg_hi:[1,0,0]
	;; [unrolled: 2-line block ×3, first 2 shown]
	ds_read2_b32 v[64:65], v55 offset0:20 offset1:21
	ds_read2_b32 v[66:67], v55 offset0:22 offset1:23
	;; [unrolled: 1-line block ×3, first 2 shown]
	s_waitcnt lgkmcnt(3)
	v_pk_fma_f32 v[38:39], v[58:59], v[62:63], v[38:39] op_sel_hi:[0,1,1] neg_lo:[1,0,0] neg_hi:[1,0,0]
	ds_read2_b32 v[62:63], v55 offset0:26 offset1:27
	s_waitcnt lgkmcnt(3)
	v_pk_fma_f32 v[30:31], v[58:59], v[64:65], v[30:31] op_sel_hi:[0,1,1] neg_lo:[1,0,0] neg_hi:[1,0,0]
	s_waitcnt lgkmcnt(2)
	v_pk_fma_f32 v[22:23], v[58:59], v[66:67], v[22:23] op_sel_hi:[0,1,1] neg_lo:[1,0,0] neg_hi:[1,0,0]
	;; [unrolled: 2-line block ×3, first 2 shown]
	ds_read2_b32 v[64:65], v55 offset0:28 offset1:29
	ds_read2_b32 v[66:67], v55 offset0:30 offset1:31
	;; [unrolled: 1-line block ×3, first 2 shown]
	s_waitcnt lgkmcnt(3)
	v_pk_fma_f32 v[32:33], v[58:59], v[62:63], v[32:33] op_sel_hi:[0,1,1] neg_lo:[1,0,0] neg_hi:[1,0,0]
	ds_read2_b32 v[62:63], v55 offset0:34 offset1:35
	s_waitcnt lgkmcnt(3)
	v_pk_fma_f32 v[24:25], v[58:59], v[64:65], v[24:25] op_sel_hi:[0,1,1] neg_lo:[1,0,0] neg_hi:[1,0,0]
	s_waitcnt lgkmcnt(2)
	v_pk_fma_f32 v[16:17], v[58:59], v[66:67], v[16:17] op_sel_hi:[0,1,1] neg_lo:[1,0,0] neg_hi:[1,0,0]
	ds_read2_b32 v[64:65], v55 offset0:36 offset1:37
	ds_read2_b32 v[66:67], v55 offset0:38 offset1:39
	s_waitcnt lgkmcnt(3)
	v_pk_fma_f32 v[34:35], v[58:59], v[68:69], v[34:35] op_sel_hi:[0,1,1] neg_lo:[1,0,0] neg_hi:[1,0,0]
	s_waitcnt lgkmcnt(2)
	v_pk_fma_f32 v[26:27], v[58:59], v[62:63], v[26:27] op_sel_hi:[0,1,1] neg_lo:[1,0,0] neg_hi:[1,0,0]
	ds_read2_b32 v[62:63], v55 offset0:40 offset1:41
	ds_read2_b32 v[68:69], v55 offset0:42 offset1:43
	s_waitcnt lgkmcnt(3)
	v_pk_fma_f32 v[18:19], v[58:59], v[64:65], v[18:19] op_sel_hi:[0,1,1] neg_lo:[1,0,0] neg_hi:[1,0,0]
	s_waitcnt lgkmcnt(2)
	v_pk_fma_f32 v[8:9], v[58:59], v[66:67], v[8:9] op_sel_hi:[0,1,1] neg_lo:[1,0,0] neg_hi:[1,0,0]
	ds_read2_b32 v[64:65], v55 offset0:44 offset1:45
	ds_read2_b32 v[66:67], v55 offset0:46 offset1:47
	ds_read2_b32 v[70:71], v55 offset0:48 offset1:49
	s_waitcnt lgkmcnt(4)
	v_pk_fma_f32 v[12:13], v[58:59], v[62:63], v[12:13] op_sel_hi:[0,1,1] neg_lo:[1,0,0] neg_hi:[1,0,0]
	s_waitcnt lgkmcnt(3)
	v_pk_fma_f32 v[20:21], v[58:59], v[68:69], v[20:21] op_sel_hi:[0,1,1] neg_lo:[1,0,0] neg_hi:[1,0,0]
	;; [unrolled: 2-line block ×5, first 2 shown]
	v_mov_b32_e32 v43, v58
.LBB98_199:
	s_or_b64 exec, exec, s[0:1]
	v_lshl_add_u32 v58, v61, 2, v55
	s_barrier
	ds_write_b32 v58, v36
	s_waitcnt lgkmcnt(0)
	s_barrier
	ds_read_b32 v62, v55 offset:48
	s_cmp_lt_i32 s22, 14
	v_mov_b32_e32 v58, 12
	s_cbranch_scc1 .LBB98_202
; %bb.200:
	v_add3_u32 v63, v60, 0, 52
	v_mov_b32_e32 v58, 12
	s_mov_b32 s0, 13
.LBB98_201:                             ; =>This Inner Loop Header: Depth=1
	ds_read_b32 v64, v63
	v_mov_b32_e32 v65, s0
	s_add_i32 s0, s0, 1
	v_add_u32_e32 v63, 4, v63
	s_cmp_lg_u32 s22, s0
	s_waitcnt lgkmcnt(0)
	v_cmp_lt_f32_e64 vcc, |v62|, |v64|
	s_nop 1
	v_cndmask_b32_e32 v62, v62, v64, vcc
	v_cndmask_b32_e32 v58, v58, v65, vcc
	s_cbranch_scc1 .LBB98_201
.LBB98_202:
	s_waitcnt lgkmcnt(0)
	v_cmp_eq_f32_e32 vcc, 0, v62
	s_and_saveexec_b64 s[0:1], vcc
	s_xor_b64 s[0:1], exec, s[0:1]
; %bb.203:
	v_cmp_ne_u32_e32 vcc, 0, v57
	s_nop 1
	v_cndmask_b32_e32 v57, 13, v57, vcc
; %bb.204:
	s_andn2_saveexec_b64 s[0:1], s[0:1]
	s_cbranch_execz .LBB98_206
; %bb.205:
	v_div_scale_f32 v63, s[2:3], v62, v62, 1.0
	v_rcp_f32_e32 v64, v63
	v_div_scale_f32 v65, vcc, 1.0, v62, 1.0
	v_fma_f32 v66, -v63, v64, 1.0
	v_fmac_f32_e32 v64, v66, v64
	v_mul_f32_e32 v66, v65, v64
	v_fma_f32 v67, -v63, v66, v65
	v_fmac_f32_e32 v66, v67, v64
	v_fma_f32 v63, -v63, v66, v65
	v_div_fmas_f32 v63, v63, v64, v66
	v_div_fixup_f32 v62, v63, v62, 1.0
.LBB98_206:
	s_or_b64 exec, exec, s[0:1]
	v_cmp_ne_u32_e32 vcc, v61, v58
	s_and_saveexec_b64 s[0:1], vcc
	s_xor_b64 s[0:1], exec, s[0:1]
	s_cbranch_execz .LBB98_212
; %bb.207:
	v_cmp_eq_u32_e32 vcc, 12, v61
	s_and_saveexec_b64 s[2:3], vcc
	s_cbranch_execz .LBB98_211
; %bb.208:
	v_cmp_ne_u32_e32 vcc, 12, v58
	s_xor_b64 s[12:13], s[20:21], -1
	s_and_b64 s[14:15], s[12:13], vcc
	s_and_saveexec_b64 s[12:13], s[14:15]
	s_cbranch_execz .LBB98_210
; %bb.209:
	v_ashrrev_i32_e32 v59, 31, v58
	v_lshl_add_u64 v[64:65], v[58:59], 2, v[4:5]
	global_load_dword v59, v[64:65], off
	global_load_dword v61, v[4:5], off offset:48
	s_waitcnt vmcnt(1)
	global_store_dword v[4:5], v59, off offset:48
	s_waitcnt vmcnt(1)
	global_store_dword v[64:65], v61, off
.LBB98_210:
	s_or_b64 exec, exec, s[12:13]
	v_mov_b32_e32 v59, v58
	v_mov_b32_e32 v61, v58
.LBB98_211:
	s_or_b64 exec, exec, s[2:3]
.LBB98_212:
	s_andn2_saveexec_b64 s[0:1], s[0:1]
	s_cbranch_execz .LBB98_214
; %bb.213:
	v_pk_mov_b32 v[64:65], v[36:37], v[28:29] op_sel:[1,0]
	ds_write2_b32 v55, v64, v65 offset0:13 offset1:14
	v_pk_mov_b32 v[64:65], v[28:29], v[44:45] op_sel:[1,0]
	ds_write2_b32 v55, v64, v65 offset0:15 offset1:16
	;; [unrolled: 2-line block ×17, first 2 shown]
	v_pk_mov_b32 v[64:65], v[0:1], v[10:11] op_sel:[1,0]
	v_mov_b32_e32 v61, 12
	ds_write2_b32 v55, v64, v65 offset0:47 offset1:48
	ds_write_b32 v55, v11 offset:196
.LBB98_214:
	s_or_b64 exec, exec, s[0:1]
	v_cmp_lt_i32_e32 vcc, 12, v61
	s_waitcnt lgkmcnt(0)
	s_barrier
	s_and_saveexec_b64 s[0:1], vcc
	s_cbranch_execz .LBB98_216
; %bb.215:
	ds_read_b32 v58, v55 offset:52
	ds_read2_b32 v[64:65], v55 offset0:14 offset1:15
	ds_read2_b32 v[66:67], v55 offset0:16 offset1:17
	v_mul_f32_e32 v36, v62, v36
	ds_read2_b32 v[62:63], v55 offset0:18 offset1:19
	s_waitcnt lgkmcnt(3)
	v_fma_f32 v37, -v36, v58, v37
	s_waitcnt lgkmcnt(2)
	v_pk_fma_f32 v[28:29], v[36:37], v[64:65], v[28:29] op_sel_hi:[0,1,1] neg_lo:[1,0,0] neg_hi:[1,0,0]
	s_waitcnt lgkmcnt(1)
	v_pk_fma_f32 v[44:45], v[36:37], v[66:67], v[44:45] op_sel_hi:[0,1,1] neg_lo:[1,0,0] neg_hi:[1,0,0]
	ds_read2_b32 v[64:65], v55 offset0:20 offset1:21
	ds_read2_b32 v[66:67], v55 offset0:22 offset1:23
	;; [unrolled: 1-line block ×3, first 2 shown]
	s_waitcnt lgkmcnt(3)
	v_pk_fma_f32 v[38:39], v[36:37], v[62:63], v[38:39] op_sel_hi:[0,1,1] neg_lo:[1,0,0] neg_hi:[1,0,0]
	ds_read2_b32 v[62:63], v55 offset0:26 offset1:27
	s_waitcnt lgkmcnt(3)
	v_pk_fma_f32 v[30:31], v[36:37], v[64:65], v[30:31] op_sel_hi:[0,1,1] neg_lo:[1,0,0] neg_hi:[1,0,0]
	s_waitcnt lgkmcnt(2)
	v_pk_fma_f32 v[22:23], v[36:37], v[66:67], v[22:23] op_sel_hi:[0,1,1] neg_lo:[1,0,0] neg_hi:[1,0,0]
	;; [unrolled: 2-line block ×3, first 2 shown]
	ds_read2_b32 v[64:65], v55 offset0:28 offset1:29
	ds_read2_b32 v[66:67], v55 offset0:30 offset1:31
	;; [unrolled: 1-line block ×3, first 2 shown]
	s_waitcnt lgkmcnt(3)
	v_pk_fma_f32 v[32:33], v[36:37], v[62:63], v[32:33] op_sel_hi:[0,1,1] neg_lo:[1,0,0] neg_hi:[1,0,0]
	ds_read2_b32 v[62:63], v55 offset0:34 offset1:35
	s_waitcnt lgkmcnt(3)
	v_pk_fma_f32 v[24:25], v[36:37], v[64:65], v[24:25] op_sel_hi:[0,1,1] neg_lo:[1,0,0] neg_hi:[1,0,0]
	s_waitcnt lgkmcnt(2)
	v_pk_fma_f32 v[16:17], v[36:37], v[66:67], v[16:17] op_sel_hi:[0,1,1] neg_lo:[1,0,0] neg_hi:[1,0,0]
	ds_read2_b32 v[64:65], v55 offset0:36 offset1:37
	ds_read2_b32 v[66:67], v55 offset0:38 offset1:39
	s_waitcnt lgkmcnt(3)
	v_pk_fma_f32 v[34:35], v[36:37], v[68:69], v[34:35] op_sel_hi:[0,1,1] neg_lo:[1,0,0] neg_hi:[1,0,0]
	s_waitcnt lgkmcnt(2)
	v_pk_fma_f32 v[26:27], v[36:37], v[62:63], v[26:27] op_sel_hi:[0,1,1] neg_lo:[1,0,0] neg_hi:[1,0,0]
	ds_read2_b32 v[62:63], v55 offset0:40 offset1:41
	;; [unrolled: 6-line block ×3, first 2 shown]
	ds_read2_b32 v[66:67], v55 offset0:46 offset1:47
	ds_read2_b32 v[70:71], v55 offset0:48 offset1:49
	s_waitcnt lgkmcnt(4)
	v_pk_fma_f32 v[12:13], v[36:37], v[62:63], v[12:13] op_sel_hi:[0,1,1] neg_lo:[1,0,0] neg_hi:[1,0,0]
	s_waitcnt lgkmcnt(3)
	v_pk_fma_f32 v[20:21], v[36:37], v[68:69], v[20:21] op_sel_hi:[0,1,1] neg_lo:[1,0,0] neg_hi:[1,0,0]
	;; [unrolled: 2-line block ×5, first 2 shown]
.LBB98_216:
	s_or_b64 exec, exec, s[0:1]
	v_lshl_add_u32 v58, v61, 2, v55
	s_barrier
	ds_write_b32 v58, v37
	s_waitcnt lgkmcnt(0)
	s_barrier
	ds_read_b32 v62, v55 offset:52
	s_cmp_lt_i32 s22, 15
	v_mov_b32_e32 v58, 13
	s_cbranch_scc1 .LBB98_219
; %bb.217:
	v_add3_u32 v63, v60, 0, 56
	v_mov_b32_e32 v58, 13
	s_mov_b32 s0, 14
.LBB98_218:                             ; =>This Inner Loop Header: Depth=1
	ds_read_b32 v64, v63
	v_mov_b32_e32 v65, s0
	s_add_i32 s0, s0, 1
	v_add_u32_e32 v63, 4, v63
	s_cmp_lg_u32 s22, s0
	s_waitcnt lgkmcnt(0)
	v_cmp_lt_f32_e64 vcc, |v62|, |v64|
	s_nop 1
	v_cndmask_b32_e32 v62, v62, v64, vcc
	v_cndmask_b32_e32 v58, v58, v65, vcc
	s_cbranch_scc1 .LBB98_218
.LBB98_219:
	s_waitcnt lgkmcnt(0)
	v_cmp_eq_f32_e32 vcc, 0, v62
	s_and_saveexec_b64 s[0:1], vcc
	s_xor_b64 s[0:1], exec, s[0:1]
; %bb.220:
	v_cmp_ne_u32_e32 vcc, 0, v57
	s_nop 1
	v_cndmask_b32_e32 v57, 14, v57, vcc
; %bb.221:
	s_andn2_saveexec_b64 s[0:1], s[0:1]
	s_cbranch_execz .LBB98_223
; %bb.222:
	v_div_scale_f32 v63, s[2:3], v62, v62, 1.0
	v_rcp_f32_e32 v64, v63
	v_div_scale_f32 v65, vcc, 1.0, v62, 1.0
	v_fma_f32 v66, -v63, v64, 1.0
	v_fmac_f32_e32 v64, v66, v64
	v_mul_f32_e32 v66, v65, v64
	v_fma_f32 v67, -v63, v66, v65
	v_fmac_f32_e32 v66, v67, v64
	v_fma_f32 v63, -v63, v66, v65
	v_div_fmas_f32 v63, v63, v64, v66
	v_div_fixup_f32 v62, v63, v62, 1.0
.LBB98_223:
	s_or_b64 exec, exec, s[0:1]
	v_cmp_ne_u32_e32 vcc, v61, v58
	s_and_saveexec_b64 s[0:1], vcc
	s_xor_b64 s[0:1], exec, s[0:1]
	s_cbranch_execz .LBB98_229
; %bb.224:
	v_cmp_eq_u32_e32 vcc, 13, v61
	s_and_saveexec_b64 s[2:3], vcc
	s_cbranch_execz .LBB98_228
; %bb.225:
	v_cmp_ne_u32_e32 vcc, 13, v58
	s_xor_b64 s[12:13], s[20:21], -1
	s_and_b64 s[14:15], s[12:13], vcc
	s_and_saveexec_b64 s[12:13], s[14:15]
	s_cbranch_execz .LBB98_227
; %bb.226:
	v_ashrrev_i32_e32 v59, 31, v58
	v_lshl_add_u64 v[64:65], v[58:59], 2, v[4:5]
	global_load_dword v59, v[64:65], off
	global_load_dword v61, v[4:5], off offset:52
	s_waitcnt vmcnt(1)
	global_store_dword v[4:5], v59, off offset:52
	s_waitcnt vmcnt(1)
	global_store_dword v[64:65], v61, off
.LBB98_227:
	s_or_b64 exec, exec, s[12:13]
	v_mov_b32_e32 v59, v58
	v_mov_b32_e32 v61, v58
.LBB98_228:
	s_or_b64 exec, exec, s[2:3]
.LBB98_229:
	s_andn2_saveexec_b64 s[0:1], s[0:1]
	s_cbranch_execz .LBB98_231
; %bb.230:
	v_mov_b32_e32 v61, 13
	ds_write2_b32 v55, v28, v29 offset0:14 offset1:15
	ds_write2_b32 v55, v44, v45 offset0:16 offset1:17
	;; [unrolled: 1-line block ×18, first 2 shown]
.LBB98_231:
	s_or_b64 exec, exec, s[0:1]
	v_cmp_lt_i32_e32 vcc, 13, v61
	s_waitcnt lgkmcnt(0)
	s_barrier
	s_and_saveexec_b64 s[0:1], vcc
	s_cbranch_execz .LBB98_233
; %bb.232:
	ds_read2_b32 v[64:65], v55 offset0:14 offset1:15
	ds_read2_b32 v[66:67], v55 offset0:16 offset1:17
	;; [unrolled: 1-line block ×3, first 2 shown]
	v_mul_f32_e32 v58, v62, v37
	ds_read2_b32 v[62:63], v55 offset0:20 offset1:21
	s_waitcnt lgkmcnt(3)
	v_pk_fma_f32 v[28:29], v[58:59], v[64:65], v[28:29] op_sel_hi:[0,1,1] neg_lo:[1,0,0] neg_hi:[1,0,0]
	s_waitcnt lgkmcnt(2)
	v_pk_fma_f32 v[44:45], v[58:59], v[66:67], v[44:45] op_sel_hi:[0,1,1] neg_lo:[1,0,0] neg_hi:[1,0,0]
	;; [unrolled: 2-line block ×3, first 2 shown]
	ds_read2_b32 v[64:65], v55 offset0:22 offset1:23
	ds_read2_b32 v[66:67], v55 offset0:24 offset1:25
	;; [unrolled: 1-line block ×3, first 2 shown]
	s_waitcnt lgkmcnt(3)
	v_pk_fma_f32 v[30:31], v[58:59], v[62:63], v[30:31] op_sel_hi:[0,1,1] neg_lo:[1,0,0] neg_hi:[1,0,0]
	ds_read2_b32 v[62:63], v55 offset0:28 offset1:29
	s_waitcnt lgkmcnt(3)
	v_pk_fma_f32 v[22:23], v[58:59], v[64:65], v[22:23] op_sel_hi:[0,1,1] neg_lo:[1,0,0] neg_hi:[1,0,0]
	s_waitcnt lgkmcnt(2)
	v_pk_fma_f32 v[40:41], v[58:59], v[66:67], v[40:41] op_sel_hi:[0,1,1] neg_lo:[1,0,0] neg_hi:[1,0,0]
	;; [unrolled: 2-line block ×3, first 2 shown]
	ds_read2_b32 v[64:65], v55 offset0:30 offset1:31
	ds_read2_b32 v[66:67], v55 offset0:32 offset1:33
	;; [unrolled: 1-line block ×3, first 2 shown]
	s_waitcnt lgkmcnt(3)
	v_pk_fma_f32 v[24:25], v[58:59], v[62:63], v[24:25] op_sel_hi:[0,1,1] neg_lo:[1,0,0] neg_hi:[1,0,0]
	ds_read2_b32 v[62:63], v55 offset0:36 offset1:37
	s_waitcnt lgkmcnt(3)
	v_pk_fma_f32 v[16:17], v[58:59], v[64:65], v[16:17] op_sel_hi:[0,1,1] neg_lo:[1,0,0] neg_hi:[1,0,0]
	ds_read2_b32 v[64:65], v55 offset0:38 offset1:39
	s_waitcnt lgkmcnt(3)
	v_pk_fma_f32 v[34:35], v[58:59], v[66:67], v[34:35] op_sel_hi:[0,1,1] neg_lo:[1,0,0] neg_hi:[1,0,0]
	s_waitcnt lgkmcnt(2)
	v_pk_fma_f32 v[26:27], v[58:59], v[68:69], v[26:27] op_sel_hi:[0,1,1] neg_lo:[1,0,0] neg_hi:[1,0,0]
	;; [unrolled: 2-line block ×3, first 2 shown]
	ds_read2_b32 v[62:63], v55 offset0:40 offset1:41
	ds_read2_b32 v[66:67], v55 offset0:42 offset1:43
	;; [unrolled: 1-line block ×3, first 2 shown]
	s_waitcnt lgkmcnt(3)
	v_pk_fma_f32 v[8:9], v[58:59], v[64:65], v[8:9] op_sel_hi:[0,1,1] neg_lo:[1,0,0] neg_hi:[1,0,0]
	ds_read2_b32 v[64:65], v55 offset0:46 offset1:47
	ds_read2_b32 v[70:71], v55 offset0:48 offset1:49
	s_waitcnt lgkmcnt(4)
	v_pk_fma_f32 v[12:13], v[58:59], v[62:63], v[12:13] op_sel_hi:[0,1,1] neg_lo:[1,0,0] neg_hi:[1,0,0]
	s_waitcnt lgkmcnt(3)
	v_pk_fma_f32 v[20:21], v[58:59], v[66:67], v[20:21] op_sel_hi:[0,1,1] neg_lo:[1,0,0] neg_hi:[1,0,0]
	;; [unrolled: 2-line block ×5, first 2 shown]
	v_mov_b32_e32 v37, v58
.LBB98_233:
	s_or_b64 exec, exec, s[0:1]
	v_lshl_add_u32 v58, v61, 2, v55
	s_barrier
	ds_write_b32 v58, v28
	s_waitcnt lgkmcnt(0)
	s_barrier
	ds_read_b32 v62, v55 offset:56
	s_cmp_lt_i32 s22, 16
	v_mov_b32_e32 v58, 14
	s_cbranch_scc1 .LBB98_236
; %bb.234:
	v_add3_u32 v63, v60, 0, 60
	v_mov_b32_e32 v58, 14
	s_mov_b32 s0, 15
.LBB98_235:                             ; =>This Inner Loop Header: Depth=1
	ds_read_b32 v64, v63
	v_mov_b32_e32 v65, s0
	s_add_i32 s0, s0, 1
	v_add_u32_e32 v63, 4, v63
	s_cmp_lg_u32 s22, s0
	s_waitcnt lgkmcnt(0)
	v_cmp_lt_f32_e64 vcc, |v62|, |v64|
	s_nop 1
	v_cndmask_b32_e32 v62, v62, v64, vcc
	v_cndmask_b32_e32 v58, v58, v65, vcc
	s_cbranch_scc1 .LBB98_235
.LBB98_236:
	s_waitcnt lgkmcnt(0)
	v_cmp_eq_f32_e32 vcc, 0, v62
	s_and_saveexec_b64 s[0:1], vcc
	s_xor_b64 s[0:1], exec, s[0:1]
; %bb.237:
	v_cmp_ne_u32_e32 vcc, 0, v57
	s_nop 1
	v_cndmask_b32_e32 v57, 15, v57, vcc
; %bb.238:
	s_andn2_saveexec_b64 s[0:1], s[0:1]
	s_cbranch_execz .LBB98_240
; %bb.239:
	v_div_scale_f32 v63, s[2:3], v62, v62, 1.0
	v_rcp_f32_e32 v64, v63
	v_div_scale_f32 v65, vcc, 1.0, v62, 1.0
	v_fma_f32 v66, -v63, v64, 1.0
	v_fmac_f32_e32 v64, v66, v64
	v_mul_f32_e32 v66, v65, v64
	v_fma_f32 v67, -v63, v66, v65
	v_fmac_f32_e32 v66, v67, v64
	v_fma_f32 v63, -v63, v66, v65
	v_div_fmas_f32 v63, v63, v64, v66
	v_div_fixup_f32 v62, v63, v62, 1.0
.LBB98_240:
	s_or_b64 exec, exec, s[0:1]
	v_cmp_ne_u32_e32 vcc, v61, v58
	s_and_saveexec_b64 s[0:1], vcc
	s_xor_b64 s[0:1], exec, s[0:1]
	s_cbranch_execz .LBB98_246
; %bb.241:
	v_cmp_eq_u32_e32 vcc, 14, v61
	s_and_saveexec_b64 s[2:3], vcc
	s_cbranch_execz .LBB98_245
; %bb.242:
	v_cmp_ne_u32_e32 vcc, 14, v58
	s_xor_b64 s[12:13], s[20:21], -1
	s_and_b64 s[14:15], s[12:13], vcc
	s_and_saveexec_b64 s[12:13], s[14:15]
	s_cbranch_execz .LBB98_244
; %bb.243:
	v_ashrrev_i32_e32 v59, 31, v58
	v_lshl_add_u64 v[64:65], v[58:59], 2, v[4:5]
	global_load_dword v59, v[64:65], off
	global_load_dword v61, v[4:5], off offset:56
	s_waitcnt vmcnt(1)
	global_store_dword v[4:5], v59, off offset:56
	s_waitcnt vmcnt(1)
	global_store_dword v[64:65], v61, off
.LBB98_244:
	s_or_b64 exec, exec, s[12:13]
	v_mov_b32_e32 v59, v58
	v_mov_b32_e32 v61, v58
.LBB98_245:
	s_or_b64 exec, exec, s[2:3]
.LBB98_246:
	s_andn2_saveexec_b64 s[0:1], s[0:1]
	s_cbranch_execz .LBB98_248
; %bb.247:
	v_pk_mov_b32 v[64:65], v[28:29], v[44:45] op_sel:[1,0]
	ds_write2_b32 v55, v64, v65 offset0:15 offset1:16
	v_pk_mov_b32 v[64:65], v[44:45], v[38:39] op_sel:[1,0]
	ds_write2_b32 v55, v64, v65 offset0:17 offset1:18
	;; [unrolled: 2-line block ×16, first 2 shown]
	v_pk_mov_b32 v[64:65], v[0:1], v[10:11] op_sel:[1,0]
	v_mov_b32_e32 v61, 14
	ds_write2_b32 v55, v64, v65 offset0:47 offset1:48
	ds_write_b32 v55, v11 offset:196
.LBB98_248:
	s_or_b64 exec, exec, s[0:1]
	v_cmp_lt_i32_e32 vcc, 14, v61
	s_waitcnt lgkmcnt(0)
	s_barrier
	s_and_saveexec_b64 s[0:1], vcc
	s_cbranch_execz .LBB98_250
; %bb.249:
	ds_read_b32 v58, v55 offset:60
	ds_read2_b32 v[64:65], v55 offset0:16 offset1:17
	ds_read2_b32 v[66:67], v55 offset0:18 offset1:19
	v_mul_f32_e32 v28, v62, v28
	ds_read2_b32 v[62:63], v55 offset0:20 offset1:21
	s_waitcnt lgkmcnt(3)
	v_fma_f32 v29, -v28, v58, v29
	s_waitcnt lgkmcnt(2)
	v_pk_fma_f32 v[44:45], v[28:29], v[64:65], v[44:45] op_sel_hi:[0,1,1] neg_lo:[1,0,0] neg_hi:[1,0,0]
	s_waitcnt lgkmcnt(1)
	v_pk_fma_f32 v[38:39], v[28:29], v[66:67], v[38:39] op_sel_hi:[0,1,1] neg_lo:[1,0,0] neg_hi:[1,0,0]
	ds_read2_b32 v[64:65], v55 offset0:22 offset1:23
	ds_read2_b32 v[66:67], v55 offset0:24 offset1:25
	;; [unrolled: 1-line block ×3, first 2 shown]
	s_waitcnt lgkmcnt(3)
	v_pk_fma_f32 v[30:31], v[28:29], v[62:63], v[30:31] op_sel_hi:[0,1,1] neg_lo:[1,0,0] neg_hi:[1,0,0]
	ds_read2_b32 v[62:63], v55 offset0:28 offset1:29
	s_waitcnt lgkmcnt(3)
	v_pk_fma_f32 v[22:23], v[28:29], v[64:65], v[22:23] op_sel_hi:[0,1,1] neg_lo:[1,0,0] neg_hi:[1,0,0]
	s_waitcnt lgkmcnt(2)
	v_pk_fma_f32 v[40:41], v[28:29], v[66:67], v[40:41] op_sel_hi:[0,1,1] neg_lo:[1,0,0] neg_hi:[1,0,0]
	s_waitcnt lgkmcnt(1)
	v_pk_fma_f32 v[32:33], v[28:29], v[68:69], v[32:33] op_sel_hi:[0,1,1] neg_lo:[1,0,0] neg_hi:[1,0,0]
	ds_read2_b32 v[64:65], v55 offset0:30 offset1:31
	ds_read2_b32 v[66:67], v55 offset0:32 offset1:33
	;; [unrolled: 1-line block ×3, first 2 shown]
	s_waitcnt lgkmcnt(3)
	v_pk_fma_f32 v[24:25], v[28:29], v[62:63], v[24:25] op_sel_hi:[0,1,1] neg_lo:[1,0,0] neg_hi:[1,0,0]
	ds_read2_b32 v[62:63], v55 offset0:36 offset1:37
	s_waitcnt lgkmcnt(3)
	v_pk_fma_f32 v[16:17], v[28:29], v[64:65], v[16:17] op_sel_hi:[0,1,1] neg_lo:[1,0,0] neg_hi:[1,0,0]
	ds_read2_b32 v[64:65], v55 offset0:38 offset1:39
	s_waitcnt lgkmcnt(3)
	v_pk_fma_f32 v[34:35], v[28:29], v[66:67], v[34:35] op_sel_hi:[0,1,1] neg_lo:[1,0,0] neg_hi:[1,0,0]
	s_waitcnt lgkmcnt(2)
	v_pk_fma_f32 v[26:27], v[28:29], v[68:69], v[26:27] op_sel_hi:[0,1,1] neg_lo:[1,0,0] neg_hi:[1,0,0]
	;; [unrolled: 2-line block ×3, first 2 shown]
	ds_read2_b32 v[62:63], v55 offset0:40 offset1:41
	ds_read2_b32 v[66:67], v55 offset0:42 offset1:43
	;; [unrolled: 1-line block ×3, first 2 shown]
	s_waitcnt lgkmcnt(3)
	v_pk_fma_f32 v[8:9], v[28:29], v[64:65], v[8:9] op_sel_hi:[0,1,1] neg_lo:[1,0,0] neg_hi:[1,0,0]
	ds_read2_b32 v[64:65], v55 offset0:46 offset1:47
	ds_read2_b32 v[70:71], v55 offset0:48 offset1:49
	s_waitcnt lgkmcnt(4)
	v_pk_fma_f32 v[12:13], v[28:29], v[62:63], v[12:13] op_sel_hi:[0,1,1] neg_lo:[1,0,0] neg_hi:[1,0,0]
	s_waitcnt lgkmcnt(3)
	v_pk_fma_f32 v[20:21], v[28:29], v[66:67], v[20:21] op_sel_hi:[0,1,1] neg_lo:[1,0,0] neg_hi:[1,0,0]
	;; [unrolled: 2-line block ×5, first 2 shown]
.LBB98_250:
	s_or_b64 exec, exec, s[0:1]
	v_lshl_add_u32 v58, v61, 2, v55
	s_barrier
	ds_write_b32 v58, v29
	s_waitcnt lgkmcnt(0)
	s_barrier
	ds_read_b32 v62, v55 offset:60
	s_cmp_lt_i32 s22, 17
	v_mov_b32_e32 v58, 15
	s_cbranch_scc1 .LBB98_253
; %bb.251:
	v_add3_u32 v60, v60, 0, 64
	v_mov_b32_e32 v58, 15
	s_mov_b32 s0, 16
.LBB98_252:                             ; =>This Inner Loop Header: Depth=1
	ds_read_b32 v63, v60
	v_mov_b32_e32 v64, s0
	s_add_i32 s0, s0, 1
	v_add_u32_e32 v60, 4, v60
	s_cmp_lg_u32 s22, s0
	s_waitcnt lgkmcnt(0)
	v_cmp_lt_f32_e64 vcc, |v62|, |v63|
	s_nop 1
	v_cndmask_b32_e32 v62, v62, v63, vcc
	v_cndmask_b32_e32 v58, v58, v64, vcc
	s_cbranch_scc1 .LBB98_252
.LBB98_253:
	s_waitcnt lgkmcnt(0)
	v_cmp_eq_f32_e32 vcc, 0, v62
	s_and_saveexec_b64 s[0:1], vcc
	s_xor_b64 s[0:1], exec, s[0:1]
; %bb.254:
	v_cmp_ne_u32_e32 vcc, 0, v57
	s_nop 1
	v_cndmask_b32_e32 v57, 16, v57, vcc
; %bb.255:
	s_andn2_saveexec_b64 s[0:1], s[0:1]
	s_cbranch_execz .LBB98_257
; %bb.256:
	v_div_scale_f32 v60, s[2:3], v62, v62, 1.0
	v_rcp_f32_e32 v63, v60
	v_div_scale_f32 v64, vcc, 1.0, v62, 1.0
	v_fma_f32 v65, -v60, v63, 1.0
	v_fmac_f32_e32 v63, v65, v63
	v_mul_f32_e32 v65, v64, v63
	v_fma_f32 v66, -v60, v65, v64
	v_fmac_f32_e32 v65, v66, v63
	v_fma_f32 v60, -v60, v65, v64
	v_div_fmas_f32 v60, v60, v63, v65
	v_div_fixup_f32 v62, v60, v62, 1.0
.LBB98_257:
	s_or_b64 exec, exec, s[0:1]
	v_cmp_ne_u32_e32 vcc, v61, v58
	s_and_saveexec_b64 s[0:1], vcc
	s_xor_b64 s[0:1], exec, s[0:1]
	s_cbranch_execz .LBB98_263
; %bb.258:
	v_cmp_eq_u32_e32 vcc, 15, v61
	s_and_saveexec_b64 s[2:3], vcc
	s_cbranch_execz .LBB98_262
; %bb.259:
	v_cmp_ne_u32_e32 vcc, 15, v58
	s_xor_b64 s[12:13], s[20:21], -1
	s_and_b64 s[14:15], s[12:13], vcc
	s_and_saveexec_b64 s[12:13], s[14:15]
	s_cbranch_execz .LBB98_261
; %bb.260:
	v_ashrrev_i32_e32 v59, 31, v58
	v_lshl_add_u64 v[60:61], v[58:59], 2, v[4:5]
	global_load_dword v59, v[60:61], off
	global_load_dword v63, v[4:5], off offset:60
	s_waitcnt vmcnt(1)
	global_store_dword v[4:5], v59, off offset:60
	s_waitcnt vmcnt(1)
	global_store_dword v[60:61], v63, off
.LBB98_261:
	s_or_b64 exec, exec, s[12:13]
	v_mov_b32_e32 v59, v58
	v_mov_b32_e32 v61, v58
.LBB98_262:
	s_or_b64 exec, exec, s[2:3]
.LBB98_263:
	s_andn2_saveexec_b64 s[0:1], s[0:1]
	s_cbranch_execz .LBB98_265
; %bb.264:
	v_mov_b32_e32 v61, 15
	ds_write2_b32 v55, v44, v45 offset0:16 offset1:17
	ds_write2_b32 v55, v38, v39 offset0:18 offset1:19
	;; [unrolled: 1-line block ×17, first 2 shown]
.LBB98_265:
	s_or_b64 exec, exec, s[0:1]
	v_cmp_lt_i32_e32 vcc, 15, v61
	s_waitcnt lgkmcnt(0)
	s_barrier
	s_and_saveexec_b64 s[0:1], vcc
	s_cbranch_execz .LBB98_267
; %bb.266:
	ds_read2_b32 v[64:65], v55 offset0:16 offset1:17
	ds_read2_b32 v[66:67], v55 offset0:18 offset1:19
	;; [unrolled: 1-line block ×3, first 2 shown]
	v_mul_f32_e32 v58, v62, v29
	ds_read2_b32 v[62:63], v55 offset0:22 offset1:23
	s_waitcnt lgkmcnt(3)
	v_pk_fma_f32 v[44:45], v[58:59], v[64:65], v[44:45] op_sel_hi:[0,1,1] neg_lo:[1,0,0] neg_hi:[1,0,0]
	s_waitcnt lgkmcnt(2)
	v_pk_fma_f32 v[38:39], v[58:59], v[66:67], v[38:39] op_sel_hi:[0,1,1] neg_lo:[1,0,0] neg_hi:[1,0,0]
	s_waitcnt lgkmcnt(1)
	v_pk_fma_f32 v[30:31], v[58:59], v[68:69], v[30:31] op_sel_hi:[0,1,1] neg_lo:[1,0,0] neg_hi:[1,0,0]
	ds_read2_b32 v[64:65], v55 offset0:24 offset1:25
	ds_read2_b32 v[66:67], v55 offset0:26 offset1:27
	;; [unrolled: 1-line block ×3, first 2 shown]
	s_waitcnt lgkmcnt(3)
	v_pk_fma_f32 v[22:23], v[58:59], v[62:63], v[22:23] op_sel_hi:[0,1,1] neg_lo:[1,0,0] neg_hi:[1,0,0]
	ds_read2_b32 v[62:63], v55 offset0:30 offset1:31
	s_waitcnt lgkmcnt(3)
	v_pk_fma_f32 v[40:41], v[58:59], v[64:65], v[40:41] op_sel_hi:[0,1,1] neg_lo:[1,0,0] neg_hi:[1,0,0]
	s_waitcnt lgkmcnt(2)
	v_pk_fma_f32 v[32:33], v[58:59], v[66:67], v[32:33] op_sel_hi:[0,1,1] neg_lo:[1,0,0] neg_hi:[1,0,0]
	;; [unrolled: 2-line block ×3, first 2 shown]
	ds_read2_b32 v[64:65], v55 offset0:32 offset1:33
	ds_read2_b32 v[66:67], v55 offset0:34 offset1:35
	;; [unrolled: 1-line block ×4, first 2 shown]
	s_waitcnt lgkmcnt(4)
	v_pk_fma_f32 v[16:17], v[58:59], v[62:63], v[16:17] op_sel_hi:[0,1,1] neg_lo:[1,0,0] neg_hi:[1,0,0]
	s_waitcnt lgkmcnt(3)
	v_pk_fma_f32 v[34:35], v[58:59], v[64:65], v[34:35] op_sel_hi:[0,1,1] neg_lo:[1,0,0] neg_hi:[1,0,0]
	;; [unrolled: 2-line block ×5, first 2 shown]
	ds_read2_b32 v[62:63], v55 offset0:40 offset1:41
	ds_read2_b32 v[64:65], v55 offset0:42 offset1:43
	ds_read2_b32 v[66:67], v55 offset0:44 offset1:45
	ds_read2_b32 v[68:69], v55 offset0:46 offset1:47
	ds_read2_b32 v[70:71], v55 offset0:48 offset1:49
	s_waitcnt lgkmcnt(4)
	v_pk_fma_f32 v[12:13], v[58:59], v[62:63], v[12:13] op_sel_hi:[0,1,1] neg_lo:[1,0,0] neg_hi:[1,0,0]
	s_waitcnt lgkmcnt(3)
	v_pk_fma_f32 v[20:21], v[58:59], v[64:65], v[20:21] op_sel_hi:[0,1,1] neg_lo:[1,0,0] neg_hi:[1,0,0]
	;; [unrolled: 2-line block ×5, first 2 shown]
	v_mov_b32_e32 v29, v58
.LBB98_267:
	s_or_b64 exec, exec, s[0:1]
	v_lshl_add_u32 v58, v61, 2, v55
	s_barrier
	ds_write_b32 v58, v44
	s_waitcnt lgkmcnt(0)
	s_barrier
	ds_read_b32 v60, v55 offset:64
	s_cmp_lt_i32 s22, 18
	v_mov_b32_e32 v58, 16
	s_cbranch_scc1 .LBB98_270
; %bb.268:
	v_add_u32_e32 v62, 0x44, v55
	v_mov_b32_e32 v58, 16
	s_mov_b32 s0, 17
.LBB98_269:                             ; =>This Inner Loop Header: Depth=1
	ds_read_b32 v63, v62
	v_mov_b32_e32 v64, s0
	s_add_i32 s0, s0, 1
	v_add_u32_e32 v62, 4, v62
	s_cmp_lg_u32 s22, s0
	s_waitcnt lgkmcnt(0)
	v_cmp_lt_f32_e64 vcc, |v60|, |v63|
	s_nop 1
	v_cndmask_b32_e32 v60, v60, v63, vcc
	v_cndmask_b32_e32 v58, v58, v64, vcc
	s_cbranch_scc1 .LBB98_269
.LBB98_270:
	s_waitcnt lgkmcnt(0)
	v_cmp_eq_f32_e32 vcc, 0, v60
	s_and_saveexec_b64 s[0:1], vcc
	s_xor_b64 s[0:1], exec, s[0:1]
; %bb.271:
	v_cmp_ne_u32_e32 vcc, 0, v57
	s_nop 1
	v_cndmask_b32_e32 v57, 17, v57, vcc
; %bb.272:
	s_andn2_saveexec_b64 s[0:1], s[0:1]
	s_cbranch_execz .LBB98_274
; %bb.273:
	v_div_scale_f32 v62, s[2:3], v60, v60, 1.0
	v_rcp_f32_e32 v63, v62
	v_div_scale_f32 v64, vcc, 1.0, v60, 1.0
	v_fma_f32 v65, -v62, v63, 1.0
	v_fmac_f32_e32 v63, v65, v63
	v_mul_f32_e32 v65, v64, v63
	v_fma_f32 v66, -v62, v65, v64
	v_fmac_f32_e32 v65, v66, v63
	v_fma_f32 v62, -v62, v65, v64
	v_div_fmas_f32 v62, v62, v63, v65
	v_div_fixup_f32 v60, v62, v60, 1.0
.LBB98_274:
	s_or_b64 exec, exec, s[0:1]
	v_cmp_ne_u32_e32 vcc, v61, v58
	s_and_saveexec_b64 s[0:1], vcc
	s_xor_b64 s[0:1], exec, s[0:1]
	s_cbranch_execz .LBB98_280
; %bb.275:
	v_cmp_eq_u32_e32 vcc, 16, v61
	s_and_saveexec_b64 s[2:3], vcc
	s_cbranch_execz .LBB98_279
; %bb.276:
	v_cmp_ne_u32_e32 vcc, 16, v58
	s_xor_b64 s[12:13], s[20:21], -1
	s_and_b64 s[14:15], s[12:13], vcc
	s_and_saveexec_b64 s[12:13], s[14:15]
	s_cbranch_execz .LBB98_278
; %bb.277:
	v_ashrrev_i32_e32 v59, 31, v58
	v_lshl_add_u64 v[62:63], v[58:59], 2, v[4:5]
	global_load_dword v59, v[62:63], off
	global_load_dword v61, v[4:5], off offset:64
	s_waitcnt vmcnt(1)
	global_store_dword v[4:5], v59, off offset:64
	s_waitcnt vmcnt(1)
	global_store_dword v[62:63], v61, off
.LBB98_278:
	s_or_b64 exec, exec, s[12:13]
	v_mov_b32_e32 v59, v58
	v_mov_b32_e32 v61, v58
.LBB98_279:
	s_or_b64 exec, exec, s[2:3]
.LBB98_280:
	s_andn2_saveexec_b64 s[0:1], s[0:1]
	s_cbranch_execz .LBB98_282
; %bb.281:
	v_pk_mov_b32 v[62:63], v[44:45], v[38:39] op_sel:[1,0]
	ds_write2_b32 v55, v62, v63 offset0:17 offset1:18
	v_pk_mov_b32 v[62:63], v[38:39], v[30:31] op_sel:[1,0]
	ds_write2_b32 v55, v62, v63 offset0:19 offset1:20
	;; [unrolled: 2-line block ×15, first 2 shown]
	v_pk_mov_b32 v[62:63], v[0:1], v[10:11] op_sel:[1,0]
	v_mov_b32_e32 v61, 16
	ds_write2_b32 v55, v62, v63 offset0:47 offset1:48
	ds_write_b32 v55, v11 offset:196
.LBB98_282:
	s_or_b64 exec, exec, s[0:1]
	v_cmp_lt_i32_e32 vcc, 16, v61
	s_waitcnt lgkmcnt(0)
	s_barrier
	s_and_saveexec_b64 s[0:1], vcc
	s_cbranch_execz .LBB98_284
; %bb.283:
	ds_read_b32 v58, v55 offset:68
	ds_read2_b32 v[62:63], v55 offset0:18 offset1:19
	ds_read2_b32 v[64:65], v55 offset0:20 offset1:21
	v_mul_f32_e32 v44, v60, v44
	ds_read2_b32 v[66:67], v55 offset0:22 offset1:23
	s_waitcnt lgkmcnt(3)
	v_fma_f32 v45, -v44, v58, v45
	s_waitcnt lgkmcnt(2)
	v_pk_fma_f32 v[38:39], v[44:45], v[62:63], v[38:39] op_sel_hi:[0,1,1] neg_lo:[1,0,0] neg_hi:[1,0,0]
	s_waitcnt lgkmcnt(1)
	v_pk_fma_f32 v[30:31], v[44:45], v[64:65], v[30:31] op_sel_hi:[0,1,1] neg_lo:[1,0,0] neg_hi:[1,0,0]
	ds_read2_b32 v[62:63], v55 offset0:24 offset1:25
	ds_read2_b32 v[64:65], v55 offset0:26 offset1:27
	;; [unrolled: 1-line block ×3, first 2 shown]
	s_waitcnt lgkmcnt(3)
	v_pk_fma_f32 v[22:23], v[44:45], v[66:67], v[22:23] op_sel_hi:[0,1,1] neg_lo:[1,0,0] neg_hi:[1,0,0]
	ds_read2_b32 v[66:67], v55 offset0:30 offset1:31
	s_waitcnt lgkmcnt(3)
	v_pk_fma_f32 v[40:41], v[44:45], v[62:63], v[40:41] op_sel_hi:[0,1,1] neg_lo:[1,0,0] neg_hi:[1,0,0]
	s_waitcnt lgkmcnt(2)
	v_pk_fma_f32 v[32:33], v[44:45], v[64:65], v[32:33] op_sel_hi:[0,1,1] neg_lo:[1,0,0] neg_hi:[1,0,0]
	;; [unrolled: 2-line block ×3, first 2 shown]
	ds_read2_b32 v[62:63], v55 offset0:32 offset1:33
	ds_read2_b32 v[64:65], v55 offset0:34 offset1:35
	;; [unrolled: 1-line block ×4, first 2 shown]
	s_waitcnt lgkmcnt(4)
	v_pk_fma_f32 v[16:17], v[44:45], v[66:67], v[16:17] op_sel_hi:[0,1,1] neg_lo:[1,0,0] neg_hi:[1,0,0]
	s_waitcnt lgkmcnt(3)
	v_pk_fma_f32 v[34:35], v[44:45], v[62:63], v[34:35] op_sel_hi:[0,1,1] neg_lo:[1,0,0] neg_hi:[1,0,0]
	;; [unrolled: 2-line block ×5, first 2 shown]
	ds_read2_b32 v[62:63], v55 offset0:40 offset1:41
	ds_read2_b32 v[64:65], v55 offset0:42 offset1:43
	;; [unrolled: 1-line block ×5, first 2 shown]
	s_waitcnt lgkmcnt(4)
	v_pk_fma_f32 v[12:13], v[44:45], v[62:63], v[12:13] op_sel_hi:[0,1,1] neg_lo:[1,0,0] neg_hi:[1,0,0]
	s_waitcnt lgkmcnt(3)
	v_pk_fma_f32 v[20:21], v[44:45], v[64:65], v[20:21] op_sel_hi:[0,1,1] neg_lo:[1,0,0] neg_hi:[1,0,0]
	;; [unrolled: 2-line block ×5, first 2 shown]
.LBB98_284:
	s_or_b64 exec, exec, s[0:1]
	v_lshl_add_u32 v58, v61, 2, v55
	s_barrier
	ds_write_b32 v58, v45
	s_waitcnt lgkmcnt(0)
	s_barrier
	ds_read_b32 v60, v55 offset:68
	s_cmp_lt_i32 s22, 19
	v_mov_b32_e32 v58, 17
	s_cbranch_scc1 .LBB98_287
; %bb.285:
	v_add_u32_e32 v62, 0x48, v55
	v_mov_b32_e32 v58, 17
	s_mov_b32 s0, 18
.LBB98_286:                             ; =>This Inner Loop Header: Depth=1
	ds_read_b32 v63, v62
	v_mov_b32_e32 v64, s0
	s_add_i32 s0, s0, 1
	v_add_u32_e32 v62, 4, v62
	s_cmp_lg_u32 s22, s0
	s_waitcnt lgkmcnt(0)
	v_cmp_lt_f32_e64 vcc, |v60|, |v63|
	s_nop 1
	v_cndmask_b32_e32 v60, v60, v63, vcc
	v_cndmask_b32_e32 v58, v58, v64, vcc
	s_cbranch_scc1 .LBB98_286
.LBB98_287:
	s_waitcnt lgkmcnt(0)
	v_cmp_eq_f32_e32 vcc, 0, v60
	s_and_saveexec_b64 s[0:1], vcc
	s_xor_b64 s[0:1], exec, s[0:1]
; %bb.288:
	v_cmp_ne_u32_e32 vcc, 0, v57
	s_nop 1
	v_cndmask_b32_e32 v57, 18, v57, vcc
; %bb.289:
	s_andn2_saveexec_b64 s[0:1], s[0:1]
	s_cbranch_execz .LBB98_291
; %bb.290:
	v_div_scale_f32 v62, s[2:3], v60, v60, 1.0
	v_rcp_f32_e32 v63, v62
	v_div_scale_f32 v64, vcc, 1.0, v60, 1.0
	v_fma_f32 v65, -v62, v63, 1.0
	v_fmac_f32_e32 v63, v65, v63
	v_mul_f32_e32 v65, v64, v63
	v_fma_f32 v66, -v62, v65, v64
	v_fmac_f32_e32 v65, v66, v63
	v_fma_f32 v62, -v62, v65, v64
	v_div_fmas_f32 v62, v62, v63, v65
	v_div_fixup_f32 v60, v62, v60, 1.0
.LBB98_291:
	s_or_b64 exec, exec, s[0:1]
	v_cmp_ne_u32_e32 vcc, v61, v58
	s_and_saveexec_b64 s[0:1], vcc
	s_xor_b64 s[0:1], exec, s[0:1]
	s_cbranch_execz .LBB98_297
; %bb.292:
	v_cmp_eq_u32_e32 vcc, 17, v61
	s_and_saveexec_b64 s[2:3], vcc
	s_cbranch_execz .LBB98_296
; %bb.293:
	v_cmp_ne_u32_e32 vcc, 17, v58
	s_xor_b64 s[12:13], s[20:21], -1
	s_and_b64 s[14:15], s[12:13], vcc
	s_and_saveexec_b64 s[12:13], s[14:15]
	s_cbranch_execz .LBB98_295
; %bb.294:
	v_ashrrev_i32_e32 v59, 31, v58
	v_lshl_add_u64 v[62:63], v[58:59], 2, v[4:5]
	global_load_dword v59, v[62:63], off
	global_load_dword v61, v[4:5], off offset:68
	s_waitcnt vmcnt(1)
	global_store_dword v[4:5], v59, off offset:68
	s_waitcnt vmcnt(1)
	global_store_dword v[62:63], v61, off
.LBB98_295:
	s_or_b64 exec, exec, s[12:13]
	v_mov_b32_e32 v59, v58
	v_mov_b32_e32 v61, v58
.LBB98_296:
	s_or_b64 exec, exec, s[2:3]
.LBB98_297:
	s_andn2_saveexec_b64 s[0:1], s[0:1]
	s_cbranch_execz .LBB98_299
; %bb.298:
	v_mov_b32_e32 v61, 17
	ds_write2_b32 v55, v38, v39 offset0:18 offset1:19
	ds_write2_b32 v55, v30, v31 offset0:20 offset1:21
	;; [unrolled: 1-line block ×16, first 2 shown]
.LBB98_299:
	s_or_b64 exec, exec, s[0:1]
	v_cmp_lt_i32_e32 vcc, 17, v61
	s_waitcnt lgkmcnt(0)
	s_barrier
	s_and_saveexec_b64 s[0:1], vcc
	s_cbranch_execz .LBB98_301
; %bb.300:
	ds_read2_b32 v[62:63], v55 offset0:18 offset1:19
	ds_read2_b32 v[64:65], v55 offset0:20 offset1:21
	ds_read2_b32 v[66:67], v55 offset0:22 offset1:23
	v_mul_f32_e32 v58, v60, v45
	ds_read2_b32 v[68:69], v55 offset0:24 offset1:25
	s_waitcnt lgkmcnt(3)
	v_pk_fma_f32 v[38:39], v[58:59], v[62:63], v[38:39] op_sel_hi:[0,1,1] neg_lo:[1,0,0] neg_hi:[1,0,0]
	s_waitcnt lgkmcnt(2)
	v_pk_fma_f32 v[30:31], v[58:59], v[64:65], v[30:31] op_sel_hi:[0,1,1] neg_lo:[1,0,0] neg_hi:[1,0,0]
	;; [unrolled: 2-line block ×3, first 2 shown]
	ds_read2_b32 v[62:63], v55 offset0:26 offset1:27
	ds_read2_b32 v[64:65], v55 offset0:28 offset1:29
	;; [unrolled: 1-line block ×3, first 2 shown]
	s_waitcnt lgkmcnt(3)
	v_pk_fma_f32 v[40:41], v[58:59], v[68:69], v[40:41] op_sel_hi:[0,1,1] neg_lo:[1,0,0] neg_hi:[1,0,0]
	ds_read2_b32 v[68:69], v55 offset0:32 offset1:33
	s_waitcnt lgkmcnt(3)
	v_pk_fma_f32 v[32:33], v[58:59], v[62:63], v[32:33] op_sel_hi:[0,1,1] neg_lo:[1,0,0] neg_hi:[1,0,0]
	s_waitcnt lgkmcnt(2)
	v_pk_fma_f32 v[24:25], v[58:59], v[64:65], v[24:25] op_sel_hi:[0,1,1] neg_lo:[1,0,0] neg_hi:[1,0,0]
	;; [unrolled: 2-line block ×3, first 2 shown]
	ds_read2_b32 v[62:63], v55 offset0:34 offset1:35
	ds_read2_b32 v[64:65], v55 offset0:36 offset1:37
	ds_read2_b32 v[66:67], v55 offset0:38 offset1:39
	s_waitcnt lgkmcnt(3)
	v_pk_fma_f32 v[34:35], v[58:59], v[68:69], v[34:35] op_sel_hi:[0,1,1] neg_lo:[1,0,0] neg_hi:[1,0,0]
	ds_read2_b32 v[68:69], v55 offset0:40 offset1:41
	s_waitcnt lgkmcnt(3)
	v_pk_fma_f32 v[26:27], v[58:59], v[62:63], v[26:27] op_sel_hi:[0,1,1] neg_lo:[1,0,0] neg_hi:[1,0,0]
	s_waitcnt lgkmcnt(2)
	v_pk_fma_f32 v[18:19], v[58:59], v[64:65], v[18:19] op_sel_hi:[0,1,1] neg_lo:[1,0,0] neg_hi:[1,0,0]
	;; [unrolled: 2-line block ×3, first 2 shown]
	ds_read2_b32 v[62:63], v55 offset0:42 offset1:43
	ds_read2_b32 v[64:65], v55 offset0:44 offset1:45
	;; [unrolled: 1-line block ×4, first 2 shown]
	s_waitcnt lgkmcnt(4)
	v_pk_fma_f32 v[12:13], v[58:59], v[68:69], v[12:13] op_sel_hi:[0,1,1] neg_lo:[1,0,0] neg_hi:[1,0,0]
	s_waitcnt lgkmcnt(3)
	v_pk_fma_f32 v[20:21], v[58:59], v[62:63], v[20:21] op_sel_hi:[0,1,1] neg_lo:[1,0,0] neg_hi:[1,0,0]
	;; [unrolled: 2-line block ×5, first 2 shown]
	v_mov_b32_e32 v45, v58
.LBB98_301:
	s_or_b64 exec, exec, s[0:1]
	v_lshl_add_u32 v58, v61, 2, v55
	s_barrier
	ds_write_b32 v58, v38
	s_waitcnt lgkmcnt(0)
	s_barrier
	ds_read_b32 v60, v55 offset:72
	s_cmp_lt_i32 s22, 20
	v_mov_b32_e32 v58, 18
	s_cbranch_scc1 .LBB98_304
; %bb.302:
	v_add_u32_e32 v62, 0x4c, v55
	v_mov_b32_e32 v58, 18
	s_mov_b32 s0, 19
.LBB98_303:                             ; =>This Inner Loop Header: Depth=1
	ds_read_b32 v63, v62
	v_mov_b32_e32 v64, s0
	s_add_i32 s0, s0, 1
	v_add_u32_e32 v62, 4, v62
	s_cmp_lg_u32 s22, s0
	s_waitcnt lgkmcnt(0)
	v_cmp_lt_f32_e64 vcc, |v60|, |v63|
	s_nop 1
	v_cndmask_b32_e32 v60, v60, v63, vcc
	v_cndmask_b32_e32 v58, v58, v64, vcc
	s_cbranch_scc1 .LBB98_303
.LBB98_304:
	s_waitcnt lgkmcnt(0)
	v_cmp_eq_f32_e32 vcc, 0, v60
	s_and_saveexec_b64 s[0:1], vcc
	s_xor_b64 s[0:1], exec, s[0:1]
; %bb.305:
	v_cmp_ne_u32_e32 vcc, 0, v57
	s_nop 1
	v_cndmask_b32_e32 v57, 19, v57, vcc
; %bb.306:
	s_andn2_saveexec_b64 s[0:1], s[0:1]
	s_cbranch_execz .LBB98_308
; %bb.307:
	v_div_scale_f32 v62, s[2:3], v60, v60, 1.0
	v_rcp_f32_e32 v63, v62
	v_div_scale_f32 v64, vcc, 1.0, v60, 1.0
	v_fma_f32 v65, -v62, v63, 1.0
	v_fmac_f32_e32 v63, v65, v63
	v_mul_f32_e32 v65, v64, v63
	v_fma_f32 v66, -v62, v65, v64
	v_fmac_f32_e32 v65, v66, v63
	v_fma_f32 v62, -v62, v65, v64
	v_div_fmas_f32 v62, v62, v63, v65
	v_div_fixup_f32 v60, v62, v60, 1.0
.LBB98_308:
	s_or_b64 exec, exec, s[0:1]
	v_cmp_ne_u32_e32 vcc, v61, v58
	s_and_saveexec_b64 s[0:1], vcc
	s_xor_b64 s[0:1], exec, s[0:1]
	s_cbranch_execz .LBB98_314
; %bb.309:
	v_cmp_eq_u32_e32 vcc, 18, v61
	s_and_saveexec_b64 s[2:3], vcc
	s_cbranch_execz .LBB98_313
; %bb.310:
	v_cmp_ne_u32_e32 vcc, 18, v58
	s_xor_b64 s[12:13], s[20:21], -1
	s_and_b64 s[14:15], s[12:13], vcc
	s_and_saveexec_b64 s[12:13], s[14:15]
	s_cbranch_execz .LBB98_312
; %bb.311:
	v_ashrrev_i32_e32 v59, 31, v58
	v_lshl_add_u64 v[62:63], v[58:59], 2, v[4:5]
	global_load_dword v59, v[62:63], off
	global_load_dword v61, v[4:5], off offset:72
	s_waitcnt vmcnt(1)
	global_store_dword v[4:5], v59, off offset:72
	s_waitcnt vmcnt(1)
	global_store_dword v[62:63], v61, off
.LBB98_312:
	s_or_b64 exec, exec, s[12:13]
	v_mov_b32_e32 v59, v58
	v_mov_b32_e32 v61, v58
.LBB98_313:
	s_or_b64 exec, exec, s[2:3]
.LBB98_314:
	s_andn2_saveexec_b64 s[0:1], s[0:1]
	s_cbranch_execz .LBB98_316
; %bb.315:
	v_pk_mov_b32 v[62:63], v[38:39], v[30:31] op_sel:[1,0]
	ds_write2_b32 v55, v62, v63 offset0:19 offset1:20
	v_pk_mov_b32 v[62:63], v[30:31], v[22:23] op_sel:[1,0]
	ds_write2_b32 v55, v62, v63 offset0:21 offset1:22
	;; [unrolled: 2-line block ×14, first 2 shown]
	v_pk_mov_b32 v[62:63], v[0:1], v[10:11] op_sel:[1,0]
	v_mov_b32_e32 v61, 18
	ds_write2_b32 v55, v62, v63 offset0:47 offset1:48
	ds_write_b32 v55, v11 offset:196
.LBB98_316:
	s_or_b64 exec, exec, s[0:1]
	v_cmp_lt_i32_e32 vcc, 18, v61
	s_waitcnt lgkmcnt(0)
	s_barrier
	s_and_saveexec_b64 s[0:1], vcc
	s_cbranch_execz .LBB98_318
; %bb.317:
	ds_read_b32 v58, v55 offset:76
	ds_read2_b32 v[62:63], v55 offset0:20 offset1:21
	ds_read2_b32 v[64:65], v55 offset0:22 offset1:23
	v_mul_f32_e32 v38, v60, v38
	ds_read2_b32 v[66:67], v55 offset0:24 offset1:25
	s_waitcnt lgkmcnt(3)
	v_fma_f32 v39, -v38, v58, v39
	s_waitcnt lgkmcnt(2)
	v_pk_fma_f32 v[30:31], v[38:39], v[62:63], v[30:31] op_sel_hi:[0,1,1] neg_lo:[1,0,0] neg_hi:[1,0,0]
	s_waitcnt lgkmcnt(1)
	v_pk_fma_f32 v[22:23], v[38:39], v[64:65], v[22:23] op_sel_hi:[0,1,1] neg_lo:[1,0,0] neg_hi:[1,0,0]
	ds_read2_b32 v[62:63], v55 offset0:26 offset1:27
	ds_read2_b32 v[64:65], v55 offset0:28 offset1:29
	;; [unrolled: 1-line block ×3, first 2 shown]
	s_waitcnt lgkmcnt(3)
	v_pk_fma_f32 v[40:41], v[38:39], v[66:67], v[40:41] op_sel_hi:[0,1,1] neg_lo:[1,0,0] neg_hi:[1,0,0]
	ds_read2_b32 v[66:67], v55 offset0:32 offset1:33
	s_waitcnt lgkmcnt(3)
	v_pk_fma_f32 v[32:33], v[38:39], v[62:63], v[32:33] op_sel_hi:[0,1,1] neg_lo:[1,0,0] neg_hi:[1,0,0]
	s_waitcnt lgkmcnt(2)
	v_pk_fma_f32 v[24:25], v[38:39], v[64:65], v[24:25] op_sel_hi:[0,1,1] neg_lo:[1,0,0] neg_hi:[1,0,0]
	s_waitcnt lgkmcnt(1)
	v_pk_fma_f32 v[16:17], v[38:39], v[68:69], v[16:17] op_sel_hi:[0,1,1] neg_lo:[1,0,0] neg_hi:[1,0,0]
	ds_read2_b32 v[62:63], v55 offset0:34 offset1:35
	ds_read2_b32 v[64:65], v55 offset0:36 offset1:37
	;; [unrolled: 1-line block ×3, first 2 shown]
	s_waitcnt lgkmcnt(3)
	v_pk_fma_f32 v[34:35], v[38:39], v[66:67], v[34:35] op_sel_hi:[0,1,1] neg_lo:[1,0,0] neg_hi:[1,0,0]
	ds_read2_b32 v[66:67], v55 offset0:40 offset1:41
	s_waitcnt lgkmcnt(3)
	v_pk_fma_f32 v[26:27], v[38:39], v[62:63], v[26:27] op_sel_hi:[0,1,1] neg_lo:[1,0,0] neg_hi:[1,0,0]
	s_waitcnt lgkmcnt(2)
	v_pk_fma_f32 v[18:19], v[38:39], v[64:65], v[18:19] op_sel_hi:[0,1,1] neg_lo:[1,0,0] neg_hi:[1,0,0]
	;; [unrolled: 2-line block ×3, first 2 shown]
	ds_read2_b32 v[62:63], v55 offset0:42 offset1:43
	ds_read2_b32 v[64:65], v55 offset0:44 offset1:45
	;; [unrolled: 1-line block ×4, first 2 shown]
	s_waitcnt lgkmcnt(4)
	v_pk_fma_f32 v[12:13], v[38:39], v[66:67], v[12:13] op_sel_hi:[0,1,1] neg_lo:[1,0,0] neg_hi:[1,0,0]
	s_waitcnt lgkmcnt(3)
	v_pk_fma_f32 v[20:21], v[38:39], v[62:63], v[20:21] op_sel_hi:[0,1,1] neg_lo:[1,0,0] neg_hi:[1,0,0]
	;; [unrolled: 2-line block ×5, first 2 shown]
.LBB98_318:
	s_or_b64 exec, exec, s[0:1]
	v_lshl_add_u32 v58, v61, 2, v55
	s_barrier
	ds_write_b32 v58, v39
	s_waitcnt lgkmcnt(0)
	s_barrier
	ds_read_b32 v60, v55 offset:76
	s_cmp_lt_i32 s22, 21
	v_mov_b32_e32 v58, 19
	s_cbranch_scc1 .LBB98_321
; %bb.319:
	v_add_u32_e32 v62, 0x50, v55
	v_mov_b32_e32 v58, 19
	s_mov_b32 s0, 20
.LBB98_320:                             ; =>This Inner Loop Header: Depth=1
	ds_read_b32 v63, v62
	v_mov_b32_e32 v64, s0
	s_add_i32 s0, s0, 1
	v_add_u32_e32 v62, 4, v62
	s_cmp_lg_u32 s22, s0
	s_waitcnt lgkmcnt(0)
	v_cmp_lt_f32_e64 vcc, |v60|, |v63|
	s_nop 1
	v_cndmask_b32_e32 v60, v60, v63, vcc
	v_cndmask_b32_e32 v58, v58, v64, vcc
	s_cbranch_scc1 .LBB98_320
.LBB98_321:
	s_waitcnt lgkmcnt(0)
	v_cmp_eq_f32_e32 vcc, 0, v60
	s_and_saveexec_b64 s[0:1], vcc
	s_xor_b64 s[0:1], exec, s[0:1]
; %bb.322:
	v_cmp_ne_u32_e32 vcc, 0, v57
	s_nop 1
	v_cndmask_b32_e32 v57, 20, v57, vcc
; %bb.323:
	s_andn2_saveexec_b64 s[0:1], s[0:1]
	s_cbranch_execz .LBB98_325
; %bb.324:
	v_div_scale_f32 v62, s[2:3], v60, v60, 1.0
	v_rcp_f32_e32 v63, v62
	v_div_scale_f32 v64, vcc, 1.0, v60, 1.0
	v_fma_f32 v65, -v62, v63, 1.0
	v_fmac_f32_e32 v63, v65, v63
	v_mul_f32_e32 v65, v64, v63
	v_fma_f32 v66, -v62, v65, v64
	v_fmac_f32_e32 v65, v66, v63
	v_fma_f32 v62, -v62, v65, v64
	v_div_fmas_f32 v62, v62, v63, v65
	v_div_fixup_f32 v60, v62, v60, 1.0
.LBB98_325:
	s_or_b64 exec, exec, s[0:1]
	v_cmp_ne_u32_e32 vcc, v61, v58
	s_and_saveexec_b64 s[0:1], vcc
	s_xor_b64 s[0:1], exec, s[0:1]
	s_cbranch_execz .LBB98_331
; %bb.326:
	v_cmp_eq_u32_e32 vcc, 19, v61
	s_and_saveexec_b64 s[2:3], vcc
	s_cbranch_execz .LBB98_330
; %bb.327:
	v_cmp_ne_u32_e32 vcc, 19, v58
	s_xor_b64 s[12:13], s[20:21], -1
	s_and_b64 s[14:15], s[12:13], vcc
	s_and_saveexec_b64 s[12:13], s[14:15]
	s_cbranch_execz .LBB98_329
; %bb.328:
	v_ashrrev_i32_e32 v59, 31, v58
	v_lshl_add_u64 v[62:63], v[58:59], 2, v[4:5]
	global_load_dword v59, v[62:63], off
	global_load_dword v61, v[4:5], off offset:76
	s_waitcnt vmcnt(1)
	global_store_dword v[4:5], v59, off offset:76
	s_waitcnt vmcnt(1)
	global_store_dword v[62:63], v61, off
.LBB98_329:
	s_or_b64 exec, exec, s[12:13]
	v_mov_b32_e32 v59, v58
	v_mov_b32_e32 v61, v58
.LBB98_330:
	s_or_b64 exec, exec, s[2:3]
.LBB98_331:
	s_andn2_saveexec_b64 s[0:1], s[0:1]
	s_cbranch_execz .LBB98_333
; %bb.332:
	v_mov_b32_e32 v61, 19
	ds_write2_b32 v55, v30, v31 offset0:20 offset1:21
	ds_write2_b32 v55, v22, v23 offset0:22 offset1:23
	;; [unrolled: 1-line block ×15, first 2 shown]
.LBB98_333:
	s_or_b64 exec, exec, s[0:1]
	v_cmp_lt_i32_e32 vcc, 19, v61
	s_waitcnt lgkmcnt(0)
	s_barrier
	s_and_saveexec_b64 s[0:1], vcc
	s_cbranch_execz .LBB98_335
; %bb.334:
	ds_read2_b32 v[62:63], v55 offset0:20 offset1:21
	ds_read2_b32 v[64:65], v55 offset0:22 offset1:23
	;; [unrolled: 1-line block ×3, first 2 shown]
	v_mul_f32_e32 v58, v60, v39
	ds_read2_b32 v[68:69], v55 offset0:26 offset1:27
	s_waitcnt lgkmcnt(3)
	v_pk_fma_f32 v[30:31], v[58:59], v[62:63], v[30:31] op_sel_hi:[0,1,1] neg_lo:[1,0,0] neg_hi:[1,0,0]
	s_waitcnt lgkmcnt(2)
	v_pk_fma_f32 v[22:23], v[58:59], v[64:65], v[22:23] op_sel_hi:[0,1,1] neg_lo:[1,0,0] neg_hi:[1,0,0]
	;; [unrolled: 2-line block ×3, first 2 shown]
	ds_read2_b32 v[62:63], v55 offset0:28 offset1:29
	ds_read2_b32 v[64:65], v55 offset0:30 offset1:31
	;; [unrolled: 1-line block ×3, first 2 shown]
	s_waitcnt lgkmcnt(3)
	v_pk_fma_f32 v[32:33], v[58:59], v[68:69], v[32:33] op_sel_hi:[0,1,1] neg_lo:[1,0,0] neg_hi:[1,0,0]
	ds_read2_b32 v[68:69], v55 offset0:34 offset1:35
	s_waitcnt lgkmcnt(3)
	v_pk_fma_f32 v[24:25], v[58:59], v[62:63], v[24:25] op_sel_hi:[0,1,1] neg_lo:[1,0,0] neg_hi:[1,0,0]
	s_waitcnt lgkmcnt(2)
	v_pk_fma_f32 v[16:17], v[58:59], v[64:65], v[16:17] op_sel_hi:[0,1,1] neg_lo:[1,0,0] neg_hi:[1,0,0]
	ds_read2_b32 v[62:63], v55 offset0:36 offset1:37
	ds_read2_b32 v[64:65], v55 offset0:38 offset1:39
	s_waitcnt lgkmcnt(3)
	v_pk_fma_f32 v[34:35], v[58:59], v[66:67], v[34:35] op_sel_hi:[0,1,1] neg_lo:[1,0,0] neg_hi:[1,0,0]
	s_waitcnt lgkmcnt(2)
	v_pk_fma_f32 v[26:27], v[58:59], v[68:69], v[26:27] op_sel_hi:[0,1,1] neg_lo:[1,0,0] neg_hi:[1,0,0]
	ds_read2_b32 v[66:67], v55 offset0:40 offset1:41
	;; [unrolled: 6-line block ×3, first 2 shown]
	ds_read2_b32 v[64:65], v55 offset0:46 offset1:47
	ds_read2_b32 v[70:71], v55 offset0:48 offset1:49
	s_waitcnt lgkmcnt(4)
	v_pk_fma_f32 v[12:13], v[58:59], v[66:67], v[12:13] op_sel_hi:[0,1,1] neg_lo:[1,0,0] neg_hi:[1,0,0]
	s_waitcnt lgkmcnt(3)
	v_pk_fma_f32 v[20:21], v[58:59], v[68:69], v[20:21] op_sel_hi:[0,1,1] neg_lo:[1,0,0] neg_hi:[1,0,0]
	;; [unrolled: 2-line block ×5, first 2 shown]
	v_mov_b32_e32 v39, v58
.LBB98_335:
	s_or_b64 exec, exec, s[0:1]
	v_lshl_add_u32 v58, v61, 2, v55
	s_barrier
	ds_write_b32 v58, v30
	s_waitcnt lgkmcnt(0)
	s_barrier
	ds_read_b32 v60, v55 offset:80
	s_cmp_lt_i32 s22, 22
	v_mov_b32_e32 v58, 20
	s_cbranch_scc1 .LBB98_338
; %bb.336:
	v_add_u32_e32 v62, 0x54, v55
	v_mov_b32_e32 v58, 20
	s_mov_b32 s0, 21
.LBB98_337:                             ; =>This Inner Loop Header: Depth=1
	ds_read_b32 v63, v62
	v_mov_b32_e32 v64, s0
	s_add_i32 s0, s0, 1
	v_add_u32_e32 v62, 4, v62
	s_cmp_lg_u32 s22, s0
	s_waitcnt lgkmcnt(0)
	v_cmp_lt_f32_e64 vcc, |v60|, |v63|
	s_nop 1
	v_cndmask_b32_e32 v60, v60, v63, vcc
	v_cndmask_b32_e32 v58, v58, v64, vcc
	s_cbranch_scc1 .LBB98_337
.LBB98_338:
	s_waitcnt lgkmcnt(0)
	v_cmp_eq_f32_e32 vcc, 0, v60
	s_and_saveexec_b64 s[0:1], vcc
	s_xor_b64 s[0:1], exec, s[0:1]
; %bb.339:
	v_cmp_ne_u32_e32 vcc, 0, v57
	s_nop 1
	v_cndmask_b32_e32 v57, 21, v57, vcc
; %bb.340:
	s_andn2_saveexec_b64 s[0:1], s[0:1]
	s_cbranch_execz .LBB98_342
; %bb.341:
	v_div_scale_f32 v62, s[2:3], v60, v60, 1.0
	v_rcp_f32_e32 v63, v62
	v_div_scale_f32 v64, vcc, 1.0, v60, 1.0
	v_fma_f32 v65, -v62, v63, 1.0
	v_fmac_f32_e32 v63, v65, v63
	v_mul_f32_e32 v65, v64, v63
	v_fma_f32 v66, -v62, v65, v64
	v_fmac_f32_e32 v65, v66, v63
	v_fma_f32 v62, -v62, v65, v64
	v_div_fmas_f32 v62, v62, v63, v65
	v_div_fixup_f32 v60, v62, v60, 1.0
.LBB98_342:
	s_or_b64 exec, exec, s[0:1]
	v_cmp_ne_u32_e32 vcc, v61, v58
	s_and_saveexec_b64 s[0:1], vcc
	s_xor_b64 s[0:1], exec, s[0:1]
	s_cbranch_execz .LBB98_348
; %bb.343:
	v_cmp_eq_u32_e32 vcc, 20, v61
	s_and_saveexec_b64 s[2:3], vcc
	s_cbranch_execz .LBB98_347
; %bb.344:
	v_cmp_ne_u32_e32 vcc, 20, v58
	s_xor_b64 s[12:13], s[20:21], -1
	s_and_b64 s[14:15], s[12:13], vcc
	s_and_saveexec_b64 s[12:13], s[14:15]
	s_cbranch_execz .LBB98_346
; %bb.345:
	v_ashrrev_i32_e32 v59, 31, v58
	v_lshl_add_u64 v[62:63], v[58:59], 2, v[4:5]
	global_load_dword v59, v[62:63], off
	global_load_dword v61, v[4:5], off offset:80
	s_waitcnt vmcnt(1)
	global_store_dword v[4:5], v59, off offset:80
	s_waitcnt vmcnt(1)
	global_store_dword v[62:63], v61, off
.LBB98_346:
	s_or_b64 exec, exec, s[12:13]
	v_mov_b32_e32 v59, v58
	v_mov_b32_e32 v61, v58
.LBB98_347:
	s_or_b64 exec, exec, s[2:3]
.LBB98_348:
	s_andn2_saveexec_b64 s[0:1], s[0:1]
	s_cbranch_execz .LBB98_350
; %bb.349:
	v_pk_mov_b32 v[62:63], v[30:31], v[22:23] op_sel:[1,0]
	ds_write2_b32 v55, v62, v63 offset0:21 offset1:22
	v_pk_mov_b32 v[62:63], v[22:23], v[40:41] op_sel:[1,0]
	ds_write2_b32 v55, v62, v63 offset0:23 offset1:24
	v_pk_mov_b32 v[62:63], v[40:41], v[32:33] op_sel:[1,0]
	ds_write2_b32 v55, v62, v63 offset0:25 offset1:26
	v_pk_mov_b32 v[62:63], v[32:33], v[24:25] op_sel:[1,0]
	ds_write2_b32 v55, v62, v63 offset0:27 offset1:28
	v_pk_mov_b32 v[62:63], v[24:25], v[16:17] op_sel:[1,0]
	ds_write2_b32 v55, v62, v63 offset0:29 offset1:30
	v_pk_mov_b32 v[62:63], v[16:17], v[34:35] op_sel:[1,0]
	ds_write2_b32 v55, v62, v63 offset0:31 offset1:32
	v_pk_mov_b32 v[62:63], v[34:35], v[26:27] op_sel:[1,0]
	ds_write2_b32 v55, v62, v63 offset0:33 offset1:34
	v_pk_mov_b32 v[62:63], v[26:27], v[18:19] op_sel:[1,0]
	ds_write2_b32 v55, v62, v63 offset0:35 offset1:36
	v_pk_mov_b32 v[62:63], v[18:19], v[8:9] op_sel:[1,0]
	ds_write2_b32 v55, v62, v63 offset0:37 offset1:38
	v_pk_mov_b32 v[62:63], v[8:9], v[12:13] op_sel:[1,0]
	ds_write2_b32 v55, v62, v63 offset0:39 offset1:40
	v_pk_mov_b32 v[62:63], v[12:13], v[20:21] op_sel:[1,0]
	ds_write2_b32 v55, v62, v63 offset0:41 offset1:42
	v_pk_mov_b32 v[62:63], v[20:21], v[14:15] op_sel:[1,0]
	ds_write2_b32 v55, v62, v63 offset0:43 offset1:44
	v_pk_mov_b32 v[62:63], v[14:15], v[0:1] op_sel:[1,0]
	ds_write2_b32 v55, v62, v63 offset0:45 offset1:46
	v_pk_mov_b32 v[62:63], v[0:1], v[10:11] op_sel:[1,0]
	v_mov_b32_e32 v61, 20
	ds_write2_b32 v55, v62, v63 offset0:47 offset1:48
	ds_write_b32 v55, v11 offset:196
.LBB98_350:
	s_or_b64 exec, exec, s[0:1]
	v_cmp_lt_i32_e32 vcc, 20, v61
	s_waitcnt lgkmcnt(0)
	s_barrier
	s_and_saveexec_b64 s[0:1], vcc
	s_cbranch_execz .LBB98_352
; %bb.351:
	ds_read_b32 v58, v55 offset:84
	ds_read2_b32 v[62:63], v55 offset0:22 offset1:23
	ds_read2_b32 v[64:65], v55 offset0:24 offset1:25
	v_mul_f32_e32 v30, v60, v30
	ds_read2_b32 v[66:67], v55 offset0:26 offset1:27
	s_waitcnt lgkmcnt(3)
	v_fma_f32 v31, -v30, v58, v31
	s_waitcnt lgkmcnt(2)
	v_pk_fma_f32 v[22:23], v[30:31], v[62:63], v[22:23] op_sel_hi:[0,1,1] neg_lo:[1,0,0] neg_hi:[1,0,0]
	s_waitcnt lgkmcnt(1)
	v_pk_fma_f32 v[40:41], v[30:31], v[64:65], v[40:41] op_sel_hi:[0,1,1] neg_lo:[1,0,0] neg_hi:[1,0,0]
	ds_read2_b32 v[62:63], v55 offset0:28 offset1:29
	ds_read2_b32 v[64:65], v55 offset0:30 offset1:31
	;; [unrolled: 1-line block ×3, first 2 shown]
	s_waitcnt lgkmcnt(3)
	v_pk_fma_f32 v[32:33], v[30:31], v[66:67], v[32:33] op_sel_hi:[0,1,1] neg_lo:[1,0,0] neg_hi:[1,0,0]
	ds_read2_b32 v[66:67], v55 offset0:34 offset1:35
	s_waitcnt lgkmcnt(3)
	v_pk_fma_f32 v[24:25], v[30:31], v[62:63], v[24:25] op_sel_hi:[0,1,1] neg_lo:[1,0,0] neg_hi:[1,0,0]
	s_waitcnt lgkmcnt(2)
	v_pk_fma_f32 v[16:17], v[30:31], v[64:65], v[16:17] op_sel_hi:[0,1,1] neg_lo:[1,0,0] neg_hi:[1,0,0]
	ds_read2_b32 v[62:63], v55 offset0:36 offset1:37
	ds_read2_b32 v[64:65], v55 offset0:38 offset1:39
	s_waitcnt lgkmcnt(3)
	v_pk_fma_f32 v[34:35], v[30:31], v[68:69], v[34:35] op_sel_hi:[0,1,1] neg_lo:[1,0,0] neg_hi:[1,0,0]
	s_waitcnt lgkmcnt(2)
	v_pk_fma_f32 v[26:27], v[30:31], v[66:67], v[26:27] op_sel_hi:[0,1,1] neg_lo:[1,0,0] neg_hi:[1,0,0]
	ds_read2_b32 v[66:67], v55 offset0:40 offset1:41
	;; [unrolled: 6-line block ×3, first 2 shown]
	ds_read2_b32 v[64:65], v55 offset0:46 offset1:47
	ds_read2_b32 v[70:71], v55 offset0:48 offset1:49
	s_waitcnt lgkmcnt(4)
	v_pk_fma_f32 v[12:13], v[30:31], v[66:67], v[12:13] op_sel_hi:[0,1,1] neg_lo:[1,0,0] neg_hi:[1,0,0]
	s_waitcnt lgkmcnt(3)
	v_pk_fma_f32 v[20:21], v[30:31], v[68:69], v[20:21] op_sel_hi:[0,1,1] neg_lo:[1,0,0] neg_hi:[1,0,0]
	;; [unrolled: 2-line block ×5, first 2 shown]
.LBB98_352:
	s_or_b64 exec, exec, s[0:1]
	v_lshl_add_u32 v58, v61, 2, v55
	s_barrier
	ds_write_b32 v58, v31
	s_waitcnt lgkmcnt(0)
	s_barrier
	ds_read_b32 v60, v55 offset:84
	s_cmp_lt_i32 s22, 23
	v_mov_b32_e32 v58, 21
	s_cbranch_scc1 .LBB98_355
; %bb.353:
	v_add_u32_e32 v62, 0x58, v55
	v_mov_b32_e32 v58, 21
	s_mov_b32 s0, 22
.LBB98_354:                             ; =>This Inner Loop Header: Depth=1
	ds_read_b32 v63, v62
	v_mov_b32_e32 v64, s0
	s_add_i32 s0, s0, 1
	v_add_u32_e32 v62, 4, v62
	s_cmp_lg_u32 s22, s0
	s_waitcnt lgkmcnt(0)
	v_cmp_lt_f32_e64 vcc, |v60|, |v63|
	s_nop 1
	v_cndmask_b32_e32 v60, v60, v63, vcc
	v_cndmask_b32_e32 v58, v58, v64, vcc
	s_cbranch_scc1 .LBB98_354
.LBB98_355:
	s_waitcnt lgkmcnt(0)
	v_cmp_eq_f32_e32 vcc, 0, v60
	s_and_saveexec_b64 s[0:1], vcc
	s_xor_b64 s[0:1], exec, s[0:1]
; %bb.356:
	v_cmp_ne_u32_e32 vcc, 0, v57
	s_nop 1
	v_cndmask_b32_e32 v57, 22, v57, vcc
; %bb.357:
	s_andn2_saveexec_b64 s[0:1], s[0:1]
	s_cbranch_execz .LBB98_359
; %bb.358:
	v_div_scale_f32 v62, s[2:3], v60, v60, 1.0
	v_rcp_f32_e32 v63, v62
	v_div_scale_f32 v64, vcc, 1.0, v60, 1.0
	v_fma_f32 v65, -v62, v63, 1.0
	v_fmac_f32_e32 v63, v65, v63
	v_mul_f32_e32 v65, v64, v63
	v_fma_f32 v66, -v62, v65, v64
	v_fmac_f32_e32 v65, v66, v63
	v_fma_f32 v62, -v62, v65, v64
	v_div_fmas_f32 v62, v62, v63, v65
	v_div_fixup_f32 v60, v62, v60, 1.0
.LBB98_359:
	s_or_b64 exec, exec, s[0:1]
	v_cmp_ne_u32_e32 vcc, v61, v58
	s_and_saveexec_b64 s[0:1], vcc
	s_xor_b64 s[0:1], exec, s[0:1]
	s_cbranch_execz .LBB98_365
; %bb.360:
	v_cmp_eq_u32_e32 vcc, 21, v61
	s_and_saveexec_b64 s[2:3], vcc
	s_cbranch_execz .LBB98_364
; %bb.361:
	v_cmp_ne_u32_e32 vcc, 21, v58
	s_xor_b64 s[12:13], s[20:21], -1
	s_and_b64 s[14:15], s[12:13], vcc
	s_and_saveexec_b64 s[12:13], s[14:15]
	s_cbranch_execz .LBB98_363
; %bb.362:
	v_ashrrev_i32_e32 v59, 31, v58
	v_lshl_add_u64 v[62:63], v[58:59], 2, v[4:5]
	global_load_dword v59, v[62:63], off
	global_load_dword v61, v[4:5], off offset:84
	s_waitcnt vmcnt(1)
	global_store_dword v[4:5], v59, off offset:84
	s_waitcnt vmcnt(1)
	global_store_dword v[62:63], v61, off
.LBB98_363:
	s_or_b64 exec, exec, s[12:13]
	v_mov_b32_e32 v59, v58
	v_mov_b32_e32 v61, v58
.LBB98_364:
	s_or_b64 exec, exec, s[2:3]
.LBB98_365:
	s_andn2_saveexec_b64 s[0:1], s[0:1]
	s_cbranch_execz .LBB98_367
; %bb.366:
	v_mov_b32_e32 v61, 21
	ds_write2_b32 v55, v22, v23 offset0:22 offset1:23
	ds_write2_b32 v55, v40, v41 offset0:24 offset1:25
	;; [unrolled: 1-line block ×14, first 2 shown]
.LBB98_367:
	s_or_b64 exec, exec, s[0:1]
	v_cmp_lt_i32_e32 vcc, 21, v61
	s_waitcnt lgkmcnt(0)
	s_barrier
	s_and_saveexec_b64 s[0:1], vcc
	s_cbranch_execz .LBB98_369
; %bb.368:
	ds_read2_b32 v[62:63], v55 offset0:22 offset1:23
	ds_read2_b32 v[64:65], v55 offset0:24 offset1:25
	;; [unrolled: 1-line block ×4, first 2 shown]
	v_mul_f32_e32 v58, v60, v31
	s_waitcnt lgkmcnt(3)
	v_pk_fma_f32 v[22:23], v[58:59], v[62:63], v[22:23] op_sel_hi:[0,1,1] neg_lo:[1,0,0] neg_hi:[1,0,0]
	s_waitcnt lgkmcnt(2)
	v_pk_fma_f32 v[40:41], v[58:59], v[64:65], v[40:41] op_sel_hi:[0,1,1] neg_lo:[1,0,0] neg_hi:[1,0,0]
	;; [unrolled: 2-line block ×3, first 2 shown]
	ds_read2_b32 v[62:63], v55 offset0:30 offset1:31
	ds_read2_b32 v[64:65], v55 offset0:32 offset1:33
	ds_read2_b32 v[66:67], v55 offset0:34 offset1:35
	s_waitcnt lgkmcnt(3)
	v_pk_fma_f32 v[24:25], v[58:59], v[68:69], v[24:25] op_sel_hi:[0,1,1] neg_lo:[1,0,0] neg_hi:[1,0,0]
	ds_read2_b32 v[68:69], v55 offset0:36 offset1:37
	s_waitcnt lgkmcnt(3)
	v_pk_fma_f32 v[16:17], v[58:59], v[62:63], v[16:17] op_sel_hi:[0,1,1] neg_lo:[1,0,0] neg_hi:[1,0,0]
	ds_read2_b32 v[62:63], v55 offset0:38 offset1:39
	s_waitcnt lgkmcnt(3)
	v_pk_fma_f32 v[34:35], v[58:59], v[64:65], v[34:35] op_sel_hi:[0,1,1] neg_lo:[1,0,0] neg_hi:[1,0,0]
	s_waitcnt lgkmcnt(2)
	v_pk_fma_f32 v[26:27], v[58:59], v[66:67], v[26:27] op_sel_hi:[0,1,1] neg_lo:[1,0,0] neg_hi:[1,0,0]
	;; [unrolled: 2-line block ×3, first 2 shown]
	ds_read2_b32 v[64:65], v55 offset0:40 offset1:41
	ds_read2_b32 v[66:67], v55 offset0:42 offset1:43
	;; [unrolled: 1-line block ×3, first 2 shown]
	s_waitcnt lgkmcnt(3)
	v_pk_fma_f32 v[8:9], v[58:59], v[62:63], v[8:9] op_sel_hi:[0,1,1] neg_lo:[1,0,0] neg_hi:[1,0,0]
	ds_read2_b32 v[62:63], v55 offset0:46 offset1:47
	ds_read2_b32 v[70:71], v55 offset0:48 offset1:49
	s_waitcnt lgkmcnt(4)
	v_pk_fma_f32 v[12:13], v[58:59], v[64:65], v[12:13] op_sel_hi:[0,1,1] neg_lo:[1,0,0] neg_hi:[1,0,0]
	s_waitcnt lgkmcnt(3)
	v_pk_fma_f32 v[20:21], v[58:59], v[66:67], v[20:21] op_sel_hi:[0,1,1] neg_lo:[1,0,0] neg_hi:[1,0,0]
	;; [unrolled: 2-line block ×5, first 2 shown]
	v_mov_b32_e32 v31, v58
.LBB98_369:
	s_or_b64 exec, exec, s[0:1]
	v_lshl_add_u32 v58, v61, 2, v55
	s_barrier
	ds_write_b32 v58, v22
	s_waitcnt lgkmcnt(0)
	s_barrier
	ds_read_b32 v60, v55 offset:88
	s_cmp_lt_i32 s22, 24
	v_mov_b32_e32 v58, 22
	s_cbranch_scc1 .LBB98_372
; %bb.370:
	v_add_u32_e32 v62, 0x5c, v55
	v_mov_b32_e32 v58, 22
	s_mov_b32 s0, 23
.LBB98_371:                             ; =>This Inner Loop Header: Depth=1
	ds_read_b32 v63, v62
	v_mov_b32_e32 v64, s0
	s_add_i32 s0, s0, 1
	v_add_u32_e32 v62, 4, v62
	s_cmp_lg_u32 s22, s0
	s_waitcnt lgkmcnt(0)
	v_cmp_lt_f32_e64 vcc, |v60|, |v63|
	s_nop 1
	v_cndmask_b32_e32 v60, v60, v63, vcc
	v_cndmask_b32_e32 v58, v58, v64, vcc
	s_cbranch_scc1 .LBB98_371
.LBB98_372:
	s_waitcnt lgkmcnt(0)
	v_cmp_eq_f32_e32 vcc, 0, v60
	s_and_saveexec_b64 s[0:1], vcc
	s_xor_b64 s[0:1], exec, s[0:1]
; %bb.373:
	v_cmp_ne_u32_e32 vcc, 0, v57
	s_nop 1
	v_cndmask_b32_e32 v57, 23, v57, vcc
; %bb.374:
	s_andn2_saveexec_b64 s[0:1], s[0:1]
	s_cbranch_execz .LBB98_376
; %bb.375:
	v_div_scale_f32 v62, s[2:3], v60, v60, 1.0
	v_rcp_f32_e32 v63, v62
	v_div_scale_f32 v64, vcc, 1.0, v60, 1.0
	v_fma_f32 v65, -v62, v63, 1.0
	v_fmac_f32_e32 v63, v65, v63
	v_mul_f32_e32 v65, v64, v63
	v_fma_f32 v66, -v62, v65, v64
	v_fmac_f32_e32 v65, v66, v63
	v_fma_f32 v62, -v62, v65, v64
	v_div_fmas_f32 v62, v62, v63, v65
	v_div_fixup_f32 v60, v62, v60, 1.0
.LBB98_376:
	s_or_b64 exec, exec, s[0:1]
	v_cmp_ne_u32_e32 vcc, v61, v58
	s_and_saveexec_b64 s[0:1], vcc
	s_xor_b64 s[0:1], exec, s[0:1]
	s_cbranch_execz .LBB98_382
; %bb.377:
	v_cmp_eq_u32_e32 vcc, 22, v61
	s_and_saveexec_b64 s[2:3], vcc
	s_cbranch_execz .LBB98_381
; %bb.378:
	v_cmp_ne_u32_e32 vcc, 22, v58
	s_xor_b64 s[12:13], s[20:21], -1
	s_and_b64 s[14:15], s[12:13], vcc
	s_and_saveexec_b64 s[12:13], s[14:15]
	s_cbranch_execz .LBB98_380
; %bb.379:
	v_ashrrev_i32_e32 v59, 31, v58
	v_lshl_add_u64 v[62:63], v[58:59], 2, v[4:5]
	global_load_dword v59, v[62:63], off
	global_load_dword v61, v[4:5], off offset:88
	s_waitcnt vmcnt(1)
	global_store_dword v[4:5], v59, off offset:88
	s_waitcnt vmcnt(1)
	global_store_dword v[62:63], v61, off
.LBB98_380:
	s_or_b64 exec, exec, s[12:13]
	v_mov_b32_e32 v59, v58
	v_mov_b32_e32 v61, v58
.LBB98_381:
	s_or_b64 exec, exec, s[2:3]
.LBB98_382:
	s_andn2_saveexec_b64 s[0:1], s[0:1]
	s_cbranch_execz .LBB98_384
; %bb.383:
	v_pk_mov_b32 v[62:63], v[22:23], v[40:41] op_sel:[1,0]
	ds_write2_b32 v55, v62, v63 offset0:23 offset1:24
	v_pk_mov_b32 v[62:63], v[40:41], v[32:33] op_sel:[1,0]
	ds_write2_b32 v55, v62, v63 offset0:25 offset1:26
	;; [unrolled: 2-line block ×12, first 2 shown]
	v_pk_mov_b32 v[62:63], v[0:1], v[10:11] op_sel:[1,0]
	v_mov_b32_e32 v61, 22
	ds_write2_b32 v55, v62, v63 offset0:47 offset1:48
	ds_write_b32 v55, v11 offset:196
.LBB98_384:
	s_or_b64 exec, exec, s[0:1]
	v_cmp_lt_i32_e32 vcc, 22, v61
	s_waitcnt lgkmcnt(0)
	s_barrier
	s_and_saveexec_b64 s[0:1], vcc
	s_cbranch_execz .LBB98_386
; %bb.385:
	ds_read_b32 v58, v55 offset:92
	ds_read2_b32 v[62:63], v55 offset0:24 offset1:25
	ds_read2_b32 v[64:65], v55 offset0:26 offset1:27
	v_mul_f32_e32 v22, v60, v22
	ds_read2_b32 v[66:67], v55 offset0:28 offset1:29
	s_waitcnt lgkmcnt(3)
	v_fma_f32 v23, -v22, v58, v23
	s_waitcnt lgkmcnt(2)
	v_pk_fma_f32 v[40:41], v[22:23], v[62:63], v[40:41] op_sel_hi:[0,1,1] neg_lo:[1,0,0] neg_hi:[1,0,0]
	s_waitcnt lgkmcnt(1)
	v_pk_fma_f32 v[32:33], v[22:23], v[64:65], v[32:33] op_sel_hi:[0,1,1] neg_lo:[1,0,0] neg_hi:[1,0,0]
	ds_read2_b32 v[62:63], v55 offset0:30 offset1:31
	ds_read2_b32 v[64:65], v55 offset0:32 offset1:33
	;; [unrolled: 1-line block ×3, first 2 shown]
	s_waitcnt lgkmcnt(3)
	v_pk_fma_f32 v[24:25], v[22:23], v[66:67], v[24:25] op_sel_hi:[0,1,1] neg_lo:[1,0,0] neg_hi:[1,0,0]
	ds_read2_b32 v[66:67], v55 offset0:36 offset1:37
	s_waitcnt lgkmcnt(3)
	v_pk_fma_f32 v[16:17], v[22:23], v[62:63], v[16:17] op_sel_hi:[0,1,1] neg_lo:[1,0,0] neg_hi:[1,0,0]
	ds_read2_b32 v[62:63], v55 offset0:38 offset1:39
	s_waitcnt lgkmcnt(3)
	v_pk_fma_f32 v[34:35], v[22:23], v[64:65], v[34:35] op_sel_hi:[0,1,1] neg_lo:[1,0,0] neg_hi:[1,0,0]
	s_waitcnt lgkmcnt(2)
	v_pk_fma_f32 v[26:27], v[22:23], v[68:69], v[26:27] op_sel_hi:[0,1,1] neg_lo:[1,0,0] neg_hi:[1,0,0]
	;; [unrolled: 2-line block ×3, first 2 shown]
	ds_read2_b32 v[64:65], v55 offset0:40 offset1:41
	ds_read2_b32 v[66:67], v55 offset0:42 offset1:43
	;; [unrolled: 1-line block ×3, first 2 shown]
	s_waitcnt lgkmcnt(3)
	v_pk_fma_f32 v[8:9], v[22:23], v[62:63], v[8:9] op_sel_hi:[0,1,1] neg_lo:[1,0,0] neg_hi:[1,0,0]
	ds_read2_b32 v[62:63], v55 offset0:46 offset1:47
	ds_read2_b32 v[70:71], v55 offset0:48 offset1:49
	s_waitcnt lgkmcnt(4)
	v_pk_fma_f32 v[12:13], v[22:23], v[64:65], v[12:13] op_sel_hi:[0,1,1] neg_lo:[1,0,0] neg_hi:[1,0,0]
	s_waitcnt lgkmcnt(3)
	v_pk_fma_f32 v[20:21], v[22:23], v[66:67], v[20:21] op_sel_hi:[0,1,1] neg_lo:[1,0,0] neg_hi:[1,0,0]
	;; [unrolled: 2-line block ×5, first 2 shown]
.LBB98_386:
	s_or_b64 exec, exec, s[0:1]
	v_lshl_add_u32 v58, v61, 2, v55
	s_barrier
	ds_write_b32 v58, v23
	s_waitcnt lgkmcnt(0)
	s_barrier
	ds_read_b32 v60, v55 offset:92
	s_cmp_lt_i32 s22, 25
	v_mov_b32_e32 v58, 23
	s_cbranch_scc1 .LBB98_389
; %bb.387:
	v_add_u32_e32 v62, 0x60, v55
	v_mov_b32_e32 v58, 23
	s_mov_b32 s0, 24
.LBB98_388:                             ; =>This Inner Loop Header: Depth=1
	ds_read_b32 v63, v62
	v_mov_b32_e32 v64, s0
	s_add_i32 s0, s0, 1
	v_add_u32_e32 v62, 4, v62
	s_cmp_lg_u32 s22, s0
	s_waitcnt lgkmcnt(0)
	v_cmp_lt_f32_e64 vcc, |v60|, |v63|
	s_nop 1
	v_cndmask_b32_e32 v60, v60, v63, vcc
	v_cndmask_b32_e32 v58, v58, v64, vcc
	s_cbranch_scc1 .LBB98_388
.LBB98_389:
	s_waitcnt lgkmcnt(0)
	v_cmp_eq_f32_e32 vcc, 0, v60
	s_and_saveexec_b64 s[0:1], vcc
	s_xor_b64 s[0:1], exec, s[0:1]
; %bb.390:
	v_cmp_ne_u32_e32 vcc, 0, v57
	s_nop 1
	v_cndmask_b32_e32 v57, 24, v57, vcc
; %bb.391:
	s_andn2_saveexec_b64 s[0:1], s[0:1]
	s_cbranch_execz .LBB98_393
; %bb.392:
	v_div_scale_f32 v62, s[2:3], v60, v60, 1.0
	v_rcp_f32_e32 v63, v62
	v_div_scale_f32 v64, vcc, 1.0, v60, 1.0
	v_fma_f32 v65, -v62, v63, 1.0
	v_fmac_f32_e32 v63, v65, v63
	v_mul_f32_e32 v65, v64, v63
	v_fma_f32 v66, -v62, v65, v64
	v_fmac_f32_e32 v65, v66, v63
	v_fma_f32 v62, -v62, v65, v64
	v_div_fmas_f32 v62, v62, v63, v65
	v_div_fixup_f32 v60, v62, v60, 1.0
.LBB98_393:
	s_or_b64 exec, exec, s[0:1]
	v_cmp_ne_u32_e32 vcc, v61, v58
	s_and_saveexec_b64 s[0:1], vcc
	s_xor_b64 s[0:1], exec, s[0:1]
	s_cbranch_execz .LBB98_399
; %bb.394:
	v_cmp_eq_u32_e32 vcc, 23, v61
	s_and_saveexec_b64 s[2:3], vcc
	s_cbranch_execz .LBB98_398
; %bb.395:
	v_cmp_ne_u32_e32 vcc, 23, v58
	s_xor_b64 s[12:13], s[20:21], -1
	s_and_b64 s[14:15], s[12:13], vcc
	s_and_saveexec_b64 s[12:13], s[14:15]
	s_cbranch_execz .LBB98_397
; %bb.396:
	v_ashrrev_i32_e32 v59, 31, v58
	v_lshl_add_u64 v[62:63], v[58:59], 2, v[4:5]
	global_load_dword v59, v[62:63], off
	global_load_dword v61, v[4:5], off offset:92
	s_waitcnt vmcnt(1)
	global_store_dword v[4:5], v59, off offset:92
	s_waitcnt vmcnt(1)
	global_store_dword v[62:63], v61, off
.LBB98_397:
	s_or_b64 exec, exec, s[12:13]
	v_mov_b32_e32 v59, v58
	v_mov_b32_e32 v61, v58
.LBB98_398:
	s_or_b64 exec, exec, s[2:3]
.LBB98_399:
	s_andn2_saveexec_b64 s[0:1], s[0:1]
	s_cbranch_execz .LBB98_401
; %bb.400:
	v_mov_b32_e32 v61, 23
	ds_write2_b32 v55, v40, v41 offset0:24 offset1:25
	ds_write2_b32 v55, v32, v33 offset0:26 offset1:27
	;; [unrolled: 1-line block ×13, first 2 shown]
.LBB98_401:
	s_or_b64 exec, exec, s[0:1]
	v_cmp_lt_i32_e32 vcc, 23, v61
	s_waitcnt lgkmcnt(0)
	s_barrier
	s_and_saveexec_b64 s[0:1], vcc
	s_cbranch_execz .LBB98_403
; %bb.402:
	ds_read2_b32 v[62:63], v55 offset0:24 offset1:25
	ds_read2_b32 v[64:65], v55 offset0:26 offset1:27
	;; [unrolled: 1-line block ×3, first 2 shown]
	v_mul_f32_e32 v58, v60, v23
	ds_read2_b32 v[68:69], v55 offset0:30 offset1:31
	s_waitcnt lgkmcnt(3)
	v_pk_fma_f32 v[40:41], v[58:59], v[62:63], v[40:41] op_sel_hi:[0,1,1] neg_lo:[1,0,0] neg_hi:[1,0,0]
	s_waitcnt lgkmcnt(2)
	v_pk_fma_f32 v[32:33], v[58:59], v[64:65], v[32:33] op_sel_hi:[0,1,1] neg_lo:[1,0,0] neg_hi:[1,0,0]
	;; [unrolled: 2-line block ×3, first 2 shown]
	ds_read2_b32 v[62:63], v55 offset0:32 offset1:33
	ds_read2_b32 v[64:65], v55 offset0:34 offset1:35
	;; [unrolled: 1-line block ×4, first 2 shown]
	s_waitcnt lgkmcnt(4)
	v_pk_fma_f32 v[16:17], v[58:59], v[68:69], v[16:17] op_sel_hi:[0,1,1] neg_lo:[1,0,0] neg_hi:[1,0,0]
	s_waitcnt lgkmcnt(3)
	v_pk_fma_f32 v[34:35], v[58:59], v[62:63], v[34:35] op_sel_hi:[0,1,1] neg_lo:[1,0,0] neg_hi:[1,0,0]
	;; [unrolled: 2-line block ×5, first 2 shown]
	ds_read2_b32 v[62:63], v55 offset0:40 offset1:41
	ds_read2_b32 v[64:65], v55 offset0:42 offset1:43
	;; [unrolled: 1-line block ×5, first 2 shown]
	s_waitcnt lgkmcnt(4)
	v_pk_fma_f32 v[12:13], v[58:59], v[62:63], v[12:13] op_sel_hi:[0,1,1] neg_lo:[1,0,0] neg_hi:[1,0,0]
	s_waitcnt lgkmcnt(3)
	v_pk_fma_f32 v[20:21], v[58:59], v[64:65], v[20:21] op_sel_hi:[0,1,1] neg_lo:[1,0,0] neg_hi:[1,0,0]
	;; [unrolled: 2-line block ×5, first 2 shown]
	v_mov_b32_e32 v23, v58
.LBB98_403:
	s_or_b64 exec, exec, s[0:1]
	v_lshl_add_u32 v58, v61, 2, v55
	s_barrier
	ds_write_b32 v58, v40
	s_waitcnt lgkmcnt(0)
	s_barrier
	ds_read_b32 v60, v55 offset:96
	s_cmp_lt_i32 s22, 26
	v_mov_b32_e32 v58, 24
	s_cbranch_scc1 .LBB98_406
; %bb.404:
	v_add_u32_e32 v62, 0x64, v55
	v_mov_b32_e32 v58, 24
	s_mov_b32 s0, 25
.LBB98_405:                             ; =>This Inner Loop Header: Depth=1
	ds_read_b32 v63, v62
	v_mov_b32_e32 v64, s0
	s_add_i32 s0, s0, 1
	v_add_u32_e32 v62, 4, v62
	s_cmp_lg_u32 s22, s0
	s_waitcnt lgkmcnt(0)
	v_cmp_lt_f32_e64 vcc, |v60|, |v63|
	s_nop 1
	v_cndmask_b32_e32 v60, v60, v63, vcc
	v_cndmask_b32_e32 v58, v58, v64, vcc
	s_cbranch_scc1 .LBB98_405
.LBB98_406:
	s_waitcnt lgkmcnt(0)
	v_cmp_eq_f32_e32 vcc, 0, v60
	s_and_saveexec_b64 s[0:1], vcc
	s_xor_b64 s[0:1], exec, s[0:1]
; %bb.407:
	v_cmp_ne_u32_e32 vcc, 0, v57
	s_nop 1
	v_cndmask_b32_e32 v57, 25, v57, vcc
; %bb.408:
	s_andn2_saveexec_b64 s[0:1], s[0:1]
	s_cbranch_execz .LBB98_410
; %bb.409:
	v_div_scale_f32 v62, s[2:3], v60, v60, 1.0
	v_rcp_f32_e32 v63, v62
	v_div_scale_f32 v64, vcc, 1.0, v60, 1.0
	v_fma_f32 v65, -v62, v63, 1.0
	v_fmac_f32_e32 v63, v65, v63
	v_mul_f32_e32 v65, v64, v63
	v_fma_f32 v66, -v62, v65, v64
	v_fmac_f32_e32 v65, v66, v63
	v_fma_f32 v62, -v62, v65, v64
	v_div_fmas_f32 v62, v62, v63, v65
	v_div_fixup_f32 v60, v62, v60, 1.0
.LBB98_410:
	s_or_b64 exec, exec, s[0:1]
	v_cmp_ne_u32_e32 vcc, v61, v58
	s_and_saveexec_b64 s[0:1], vcc
	s_xor_b64 s[0:1], exec, s[0:1]
	s_cbranch_execz .LBB98_416
; %bb.411:
	v_cmp_eq_u32_e32 vcc, 24, v61
	s_and_saveexec_b64 s[2:3], vcc
	s_cbranch_execz .LBB98_415
; %bb.412:
	v_cmp_ne_u32_e32 vcc, 24, v58
	s_xor_b64 s[12:13], s[20:21], -1
	s_and_b64 s[14:15], s[12:13], vcc
	s_and_saveexec_b64 s[12:13], s[14:15]
	s_cbranch_execz .LBB98_414
; %bb.413:
	v_ashrrev_i32_e32 v59, 31, v58
	v_lshl_add_u64 v[62:63], v[58:59], 2, v[4:5]
	global_load_dword v59, v[62:63], off
	global_load_dword v61, v[4:5], off offset:96
	s_waitcnt vmcnt(1)
	global_store_dword v[4:5], v59, off offset:96
	s_waitcnt vmcnt(1)
	global_store_dword v[62:63], v61, off
.LBB98_414:
	s_or_b64 exec, exec, s[12:13]
	v_mov_b32_e32 v59, v58
	v_mov_b32_e32 v61, v58
.LBB98_415:
	s_or_b64 exec, exec, s[2:3]
.LBB98_416:
	s_andn2_saveexec_b64 s[0:1], s[0:1]
	s_cbranch_execz .LBB98_418
; %bb.417:
	v_pk_mov_b32 v[62:63], v[40:41], v[32:33] op_sel:[1,0]
	ds_write2_b32 v55, v62, v63 offset0:25 offset1:26
	v_pk_mov_b32 v[62:63], v[32:33], v[24:25] op_sel:[1,0]
	ds_write2_b32 v55, v62, v63 offset0:27 offset1:28
	;; [unrolled: 2-line block ×11, first 2 shown]
	v_pk_mov_b32 v[62:63], v[0:1], v[10:11] op_sel:[1,0]
	v_mov_b32_e32 v61, 24
	ds_write2_b32 v55, v62, v63 offset0:47 offset1:48
	ds_write_b32 v55, v11 offset:196
.LBB98_418:
	s_or_b64 exec, exec, s[0:1]
	v_cmp_lt_i32_e32 vcc, 24, v61
	s_waitcnt lgkmcnt(0)
	s_barrier
	s_and_saveexec_b64 s[0:1], vcc
	s_cbranch_execz .LBB98_420
; %bb.419:
	ds_read_b32 v58, v55 offset:100
	ds_read2_b32 v[62:63], v55 offset0:26 offset1:27
	ds_read2_b32 v[64:65], v55 offset0:28 offset1:29
	v_mul_f32_e32 v40, v60, v40
	ds_read2_b32 v[66:67], v55 offset0:30 offset1:31
	s_waitcnt lgkmcnt(3)
	v_fma_f32 v41, -v40, v58, v41
	s_waitcnt lgkmcnt(2)
	v_pk_fma_f32 v[32:33], v[40:41], v[62:63], v[32:33] op_sel_hi:[0,1,1] neg_lo:[1,0,0] neg_hi:[1,0,0]
	s_waitcnt lgkmcnt(1)
	v_pk_fma_f32 v[24:25], v[40:41], v[64:65], v[24:25] op_sel_hi:[0,1,1] neg_lo:[1,0,0] neg_hi:[1,0,0]
	ds_read2_b32 v[62:63], v55 offset0:32 offset1:33
	ds_read2_b32 v[64:65], v55 offset0:34 offset1:35
	ds_read2_b32 v[68:69], v55 offset0:36 offset1:37
	ds_read2_b32 v[70:71], v55 offset0:38 offset1:39
	s_waitcnt lgkmcnt(4)
	v_pk_fma_f32 v[16:17], v[40:41], v[66:67], v[16:17] op_sel_hi:[0,1,1] neg_lo:[1,0,0] neg_hi:[1,0,0]
	s_waitcnt lgkmcnt(3)
	v_pk_fma_f32 v[34:35], v[40:41], v[62:63], v[34:35] op_sel_hi:[0,1,1] neg_lo:[1,0,0] neg_hi:[1,0,0]
	;; [unrolled: 2-line block ×5, first 2 shown]
	ds_read2_b32 v[62:63], v55 offset0:40 offset1:41
	ds_read2_b32 v[64:65], v55 offset0:42 offset1:43
	;; [unrolled: 1-line block ×5, first 2 shown]
	s_waitcnt lgkmcnt(4)
	v_pk_fma_f32 v[12:13], v[40:41], v[62:63], v[12:13] op_sel_hi:[0,1,1] neg_lo:[1,0,0] neg_hi:[1,0,0]
	s_waitcnt lgkmcnt(3)
	v_pk_fma_f32 v[20:21], v[40:41], v[64:65], v[20:21] op_sel_hi:[0,1,1] neg_lo:[1,0,0] neg_hi:[1,0,0]
	;; [unrolled: 2-line block ×5, first 2 shown]
.LBB98_420:
	s_or_b64 exec, exec, s[0:1]
	v_lshl_add_u32 v58, v61, 2, v55
	s_barrier
	ds_write_b32 v58, v41
	s_waitcnt lgkmcnt(0)
	s_barrier
	ds_read_b32 v60, v55 offset:100
	s_cmp_lt_i32 s22, 27
	v_mov_b32_e32 v58, 25
	s_cbranch_scc1 .LBB98_423
; %bb.421:
	v_add_u32_e32 v62, 0x68, v55
	v_mov_b32_e32 v58, 25
	s_mov_b32 s0, 26
.LBB98_422:                             ; =>This Inner Loop Header: Depth=1
	ds_read_b32 v63, v62
	v_mov_b32_e32 v64, s0
	s_add_i32 s0, s0, 1
	v_add_u32_e32 v62, 4, v62
	s_cmp_lg_u32 s22, s0
	s_waitcnt lgkmcnt(0)
	v_cmp_lt_f32_e64 vcc, |v60|, |v63|
	s_nop 1
	v_cndmask_b32_e32 v60, v60, v63, vcc
	v_cndmask_b32_e32 v58, v58, v64, vcc
	s_cbranch_scc1 .LBB98_422
.LBB98_423:
	s_waitcnt lgkmcnt(0)
	v_cmp_eq_f32_e32 vcc, 0, v60
	s_and_saveexec_b64 s[0:1], vcc
	s_xor_b64 s[0:1], exec, s[0:1]
; %bb.424:
	v_cmp_ne_u32_e32 vcc, 0, v57
	s_nop 1
	v_cndmask_b32_e32 v57, 26, v57, vcc
; %bb.425:
	s_andn2_saveexec_b64 s[0:1], s[0:1]
	s_cbranch_execz .LBB98_427
; %bb.426:
	v_div_scale_f32 v62, s[2:3], v60, v60, 1.0
	v_rcp_f32_e32 v63, v62
	v_div_scale_f32 v64, vcc, 1.0, v60, 1.0
	v_fma_f32 v65, -v62, v63, 1.0
	v_fmac_f32_e32 v63, v65, v63
	v_mul_f32_e32 v65, v64, v63
	v_fma_f32 v66, -v62, v65, v64
	v_fmac_f32_e32 v65, v66, v63
	v_fma_f32 v62, -v62, v65, v64
	v_div_fmas_f32 v62, v62, v63, v65
	v_div_fixup_f32 v60, v62, v60, 1.0
.LBB98_427:
	s_or_b64 exec, exec, s[0:1]
	v_cmp_ne_u32_e32 vcc, v61, v58
	s_and_saveexec_b64 s[0:1], vcc
	s_xor_b64 s[0:1], exec, s[0:1]
	s_cbranch_execz .LBB98_433
; %bb.428:
	v_cmp_eq_u32_e32 vcc, 25, v61
	s_and_saveexec_b64 s[2:3], vcc
	s_cbranch_execz .LBB98_432
; %bb.429:
	v_cmp_ne_u32_e32 vcc, 25, v58
	s_xor_b64 s[12:13], s[20:21], -1
	s_and_b64 s[14:15], s[12:13], vcc
	s_and_saveexec_b64 s[12:13], s[14:15]
	s_cbranch_execz .LBB98_431
; %bb.430:
	v_ashrrev_i32_e32 v59, 31, v58
	v_lshl_add_u64 v[62:63], v[58:59], 2, v[4:5]
	global_load_dword v59, v[62:63], off
	global_load_dword v61, v[4:5], off offset:100
	s_waitcnt vmcnt(1)
	global_store_dword v[4:5], v59, off offset:100
	s_waitcnt vmcnt(1)
	global_store_dword v[62:63], v61, off
.LBB98_431:
	s_or_b64 exec, exec, s[12:13]
	v_mov_b32_e32 v59, v58
	v_mov_b32_e32 v61, v58
.LBB98_432:
	s_or_b64 exec, exec, s[2:3]
.LBB98_433:
	s_andn2_saveexec_b64 s[0:1], s[0:1]
	s_cbranch_execz .LBB98_435
; %bb.434:
	v_mov_b32_e32 v61, 25
	ds_write2_b32 v55, v32, v33 offset0:26 offset1:27
	ds_write2_b32 v55, v24, v25 offset0:28 offset1:29
	;; [unrolled: 1-line block ×12, first 2 shown]
.LBB98_435:
	s_or_b64 exec, exec, s[0:1]
	v_cmp_lt_i32_e32 vcc, 25, v61
	s_waitcnt lgkmcnt(0)
	s_barrier
	s_and_saveexec_b64 s[0:1], vcc
	s_cbranch_execz .LBB98_437
; %bb.436:
	ds_read2_b32 v[62:63], v55 offset0:26 offset1:27
	ds_read2_b32 v[64:65], v55 offset0:28 offset1:29
	;; [unrolled: 1-line block ×3, first 2 shown]
	v_mul_f32_e32 v58, v60, v41
	ds_read2_b32 v[68:69], v55 offset0:32 offset1:33
	s_waitcnt lgkmcnt(3)
	v_pk_fma_f32 v[32:33], v[58:59], v[62:63], v[32:33] op_sel_hi:[0,1,1] neg_lo:[1,0,0] neg_hi:[1,0,0]
	s_waitcnt lgkmcnt(2)
	v_pk_fma_f32 v[24:25], v[58:59], v[64:65], v[24:25] op_sel_hi:[0,1,1] neg_lo:[1,0,0] neg_hi:[1,0,0]
	;; [unrolled: 2-line block ×3, first 2 shown]
	ds_read2_b32 v[62:63], v55 offset0:34 offset1:35
	ds_read2_b32 v[64:65], v55 offset0:36 offset1:37
	;; [unrolled: 1-line block ×3, first 2 shown]
	s_waitcnt lgkmcnt(3)
	v_pk_fma_f32 v[34:35], v[58:59], v[68:69], v[34:35] op_sel_hi:[0,1,1] neg_lo:[1,0,0] neg_hi:[1,0,0]
	ds_read2_b32 v[68:69], v55 offset0:40 offset1:41
	s_waitcnt lgkmcnt(3)
	v_pk_fma_f32 v[26:27], v[58:59], v[62:63], v[26:27] op_sel_hi:[0,1,1] neg_lo:[1,0,0] neg_hi:[1,0,0]
	s_waitcnt lgkmcnt(2)
	v_pk_fma_f32 v[18:19], v[58:59], v[64:65], v[18:19] op_sel_hi:[0,1,1] neg_lo:[1,0,0] neg_hi:[1,0,0]
	;; [unrolled: 2-line block ×3, first 2 shown]
	ds_read2_b32 v[62:63], v55 offset0:42 offset1:43
	ds_read2_b32 v[64:65], v55 offset0:44 offset1:45
	;; [unrolled: 1-line block ×4, first 2 shown]
	s_waitcnt lgkmcnt(4)
	v_pk_fma_f32 v[12:13], v[58:59], v[68:69], v[12:13] op_sel_hi:[0,1,1] neg_lo:[1,0,0] neg_hi:[1,0,0]
	s_waitcnt lgkmcnt(3)
	v_pk_fma_f32 v[20:21], v[58:59], v[62:63], v[20:21] op_sel_hi:[0,1,1] neg_lo:[1,0,0] neg_hi:[1,0,0]
	;; [unrolled: 2-line block ×5, first 2 shown]
	v_mov_b32_e32 v41, v58
.LBB98_437:
	s_or_b64 exec, exec, s[0:1]
	v_lshl_add_u32 v58, v61, 2, v55
	s_barrier
	ds_write_b32 v58, v32
	s_waitcnt lgkmcnt(0)
	s_barrier
	ds_read_b32 v60, v55 offset:104
	s_cmp_lt_i32 s22, 28
	v_mov_b32_e32 v58, 26
	s_cbranch_scc1 .LBB98_440
; %bb.438:
	v_add_u32_e32 v62, 0x6c, v55
	v_mov_b32_e32 v58, 26
	s_mov_b32 s0, 27
.LBB98_439:                             ; =>This Inner Loop Header: Depth=1
	ds_read_b32 v63, v62
	v_mov_b32_e32 v64, s0
	s_add_i32 s0, s0, 1
	v_add_u32_e32 v62, 4, v62
	s_cmp_lg_u32 s22, s0
	s_waitcnt lgkmcnt(0)
	v_cmp_lt_f32_e64 vcc, |v60|, |v63|
	s_nop 1
	v_cndmask_b32_e32 v60, v60, v63, vcc
	v_cndmask_b32_e32 v58, v58, v64, vcc
	s_cbranch_scc1 .LBB98_439
.LBB98_440:
	s_waitcnt lgkmcnt(0)
	v_cmp_eq_f32_e32 vcc, 0, v60
	s_and_saveexec_b64 s[0:1], vcc
	s_xor_b64 s[0:1], exec, s[0:1]
; %bb.441:
	v_cmp_ne_u32_e32 vcc, 0, v57
	s_nop 1
	v_cndmask_b32_e32 v57, 27, v57, vcc
; %bb.442:
	s_andn2_saveexec_b64 s[0:1], s[0:1]
	s_cbranch_execz .LBB98_444
; %bb.443:
	v_div_scale_f32 v62, s[2:3], v60, v60, 1.0
	v_rcp_f32_e32 v63, v62
	v_div_scale_f32 v64, vcc, 1.0, v60, 1.0
	v_fma_f32 v65, -v62, v63, 1.0
	v_fmac_f32_e32 v63, v65, v63
	v_mul_f32_e32 v65, v64, v63
	v_fma_f32 v66, -v62, v65, v64
	v_fmac_f32_e32 v65, v66, v63
	v_fma_f32 v62, -v62, v65, v64
	v_div_fmas_f32 v62, v62, v63, v65
	v_div_fixup_f32 v60, v62, v60, 1.0
.LBB98_444:
	s_or_b64 exec, exec, s[0:1]
	v_cmp_ne_u32_e32 vcc, v61, v58
	s_and_saveexec_b64 s[0:1], vcc
	s_xor_b64 s[0:1], exec, s[0:1]
	s_cbranch_execz .LBB98_450
; %bb.445:
	v_cmp_eq_u32_e32 vcc, 26, v61
	s_and_saveexec_b64 s[2:3], vcc
	s_cbranch_execz .LBB98_449
; %bb.446:
	v_cmp_ne_u32_e32 vcc, 26, v58
	s_xor_b64 s[12:13], s[20:21], -1
	s_and_b64 s[14:15], s[12:13], vcc
	s_and_saveexec_b64 s[12:13], s[14:15]
	s_cbranch_execz .LBB98_448
; %bb.447:
	v_ashrrev_i32_e32 v59, 31, v58
	v_lshl_add_u64 v[62:63], v[58:59], 2, v[4:5]
	global_load_dword v59, v[62:63], off
	global_load_dword v61, v[4:5], off offset:104
	s_waitcnt vmcnt(1)
	global_store_dword v[4:5], v59, off offset:104
	s_waitcnt vmcnt(1)
	global_store_dword v[62:63], v61, off
.LBB98_448:
	s_or_b64 exec, exec, s[12:13]
	v_mov_b32_e32 v59, v58
	v_mov_b32_e32 v61, v58
.LBB98_449:
	s_or_b64 exec, exec, s[2:3]
.LBB98_450:
	s_andn2_saveexec_b64 s[0:1], s[0:1]
	s_cbranch_execz .LBB98_452
; %bb.451:
	v_pk_mov_b32 v[62:63], v[32:33], v[24:25] op_sel:[1,0]
	ds_write2_b32 v55, v62, v63 offset0:27 offset1:28
	v_pk_mov_b32 v[62:63], v[24:25], v[16:17] op_sel:[1,0]
	ds_write2_b32 v55, v62, v63 offset0:29 offset1:30
	;; [unrolled: 2-line block ×10, first 2 shown]
	v_pk_mov_b32 v[62:63], v[0:1], v[10:11] op_sel:[1,0]
	v_mov_b32_e32 v61, 26
	ds_write2_b32 v55, v62, v63 offset0:47 offset1:48
	ds_write_b32 v55, v11 offset:196
.LBB98_452:
	s_or_b64 exec, exec, s[0:1]
	v_cmp_lt_i32_e32 vcc, 26, v61
	s_waitcnt lgkmcnt(0)
	s_barrier
	s_and_saveexec_b64 s[0:1], vcc
	s_cbranch_execz .LBB98_454
; %bb.453:
	ds_read_b32 v58, v55 offset:108
	ds_read2_b32 v[62:63], v55 offset0:28 offset1:29
	ds_read2_b32 v[64:65], v55 offset0:30 offset1:31
	v_mul_f32_e32 v32, v60, v32
	ds_read2_b32 v[66:67], v55 offset0:32 offset1:33
	s_waitcnt lgkmcnt(3)
	v_fma_f32 v33, -v32, v58, v33
	s_waitcnt lgkmcnt(2)
	v_pk_fma_f32 v[24:25], v[32:33], v[62:63], v[24:25] op_sel_hi:[0,1,1] neg_lo:[1,0,0] neg_hi:[1,0,0]
	s_waitcnt lgkmcnt(1)
	v_pk_fma_f32 v[16:17], v[32:33], v[64:65], v[16:17] op_sel_hi:[0,1,1] neg_lo:[1,0,0] neg_hi:[1,0,0]
	ds_read2_b32 v[62:63], v55 offset0:34 offset1:35
	ds_read2_b32 v[64:65], v55 offset0:36 offset1:37
	;; [unrolled: 1-line block ×3, first 2 shown]
	s_waitcnt lgkmcnt(3)
	v_pk_fma_f32 v[34:35], v[32:33], v[66:67], v[34:35] op_sel_hi:[0,1,1] neg_lo:[1,0,0] neg_hi:[1,0,0]
	ds_read2_b32 v[66:67], v55 offset0:40 offset1:41
	s_waitcnt lgkmcnt(3)
	v_pk_fma_f32 v[26:27], v[32:33], v[62:63], v[26:27] op_sel_hi:[0,1,1] neg_lo:[1,0,0] neg_hi:[1,0,0]
	s_waitcnt lgkmcnt(2)
	v_pk_fma_f32 v[18:19], v[32:33], v[64:65], v[18:19] op_sel_hi:[0,1,1] neg_lo:[1,0,0] neg_hi:[1,0,0]
	;; [unrolled: 2-line block ×3, first 2 shown]
	ds_read2_b32 v[62:63], v55 offset0:42 offset1:43
	ds_read2_b32 v[64:65], v55 offset0:44 offset1:45
	ds_read2_b32 v[68:69], v55 offset0:46 offset1:47
	ds_read2_b32 v[70:71], v55 offset0:48 offset1:49
	s_waitcnt lgkmcnt(4)
	v_pk_fma_f32 v[12:13], v[32:33], v[66:67], v[12:13] op_sel_hi:[0,1,1] neg_lo:[1,0,0] neg_hi:[1,0,0]
	s_waitcnt lgkmcnt(3)
	v_pk_fma_f32 v[20:21], v[32:33], v[62:63], v[20:21] op_sel_hi:[0,1,1] neg_lo:[1,0,0] neg_hi:[1,0,0]
	;; [unrolled: 2-line block ×5, first 2 shown]
.LBB98_454:
	s_or_b64 exec, exec, s[0:1]
	v_lshl_add_u32 v58, v61, 2, v55
	s_barrier
	ds_write_b32 v58, v33
	s_waitcnt lgkmcnt(0)
	s_barrier
	ds_read_b32 v60, v55 offset:108
	s_cmp_lt_i32 s22, 29
	v_mov_b32_e32 v58, 27
	s_cbranch_scc1 .LBB98_457
; %bb.455:
	v_add_u32_e32 v62, 0x70, v55
	v_mov_b32_e32 v58, 27
	s_mov_b32 s0, 28
.LBB98_456:                             ; =>This Inner Loop Header: Depth=1
	ds_read_b32 v63, v62
	v_mov_b32_e32 v64, s0
	s_add_i32 s0, s0, 1
	v_add_u32_e32 v62, 4, v62
	s_cmp_lg_u32 s22, s0
	s_waitcnt lgkmcnt(0)
	v_cmp_lt_f32_e64 vcc, |v60|, |v63|
	s_nop 1
	v_cndmask_b32_e32 v60, v60, v63, vcc
	v_cndmask_b32_e32 v58, v58, v64, vcc
	s_cbranch_scc1 .LBB98_456
.LBB98_457:
	s_waitcnt lgkmcnt(0)
	v_cmp_eq_f32_e32 vcc, 0, v60
	s_and_saveexec_b64 s[0:1], vcc
	s_xor_b64 s[0:1], exec, s[0:1]
; %bb.458:
	v_cmp_ne_u32_e32 vcc, 0, v57
	s_nop 1
	v_cndmask_b32_e32 v57, 28, v57, vcc
; %bb.459:
	s_andn2_saveexec_b64 s[0:1], s[0:1]
	s_cbranch_execz .LBB98_461
; %bb.460:
	v_div_scale_f32 v62, s[2:3], v60, v60, 1.0
	v_rcp_f32_e32 v63, v62
	v_div_scale_f32 v64, vcc, 1.0, v60, 1.0
	v_fma_f32 v65, -v62, v63, 1.0
	v_fmac_f32_e32 v63, v65, v63
	v_mul_f32_e32 v65, v64, v63
	v_fma_f32 v66, -v62, v65, v64
	v_fmac_f32_e32 v65, v66, v63
	v_fma_f32 v62, -v62, v65, v64
	v_div_fmas_f32 v62, v62, v63, v65
	v_div_fixup_f32 v60, v62, v60, 1.0
.LBB98_461:
	s_or_b64 exec, exec, s[0:1]
	v_cmp_ne_u32_e32 vcc, v61, v58
	s_and_saveexec_b64 s[0:1], vcc
	s_xor_b64 s[0:1], exec, s[0:1]
	s_cbranch_execz .LBB98_467
; %bb.462:
	v_cmp_eq_u32_e32 vcc, 27, v61
	s_and_saveexec_b64 s[2:3], vcc
	s_cbranch_execz .LBB98_466
; %bb.463:
	v_cmp_ne_u32_e32 vcc, 27, v58
	s_xor_b64 s[12:13], s[20:21], -1
	s_and_b64 s[14:15], s[12:13], vcc
	s_and_saveexec_b64 s[12:13], s[14:15]
	s_cbranch_execz .LBB98_465
; %bb.464:
	v_ashrrev_i32_e32 v59, 31, v58
	v_lshl_add_u64 v[62:63], v[58:59], 2, v[4:5]
	global_load_dword v59, v[62:63], off
	global_load_dword v61, v[4:5], off offset:108
	s_waitcnt vmcnt(1)
	global_store_dword v[4:5], v59, off offset:108
	s_waitcnt vmcnt(1)
	global_store_dword v[62:63], v61, off
.LBB98_465:
	s_or_b64 exec, exec, s[12:13]
	v_mov_b32_e32 v59, v58
	v_mov_b32_e32 v61, v58
.LBB98_466:
	s_or_b64 exec, exec, s[2:3]
.LBB98_467:
	s_andn2_saveexec_b64 s[0:1], s[0:1]
	s_cbranch_execz .LBB98_469
; %bb.468:
	v_mov_b32_e32 v61, 27
	ds_write2_b32 v55, v24, v25 offset0:28 offset1:29
	ds_write2_b32 v55, v16, v17 offset0:30 offset1:31
	;; [unrolled: 1-line block ×11, first 2 shown]
.LBB98_469:
	s_or_b64 exec, exec, s[0:1]
	v_cmp_lt_i32_e32 vcc, 27, v61
	s_waitcnt lgkmcnt(0)
	s_barrier
	s_and_saveexec_b64 s[0:1], vcc
	s_cbranch_execz .LBB98_471
; %bb.470:
	ds_read2_b32 v[62:63], v55 offset0:28 offset1:29
	ds_read2_b32 v[64:65], v55 offset0:30 offset1:31
	ds_read2_b32 v[66:67], v55 offset0:32 offset1:33
	v_mul_f32_e32 v58, v60, v33
	ds_read2_b32 v[68:69], v55 offset0:34 offset1:35
	s_waitcnt lgkmcnt(3)
	v_pk_fma_f32 v[24:25], v[58:59], v[62:63], v[24:25] op_sel_hi:[0,1,1] neg_lo:[1,0,0] neg_hi:[1,0,0]
	s_waitcnt lgkmcnt(2)
	v_pk_fma_f32 v[16:17], v[58:59], v[64:65], v[16:17] op_sel_hi:[0,1,1] neg_lo:[1,0,0] neg_hi:[1,0,0]
	ds_read2_b32 v[62:63], v55 offset0:36 offset1:37
	ds_read2_b32 v[64:65], v55 offset0:38 offset1:39
	s_waitcnt lgkmcnt(3)
	v_pk_fma_f32 v[34:35], v[58:59], v[66:67], v[34:35] op_sel_hi:[0,1,1] neg_lo:[1,0,0] neg_hi:[1,0,0]
	s_waitcnt lgkmcnt(2)
	v_pk_fma_f32 v[26:27], v[58:59], v[68:69], v[26:27] op_sel_hi:[0,1,1] neg_lo:[1,0,0] neg_hi:[1,0,0]
	ds_read2_b32 v[66:67], v55 offset0:40 offset1:41
	;; [unrolled: 6-line block ×3, first 2 shown]
	ds_read2_b32 v[64:65], v55 offset0:46 offset1:47
	ds_read2_b32 v[70:71], v55 offset0:48 offset1:49
	s_waitcnt lgkmcnt(4)
	v_pk_fma_f32 v[12:13], v[58:59], v[66:67], v[12:13] op_sel_hi:[0,1,1] neg_lo:[1,0,0] neg_hi:[1,0,0]
	s_waitcnt lgkmcnt(3)
	v_pk_fma_f32 v[20:21], v[58:59], v[68:69], v[20:21] op_sel_hi:[0,1,1] neg_lo:[1,0,0] neg_hi:[1,0,0]
	;; [unrolled: 2-line block ×5, first 2 shown]
	v_mov_b32_e32 v33, v58
.LBB98_471:
	s_or_b64 exec, exec, s[0:1]
	v_lshl_add_u32 v58, v61, 2, v55
	s_barrier
	ds_write_b32 v58, v24
	s_waitcnt lgkmcnt(0)
	s_barrier
	ds_read_b32 v60, v55 offset:112
	s_cmp_lt_i32 s22, 30
	v_mov_b32_e32 v58, 28
	s_cbranch_scc1 .LBB98_474
; %bb.472:
	v_add_u32_e32 v62, 0x74, v55
	v_mov_b32_e32 v58, 28
	s_mov_b32 s0, 29
.LBB98_473:                             ; =>This Inner Loop Header: Depth=1
	ds_read_b32 v63, v62
	v_mov_b32_e32 v64, s0
	s_add_i32 s0, s0, 1
	v_add_u32_e32 v62, 4, v62
	s_cmp_lg_u32 s22, s0
	s_waitcnt lgkmcnt(0)
	v_cmp_lt_f32_e64 vcc, |v60|, |v63|
	s_nop 1
	v_cndmask_b32_e32 v60, v60, v63, vcc
	v_cndmask_b32_e32 v58, v58, v64, vcc
	s_cbranch_scc1 .LBB98_473
.LBB98_474:
	s_waitcnt lgkmcnt(0)
	v_cmp_eq_f32_e32 vcc, 0, v60
	s_and_saveexec_b64 s[0:1], vcc
	s_xor_b64 s[0:1], exec, s[0:1]
; %bb.475:
	v_cmp_ne_u32_e32 vcc, 0, v57
	s_nop 1
	v_cndmask_b32_e32 v57, 29, v57, vcc
; %bb.476:
	s_andn2_saveexec_b64 s[0:1], s[0:1]
	s_cbranch_execz .LBB98_478
; %bb.477:
	v_div_scale_f32 v62, s[2:3], v60, v60, 1.0
	v_rcp_f32_e32 v63, v62
	v_div_scale_f32 v64, vcc, 1.0, v60, 1.0
	v_fma_f32 v65, -v62, v63, 1.0
	v_fmac_f32_e32 v63, v65, v63
	v_mul_f32_e32 v65, v64, v63
	v_fma_f32 v66, -v62, v65, v64
	v_fmac_f32_e32 v65, v66, v63
	v_fma_f32 v62, -v62, v65, v64
	v_div_fmas_f32 v62, v62, v63, v65
	v_div_fixup_f32 v60, v62, v60, 1.0
.LBB98_478:
	s_or_b64 exec, exec, s[0:1]
	v_cmp_ne_u32_e32 vcc, v61, v58
	s_and_saveexec_b64 s[0:1], vcc
	s_xor_b64 s[0:1], exec, s[0:1]
	s_cbranch_execz .LBB98_484
; %bb.479:
	v_cmp_eq_u32_e32 vcc, 28, v61
	s_and_saveexec_b64 s[2:3], vcc
	s_cbranch_execz .LBB98_483
; %bb.480:
	v_cmp_ne_u32_e32 vcc, 28, v58
	s_xor_b64 s[12:13], s[20:21], -1
	s_and_b64 s[14:15], s[12:13], vcc
	s_and_saveexec_b64 s[12:13], s[14:15]
	s_cbranch_execz .LBB98_482
; %bb.481:
	v_ashrrev_i32_e32 v59, 31, v58
	v_lshl_add_u64 v[62:63], v[58:59], 2, v[4:5]
	global_load_dword v59, v[62:63], off
	global_load_dword v61, v[4:5], off offset:112
	s_waitcnt vmcnt(1)
	global_store_dword v[4:5], v59, off offset:112
	s_waitcnt vmcnt(1)
	global_store_dword v[62:63], v61, off
.LBB98_482:
	s_or_b64 exec, exec, s[12:13]
	v_mov_b32_e32 v59, v58
	v_mov_b32_e32 v61, v58
.LBB98_483:
	s_or_b64 exec, exec, s[2:3]
.LBB98_484:
	s_andn2_saveexec_b64 s[0:1], s[0:1]
	s_cbranch_execz .LBB98_486
; %bb.485:
	v_pk_mov_b32 v[62:63], v[24:25], v[16:17] op_sel:[1,0]
	ds_write2_b32 v55, v62, v63 offset0:29 offset1:30
	v_pk_mov_b32 v[62:63], v[16:17], v[34:35] op_sel:[1,0]
	ds_write2_b32 v55, v62, v63 offset0:31 offset1:32
	;; [unrolled: 2-line block ×9, first 2 shown]
	v_pk_mov_b32 v[62:63], v[0:1], v[10:11] op_sel:[1,0]
	v_mov_b32_e32 v61, 28
	ds_write2_b32 v55, v62, v63 offset0:47 offset1:48
	ds_write_b32 v55, v11 offset:196
.LBB98_486:
	s_or_b64 exec, exec, s[0:1]
	v_cmp_lt_i32_e32 vcc, 28, v61
	s_waitcnt lgkmcnt(0)
	s_barrier
	s_and_saveexec_b64 s[0:1], vcc
	s_cbranch_execz .LBB98_488
; %bb.487:
	ds_read_b32 v58, v55 offset:116
	ds_read2_b32 v[62:63], v55 offset0:30 offset1:31
	ds_read2_b32 v[64:65], v55 offset0:32 offset1:33
	v_mul_f32_e32 v24, v60, v24
	ds_read2_b32 v[66:67], v55 offset0:34 offset1:35
	s_waitcnt lgkmcnt(3)
	v_fma_f32 v25, -v24, v58, v25
	s_waitcnt lgkmcnt(2)
	v_pk_fma_f32 v[16:17], v[24:25], v[62:63], v[16:17] op_sel_hi:[0,1,1] neg_lo:[1,0,0] neg_hi:[1,0,0]
	s_waitcnt lgkmcnt(1)
	v_pk_fma_f32 v[34:35], v[24:25], v[64:65], v[34:35] op_sel_hi:[0,1,1] neg_lo:[1,0,0] neg_hi:[1,0,0]
	ds_read2_b32 v[62:63], v55 offset0:36 offset1:37
	ds_read2_b32 v[64:65], v55 offset0:38 offset1:39
	s_waitcnt lgkmcnt(2)
	v_pk_fma_f32 v[26:27], v[24:25], v[66:67], v[26:27] op_sel_hi:[0,1,1] neg_lo:[1,0,0] neg_hi:[1,0,0]
	ds_read2_b32 v[66:67], v55 offset0:40 offset1:41
	ds_read2_b32 v[68:69], v55 offset0:42 offset1:43
	s_waitcnt lgkmcnt(3)
	v_pk_fma_f32 v[18:19], v[24:25], v[62:63], v[18:19] op_sel_hi:[0,1,1] neg_lo:[1,0,0] neg_hi:[1,0,0]
	s_waitcnt lgkmcnt(2)
	v_pk_fma_f32 v[8:9], v[24:25], v[64:65], v[8:9] op_sel_hi:[0,1,1] neg_lo:[1,0,0] neg_hi:[1,0,0]
	ds_read2_b32 v[62:63], v55 offset0:44 offset1:45
	ds_read2_b32 v[64:65], v55 offset0:46 offset1:47
	;; [unrolled: 1-line block ×3, first 2 shown]
	s_waitcnt lgkmcnt(4)
	v_pk_fma_f32 v[12:13], v[24:25], v[66:67], v[12:13] op_sel_hi:[0,1,1] neg_lo:[1,0,0] neg_hi:[1,0,0]
	s_waitcnt lgkmcnt(3)
	v_pk_fma_f32 v[20:21], v[24:25], v[68:69], v[20:21] op_sel_hi:[0,1,1] neg_lo:[1,0,0] neg_hi:[1,0,0]
	;; [unrolled: 2-line block ×5, first 2 shown]
.LBB98_488:
	s_or_b64 exec, exec, s[0:1]
	v_lshl_add_u32 v58, v61, 2, v55
	s_barrier
	ds_write_b32 v58, v25
	s_waitcnt lgkmcnt(0)
	s_barrier
	ds_read_b32 v60, v55 offset:116
	s_cmp_lt_i32 s22, 31
	v_mov_b32_e32 v58, 29
	s_cbranch_scc1 .LBB98_491
; %bb.489:
	v_add_u32_e32 v62, 0x78, v55
	v_mov_b32_e32 v58, 29
	s_mov_b32 s0, 30
.LBB98_490:                             ; =>This Inner Loop Header: Depth=1
	ds_read_b32 v63, v62
	v_mov_b32_e32 v64, s0
	s_add_i32 s0, s0, 1
	v_add_u32_e32 v62, 4, v62
	s_cmp_lg_u32 s22, s0
	s_waitcnt lgkmcnt(0)
	v_cmp_lt_f32_e64 vcc, |v60|, |v63|
	s_nop 1
	v_cndmask_b32_e32 v60, v60, v63, vcc
	v_cndmask_b32_e32 v58, v58, v64, vcc
	s_cbranch_scc1 .LBB98_490
.LBB98_491:
	s_waitcnt lgkmcnt(0)
	v_cmp_eq_f32_e32 vcc, 0, v60
	s_and_saveexec_b64 s[0:1], vcc
	s_xor_b64 s[0:1], exec, s[0:1]
; %bb.492:
	v_cmp_ne_u32_e32 vcc, 0, v57
	s_nop 1
	v_cndmask_b32_e32 v57, 30, v57, vcc
; %bb.493:
	s_andn2_saveexec_b64 s[0:1], s[0:1]
	s_cbranch_execz .LBB98_495
; %bb.494:
	v_div_scale_f32 v62, s[2:3], v60, v60, 1.0
	v_rcp_f32_e32 v63, v62
	v_div_scale_f32 v64, vcc, 1.0, v60, 1.0
	v_fma_f32 v65, -v62, v63, 1.0
	v_fmac_f32_e32 v63, v65, v63
	v_mul_f32_e32 v65, v64, v63
	v_fma_f32 v66, -v62, v65, v64
	v_fmac_f32_e32 v65, v66, v63
	v_fma_f32 v62, -v62, v65, v64
	v_div_fmas_f32 v62, v62, v63, v65
	v_div_fixup_f32 v60, v62, v60, 1.0
.LBB98_495:
	s_or_b64 exec, exec, s[0:1]
	v_cmp_ne_u32_e32 vcc, v61, v58
	s_and_saveexec_b64 s[0:1], vcc
	s_xor_b64 s[0:1], exec, s[0:1]
	s_cbranch_execz .LBB98_501
; %bb.496:
	v_cmp_eq_u32_e32 vcc, 29, v61
	s_and_saveexec_b64 s[2:3], vcc
	s_cbranch_execz .LBB98_500
; %bb.497:
	v_cmp_ne_u32_e32 vcc, 29, v58
	s_xor_b64 s[12:13], s[20:21], -1
	s_and_b64 s[14:15], s[12:13], vcc
	s_and_saveexec_b64 s[12:13], s[14:15]
	s_cbranch_execz .LBB98_499
; %bb.498:
	v_ashrrev_i32_e32 v59, 31, v58
	v_lshl_add_u64 v[62:63], v[58:59], 2, v[4:5]
	global_load_dword v59, v[62:63], off
	global_load_dword v61, v[4:5], off offset:116
	s_waitcnt vmcnt(1)
	global_store_dword v[4:5], v59, off offset:116
	s_waitcnt vmcnt(1)
	global_store_dword v[62:63], v61, off
.LBB98_499:
	s_or_b64 exec, exec, s[12:13]
	v_mov_b32_e32 v59, v58
	v_mov_b32_e32 v61, v58
.LBB98_500:
	s_or_b64 exec, exec, s[2:3]
.LBB98_501:
	s_andn2_saveexec_b64 s[0:1], s[0:1]
	s_cbranch_execz .LBB98_503
; %bb.502:
	v_mov_b32_e32 v61, 29
	ds_write2_b32 v55, v16, v17 offset0:30 offset1:31
	ds_write2_b32 v55, v34, v35 offset0:32 offset1:33
	;; [unrolled: 1-line block ×10, first 2 shown]
.LBB98_503:
	s_or_b64 exec, exec, s[0:1]
	v_cmp_lt_i32_e32 vcc, 29, v61
	s_waitcnt lgkmcnt(0)
	s_barrier
	s_and_saveexec_b64 s[0:1], vcc
	s_cbranch_execz .LBB98_505
; %bb.504:
	ds_read2_b32 v[62:63], v55 offset0:30 offset1:31
	ds_read2_b32 v[64:65], v55 offset0:32 offset1:33
	;; [unrolled: 1-line block ×3, first 2 shown]
	v_mul_f32_e32 v58, v60, v25
	ds_read2_b32 v[68:69], v55 offset0:36 offset1:37
	s_waitcnt lgkmcnt(3)
	v_pk_fma_f32 v[16:17], v[58:59], v[62:63], v[16:17] op_sel_hi:[0,1,1] neg_lo:[1,0,0] neg_hi:[1,0,0]
	ds_read2_b32 v[62:63], v55 offset0:38 offset1:39
	s_waitcnt lgkmcnt(3)
	v_pk_fma_f32 v[34:35], v[58:59], v[64:65], v[34:35] op_sel_hi:[0,1,1] neg_lo:[1,0,0] neg_hi:[1,0,0]
	s_waitcnt lgkmcnt(2)
	v_pk_fma_f32 v[26:27], v[58:59], v[66:67], v[26:27] op_sel_hi:[0,1,1] neg_lo:[1,0,0] neg_hi:[1,0,0]
	;; [unrolled: 2-line block ×3, first 2 shown]
	ds_read2_b32 v[64:65], v55 offset0:40 offset1:41
	ds_read2_b32 v[66:67], v55 offset0:42 offset1:43
	;; [unrolled: 1-line block ×3, first 2 shown]
	s_waitcnt lgkmcnt(3)
	v_pk_fma_f32 v[8:9], v[58:59], v[62:63], v[8:9] op_sel_hi:[0,1,1] neg_lo:[1,0,0] neg_hi:[1,0,0]
	ds_read2_b32 v[62:63], v55 offset0:46 offset1:47
	ds_read2_b32 v[70:71], v55 offset0:48 offset1:49
	s_waitcnt lgkmcnt(4)
	v_pk_fma_f32 v[12:13], v[58:59], v[64:65], v[12:13] op_sel_hi:[0,1,1] neg_lo:[1,0,0] neg_hi:[1,0,0]
	s_waitcnt lgkmcnt(3)
	v_pk_fma_f32 v[20:21], v[58:59], v[66:67], v[20:21] op_sel_hi:[0,1,1] neg_lo:[1,0,0] neg_hi:[1,0,0]
	;; [unrolled: 2-line block ×5, first 2 shown]
	v_mov_b32_e32 v25, v58
.LBB98_505:
	s_or_b64 exec, exec, s[0:1]
	v_lshl_add_u32 v58, v61, 2, v55
	s_barrier
	ds_write_b32 v58, v16
	s_waitcnt lgkmcnt(0)
	s_barrier
	ds_read_b32 v60, v55 offset:120
	s_cmp_lt_i32 s22, 32
	v_mov_b32_e32 v58, 30
	s_cbranch_scc1 .LBB98_508
; %bb.506:
	v_add_u32_e32 v62, 0x7c, v55
	v_mov_b32_e32 v58, 30
	s_mov_b32 s0, 31
.LBB98_507:                             ; =>This Inner Loop Header: Depth=1
	ds_read_b32 v63, v62
	v_mov_b32_e32 v64, s0
	s_add_i32 s0, s0, 1
	v_add_u32_e32 v62, 4, v62
	s_cmp_lg_u32 s22, s0
	s_waitcnt lgkmcnt(0)
	v_cmp_lt_f32_e64 vcc, |v60|, |v63|
	s_nop 1
	v_cndmask_b32_e32 v60, v60, v63, vcc
	v_cndmask_b32_e32 v58, v58, v64, vcc
	s_cbranch_scc1 .LBB98_507
.LBB98_508:
	s_waitcnt lgkmcnt(0)
	v_cmp_eq_f32_e32 vcc, 0, v60
	s_and_saveexec_b64 s[0:1], vcc
	s_xor_b64 s[0:1], exec, s[0:1]
; %bb.509:
	v_cmp_ne_u32_e32 vcc, 0, v57
	s_nop 1
	v_cndmask_b32_e32 v57, 31, v57, vcc
; %bb.510:
	s_andn2_saveexec_b64 s[0:1], s[0:1]
	s_cbranch_execz .LBB98_512
; %bb.511:
	v_div_scale_f32 v62, s[2:3], v60, v60, 1.0
	v_rcp_f32_e32 v63, v62
	v_div_scale_f32 v64, vcc, 1.0, v60, 1.0
	v_fma_f32 v65, -v62, v63, 1.0
	v_fmac_f32_e32 v63, v65, v63
	v_mul_f32_e32 v65, v64, v63
	v_fma_f32 v66, -v62, v65, v64
	v_fmac_f32_e32 v65, v66, v63
	v_fma_f32 v62, -v62, v65, v64
	v_div_fmas_f32 v62, v62, v63, v65
	v_div_fixup_f32 v60, v62, v60, 1.0
.LBB98_512:
	s_or_b64 exec, exec, s[0:1]
	v_cmp_ne_u32_e32 vcc, v61, v58
	s_and_saveexec_b64 s[0:1], vcc
	s_xor_b64 s[0:1], exec, s[0:1]
	s_cbranch_execz .LBB98_518
; %bb.513:
	v_cmp_eq_u32_e32 vcc, 30, v61
	s_and_saveexec_b64 s[2:3], vcc
	s_cbranch_execz .LBB98_517
; %bb.514:
	v_cmp_ne_u32_e32 vcc, 30, v58
	s_xor_b64 s[12:13], s[20:21], -1
	s_and_b64 s[14:15], s[12:13], vcc
	s_and_saveexec_b64 s[12:13], s[14:15]
	s_cbranch_execz .LBB98_516
; %bb.515:
	v_ashrrev_i32_e32 v59, 31, v58
	v_lshl_add_u64 v[62:63], v[58:59], 2, v[4:5]
	global_load_dword v59, v[62:63], off
	global_load_dword v61, v[4:5], off offset:120
	s_waitcnt vmcnt(1)
	global_store_dword v[4:5], v59, off offset:120
	s_waitcnt vmcnt(1)
	global_store_dword v[62:63], v61, off
.LBB98_516:
	s_or_b64 exec, exec, s[12:13]
	v_mov_b32_e32 v59, v58
	v_mov_b32_e32 v61, v58
.LBB98_517:
	s_or_b64 exec, exec, s[2:3]
.LBB98_518:
	s_andn2_saveexec_b64 s[0:1], s[0:1]
	s_cbranch_execz .LBB98_520
; %bb.519:
	v_pk_mov_b32 v[62:63], v[16:17], v[34:35] op_sel:[1,0]
	ds_write2_b32 v55, v62, v63 offset0:31 offset1:32
	v_pk_mov_b32 v[62:63], v[34:35], v[26:27] op_sel:[1,0]
	ds_write2_b32 v55, v62, v63 offset0:33 offset1:34
	;; [unrolled: 2-line block ×8, first 2 shown]
	v_pk_mov_b32 v[62:63], v[0:1], v[10:11] op_sel:[1,0]
	v_mov_b32_e32 v61, 30
	ds_write2_b32 v55, v62, v63 offset0:47 offset1:48
	ds_write_b32 v55, v11 offset:196
.LBB98_520:
	s_or_b64 exec, exec, s[0:1]
	v_cmp_lt_i32_e32 vcc, 30, v61
	s_waitcnt lgkmcnt(0)
	s_barrier
	s_and_saveexec_b64 s[0:1], vcc
	s_cbranch_execz .LBB98_522
; %bb.521:
	ds_read_b32 v58, v55 offset:124
	ds_read2_b32 v[62:63], v55 offset0:32 offset1:33
	ds_read2_b32 v[64:65], v55 offset0:34 offset1:35
	v_mul_f32_e32 v16, v60, v16
	ds_read2_b32 v[66:67], v55 offset0:36 offset1:37
	s_waitcnt lgkmcnt(3)
	v_fma_f32 v17, -v16, v58, v17
	s_waitcnt lgkmcnt(2)
	v_pk_fma_f32 v[34:35], v[16:17], v[62:63], v[34:35] op_sel_hi:[0,1,1] neg_lo:[1,0,0] neg_hi:[1,0,0]
	ds_read2_b32 v[62:63], v55 offset0:38 offset1:39
	s_waitcnt lgkmcnt(2)
	v_pk_fma_f32 v[26:27], v[16:17], v[64:65], v[26:27] op_sel_hi:[0,1,1] neg_lo:[1,0,0] neg_hi:[1,0,0]
	s_waitcnt lgkmcnt(1)
	v_pk_fma_f32 v[18:19], v[16:17], v[66:67], v[18:19] op_sel_hi:[0,1,1] neg_lo:[1,0,0] neg_hi:[1,0,0]
	ds_read2_b32 v[64:65], v55 offset0:40 offset1:41
	ds_read2_b32 v[66:67], v55 offset0:42 offset1:43
	;; [unrolled: 1-line block ×3, first 2 shown]
	s_waitcnt lgkmcnt(3)
	v_pk_fma_f32 v[8:9], v[16:17], v[62:63], v[8:9] op_sel_hi:[0,1,1] neg_lo:[1,0,0] neg_hi:[1,0,0]
	ds_read2_b32 v[62:63], v55 offset0:46 offset1:47
	ds_read2_b32 v[70:71], v55 offset0:48 offset1:49
	s_waitcnt lgkmcnt(4)
	v_pk_fma_f32 v[12:13], v[16:17], v[64:65], v[12:13] op_sel_hi:[0,1,1] neg_lo:[1,0,0] neg_hi:[1,0,0]
	s_waitcnt lgkmcnt(3)
	v_pk_fma_f32 v[20:21], v[16:17], v[66:67], v[20:21] op_sel_hi:[0,1,1] neg_lo:[1,0,0] neg_hi:[1,0,0]
	;; [unrolled: 2-line block ×5, first 2 shown]
.LBB98_522:
	s_or_b64 exec, exec, s[0:1]
	v_lshl_add_u32 v58, v61, 2, v55
	s_barrier
	ds_write_b32 v58, v17
	s_waitcnt lgkmcnt(0)
	s_barrier
	ds_read_b32 v60, v55 offset:124
	s_cmp_lt_i32 s22, 33
	v_mov_b32_e32 v58, 31
	s_cbranch_scc1 .LBB98_525
; %bb.523:
	v_add_u32_e32 v62, 0x80, v55
	v_mov_b32_e32 v58, 31
	s_mov_b32 s0, 32
.LBB98_524:                             ; =>This Inner Loop Header: Depth=1
	ds_read_b32 v63, v62
	v_mov_b32_e32 v64, s0
	s_add_i32 s0, s0, 1
	v_add_u32_e32 v62, 4, v62
	s_cmp_lg_u32 s22, s0
	s_waitcnt lgkmcnt(0)
	v_cmp_lt_f32_e64 vcc, |v60|, |v63|
	s_nop 1
	v_cndmask_b32_e32 v60, v60, v63, vcc
	v_cndmask_b32_e32 v58, v58, v64, vcc
	s_cbranch_scc1 .LBB98_524
.LBB98_525:
	s_waitcnt lgkmcnt(0)
	v_cmp_eq_f32_e32 vcc, 0, v60
	s_and_saveexec_b64 s[0:1], vcc
	s_xor_b64 s[0:1], exec, s[0:1]
; %bb.526:
	v_cmp_ne_u32_e32 vcc, 0, v57
	s_nop 1
	v_cndmask_b32_e32 v57, 32, v57, vcc
; %bb.527:
	s_andn2_saveexec_b64 s[0:1], s[0:1]
	s_cbranch_execz .LBB98_529
; %bb.528:
	v_div_scale_f32 v62, s[2:3], v60, v60, 1.0
	v_rcp_f32_e32 v63, v62
	v_div_scale_f32 v64, vcc, 1.0, v60, 1.0
	v_fma_f32 v65, -v62, v63, 1.0
	v_fmac_f32_e32 v63, v65, v63
	v_mul_f32_e32 v65, v64, v63
	v_fma_f32 v66, -v62, v65, v64
	v_fmac_f32_e32 v65, v66, v63
	v_fma_f32 v62, -v62, v65, v64
	v_div_fmas_f32 v62, v62, v63, v65
	v_div_fixup_f32 v60, v62, v60, 1.0
.LBB98_529:
	s_or_b64 exec, exec, s[0:1]
	v_cmp_ne_u32_e32 vcc, v61, v58
	s_and_saveexec_b64 s[0:1], vcc
	s_xor_b64 s[0:1], exec, s[0:1]
	s_cbranch_execz .LBB98_535
; %bb.530:
	v_cmp_eq_u32_e32 vcc, 31, v61
	s_and_saveexec_b64 s[2:3], vcc
	s_cbranch_execz .LBB98_534
; %bb.531:
	v_cmp_ne_u32_e32 vcc, 31, v58
	s_xor_b64 s[12:13], s[20:21], -1
	s_and_b64 s[14:15], s[12:13], vcc
	s_and_saveexec_b64 s[12:13], s[14:15]
	s_cbranch_execz .LBB98_533
; %bb.532:
	v_ashrrev_i32_e32 v59, 31, v58
	v_lshl_add_u64 v[62:63], v[58:59], 2, v[4:5]
	global_load_dword v59, v[62:63], off
	global_load_dword v61, v[4:5], off offset:124
	s_waitcnt vmcnt(1)
	global_store_dword v[4:5], v59, off offset:124
	s_waitcnt vmcnt(1)
	global_store_dword v[62:63], v61, off
.LBB98_533:
	s_or_b64 exec, exec, s[12:13]
	v_mov_b32_e32 v59, v58
	v_mov_b32_e32 v61, v58
.LBB98_534:
	s_or_b64 exec, exec, s[2:3]
.LBB98_535:
	s_andn2_saveexec_b64 s[0:1], s[0:1]
	s_cbranch_execz .LBB98_537
; %bb.536:
	v_mov_b32_e32 v61, 31
	ds_write2_b32 v55, v34, v35 offset0:32 offset1:33
	ds_write2_b32 v55, v26, v27 offset0:34 offset1:35
	;; [unrolled: 1-line block ×9, first 2 shown]
.LBB98_537:
	s_or_b64 exec, exec, s[0:1]
	v_cmp_lt_i32_e32 vcc, 31, v61
	s_waitcnt lgkmcnt(0)
	s_barrier
	s_and_saveexec_b64 s[0:1], vcc
	s_cbranch_execz .LBB98_539
; %bb.538:
	ds_read2_b32 v[62:63], v55 offset0:32 offset1:33
	ds_read2_b32 v[64:65], v55 offset0:34 offset1:35
	;; [unrolled: 1-line block ×4, first 2 shown]
	v_mul_f32_e32 v58, v60, v17
	s_waitcnt lgkmcnt(3)
	v_pk_fma_f32 v[34:35], v[58:59], v[62:63], v[34:35] op_sel_hi:[0,1,1] neg_lo:[1,0,0] neg_hi:[1,0,0]
	s_waitcnt lgkmcnt(2)
	v_pk_fma_f32 v[26:27], v[58:59], v[64:65], v[26:27] op_sel_hi:[0,1,1] neg_lo:[1,0,0] neg_hi:[1,0,0]
	s_waitcnt lgkmcnt(1)
	v_pk_fma_f32 v[18:19], v[58:59], v[66:67], v[18:19] op_sel_hi:[0,1,1] neg_lo:[1,0,0] neg_hi:[1,0,0]
	s_waitcnt lgkmcnt(0)
	v_pk_fma_f32 v[8:9], v[58:59], v[68:69], v[8:9] op_sel_hi:[0,1,1] neg_lo:[1,0,0] neg_hi:[1,0,0]
	ds_read2_b32 v[62:63], v55 offset0:40 offset1:41
	ds_read2_b32 v[64:65], v55 offset0:42 offset1:43
	;; [unrolled: 1-line block ×5, first 2 shown]
	s_waitcnt lgkmcnt(4)
	v_pk_fma_f32 v[12:13], v[58:59], v[62:63], v[12:13] op_sel_hi:[0,1,1] neg_lo:[1,0,0] neg_hi:[1,0,0]
	s_waitcnt lgkmcnt(3)
	v_pk_fma_f32 v[20:21], v[58:59], v[64:65], v[20:21] op_sel_hi:[0,1,1] neg_lo:[1,0,0] neg_hi:[1,0,0]
	;; [unrolled: 2-line block ×5, first 2 shown]
	v_mov_b32_e32 v17, v58
.LBB98_539:
	s_or_b64 exec, exec, s[0:1]
	v_lshl_add_u32 v58, v61, 2, v55
	s_barrier
	ds_write_b32 v58, v34
	s_waitcnt lgkmcnt(0)
	s_barrier
	ds_read_b32 v60, v55 offset:128
	s_cmp_lt_i32 s22, 34
	v_mov_b32_e32 v58, 32
	s_cbranch_scc1 .LBB98_542
; %bb.540:
	v_add_u32_e32 v62, 0x84, v55
	v_mov_b32_e32 v58, 32
	s_mov_b32 s0, 33
.LBB98_541:                             ; =>This Inner Loop Header: Depth=1
	ds_read_b32 v63, v62
	v_mov_b32_e32 v64, s0
	s_add_i32 s0, s0, 1
	v_add_u32_e32 v62, 4, v62
	s_cmp_lg_u32 s22, s0
	s_waitcnt lgkmcnt(0)
	v_cmp_lt_f32_e64 vcc, |v60|, |v63|
	s_nop 1
	v_cndmask_b32_e32 v60, v60, v63, vcc
	v_cndmask_b32_e32 v58, v58, v64, vcc
	s_cbranch_scc1 .LBB98_541
.LBB98_542:
	s_waitcnt lgkmcnt(0)
	v_cmp_eq_f32_e32 vcc, 0, v60
	s_and_saveexec_b64 s[0:1], vcc
	s_xor_b64 s[0:1], exec, s[0:1]
; %bb.543:
	v_cmp_ne_u32_e32 vcc, 0, v57
	s_nop 1
	v_cndmask_b32_e32 v57, 33, v57, vcc
; %bb.544:
	s_andn2_saveexec_b64 s[0:1], s[0:1]
	s_cbranch_execz .LBB98_546
; %bb.545:
	v_div_scale_f32 v62, s[2:3], v60, v60, 1.0
	v_rcp_f32_e32 v63, v62
	v_div_scale_f32 v64, vcc, 1.0, v60, 1.0
	v_fma_f32 v65, -v62, v63, 1.0
	v_fmac_f32_e32 v63, v65, v63
	v_mul_f32_e32 v65, v64, v63
	v_fma_f32 v66, -v62, v65, v64
	v_fmac_f32_e32 v65, v66, v63
	v_fma_f32 v62, -v62, v65, v64
	v_div_fmas_f32 v62, v62, v63, v65
	v_div_fixup_f32 v60, v62, v60, 1.0
.LBB98_546:
	s_or_b64 exec, exec, s[0:1]
	v_cmp_ne_u32_e32 vcc, v61, v58
	s_and_saveexec_b64 s[0:1], vcc
	s_xor_b64 s[0:1], exec, s[0:1]
	s_cbranch_execz .LBB98_552
; %bb.547:
	v_cmp_eq_u32_e32 vcc, 32, v61
	s_and_saveexec_b64 s[2:3], vcc
	s_cbranch_execz .LBB98_551
; %bb.548:
	v_cmp_ne_u32_e32 vcc, 32, v58
	s_xor_b64 s[12:13], s[20:21], -1
	s_and_b64 s[14:15], s[12:13], vcc
	s_and_saveexec_b64 s[12:13], s[14:15]
	s_cbranch_execz .LBB98_550
; %bb.549:
	v_ashrrev_i32_e32 v59, 31, v58
	v_lshl_add_u64 v[62:63], v[58:59], 2, v[4:5]
	global_load_dword v59, v[62:63], off
	global_load_dword v61, v[4:5], off offset:128
	s_waitcnt vmcnt(1)
	global_store_dword v[4:5], v59, off offset:128
	s_waitcnt vmcnt(1)
	global_store_dword v[62:63], v61, off
.LBB98_550:
	s_or_b64 exec, exec, s[12:13]
	v_mov_b32_e32 v59, v58
	v_mov_b32_e32 v61, v58
.LBB98_551:
	s_or_b64 exec, exec, s[2:3]
.LBB98_552:
	s_andn2_saveexec_b64 s[0:1], s[0:1]
	s_cbranch_execz .LBB98_554
; %bb.553:
	v_pk_mov_b32 v[62:63], v[34:35], v[26:27] op_sel:[1,0]
	ds_write2_b32 v55, v62, v63 offset0:33 offset1:34
	v_pk_mov_b32 v[62:63], v[26:27], v[18:19] op_sel:[1,0]
	ds_write2_b32 v55, v62, v63 offset0:35 offset1:36
	;; [unrolled: 2-line block ×7, first 2 shown]
	v_pk_mov_b32 v[62:63], v[0:1], v[10:11] op_sel:[1,0]
	v_mov_b32_e32 v61, 32
	ds_write2_b32 v55, v62, v63 offset0:47 offset1:48
	ds_write_b32 v55, v11 offset:196
.LBB98_554:
	s_or_b64 exec, exec, s[0:1]
	v_cmp_lt_i32_e32 vcc, 32, v61
	s_waitcnt lgkmcnt(0)
	s_barrier
	s_and_saveexec_b64 s[0:1], vcc
	s_cbranch_execz .LBB98_556
; %bb.555:
	ds_read_b32 v58, v55 offset:132
	ds_read2_b32 v[62:63], v55 offset0:34 offset1:35
	ds_read2_b32 v[64:65], v55 offset0:36 offset1:37
	;; [unrolled: 1-line block ×3, first 2 shown]
	v_mul_f32_e32 v34, v60, v34
	s_waitcnt lgkmcnt(3)
	v_fma_f32 v35, -v34, v58, v35
	s_waitcnt lgkmcnt(2)
	v_pk_fma_f32 v[26:27], v[34:35], v[62:63], v[26:27] op_sel_hi:[0,1,1] neg_lo:[1,0,0] neg_hi:[1,0,0]
	s_waitcnt lgkmcnt(1)
	v_pk_fma_f32 v[18:19], v[34:35], v[64:65], v[18:19] op_sel_hi:[0,1,1] neg_lo:[1,0,0] neg_hi:[1,0,0]
	;; [unrolled: 2-line block ×3, first 2 shown]
	ds_read2_b32 v[62:63], v55 offset0:40 offset1:41
	ds_read2_b32 v[64:65], v55 offset0:42 offset1:43
	;; [unrolled: 1-line block ×5, first 2 shown]
	s_waitcnt lgkmcnt(4)
	v_pk_fma_f32 v[12:13], v[34:35], v[62:63], v[12:13] op_sel_hi:[0,1,1] neg_lo:[1,0,0] neg_hi:[1,0,0]
	s_waitcnt lgkmcnt(3)
	v_pk_fma_f32 v[20:21], v[34:35], v[64:65], v[20:21] op_sel_hi:[0,1,1] neg_lo:[1,0,0] neg_hi:[1,0,0]
	;; [unrolled: 2-line block ×5, first 2 shown]
.LBB98_556:
	s_or_b64 exec, exec, s[0:1]
	v_lshl_add_u32 v58, v61, 2, v55
	s_barrier
	ds_write_b32 v58, v35
	s_waitcnt lgkmcnt(0)
	s_barrier
	ds_read_b32 v60, v55 offset:132
	s_cmp_lt_i32 s22, 35
	v_mov_b32_e32 v58, 33
	s_cbranch_scc1 .LBB98_559
; %bb.557:
	v_add_u32_e32 v62, 0x88, v55
	v_mov_b32_e32 v58, 33
	s_mov_b32 s0, 34
.LBB98_558:                             ; =>This Inner Loop Header: Depth=1
	ds_read_b32 v63, v62
	v_mov_b32_e32 v64, s0
	s_add_i32 s0, s0, 1
	v_add_u32_e32 v62, 4, v62
	s_cmp_lg_u32 s22, s0
	s_waitcnt lgkmcnt(0)
	v_cmp_lt_f32_e64 vcc, |v60|, |v63|
	s_nop 1
	v_cndmask_b32_e32 v60, v60, v63, vcc
	v_cndmask_b32_e32 v58, v58, v64, vcc
	s_cbranch_scc1 .LBB98_558
.LBB98_559:
	s_waitcnt lgkmcnt(0)
	v_cmp_eq_f32_e32 vcc, 0, v60
	s_and_saveexec_b64 s[0:1], vcc
	s_xor_b64 s[0:1], exec, s[0:1]
; %bb.560:
	v_cmp_ne_u32_e32 vcc, 0, v57
	s_nop 1
	v_cndmask_b32_e32 v57, 34, v57, vcc
; %bb.561:
	s_andn2_saveexec_b64 s[0:1], s[0:1]
	s_cbranch_execz .LBB98_563
; %bb.562:
	v_div_scale_f32 v62, s[2:3], v60, v60, 1.0
	v_rcp_f32_e32 v63, v62
	v_div_scale_f32 v64, vcc, 1.0, v60, 1.0
	v_fma_f32 v65, -v62, v63, 1.0
	v_fmac_f32_e32 v63, v65, v63
	v_mul_f32_e32 v65, v64, v63
	v_fma_f32 v66, -v62, v65, v64
	v_fmac_f32_e32 v65, v66, v63
	v_fma_f32 v62, -v62, v65, v64
	v_div_fmas_f32 v62, v62, v63, v65
	v_div_fixup_f32 v60, v62, v60, 1.0
.LBB98_563:
	s_or_b64 exec, exec, s[0:1]
	v_cmp_ne_u32_e32 vcc, v61, v58
	s_and_saveexec_b64 s[0:1], vcc
	s_xor_b64 s[0:1], exec, s[0:1]
	s_cbranch_execz .LBB98_569
; %bb.564:
	v_cmp_eq_u32_e32 vcc, 33, v61
	s_and_saveexec_b64 s[2:3], vcc
	s_cbranch_execz .LBB98_568
; %bb.565:
	v_cmp_ne_u32_e32 vcc, 33, v58
	s_xor_b64 s[12:13], s[20:21], -1
	s_and_b64 s[14:15], s[12:13], vcc
	s_and_saveexec_b64 s[12:13], s[14:15]
	s_cbranch_execz .LBB98_567
; %bb.566:
	v_ashrrev_i32_e32 v59, 31, v58
	v_lshl_add_u64 v[62:63], v[58:59], 2, v[4:5]
	global_load_dword v59, v[62:63], off
	global_load_dword v61, v[4:5], off offset:132
	s_waitcnt vmcnt(1)
	global_store_dword v[4:5], v59, off offset:132
	s_waitcnt vmcnt(1)
	global_store_dword v[62:63], v61, off
.LBB98_567:
	s_or_b64 exec, exec, s[12:13]
	v_mov_b32_e32 v59, v58
	v_mov_b32_e32 v61, v58
.LBB98_568:
	s_or_b64 exec, exec, s[2:3]
.LBB98_569:
	s_andn2_saveexec_b64 s[0:1], s[0:1]
	s_cbranch_execz .LBB98_571
; %bb.570:
	v_mov_b32_e32 v61, 33
	ds_write2_b32 v55, v26, v27 offset0:34 offset1:35
	ds_write2_b32 v55, v18, v19 offset0:36 offset1:37
	ds_write2_b32 v55, v8, v9 offset0:38 offset1:39
	ds_write2_b32 v55, v12, v13 offset0:40 offset1:41
	ds_write2_b32 v55, v20, v21 offset0:42 offset1:43
	ds_write2_b32 v55, v14, v15 offset0:44 offset1:45
	ds_write2_b32 v55, v0, v1 offset0:46 offset1:47
	ds_write2_b32 v55, v10, v11 offset0:48 offset1:49
.LBB98_571:
	s_or_b64 exec, exec, s[0:1]
	v_cmp_lt_i32_e32 vcc, 33, v61
	s_waitcnt lgkmcnt(0)
	s_barrier
	s_and_saveexec_b64 s[0:1], vcc
	s_cbranch_execz .LBB98_573
; %bb.572:
	ds_read2_b32 v[62:63], v55 offset0:34 offset1:35
	ds_read2_b32 v[64:65], v55 offset0:36 offset1:37
	;; [unrolled: 1-line block ×3, first 2 shown]
	v_mul_f32_e32 v58, v60, v35
	ds_read2_b32 v[68:69], v55 offset0:40 offset1:41
	s_waitcnt lgkmcnt(3)
	v_pk_fma_f32 v[26:27], v[58:59], v[62:63], v[26:27] op_sel_hi:[0,1,1] neg_lo:[1,0,0] neg_hi:[1,0,0]
	s_waitcnt lgkmcnt(2)
	v_pk_fma_f32 v[18:19], v[58:59], v[64:65], v[18:19] op_sel_hi:[0,1,1] neg_lo:[1,0,0] neg_hi:[1,0,0]
	;; [unrolled: 2-line block ×3, first 2 shown]
	ds_read2_b32 v[62:63], v55 offset0:42 offset1:43
	ds_read2_b32 v[64:65], v55 offset0:44 offset1:45
	;; [unrolled: 1-line block ×4, first 2 shown]
	s_waitcnt lgkmcnt(4)
	v_pk_fma_f32 v[12:13], v[58:59], v[68:69], v[12:13] op_sel_hi:[0,1,1] neg_lo:[1,0,0] neg_hi:[1,0,0]
	s_waitcnt lgkmcnt(3)
	v_pk_fma_f32 v[20:21], v[58:59], v[62:63], v[20:21] op_sel_hi:[0,1,1] neg_lo:[1,0,0] neg_hi:[1,0,0]
	;; [unrolled: 2-line block ×5, first 2 shown]
	v_mov_b32_e32 v35, v58
.LBB98_573:
	s_or_b64 exec, exec, s[0:1]
	v_lshl_add_u32 v58, v61, 2, v55
	s_barrier
	ds_write_b32 v58, v26
	s_waitcnt lgkmcnt(0)
	s_barrier
	ds_read_b32 v60, v55 offset:136
	s_cmp_lt_i32 s22, 36
	v_mov_b32_e32 v58, 34
	s_cbranch_scc1 .LBB98_576
; %bb.574:
	v_add_u32_e32 v62, 0x8c, v55
	v_mov_b32_e32 v58, 34
	s_mov_b32 s0, 35
.LBB98_575:                             ; =>This Inner Loop Header: Depth=1
	ds_read_b32 v63, v62
	v_mov_b32_e32 v64, s0
	s_add_i32 s0, s0, 1
	v_add_u32_e32 v62, 4, v62
	s_cmp_lg_u32 s22, s0
	s_waitcnt lgkmcnt(0)
	v_cmp_lt_f32_e64 vcc, |v60|, |v63|
	s_nop 1
	v_cndmask_b32_e32 v60, v60, v63, vcc
	v_cndmask_b32_e32 v58, v58, v64, vcc
	s_cbranch_scc1 .LBB98_575
.LBB98_576:
	s_waitcnt lgkmcnt(0)
	v_cmp_eq_f32_e32 vcc, 0, v60
	s_and_saveexec_b64 s[0:1], vcc
	s_xor_b64 s[0:1], exec, s[0:1]
; %bb.577:
	v_cmp_ne_u32_e32 vcc, 0, v57
	s_nop 1
	v_cndmask_b32_e32 v57, 35, v57, vcc
; %bb.578:
	s_andn2_saveexec_b64 s[0:1], s[0:1]
	s_cbranch_execz .LBB98_580
; %bb.579:
	v_div_scale_f32 v62, s[2:3], v60, v60, 1.0
	v_rcp_f32_e32 v63, v62
	v_div_scale_f32 v64, vcc, 1.0, v60, 1.0
	v_fma_f32 v65, -v62, v63, 1.0
	v_fmac_f32_e32 v63, v65, v63
	v_mul_f32_e32 v65, v64, v63
	v_fma_f32 v66, -v62, v65, v64
	v_fmac_f32_e32 v65, v66, v63
	v_fma_f32 v62, -v62, v65, v64
	v_div_fmas_f32 v62, v62, v63, v65
	v_div_fixup_f32 v60, v62, v60, 1.0
.LBB98_580:
	s_or_b64 exec, exec, s[0:1]
	v_cmp_ne_u32_e32 vcc, v61, v58
	s_and_saveexec_b64 s[0:1], vcc
	s_xor_b64 s[0:1], exec, s[0:1]
	s_cbranch_execz .LBB98_586
; %bb.581:
	v_cmp_eq_u32_e32 vcc, 34, v61
	s_and_saveexec_b64 s[2:3], vcc
	s_cbranch_execz .LBB98_585
; %bb.582:
	v_cmp_ne_u32_e32 vcc, 34, v58
	s_xor_b64 s[12:13], s[20:21], -1
	s_and_b64 s[14:15], s[12:13], vcc
	s_and_saveexec_b64 s[12:13], s[14:15]
	s_cbranch_execz .LBB98_584
; %bb.583:
	v_ashrrev_i32_e32 v59, 31, v58
	v_lshl_add_u64 v[62:63], v[58:59], 2, v[4:5]
	global_load_dword v59, v[62:63], off
	global_load_dword v61, v[4:5], off offset:136
	s_waitcnt vmcnt(1)
	global_store_dword v[4:5], v59, off offset:136
	s_waitcnt vmcnt(1)
	global_store_dword v[62:63], v61, off
.LBB98_584:
	s_or_b64 exec, exec, s[12:13]
	v_mov_b32_e32 v59, v58
	v_mov_b32_e32 v61, v58
.LBB98_585:
	s_or_b64 exec, exec, s[2:3]
.LBB98_586:
	s_andn2_saveexec_b64 s[0:1], s[0:1]
	s_cbranch_execz .LBB98_588
; %bb.587:
	v_pk_mov_b32 v[62:63], v[26:27], v[18:19] op_sel:[1,0]
	ds_write2_b32 v55, v62, v63 offset0:35 offset1:36
	v_pk_mov_b32 v[62:63], v[18:19], v[8:9] op_sel:[1,0]
	ds_write2_b32 v55, v62, v63 offset0:37 offset1:38
	;; [unrolled: 2-line block ×6, first 2 shown]
	v_pk_mov_b32 v[62:63], v[0:1], v[10:11] op_sel:[1,0]
	v_mov_b32_e32 v61, 34
	ds_write2_b32 v55, v62, v63 offset0:47 offset1:48
	ds_write_b32 v55, v11 offset:196
.LBB98_588:
	s_or_b64 exec, exec, s[0:1]
	v_cmp_lt_i32_e32 vcc, 34, v61
	s_waitcnt lgkmcnt(0)
	s_barrier
	s_and_saveexec_b64 s[0:1], vcc
	s_cbranch_execz .LBB98_590
; %bb.589:
	ds_read_b32 v58, v55 offset:140
	ds_read2_b32 v[62:63], v55 offset0:36 offset1:37
	ds_read2_b32 v[64:65], v55 offset0:38 offset1:39
	v_mul_f32_e32 v26, v60, v26
	ds_read2_b32 v[66:67], v55 offset0:40 offset1:41
	s_waitcnt lgkmcnt(3)
	v_fma_f32 v27, -v26, v58, v27
	s_waitcnt lgkmcnt(2)
	v_pk_fma_f32 v[18:19], v[26:27], v[62:63], v[18:19] op_sel_hi:[0,1,1] neg_lo:[1,0,0] neg_hi:[1,0,0]
	s_waitcnt lgkmcnt(1)
	v_pk_fma_f32 v[8:9], v[26:27], v[64:65], v[8:9] op_sel_hi:[0,1,1] neg_lo:[1,0,0] neg_hi:[1,0,0]
	ds_read2_b32 v[62:63], v55 offset0:42 offset1:43
	ds_read2_b32 v[64:65], v55 offset0:44 offset1:45
	;; [unrolled: 1-line block ×4, first 2 shown]
	s_waitcnt lgkmcnt(4)
	v_pk_fma_f32 v[12:13], v[26:27], v[66:67], v[12:13] op_sel_hi:[0,1,1] neg_lo:[1,0,0] neg_hi:[1,0,0]
	s_waitcnt lgkmcnt(3)
	v_pk_fma_f32 v[20:21], v[26:27], v[62:63], v[20:21] op_sel_hi:[0,1,1] neg_lo:[1,0,0] neg_hi:[1,0,0]
	;; [unrolled: 2-line block ×5, first 2 shown]
.LBB98_590:
	s_or_b64 exec, exec, s[0:1]
	v_lshl_add_u32 v58, v61, 2, v55
	s_barrier
	ds_write_b32 v58, v27
	s_waitcnt lgkmcnt(0)
	s_barrier
	ds_read_b32 v60, v55 offset:140
	s_cmp_lt_i32 s22, 37
	v_mov_b32_e32 v58, 35
	s_cbranch_scc1 .LBB98_593
; %bb.591:
	v_add_u32_e32 v62, 0x90, v55
	v_mov_b32_e32 v58, 35
	s_mov_b32 s0, 36
.LBB98_592:                             ; =>This Inner Loop Header: Depth=1
	ds_read_b32 v63, v62
	v_mov_b32_e32 v64, s0
	s_add_i32 s0, s0, 1
	v_add_u32_e32 v62, 4, v62
	s_cmp_lg_u32 s22, s0
	s_waitcnt lgkmcnt(0)
	v_cmp_lt_f32_e64 vcc, |v60|, |v63|
	s_nop 1
	v_cndmask_b32_e32 v60, v60, v63, vcc
	v_cndmask_b32_e32 v58, v58, v64, vcc
	s_cbranch_scc1 .LBB98_592
.LBB98_593:
	s_waitcnt lgkmcnt(0)
	v_cmp_eq_f32_e32 vcc, 0, v60
	s_and_saveexec_b64 s[0:1], vcc
	s_xor_b64 s[0:1], exec, s[0:1]
; %bb.594:
	v_cmp_ne_u32_e32 vcc, 0, v57
	s_nop 1
	v_cndmask_b32_e32 v57, 36, v57, vcc
; %bb.595:
	s_andn2_saveexec_b64 s[0:1], s[0:1]
	s_cbranch_execz .LBB98_597
; %bb.596:
	v_div_scale_f32 v62, s[2:3], v60, v60, 1.0
	v_rcp_f32_e32 v63, v62
	v_div_scale_f32 v64, vcc, 1.0, v60, 1.0
	v_fma_f32 v65, -v62, v63, 1.0
	v_fmac_f32_e32 v63, v65, v63
	v_mul_f32_e32 v65, v64, v63
	v_fma_f32 v66, -v62, v65, v64
	v_fmac_f32_e32 v65, v66, v63
	v_fma_f32 v62, -v62, v65, v64
	v_div_fmas_f32 v62, v62, v63, v65
	v_div_fixup_f32 v60, v62, v60, 1.0
.LBB98_597:
	s_or_b64 exec, exec, s[0:1]
	v_cmp_ne_u32_e32 vcc, v61, v58
	s_and_saveexec_b64 s[0:1], vcc
	s_xor_b64 s[0:1], exec, s[0:1]
	s_cbranch_execz .LBB98_603
; %bb.598:
	v_cmp_eq_u32_e32 vcc, 35, v61
	s_and_saveexec_b64 s[2:3], vcc
	s_cbranch_execz .LBB98_602
; %bb.599:
	v_cmp_ne_u32_e32 vcc, 35, v58
	s_xor_b64 s[12:13], s[20:21], -1
	s_and_b64 s[14:15], s[12:13], vcc
	s_and_saveexec_b64 s[12:13], s[14:15]
	s_cbranch_execz .LBB98_601
; %bb.600:
	v_ashrrev_i32_e32 v59, 31, v58
	v_lshl_add_u64 v[62:63], v[58:59], 2, v[4:5]
	global_load_dword v59, v[62:63], off
	global_load_dword v61, v[4:5], off offset:140
	s_waitcnt vmcnt(1)
	global_store_dword v[4:5], v59, off offset:140
	s_waitcnt vmcnt(1)
	global_store_dword v[62:63], v61, off
.LBB98_601:
	s_or_b64 exec, exec, s[12:13]
	v_mov_b32_e32 v59, v58
	v_mov_b32_e32 v61, v58
.LBB98_602:
	s_or_b64 exec, exec, s[2:3]
.LBB98_603:
	s_andn2_saveexec_b64 s[0:1], s[0:1]
	s_cbranch_execz .LBB98_605
; %bb.604:
	v_mov_b32_e32 v61, 35
	ds_write2_b32 v55, v18, v19 offset0:36 offset1:37
	ds_write2_b32 v55, v8, v9 offset0:38 offset1:39
	;; [unrolled: 1-line block ×7, first 2 shown]
.LBB98_605:
	s_or_b64 exec, exec, s[0:1]
	v_cmp_lt_i32_e32 vcc, 35, v61
	s_waitcnt lgkmcnt(0)
	s_barrier
	s_and_saveexec_b64 s[0:1], vcc
	s_cbranch_execz .LBB98_607
; %bb.606:
	ds_read2_b32 v[62:63], v55 offset0:36 offset1:37
	ds_read2_b32 v[64:65], v55 offset0:38 offset1:39
	v_mul_f32_e32 v58, v60, v27
	ds_read2_b32 v[66:67], v55 offset0:40 offset1:41
	ds_read2_b32 v[68:69], v55 offset0:42 offset1:43
	v_mov_b32_e32 v27, v58
	s_waitcnt lgkmcnt(3)
	v_pk_fma_f32 v[18:19], v[58:59], v[62:63], v[18:19] op_sel_hi:[0,1,1] neg_lo:[1,0,0] neg_hi:[1,0,0]
	s_waitcnt lgkmcnt(2)
	v_pk_fma_f32 v[8:9], v[58:59], v[64:65], v[8:9] op_sel_hi:[0,1,1] neg_lo:[1,0,0] neg_hi:[1,0,0]
	ds_read2_b32 v[62:63], v55 offset0:44 offset1:45
	ds_read2_b32 v[64:65], v55 offset0:46 offset1:47
	;; [unrolled: 1-line block ×3, first 2 shown]
	s_waitcnt lgkmcnt(4)
	v_pk_fma_f32 v[12:13], v[58:59], v[66:67], v[12:13] op_sel_hi:[0,1,1] neg_lo:[1,0,0] neg_hi:[1,0,0]
	s_waitcnt lgkmcnt(3)
	v_pk_fma_f32 v[20:21], v[58:59], v[68:69], v[20:21] op_sel_hi:[0,1,1] neg_lo:[1,0,0] neg_hi:[1,0,0]
	;; [unrolled: 2-line block ×5, first 2 shown]
.LBB98_607:
	s_or_b64 exec, exec, s[0:1]
	v_lshl_add_u32 v58, v61, 2, v55
	s_barrier
	ds_write_b32 v58, v18
	s_waitcnt lgkmcnt(0)
	s_barrier
	ds_read_b32 v60, v55 offset:144
	s_cmp_lt_i32 s22, 38
	v_mov_b32_e32 v58, 36
	s_cbranch_scc1 .LBB98_610
; %bb.608:
	v_add_u32_e32 v62, 0x94, v55
	v_mov_b32_e32 v58, 36
	s_mov_b32 s0, 37
.LBB98_609:                             ; =>This Inner Loop Header: Depth=1
	ds_read_b32 v63, v62
	v_mov_b32_e32 v64, s0
	s_add_i32 s0, s0, 1
	v_add_u32_e32 v62, 4, v62
	s_cmp_lg_u32 s22, s0
	s_waitcnt lgkmcnt(0)
	v_cmp_lt_f32_e64 vcc, |v60|, |v63|
	s_nop 1
	v_cndmask_b32_e32 v60, v60, v63, vcc
	v_cndmask_b32_e32 v58, v58, v64, vcc
	s_cbranch_scc1 .LBB98_609
.LBB98_610:
	s_waitcnt lgkmcnt(0)
	v_cmp_eq_f32_e32 vcc, 0, v60
	s_and_saveexec_b64 s[0:1], vcc
	s_xor_b64 s[0:1], exec, s[0:1]
; %bb.611:
	v_cmp_ne_u32_e32 vcc, 0, v57
	s_nop 1
	v_cndmask_b32_e32 v57, 37, v57, vcc
; %bb.612:
	s_andn2_saveexec_b64 s[0:1], s[0:1]
	s_cbranch_execz .LBB98_614
; %bb.613:
	v_div_scale_f32 v62, s[2:3], v60, v60, 1.0
	v_rcp_f32_e32 v63, v62
	v_div_scale_f32 v64, vcc, 1.0, v60, 1.0
	v_fma_f32 v65, -v62, v63, 1.0
	v_fmac_f32_e32 v63, v65, v63
	v_mul_f32_e32 v65, v64, v63
	v_fma_f32 v66, -v62, v65, v64
	v_fmac_f32_e32 v65, v66, v63
	v_fma_f32 v62, -v62, v65, v64
	v_div_fmas_f32 v62, v62, v63, v65
	v_div_fixup_f32 v60, v62, v60, 1.0
.LBB98_614:
	s_or_b64 exec, exec, s[0:1]
	v_cmp_ne_u32_e32 vcc, v61, v58
	s_and_saveexec_b64 s[0:1], vcc
	s_xor_b64 s[0:1], exec, s[0:1]
	s_cbranch_execz .LBB98_620
; %bb.615:
	v_cmp_eq_u32_e32 vcc, 36, v61
	s_and_saveexec_b64 s[2:3], vcc
	s_cbranch_execz .LBB98_619
; %bb.616:
	v_cmp_ne_u32_e32 vcc, 36, v58
	s_xor_b64 s[12:13], s[20:21], -1
	s_and_b64 s[14:15], s[12:13], vcc
	s_and_saveexec_b64 s[12:13], s[14:15]
	s_cbranch_execz .LBB98_618
; %bb.617:
	v_ashrrev_i32_e32 v59, 31, v58
	v_lshl_add_u64 v[62:63], v[58:59], 2, v[4:5]
	global_load_dword v59, v[62:63], off
	global_load_dword v61, v[4:5], off offset:144
	s_waitcnt vmcnt(1)
	global_store_dword v[4:5], v59, off offset:144
	s_waitcnt vmcnt(1)
	global_store_dword v[62:63], v61, off
.LBB98_618:
	s_or_b64 exec, exec, s[12:13]
	v_mov_b32_e32 v59, v58
	v_mov_b32_e32 v61, v58
.LBB98_619:
	s_or_b64 exec, exec, s[2:3]
.LBB98_620:
	s_andn2_saveexec_b64 s[0:1], s[0:1]
	s_cbranch_execz .LBB98_622
; %bb.621:
	v_pk_mov_b32 v[62:63], v[18:19], v[8:9] op_sel:[1,0]
	ds_write2_b32 v55, v62, v63 offset0:37 offset1:38
	v_pk_mov_b32 v[62:63], v[8:9], v[12:13] op_sel:[1,0]
	ds_write2_b32 v55, v62, v63 offset0:39 offset1:40
	;; [unrolled: 2-line block ×5, first 2 shown]
	v_pk_mov_b32 v[62:63], v[0:1], v[10:11] op_sel:[1,0]
	v_mov_b32_e32 v61, 36
	ds_write2_b32 v55, v62, v63 offset0:47 offset1:48
	ds_write_b32 v55, v11 offset:196
.LBB98_622:
	s_or_b64 exec, exec, s[0:1]
	v_cmp_lt_i32_e32 vcc, 36, v61
	s_waitcnt lgkmcnt(0)
	s_barrier
	s_and_saveexec_b64 s[0:1], vcc
	s_cbranch_execz .LBB98_624
; %bb.623:
	ds_read_b32 v58, v55 offset:148
	ds_read2_b32 v[62:63], v55 offset0:38 offset1:39
	v_mul_f32_e32 v18, v60, v18
	ds_read2_b32 v[64:65], v55 offset0:40 offset1:41
	ds_read2_b32 v[66:67], v55 offset0:42 offset1:43
	s_waitcnt lgkmcnt(3)
	v_fma_f32 v19, -v18, v58, v19
	s_waitcnt lgkmcnt(2)
	v_pk_fma_f32 v[8:9], v[18:19], v[62:63], v[8:9] op_sel_hi:[0,1,1] neg_lo:[1,0,0] neg_hi:[1,0,0]
	ds_read2_b32 v[62:63], v55 offset0:44 offset1:45
	ds_read2_b32 v[68:69], v55 offset0:46 offset1:47
	ds_read2_b32 v[70:71], v55 offset0:48 offset1:49
	s_waitcnt lgkmcnt(4)
	v_pk_fma_f32 v[12:13], v[18:19], v[64:65], v[12:13] op_sel_hi:[0,1,1] neg_lo:[1,0,0] neg_hi:[1,0,0]
	s_waitcnt lgkmcnt(3)
	v_pk_fma_f32 v[20:21], v[18:19], v[66:67], v[20:21] op_sel_hi:[0,1,1] neg_lo:[1,0,0] neg_hi:[1,0,0]
	s_waitcnt lgkmcnt(2)
	v_pk_fma_f32 v[14:15], v[18:19], v[62:63], v[14:15] op_sel_hi:[0,1,1] neg_lo:[1,0,0] neg_hi:[1,0,0]
	s_waitcnt lgkmcnt(1)
	v_pk_fma_f32 v[0:1], v[18:19], v[68:69], v[0:1] op_sel_hi:[0,1,1] neg_lo:[1,0,0] neg_hi:[1,0,0]
	s_waitcnt lgkmcnt(0)
	v_pk_fma_f32 v[10:11], v[18:19], v[70:71], v[10:11] op_sel_hi:[0,1,1] neg_lo:[1,0,0] neg_hi:[1,0,0]
.LBB98_624:
	s_or_b64 exec, exec, s[0:1]
	v_lshl_add_u32 v58, v61, 2, v55
	s_barrier
	ds_write_b32 v58, v19
	s_waitcnt lgkmcnt(0)
	s_barrier
	ds_read_b32 v60, v55 offset:148
	s_cmp_lt_i32 s22, 39
	v_mov_b32_e32 v58, 37
	s_cbranch_scc1 .LBB98_627
; %bb.625:
	v_add_u32_e32 v62, 0x98, v55
	v_mov_b32_e32 v58, 37
	s_mov_b32 s0, 38
.LBB98_626:                             ; =>This Inner Loop Header: Depth=1
	ds_read_b32 v63, v62
	v_mov_b32_e32 v64, s0
	s_add_i32 s0, s0, 1
	v_add_u32_e32 v62, 4, v62
	s_cmp_lg_u32 s22, s0
	s_waitcnt lgkmcnt(0)
	v_cmp_lt_f32_e64 vcc, |v60|, |v63|
	s_nop 1
	v_cndmask_b32_e32 v60, v60, v63, vcc
	v_cndmask_b32_e32 v58, v58, v64, vcc
	s_cbranch_scc1 .LBB98_626
.LBB98_627:
	s_waitcnt lgkmcnt(0)
	v_cmp_eq_f32_e32 vcc, 0, v60
	s_and_saveexec_b64 s[0:1], vcc
	s_xor_b64 s[0:1], exec, s[0:1]
; %bb.628:
	v_cmp_ne_u32_e32 vcc, 0, v57
	s_nop 1
	v_cndmask_b32_e32 v57, 38, v57, vcc
; %bb.629:
	s_andn2_saveexec_b64 s[0:1], s[0:1]
	s_cbranch_execz .LBB98_631
; %bb.630:
	v_div_scale_f32 v62, s[2:3], v60, v60, 1.0
	v_rcp_f32_e32 v63, v62
	v_div_scale_f32 v64, vcc, 1.0, v60, 1.0
	v_fma_f32 v65, -v62, v63, 1.0
	v_fmac_f32_e32 v63, v65, v63
	v_mul_f32_e32 v65, v64, v63
	v_fma_f32 v66, -v62, v65, v64
	v_fmac_f32_e32 v65, v66, v63
	v_fma_f32 v62, -v62, v65, v64
	v_div_fmas_f32 v62, v62, v63, v65
	v_div_fixup_f32 v60, v62, v60, 1.0
.LBB98_631:
	s_or_b64 exec, exec, s[0:1]
	v_cmp_ne_u32_e32 vcc, v61, v58
	s_and_saveexec_b64 s[0:1], vcc
	s_xor_b64 s[0:1], exec, s[0:1]
	s_cbranch_execz .LBB98_637
; %bb.632:
	v_cmp_eq_u32_e32 vcc, 37, v61
	s_and_saveexec_b64 s[2:3], vcc
	s_cbranch_execz .LBB98_636
; %bb.633:
	v_cmp_ne_u32_e32 vcc, 37, v58
	s_xor_b64 s[12:13], s[20:21], -1
	s_and_b64 s[14:15], s[12:13], vcc
	s_and_saveexec_b64 s[12:13], s[14:15]
	s_cbranch_execz .LBB98_635
; %bb.634:
	v_ashrrev_i32_e32 v59, 31, v58
	v_lshl_add_u64 v[62:63], v[58:59], 2, v[4:5]
	global_load_dword v59, v[62:63], off
	global_load_dword v61, v[4:5], off offset:148
	s_waitcnt vmcnt(1)
	global_store_dword v[4:5], v59, off offset:148
	s_waitcnt vmcnt(1)
	global_store_dword v[62:63], v61, off
.LBB98_635:
	s_or_b64 exec, exec, s[12:13]
	v_mov_b32_e32 v59, v58
	v_mov_b32_e32 v61, v58
.LBB98_636:
	s_or_b64 exec, exec, s[2:3]
.LBB98_637:
	s_andn2_saveexec_b64 s[0:1], s[0:1]
	s_cbranch_execz .LBB98_639
; %bb.638:
	v_mov_b32_e32 v61, 37
	ds_write2_b32 v55, v8, v9 offset0:38 offset1:39
	ds_write2_b32 v55, v12, v13 offset0:40 offset1:41
	;; [unrolled: 1-line block ×6, first 2 shown]
.LBB98_639:
	s_or_b64 exec, exec, s[0:1]
	v_cmp_lt_i32_e32 vcc, 37, v61
	s_waitcnt lgkmcnt(0)
	s_barrier
	s_and_saveexec_b64 s[0:1], vcc
	s_cbranch_execz .LBB98_641
; %bb.640:
	ds_read2_b32 v[62:63], v55 offset0:38 offset1:39
	v_mul_f32_e32 v58, v60, v19
	ds_read2_b32 v[64:65], v55 offset0:40 offset1:41
	ds_read2_b32 v[66:67], v55 offset0:42 offset1:43
	;; [unrolled: 1-line block ×3, first 2 shown]
	v_mov_b32_e32 v19, v58
	s_waitcnt lgkmcnt(2)
	v_pk_fma_f32 v[12:13], v[58:59], v[64:65], v[12:13] op_sel_hi:[0,1,1] neg_lo:[1,0,0] neg_hi:[1,0,0]
	v_pk_fma_f32 v[8:9], v[58:59], v[62:63], v[8:9] op_sel_hi:[0,1,1] neg_lo:[1,0,0] neg_hi:[1,0,0]
	ds_read2_b32 v[62:63], v55 offset0:46 offset1:47
	ds_read2_b32 v[70:71], v55 offset0:48 offset1:49
	s_waitcnt lgkmcnt(3)
	v_pk_fma_f32 v[20:21], v[58:59], v[66:67], v[20:21] op_sel_hi:[0,1,1] neg_lo:[1,0,0] neg_hi:[1,0,0]
	s_waitcnt lgkmcnt(2)
	v_pk_fma_f32 v[14:15], v[58:59], v[68:69], v[14:15] op_sel_hi:[0,1,1] neg_lo:[1,0,0] neg_hi:[1,0,0]
	;; [unrolled: 2-line block ×4, first 2 shown]
.LBB98_641:
	s_or_b64 exec, exec, s[0:1]
	v_lshl_add_u32 v58, v61, 2, v55
	s_barrier
	ds_write_b32 v58, v8
	s_waitcnt lgkmcnt(0)
	s_barrier
	ds_read_b32 v60, v55 offset:152
	s_cmp_lt_i32 s22, 40
	v_mov_b32_e32 v58, 38
	s_cbranch_scc1 .LBB98_644
; %bb.642:
	v_add_u32_e32 v62, 0x9c, v55
	v_mov_b32_e32 v58, 38
	s_mov_b32 s0, 39
.LBB98_643:                             ; =>This Inner Loop Header: Depth=1
	ds_read_b32 v63, v62
	v_mov_b32_e32 v64, s0
	s_add_i32 s0, s0, 1
	v_add_u32_e32 v62, 4, v62
	s_cmp_lg_u32 s22, s0
	s_waitcnt lgkmcnt(0)
	v_cmp_lt_f32_e64 vcc, |v60|, |v63|
	s_nop 1
	v_cndmask_b32_e32 v60, v60, v63, vcc
	v_cndmask_b32_e32 v58, v58, v64, vcc
	s_cbranch_scc1 .LBB98_643
.LBB98_644:
	s_waitcnt lgkmcnt(0)
	v_cmp_eq_f32_e32 vcc, 0, v60
	s_and_saveexec_b64 s[0:1], vcc
	s_xor_b64 s[0:1], exec, s[0:1]
; %bb.645:
	v_cmp_ne_u32_e32 vcc, 0, v57
	s_nop 1
	v_cndmask_b32_e32 v57, 39, v57, vcc
; %bb.646:
	s_andn2_saveexec_b64 s[0:1], s[0:1]
	s_cbranch_execz .LBB98_648
; %bb.647:
	v_div_scale_f32 v62, s[2:3], v60, v60, 1.0
	v_rcp_f32_e32 v63, v62
	v_div_scale_f32 v64, vcc, 1.0, v60, 1.0
	v_fma_f32 v65, -v62, v63, 1.0
	v_fmac_f32_e32 v63, v65, v63
	v_mul_f32_e32 v65, v64, v63
	v_fma_f32 v66, -v62, v65, v64
	v_fmac_f32_e32 v65, v66, v63
	v_fma_f32 v62, -v62, v65, v64
	v_div_fmas_f32 v62, v62, v63, v65
	v_div_fixup_f32 v60, v62, v60, 1.0
.LBB98_648:
	s_or_b64 exec, exec, s[0:1]
	v_cmp_ne_u32_e32 vcc, v61, v58
	s_and_saveexec_b64 s[0:1], vcc
	s_xor_b64 s[0:1], exec, s[0:1]
	s_cbranch_execz .LBB98_654
; %bb.649:
	v_cmp_eq_u32_e32 vcc, 38, v61
	s_and_saveexec_b64 s[2:3], vcc
	s_cbranch_execz .LBB98_653
; %bb.650:
	v_cmp_ne_u32_e32 vcc, 38, v58
	s_xor_b64 s[12:13], s[20:21], -1
	s_and_b64 s[14:15], s[12:13], vcc
	s_and_saveexec_b64 s[12:13], s[14:15]
	s_cbranch_execz .LBB98_652
; %bb.651:
	v_ashrrev_i32_e32 v59, 31, v58
	v_lshl_add_u64 v[62:63], v[58:59], 2, v[4:5]
	global_load_dword v59, v[62:63], off
	global_load_dword v61, v[4:5], off offset:152
	s_waitcnt vmcnt(1)
	global_store_dword v[4:5], v59, off offset:152
	s_waitcnt vmcnt(1)
	global_store_dword v[62:63], v61, off
.LBB98_652:
	s_or_b64 exec, exec, s[12:13]
	v_mov_b32_e32 v59, v58
	v_mov_b32_e32 v61, v58
.LBB98_653:
	s_or_b64 exec, exec, s[2:3]
.LBB98_654:
	s_andn2_saveexec_b64 s[0:1], s[0:1]
	s_cbranch_execz .LBB98_656
; %bb.655:
	v_pk_mov_b32 v[62:63], v[8:9], v[12:13] op_sel:[1,0]
	ds_write2_b32 v55, v62, v63 offset0:39 offset1:40
	v_pk_mov_b32 v[62:63], v[12:13], v[20:21] op_sel:[1,0]
	ds_write2_b32 v55, v62, v63 offset0:41 offset1:42
	;; [unrolled: 2-line block ×4, first 2 shown]
	v_pk_mov_b32 v[62:63], v[0:1], v[10:11] op_sel:[1,0]
	v_mov_b32_e32 v61, 38
	ds_write2_b32 v55, v62, v63 offset0:47 offset1:48
	ds_write_b32 v55, v11 offset:196
.LBB98_656:
	s_or_b64 exec, exec, s[0:1]
	v_cmp_lt_i32_e32 vcc, 38, v61
	s_waitcnt lgkmcnt(0)
	s_barrier
	s_and_saveexec_b64 s[0:1], vcc
	s_cbranch_execz .LBB98_658
; %bb.657:
	ds_read_b32 v58, v55 offset:156
	ds_read2_b32 v[62:63], v55 offset0:40 offset1:41
	ds_read2_b32 v[64:65], v55 offset0:42 offset1:43
	;; [unrolled: 1-line block ×5, first 2 shown]
	v_mul_f32_e32 v8, v60, v8
	s_waitcnt lgkmcnt(5)
	v_fma_f32 v9, -v8, v58, v9
	s_waitcnt lgkmcnt(4)
	v_pk_fma_f32 v[12:13], v[8:9], v[62:63], v[12:13] op_sel_hi:[0,1,1] neg_lo:[1,0,0] neg_hi:[1,0,0]
	s_waitcnt lgkmcnt(3)
	v_pk_fma_f32 v[20:21], v[8:9], v[64:65], v[20:21] op_sel_hi:[0,1,1] neg_lo:[1,0,0] neg_hi:[1,0,0]
	;; [unrolled: 2-line block ×5, first 2 shown]
.LBB98_658:
	s_or_b64 exec, exec, s[0:1]
	v_lshl_add_u32 v58, v61, 2, v55
	s_barrier
	ds_write_b32 v58, v9
	s_waitcnt lgkmcnt(0)
	s_barrier
	ds_read_b32 v60, v55 offset:156
	s_cmp_lt_i32 s22, 41
	v_mov_b32_e32 v58, 39
	s_cbranch_scc1 .LBB98_661
; %bb.659:
	v_add_u32_e32 v62, 0xa0, v55
	v_mov_b32_e32 v58, 39
	s_mov_b32 s0, 40
.LBB98_660:                             ; =>This Inner Loop Header: Depth=1
	ds_read_b32 v63, v62
	v_mov_b32_e32 v64, s0
	s_add_i32 s0, s0, 1
	v_add_u32_e32 v62, 4, v62
	s_cmp_lg_u32 s22, s0
	s_waitcnt lgkmcnt(0)
	v_cmp_lt_f32_e64 vcc, |v60|, |v63|
	s_nop 1
	v_cndmask_b32_e32 v60, v60, v63, vcc
	v_cndmask_b32_e32 v58, v58, v64, vcc
	s_cbranch_scc1 .LBB98_660
.LBB98_661:
	s_waitcnt lgkmcnt(0)
	v_cmp_eq_f32_e32 vcc, 0, v60
	s_and_saveexec_b64 s[0:1], vcc
	s_xor_b64 s[0:1], exec, s[0:1]
; %bb.662:
	v_cmp_ne_u32_e32 vcc, 0, v57
	s_nop 1
	v_cndmask_b32_e32 v57, 40, v57, vcc
; %bb.663:
	s_andn2_saveexec_b64 s[0:1], s[0:1]
	s_cbranch_execz .LBB98_665
; %bb.664:
	v_div_scale_f32 v62, s[2:3], v60, v60, 1.0
	v_rcp_f32_e32 v63, v62
	v_div_scale_f32 v64, vcc, 1.0, v60, 1.0
	v_fma_f32 v65, -v62, v63, 1.0
	v_fmac_f32_e32 v63, v65, v63
	v_mul_f32_e32 v65, v64, v63
	v_fma_f32 v66, -v62, v65, v64
	v_fmac_f32_e32 v65, v66, v63
	v_fma_f32 v62, -v62, v65, v64
	v_div_fmas_f32 v62, v62, v63, v65
	v_div_fixup_f32 v60, v62, v60, 1.0
.LBB98_665:
	s_or_b64 exec, exec, s[0:1]
	v_cmp_ne_u32_e32 vcc, v61, v58
	s_and_saveexec_b64 s[0:1], vcc
	s_xor_b64 s[0:1], exec, s[0:1]
	s_cbranch_execz .LBB98_671
; %bb.666:
	v_cmp_eq_u32_e32 vcc, 39, v61
	s_and_saveexec_b64 s[2:3], vcc
	s_cbranch_execz .LBB98_670
; %bb.667:
	v_cmp_ne_u32_e32 vcc, 39, v58
	s_xor_b64 s[12:13], s[20:21], -1
	s_and_b64 s[14:15], s[12:13], vcc
	s_and_saveexec_b64 s[12:13], s[14:15]
	s_cbranch_execz .LBB98_669
; %bb.668:
	v_ashrrev_i32_e32 v59, 31, v58
	v_lshl_add_u64 v[62:63], v[58:59], 2, v[4:5]
	global_load_dword v59, v[62:63], off
	global_load_dword v61, v[4:5], off offset:156
	s_waitcnt vmcnt(1)
	global_store_dword v[4:5], v59, off offset:156
	s_waitcnt vmcnt(1)
	global_store_dword v[62:63], v61, off
.LBB98_669:
	s_or_b64 exec, exec, s[12:13]
	v_mov_b32_e32 v59, v58
	v_mov_b32_e32 v61, v58
.LBB98_670:
	s_or_b64 exec, exec, s[2:3]
.LBB98_671:
	s_andn2_saveexec_b64 s[0:1], s[0:1]
	s_cbranch_execz .LBB98_673
; %bb.672:
	v_mov_b32_e32 v61, 39
	ds_write2_b32 v55, v12, v13 offset0:40 offset1:41
	ds_write2_b32 v55, v20, v21 offset0:42 offset1:43
	;; [unrolled: 1-line block ×5, first 2 shown]
.LBB98_673:
	s_or_b64 exec, exec, s[0:1]
	v_cmp_lt_i32_e32 vcc, 39, v61
	s_waitcnt lgkmcnt(0)
	s_barrier
	s_and_saveexec_b64 s[0:1], vcc
	s_cbranch_execz .LBB98_675
; %bb.674:
	ds_read2_b32 v[62:63], v55 offset0:40 offset1:41
	ds_read2_b32 v[64:65], v55 offset0:42 offset1:43
	;; [unrolled: 1-line block ×5, first 2 shown]
	v_mul_f32_e32 v58, v60, v9
	s_waitcnt lgkmcnt(4)
	v_pk_fma_f32 v[12:13], v[58:59], v[62:63], v[12:13] op_sel_hi:[0,1,1] neg_lo:[1,0,0] neg_hi:[1,0,0]
	s_waitcnt lgkmcnt(3)
	v_pk_fma_f32 v[20:21], v[58:59], v[64:65], v[20:21] op_sel_hi:[0,1,1] neg_lo:[1,0,0] neg_hi:[1,0,0]
	;; [unrolled: 2-line block ×5, first 2 shown]
	v_mov_b32_e32 v9, v58
.LBB98_675:
	s_or_b64 exec, exec, s[0:1]
	v_lshl_add_u32 v58, v61, 2, v55
	s_barrier
	ds_write_b32 v58, v12
	s_waitcnt lgkmcnt(0)
	s_barrier
	ds_read_b32 v60, v55 offset:160
	s_cmp_lt_i32 s22, 42
	v_mov_b32_e32 v58, 40
	s_cbranch_scc1 .LBB98_678
; %bb.676:
	v_add_u32_e32 v62, 0xa4, v55
	v_mov_b32_e32 v58, 40
	s_mov_b32 s0, 41
.LBB98_677:                             ; =>This Inner Loop Header: Depth=1
	ds_read_b32 v63, v62
	v_mov_b32_e32 v64, s0
	s_add_i32 s0, s0, 1
	v_add_u32_e32 v62, 4, v62
	s_cmp_lg_u32 s22, s0
	s_waitcnt lgkmcnt(0)
	v_cmp_lt_f32_e64 vcc, |v60|, |v63|
	s_nop 1
	v_cndmask_b32_e32 v60, v60, v63, vcc
	v_cndmask_b32_e32 v58, v58, v64, vcc
	s_cbranch_scc1 .LBB98_677
.LBB98_678:
	s_waitcnt lgkmcnt(0)
	v_cmp_eq_f32_e32 vcc, 0, v60
	s_and_saveexec_b64 s[0:1], vcc
	s_xor_b64 s[0:1], exec, s[0:1]
; %bb.679:
	v_cmp_ne_u32_e32 vcc, 0, v57
	s_nop 1
	v_cndmask_b32_e32 v57, 41, v57, vcc
; %bb.680:
	s_andn2_saveexec_b64 s[0:1], s[0:1]
	s_cbranch_execz .LBB98_682
; %bb.681:
	v_div_scale_f32 v62, s[2:3], v60, v60, 1.0
	v_rcp_f32_e32 v63, v62
	v_div_scale_f32 v64, vcc, 1.0, v60, 1.0
	v_fma_f32 v65, -v62, v63, 1.0
	v_fmac_f32_e32 v63, v65, v63
	v_mul_f32_e32 v65, v64, v63
	v_fma_f32 v66, -v62, v65, v64
	v_fmac_f32_e32 v65, v66, v63
	v_fma_f32 v62, -v62, v65, v64
	v_div_fmas_f32 v62, v62, v63, v65
	v_div_fixup_f32 v60, v62, v60, 1.0
.LBB98_682:
	s_or_b64 exec, exec, s[0:1]
	v_cmp_ne_u32_e32 vcc, v61, v58
	s_and_saveexec_b64 s[0:1], vcc
	s_xor_b64 s[0:1], exec, s[0:1]
	s_cbranch_execz .LBB98_688
; %bb.683:
	v_cmp_eq_u32_e32 vcc, 40, v61
	s_and_saveexec_b64 s[2:3], vcc
	s_cbranch_execz .LBB98_687
; %bb.684:
	v_cmp_ne_u32_e32 vcc, 40, v58
	s_xor_b64 s[12:13], s[20:21], -1
	s_and_b64 s[14:15], s[12:13], vcc
	s_and_saveexec_b64 s[12:13], s[14:15]
	s_cbranch_execz .LBB98_686
; %bb.685:
	v_ashrrev_i32_e32 v59, 31, v58
	v_lshl_add_u64 v[62:63], v[58:59], 2, v[4:5]
	global_load_dword v59, v[62:63], off
	global_load_dword v61, v[4:5], off offset:160
	s_waitcnt vmcnt(1)
	global_store_dword v[4:5], v59, off offset:160
	s_waitcnt vmcnt(1)
	global_store_dword v[62:63], v61, off
.LBB98_686:
	s_or_b64 exec, exec, s[12:13]
	v_mov_b32_e32 v59, v58
	v_mov_b32_e32 v61, v58
.LBB98_687:
	s_or_b64 exec, exec, s[2:3]
.LBB98_688:
	s_andn2_saveexec_b64 s[0:1], s[0:1]
	s_cbranch_execz .LBB98_690
; %bb.689:
	v_pk_mov_b32 v[62:63], v[12:13], v[20:21] op_sel:[1,0]
	ds_write2_b32 v55, v62, v63 offset0:41 offset1:42
	v_pk_mov_b32 v[62:63], v[20:21], v[14:15] op_sel:[1,0]
	ds_write2_b32 v55, v62, v63 offset0:43 offset1:44
	;; [unrolled: 2-line block ×3, first 2 shown]
	v_pk_mov_b32 v[62:63], v[0:1], v[10:11] op_sel:[1,0]
	v_mov_b32_e32 v61, 40
	ds_write2_b32 v55, v62, v63 offset0:47 offset1:48
	ds_write_b32 v55, v11 offset:196
.LBB98_690:
	s_or_b64 exec, exec, s[0:1]
	v_cmp_lt_i32_e32 vcc, 40, v61
	s_waitcnt lgkmcnt(0)
	s_barrier
	s_and_saveexec_b64 s[0:1], vcc
	s_cbranch_execz .LBB98_692
; %bb.691:
	ds_read_b32 v58, v55 offset:164
	ds_read2_b32 v[62:63], v55 offset0:42 offset1:43
	ds_read2_b32 v[64:65], v55 offset0:44 offset1:45
	;; [unrolled: 1-line block ×4, first 2 shown]
	v_mul_f32_e32 v12, v60, v12
	s_waitcnt lgkmcnt(4)
	v_fma_f32 v13, -v12, v58, v13
	s_waitcnt lgkmcnt(3)
	v_pk_fma_f32 v[20:21], v[12:13], v[62:63], v[20:21] op_sel_hi:[0,1,1] neg_lo:[1,0,0] neg_hi:[1,0,0]
	s_waitcnt lgkmcnt(2)
	v_pk_fma_f32 v[14:15], v[12:13], v[64:65], v[14:15] op_sel_hi:[0,1,1] neg_lo:[1,0,0] neg_hi:[1,0,0]
	;; [unrolled: 2-line block ×4, first 2 shown]
.LBB98_692:
	s_or_b64 exec, exec, s[0:1]
	v_lshl_add_u32 v58, v61, 2, v55
	s_barrier
	ds_write_b32 v58, v13
	s_waitcnt lgkmcnt(0)
	s_barrier
	ds_read_b32 v60, v55 offset:164
	s_cmp_lt_i32 s22, 43
	v_mov_b32_e32 v58, 41
	s_cbranch_scc1 .LBB98_695
; %bb.693:
	v_add_u32_e32 v62, 0xa8, v55
	v_mov_b32_e32 v58, 41
	s_mov_b32 s0, 42
.LBB98_694:                             ; =>This Inner Loop Header: Depth=1
	ds_read_b32 v63, v62
	v_mov_b32_e32 v64, s0
	s_add_i32 s0, s0, 1
	v_add_u32_e32 v62, 4, v62
	s_cmp_lg_u32 s22, s0
	s_waitcnt lgkmcnt(0)
	v_cmp_lt_f32_e64 vcc, |v60|, |v63|
	s_nop 1
	v_cndmask_b32_e32 v60, v60, v63, vcc
	v_cndmask_b32_e32 v58, v58, v64, vcc
	s_cbranch_scc1 .LBB98_694
.LBB98_695:
	s_waitcnt lgkmcnt(0)
	v_cmp_eq_f32_e32 vcc, 0, v60
	s_and_saveexec_b64 s[0:1], vcc
	s_xor_b64 s[0:1], exec, s[0:1]
; %bb.696:
	v_cmp_ne_u32_e32 vcc, 0, v57
	s_nop 1
	v_cndmask_b32_e32 v57, 42, v57, vcc
; %bb.697:
	s_andn2_saveexec_b64 s[0:1], s[0:1]
	s_cbranch_execz .LBB98_699
; %bb.698:
	v_div_scale_f32 v62, s[2:3], v60, v60, 1.0
	v_rcp_f32_e32 v63, v62
	v_div_scale_f32 v64, vcc, 1.0, v60, 1.0
	v_fma_f32 v65, -v62, v63, 1.0
	v_fmac_f32_e32 v63, v65, v63
	v_mul_f32_e32 v65, v64, v63
	v_fma_f32 v66, -v62, v65, v64
	v_fmac_f32_e32 v65, v66, v63
	v_fma_f32 v62, -v62, v65, v64
	v_div_fmas_f32 v62, v62, v63, v65
	v_div_fixup_f32 v60, v62, v60, 1.0
.LBB98_699:
	s_or_b64 exec, exec, s[0:1]
	v_cmp_ne_u32_e32 vcc, v61, v58
	s_and_saveexec_b64 s[0:1], vcc
	s_xor_b64 s[0:1], exec, s[0:1]
	s_cbranch_execz .LBB98_705
; %bb.700:
	v_cmp_eq_u32_e32 vcc, 41, v61
	s_and_saveexec_b64 s[2:3], vcc
	s_cbranch_execz .LBB98_704
; %bb.701:
	v_cmp_ne_u32_e32 vcc, 41, v58
	s_xor_b64 s[12:13], s[20:21], -1
	s_and_b64 s[14:15], s[12:13], vcc
	s_and_saveexec_b64 s[12:13], s[14:15]
	s_cbranch_execz .LBB98_703
; %bb.702:
	v_ashrrev_i32_e32 v59, 31, v58
	v_lshl_add_u64 v[62:63], v[58:59], 2, v[4:5]
	global_load_dword v59, v[62:63], off
	global_load_dword v61, v[4:5], off offset:164
	s_waitcnt vmcnt(1)
	global_store_dword v[4:5], v59, off offset:164
	s_waitcnt vmcnt(1)
	global_store_dword v[62:63], v61, off
.LBB98_703:
	s_or_b64 exec, exec, s[12:13]
	v_mov_b32_e32 v59, v58
	v_mov_b32_e32 v61, v58
.LBB98_704:
	s_or_b64 exec, exec, s[2:3]
.LBB98_705:
	s_andn2_saveexec_b64 s[0:1], s[0:1]
	s_cbranch_execz .LBB98_707
; %bb.706:
	v_mov_b32_e32 v61, 41
	ds_write2_b32 v55, v20, v21 offset0:42 offset1:43
	ds_write2_b32 v55, v14, v15 offset0:44 offset1:45
	;; [unrolled: 1-line block ×4, first 2 shown]
.LBB98_707:
	s_or_b64 exec, exec, s[0:1]
	v_cmp_lt_i32_e32 vcc, 41, v61
	s_waitcnt lgkmcnt(0)
	s_barrier
	s_and_saveexec_b64 s[0:1], vcc
	s_cbranch_execz .LBB98_709
; %bb.708:
	ds_read2_b32 v[62:63], v55 offset0:42 offset1:43
	ds_read2_b32 v[64:65], v55 offset0:44 offset1:45
	;; [unrolled: 1-line block ×4, first 2 shown]
	v_mul_f32_e32 v58, v60, v13
	s_waitcnt lgkmcnt(3)
	v_pk_fma_f32 v[20:21], v[58:59], v[62:63], v[20:21] op_sel_hi:[0,1,1] neg_lo:[1,0,0] neg_hi:[1,0,0]
	s_waitcnt lgkmcnt(2)
	v_pk_fma_f32 v[14:15], v[58:59], v[64:65], v[14:15] op_sel_hi:[0,1,1] neg_lo:[1,0,0] neg_hi:[1,0,0]
	;; [unrolled: 2-line block ×4, first 2 shown]
	v_mov_b32_e32 v13, v58
.LBB98_709:
	s_or_b64 exec, exec, s[0:1]
	v_lshl_add_u32 v58, v61, 2, v55
	s_barrier
	ds_write_b32 v58, v20
	s_waitcnt lgkmcnt(0)
	s_barrier
	ds_read_b32 v60, v55 offset:168
	s_cmp_lt_i32 s22, 44
	v_mov_b32_e32 v58, 42
	s_cbranch_scc1 .LBB98_712
; %bb.710:
	v_add_u32_e32 v62, 0xac, v55
	v_mov_b32_e32 v58, 42
	s_mov_b32 s0, 43
.LBB98_711:                             ; =>This Inner Loop Header: Depth=1
	ds_read_b32 v63, v62
	v_mov_b32_e32 v64, s0
	s_add_i32 s0, s0, 1
	v_add_u32_e32 v62, 4, v62
	s_cmp_lg_u32 s22, s0
	s_waitcnt lgkmcnt(0)
	v_cmp_lt_f32_e64 vcc, |v60|, |v63|
	s_nop 1
	v_cndmask_b32_e32 v60, v60, v63, vcc
	v_cndmask_b32_e32 v58, v58, v64, vcc
	s_cbranch_scc1 .LBB98_711
.LBB98_712:
	s_waitcnt lgkmcnt(0)
	v_cmp_eq_f32_e32 vcc, 0, v60
	s_and_saveexec_b64 s[0:1], vcc
	s_xor_b64 s[0:1], exec, s[0:1]
; %bb.713:
	v_cmp_ne_u32_e32 vcc, 0, v57
	s_nop 1
	v_cndmask_b32_e32 v57, 43, v57, vcc
; %bb.714:
	s_andn2_saveexec_b64 s[0:1], s[0:1]
	s_cbranch_execz .LBB98_716
; %bb.715:
	v_div_scale_f32 v62, s[2:3], v60, v60, 1.0
	v_rcp_f32_e32 v63, v62
	v_div_scale_f32 v64, vcc, 1.0, v60, 1.0
	v_fma_f32 v65, -v62, v63, 1.0
	v_fmac_f32_e32 v63, v65, v63
	v_mul_f32_e32 v65, v64, v63
	v_fma_f32 v66, -v62, v65, v64
	v_fmac_f32_e32 v65, v66, v63
	v_fma_f32 v62, -v62, v65, v64
	v_div_fmas_f32 v62, v62, v63, v65
	v_div_fixup_f32 v60, v62, v60, 1.0
.LBB98_716:
	s_or_b64 exec, exec, s[0:1]
	v_cmp_ne_u32_e32 vcc, v61, v58
	s_and_saveexec_b64 s[0:1], vcc
	s_xor_b64 s[0:1], exec, s[0:1]
	s_cbranch_execz .LBB98_722
; %bb.717:
	v_cmp_eq_u32_e32 vcc, 42, v61
	s_and_saveexec_b64 s[2:3], vcc
	s_cbranch_execz .LBB98_721
; %bb.718:
	v_cmp_ne_u32_e32 vcc, 42, v58
	s_xor_b64 s[12:13], s[20:21], -1
	s_and_b64 s[14:15], s[12:13], vcc
	s_and_saveexec_b64 s[12:13], s[14:15]
	s_cbranch_execz .LBB98_720
; %bb.719:
	v_ashrrev_i32_e32 v59, 31, v58
	v_lshl_add_u64 v[62:63], v[58:59], 2, v[4:5]
	global_load_dword v59, v[62:63], off
	global_load_dword v61, v[4:5], off offset:168
	s_waitcnt vmcnt(1)
	global_store_dword v[4:5], v59, off offset:168
	s_waitcnt vmcnt(1)
	global_store_dword v[62:63], v61, off
.LBB98_720:
	s_or_b64 exec, exec, s[12:13]
	v_mov_b32_e32 v59, v58
	v_mov_b32_e32 v61, v58
.LBB98_721:
	s_or_b64 exec, exec, s[2:3]
.LBB98_722:
	s_andn2_saveexec_b64 s[0:1], s[0:1]
	s_cbranch_execz .LBB98_724
; %bb.723:
	v_pk_mov_b32 v[62:63], v[20:21], v[14:15] op_sel:[1,0]
	ds_write2_b32 v55, v62, v63 offset0:43 offset1:44
	v_pk_mov_b32 v[62:63], v[14:15], v[0:1] op_sel:[1,0]
	ds_write2_b32 v55, v62, v63 offset0:45 offset1:46
	v_pk_mov_b32 v[62:63], v[0:1], v[10:11] op_sel:[1,0]
	v_mov_b32_e32 v61, 42
	ds_write2_b32 v55, v62, v63 offset0:47 offset1:48
	ds_write_b32 v55, v11 offset:196
.LBB98_724:
	s_or_b64 exec, exec, s[0:1]
	v_cmp_lt_i32_e32 vcc, 42, v61
	s_waitcnt lgkmcnt(0)
	s_barrier
	s_and_saveexec_b64 s[0:1], vcc
	s_cbranch_execz .LBB98_726
; %bb.725:
	ds_read_b32 v58, v55 offset:172
	ds_read2_b32 v[62:63], v55 offset0:44 offset1:45
	ds_read2_b32 v[64:65], v55 offset0:46 offset1:47
	ds_read2_b32 v[66:67], v55 offset0:48 offset1:49
	v_mul_f32_e32 v20, v60, v20
	s_waitcnt lgkmcnt(3)
	v_fma_f32 v21, -v20, v58, v21
	s_waitcnt lgkmcnt(2)
	v_pk_fma_f32 v[14:15], v[20:21], v[62:63], v[14:15] op_sel_hi:[0,1,1] neg_lo:[1,0,0] neg_hi:[1,0,0]
	s_waitcnt lgkmcnt(1)
	v_pk_fma_f32 v[0:1], v[20:21], v[64:65], v[0:1] op_sel_hi:[0,1,1] neg_lo:[1,0,0] neg_hi:[1,0,0]
	;; [unrolled: 2-line block ×3, first 2 shown]
.LBB98_726:
	s_or_b64 exec, exec, s[0:1]
	v_lshl_add_u32 v58, v61, 2, v55
	s_barrier
	ds_write_b32 v58, v21
	s_waitcnt lgkmcnt(0)
	s_barrier
	ds_read_b32 v60, v55 offset:172
	s_cmp_lt_i32 s22, 45
	v_mov_b32_e32 v58, 43
	s_cbranch_scc1 .LBB98_729
; %bb.727:
	v_add_u32_e32 v62, 0xb0, v55
	v_mov_b32_e32 v58, 43
	s_mov_b32 s0, 44
.LBB98_728:                             ; =>This Inner Loop Header: Depth=1
	ds_read_b32 v63, v62
	v_mov_b32_e32 v64, s0
	s_add_i32 s0, s0, 1
	v_add_u32_e32 v62, 4, v62
	s_cmp_lg_u32 s22, s0
	s_waitcnt lgkmcnt(0)
	v_cmp_lt_f32_e64 vcc, |v60|, |v63|
	s_nop 1
	v_cndmask_b32_e32 v60, v60, v63, vcc
	v_cndmask_b32_e32 v58, v58, v64, vcc
	s_cbranch_scc1 .LBB98_728
.LBB98_729:
	s_waitcnt lgkmcnt(0)
	v_cmp_eq_f32_e32 vcc, 0, v60
	s_and_saveexec_b64 s[0:1], vcc
	s_xor_b64 s[0:1], exec, s[0:1]
; %bb.730:
	v_cmp_ne_u32_e32 vcc, 0, v57
	s_nop 1
	v_cndmask_b32_e32 v57, 44, v57, vcc
; %bb.731:
	s_andn2_saveexec_b64 s[0:1], s[0:1]
	s_cbranch_execz .LBB98_733
; %bb.732:
	v_div_scale_f32 v62, s[2:3], v60, v60, 1.0
	v_rcp_f32_e32 v63, v62
	v_div_scale_f32 v64, vcc, 1.0, v60, 1.0
	v_fma_f32 v65, -v62, v63, 1.0
	v_fmac_f32_e32 v63, v65, v63
	v_mul_f32_e32 v65, v64, v63
	v_fma_f32 v66, -v62, v65, v64
	v_fmac_f32_e32 v65, v66, v63
	v_fma_f32 v62, -v62, v65, v64
	v_div_fmas_f32 v62, v62, v63, v65
	v_div_fixup_f32 v60, v62, v60, 1.0
.LBB98_733:
	s_or_b64 exec, exec, s[0:1]
	v_cmp_ne_u32_e32 vcc, v61, v58
	s_and_saveexec_b64 s[0:1], vcc
	s_xor_b64 s[0:1], exec, s[0:1]
	s_cbranch_execz .LBB98_739
; %bb.734:
	v_cmp_eq_u32_e32 vcc, 43, v61
	s_and_saveexec_b64 s[2:3], vcc
	s_cbranch_execz .LBB98_738
; %bb.735:
	v_cmp_ne_u32_e32 vcc, 43, v58
	s_xor_b64 s[12:13], s[20:21], -1
	s_and_b64 s[14:15], s[12:13], vcc
	s_and_saveexec_b64 s[12:13], s[14:15]
	s_cbranch_execz .LBB98_737
; %bb.736:
	v_ashrrev_i32_e32 v59, 31, v58
	v_lshl_add_u64 v[62:63], v[58:59], 2, v[4:5]
	global_load_dword v59, v[62:63], off
	global_load_dword v61, v[4:5], off offset:172
	s_waitcnt vmcnt(1)
	global_store_dword v[4:5], v59, off offset:172
	s_waitcnt vmcnt(1)
	global_store_dword v[62:63], v61, off
.LBB98_737:
	s_or_b64 exec, exec, s[12:13]
	v_mov_b32_e32 v59, v58
	v_mov_b32_e32 v61, v58
.LBB98_738:
	s_or_b64 exec, exec, s[2:3]
.LBB98_739:
	s_andn2_saveexec_b64 s[0:1], s[0:1]
	s_cbranch_execz .LBB98_741
; %bb.740:
	v_mov_b32_e32 v61, 43
	ds_write2_b32 v55, v14, v15 offset0:44 offset1:45
	ds_write2_b32 v55, v0, v1 offset0:46 offset1:47
	;; [unrolled: 1-line block ×3, first 2 shown]
.LBB98_741:
	s_or_b64 exec, exec, s[0:1]
	v_cmp_lt_i32_e32 vcc, 43, v61
	s_waitcnt lgkmcnt(0)
	s_barrier
	s_and_saveexec_b64 s[0:1], vcc
	s_cbranch_execz .LBB98_743
; %bb.742:
	ds_read2_b32 v[62:63], v55 offset0:44 offset1:45
	ds_read2_b32 v[64:65], v55 offset0:46 offset1:47
	ds_read2_b32 v[66:67], v55 offset0:48 offset1:49
	v_mul_f32_e32 v58, v60, v21
	v_mov_b32_e32 v21, v58
	s_waitcnt lgkmcnt(2)
	v_pk_fma_f32 v[14:15], v[58:59], v[62:63], v[14:15] op_sel_hi:[0,1,1] neg_lo:[1,0,0] neg_hi:[1,0,0]
	s_waitcnt lgkmcnt(1)
	v_pk_fma_f32 v[0:1], v[58:59], v[64:65], v[0:1] op_sel_hi:[0,1,1] neg_lo:[1,0,0] neg_hi:[1,0,0]
	;; [unrolled: 2-line block ×3, first 2 shown]
.LBB98_743:
	s_or_b64 exec, exec, s[0:1]
	v_lshl_add_u32 v58, v61, 2, v55
	s_barrier
	ds_write_b32 v58, v14
	s_waitcnt lgkmcnt(0)
	s_barrier
	ds_read_b32 v60, v55 offset:176
	s_cmp_lt_i32 s22, 46
	v_mov_b32_e32 v58, 44
	s_cbranch_scc1 .LBB98_746
; %bb.744:
	v_add_u32_e32 v62, 0xb4, v55
	v_mov_b32_e32 v58, 44
	s_mov_b32 s0, 45
.LBB98_745:                             ; =>This Inner Loop Header: Depth=1
	ds_read_b32 v63, v62
	v_mov_b32_e32 v64, s0
	s_add_i32 s0, s0, 1
	v_add_u32_e32 v62, 4, v62
	s_cmp_lg_u32 s22, s0
	s_waitcnt lgkmcnt(0)
	v_cmp_lt_f32_e64 vcc, |v60|, |v63|
	s_nop 1
	v_cndmask_b32_e32 v60, v60, v63, vcc
	v_cndmask_b32_e32 v58, v58, v64, vcc
	s_cbranch_scc1 .LBB98_745
.LBB98_746:
	s_waitcnt lgkmcnt(0)
	v_cmp_eq_f32_e32 vcc, 0, v60
	s_and_saveexec_b64 s[0:1], vcc
	s_xor_b64 s[0:1], exec, s[0:1]
; %bb.747:
	v_cmp_ne_u32_e32 vcc, 0, v57
	s_nop 1
	v_cndmask_b32_e32 v57, 45, v57, vcc
; %bb.748:
	s_andn2_saveexec_b64 s[0:1], s[0:1]
	s_cbranch_execz .LBB98_750
; %bb.749:
	v_div_scale_f32 v62, s[2:3], v60, v60, 1.0
	v_rcp_f32_e32 v63, v62
	v_div_scale_f32 v64, vcc, 1.0, v60, 1.0
	v_fma_f32 v65, -v62, v63, 1.0
	v_fmac_f32_e32 v63, v65, v63
	v_mul_f32_e32 v65, v64, v63
	v_fma_f32 v66, -v62, v65, v64
	v_fmac_f32_e32 v65, v66, v63
	v_fma_f32 v62, -v62, v65, v64
	v_div_fmas_f32 v62, v62, v63, v65
	v_div_fixup_f32 v60, v62, v60, 1.0
.LBB98_750:
	s_or_b64 exec, exec, s[0:1]
	v_cmp_ne_u32_e32 vcc, v61, v58
	s_and_saveexec_b64 s[0:1], vcc
	s_xor_b64 s[0:1], exec, s[0:1]
	s_cbranch_execz .LBB98_756
; %bb.751:
	v_cmp_eq_u32_e32 vcc, 44, v61
	s_and_saveexec_b64 s[2:3], vcc
	s_cbranch_execz .LBB98_755
; %bb.752:
	v_cmp_ne_u32_e32 vcc, 44, v58
	s_xor_b64 s[12:13], s[20:21], -1
	s_and_b64 s[14:15], s[12:13], vcc
	s_and_saveexec_b64 s[12:13], s[14:15]
	s_cbranch_execz .LBB98_754
; %bb.753:
	v_ashrrev_i32_e32 v59, 31, v58
	v_lshl_add_u64 v[62:63], v[58:59], 2, v[4:5]
	global_load_dword v59, v[62:63], off
	global_load_dword v61, v[4:5], off offset:176
	s_waitcnt vmcnt(1)
	global_store_dword v[4:5], v59, off offset:176
	s_waitcnt vmcnt(1)
	global_store_dword v[62:63], v61, off
.LBB98_754:
	s_or_b64 exec, exec, s[12:13]
	v_mov_b32_e32 v59, v58
	v_mov_b32_e32 v61, v58
.LBB98_755:
	s_or_b64 exec, exec, s[2:3]
.LBB98_756:
	s_andn2_saveexec_b64 s[0:1], s[0:1]
	s_cbranch_execz .LBB98_758
; %bb.757:
	v_pk_mov_b32 v[62:63], v[14:15], v[0:1] op_sel:[1,0]
	ds_write2_b32 v55, v62, v63 offset0:45 offset1:46
	v_pk_mov_b32 v[62:63], v[0:1], v[10:11] op_sel:[1,0]
	v_mov_b32_e32 v61, 44
	ds_write2_b32 v55, v62, v63 offset0:47 offset1:48
	ds_write_b32 v55, v11 offset:196
.LBB98_758:
	s_or_b64 exec, exec, s[0:1]
	v_cmp_lt_i32_e32 vcc, 44, v61
	s_waitcnt lgkmcnt(0)
	s_barrier
	s_and_saveexec_b64 s[0:1], vcc
	s_cbranch_execz .LBB98_760
; %bb.759:
	ds_read_b32 v58, v55 offset:180
	ds_read2_b32 v[62:63], v55 offset0:46 offset1:47
	ds_read2_b32 v[64:65], v55 offset0:48 offset1:49
	v_mul_f32_e32 v14, v60, v14
	s_waitcnt lgkmcnt(2)
	v_fma_f32 v15, -v14, v58, v15
	s_waitcnt lgkmcnt(1)
	v_pk_fma_f32 v[0:1], v[14:15], v[62:63], v[0:1] op_sel_hi:[0,1,1] neg_lo:[1,0,0] neg_hi:[1,0,0]
	s_waitcnt lgkmcnt(0)
	v_pk_fma_f32 v[10:11], v[14:15], v[64:65], v[10:11] op_sel_hi:[0,1,1] neg_lo:[1,0,0] neg_hi:[1,0,0]
.LBB98_760:
	s_or_b64 exec, exec, s[0:1]
	v_lshl_add_u32 v58, v61, 2, v55
	s_barrier
	ds_write_b32 v58, v15
	s_waitcnt lgkmcnt(0)
	s_barrier
	ds_read_b32 v60, v55 offset:180
	s_cmp_lt_i32 s22, 47
	v_mov_b32_e32 v58, 45
	s_cbranch_scc1 .LBB98_763
; %bb.761:
	v_add_u32_e32 v62, 0xb8, v55
	v_mov_b32_e32 v58, 45
	s_mov_b32 s0, 46
.LBB98_762:                             ; =>This Inner Loop Header: Depth=1
	ds_read_b32 v63, v62
	v_mov_b32_e32 v64, s0
	s_add_i32 s0, s0, 1
	v_add_u32_e32 v62, 4, v62
	s_cmp_lg_u32 s22, s0
	s_waitcnt lgkmcnt(0)
	v_cmp_lt_f32_e64 vcc, |v60|, |v63|
	s_nop 1
	v_cndmask_b32_e32 v60, v60, v63, vcc
	v_cndmask_b32_e32 v58, v58, v64, vcc
	s_cbranch_scc1 .LBB98_762
.LBB98_763:
	s_waitcnt lgkmcnt(0)
	v_cmp_eq_f32_e32 vcc, 0, v60
	s_and_saveexec_b64 s[0:1], vcc
	s_xor_b64 s[0:1], exec, s[0:1]
; %bb.764:
	v_cmp_ne_u32_e32 vcc, 0, v57
	s_nop 1
	v_cndmask_b32_e32 v57, 46, v57, vcc
; %bb.765:
	s_andn2_saveexec_b64 s[0:1], s[0:1]
	s_cbranch_execz .LBB98_767
; %bb.766:
	v_div_scale_f32 v62, s[2:3], v60, v60, 1.0
	v_rcp_f32_e32 v63, v62
	v_div_scale_f32 v64, vcc, 1.0, v60, 1.0
	v_fma_f32 v65, -v62, v63, 1.0
	v_fmac_f32_e32 v63, v65, v63
	v_mul_f32_e32 v65, v64, v63
	v_fma_f32 v66, -v62, v65, v64
	v_fmac_f32_e32 v65, v66, v63
	v_fma_f32 v62, -v62, v65, v64
	v_div_fmas_f32 v62, v62, v63, v65
	v_div_fixup_f32 v60, v62, v60, 1.0
.LBB98_767:
	s_or_b64 exec, exec, s[0:1]
	v_cmp_ne_u32_e32 vcc, v61, v58
	s_and_saveexec_b64 s[0:1], vcc
	s_xor_b64 s[0:1], exec, s[0:1]
	s_cbranch_execz .LBB98_773
; %bb.768:
	v_cmp_eq_u32_e32 vcc, 45, v61
	s_and_saveexec_b64 s[2:3], vcc
	s_cbranch_execz .LBB98_772
; %bb.769:
	v_cmp_ne_u32_e32 vcc, 45, v58
	s_xor_b64 s[12:13], s[20:21], -1
	s_and_b64 s[14:15], s[12:13], vcc
	s_and_saveexec_b64 s[12:13], s[14:15]
	s_cbranch_execz .LBB98_771
; %bb.770:
	v_ashrrev_i32_e32 v59, 31, v58
	v_lshl_add_u64 v[62:63], v[58:59], 2, v[4:5]
	global_load_dword v59, v[62:63], off
	global_load_dword v61, v[4:5], off offset:180
	s_waitcnt vmcnt(1)
	global_store_dword v[4:5], v59, off offset:180
	s_waitcnt vmcnt(1)
	global_store_dword v[62:63], v61, off
.LBB98_771:
	s_or_b64 exec, exec, s[12:13]
	v_mov_b32_e32 v59, v58
	v_mov_b32_e32 v61, v58
.LBB98_772:
	s_or_b64 exec, exec, s[2:3]
.LBB98_773:
	s_andn2_saveexec_b64 s[0:1], s[0:1]
	s_cbranch_execz .LBB98_775
; %bb.774:
	v_mov_b32_e32 v61, 45
	ds_write2_b32 v55, v0, v1 offset0:46 offset1:47
	ds_write2_b32 v55, v10, v11 offset0:48 offset1:49
.LBB98_775:
	s_or_b64 exec, exec, s[0:1]
	v_cmp_lt_i32_e32 vcc, 45, v61
	s_waitcnt lgkmcnt(0)
	s_barrier
	s_and_saveexec_b64 s[0:1], vcc
	s_cbranch_execz .LBB98_777
; %bb.776:
	ds_read2_b32 v[62:63], v55 offset0:46 offset1:47
	ds_read2_b32 v[64:65], v55 offset0:48 offset1:49
	v_mul_f32_e32 v58, v60, v15
	v_mov_b32_e32 v15, v58
	s_waitcnt lgkmcnt(1)
	v_pk_fma_f32 v[0:1], v[58:59], v[62:63], v[0:1] op_sel_hi:[0,1,1] neg_lo:[1,0,0] neg_hi:[1,0,0]
	s_waitcnt lgkmcnt(0)
	v_pk_fma_f32 v[10:11], v[58:59], v[64:65], v[10:11] op_sel_hi:[0,1,1] neg_lo:[1,0,0] neg_hi:[1,0,0]
.LBB98_777:
	s_or_b64 exec, exec, s[0:1]
	v_lshl_add_u32 v58, v61, 2, v55
	s_barrier
	ds_write_b32 v58, v0
	s_waitcnt lgkmcnt(0)
	s_barrier
	ds_read_b32 v60, v55 offset:184
	s_cmp_lt_i32 s22, 48
	v_mov_b32_e32 v58, 46
	s_cbranch_scc1 .LBB98_780
; %bb.778:
	v_add_u32_e32 v62, 0xbc, v55
	v_mov_b32_e32 v58, 46
	s_mov_b32 s0, 47
.LBB98_779:                             ; =>This Inner Loop Header: Depth=1
	ds_read_b32 v63, v62
	v_mov_b32_e32 v64, s0
	s_add_i32 s0, s0, 1
	v_add_u32_e32 v62, 4, v62
	s_cmp_lg_u32 s22, s0
	s_waitcnt lgkmcnt(0)
	v_cmp_lt_f32_e64 vcc, |v60|, |v63|
	s_nop 1
	v_cndmask_b32_e32 v60, v60, v63, vcc
	v_cndmask_b32_e32 v58, v58, v64, vcc
	s_cbranch_scc1 .LBB98_779
.LBB98_780:
	s_waitcnt lgkmcnt(0)
	v_cmp_eq_f32_e32 vcc, 0, v60
	s_and_saveexec_b64 s[0:1], vcc
	s_xor_b64 s[0:1], exec, s[0:1]
; %bb.781:
	v_cmp_ne_u32_e32 vcc, 0, v57
	s_nop 1
	v_cndmask_b32_e32 v57, 47, v57, vcc
; %bb.782:
	s_andn2_saveexec_b64 s[0:1], s[0:1]
	s_cbranch_execz .LBB98_784
; %bb.783:
	v_div_scale_f32 v62, s[2:3], v60, v60, 1.0
	v_rcp_f32_e32 v63, v62
	v_div_scale_f32 v64, vcc, 1.0, v60, 1.0
	v_fma_f32 v65, -v62, v63, 1.0
	v_fmac_f32_e32 v63, v65, v63
	v_mul_f32_e32 v65, v64, v63
	v_fma_f32 v66, -v62, v65, v64
	v_fmac_f32_e32 v65, v66, v63
	v_fma_f32 v62, -v62, v65, v64
	v_div_fmas_f32 v62, v62, v63, v65
	v_div_fixup_f32 v60, v62, v60, 1.0
.LBB98_784:
	s_or_b64 exec, exec, s[0:1]
	v_cmp_ne_u32_e32 vcc, v61, v58
	s_and_saveexec_b64 s[0:1], vcc
	s_xor_b64 s[0:1], exec, s[0:1]
	s_cbranch_execz .LBB98_790
; %bb.785:
	v_cmp_eq_u32_e32 vcc, 46, v61
	s_and_saveexec_b64 s[2:3], vcc
	s_cbranch_execz .LBB98_789
; %bb.786:
	v_cmp_ne_u32_e32 vcc, 46, v58
	s_xor_b64 s[12:13], s[20:21], -1
	s_and_b64 s[14:15], s[12:13], vcc
	s_and_saveexec_b64 s[12:13], s[14:15]
	s_cbranch_execz .LBB98_788
; %bb.787:
	v_ashrrev_i32_e32 v59, 31, v58
	v_lshl_add_u64 v[62:63], v[58:59], 2, v[4:5]
	global_load_dword v59, v[62:63], off
	global_load_dword v61, v[4:5], off offset:184
	s_waitcnt vmcnt(1)
	global_store_dword v[4:5], v59, off offset:184
	s_waitcnt vmcnt(1)
	global_store_dword v[62:63], v61, off
.LBB98_788:
	s_or_b64 exec, exec, s[12:13]
	v_mov_b32_e32 v59, v58
	v_mov_b32_e32 v61, v58
.LBB98_789:
	s_or_b64 exec, exec, s[2:3]
.LBB98_790:
	s_andn2_saveexec_b64 s[0:1], s[0:1]
	s_cbranch_execz .LBB98_792
; %bb.791:
	v_pk_mov_b32 v[62:63], v[0:1], v[10:11] op_sel:[1,0]
	v_mov_b32_e32 v61, 46
	ds_write2_b32 v55, v62, v63 offset0:47 offset1:48
	ds_write_b32 v55, v11 offset:196
.LBB98_792:
	s_or_b64 exec, exec, s[0:1]
	v_cmp_lt_i32_e32 vcc, 46, v61
	s_waitcnt lgkmcnt(0)
	s_barrier
	s_and_saveexec_b64 s[0:1], vcc
	s_cbranch_execz .LBB98_794
; %bb.793:
	ds_read_b32 v58, v55 offset:188
	ds_read2_b32 v[62:63], v55 offset0:48 offset1:49
	v_mul_f32_e32 v0, v60, v0
	s_waitcnt lgkmcnt(1)
	v_fma_f32 v1, -v0, v58, v1
	s_waitcnt lgkmcnt(0)
	v_pk_fma_f32 v[10:11], v[0:1], v[62:63], v[10:11] op_sel_hi:[0,1,1] neg_lo:[1,0,0] neg_hi:[1,0,0]
.LBB98_794:
	s_or_b64 exec, exec, s[0:1]
	v_lshl_add_u32 v58, v61, 2, v55
	s_barrier
	ds_write_b32 v58, v1
	s_waitcnt lgkmcnt(0)
	s_barrier
	ds_read_b32 v60, v55 offset:188
	s_cmp_lt_i32 s22, 49
	v_mov_b32_e32 v58, 47
	s_cbranch_scc1 .LBB98_797
; %bb.795:
	v_add_u32_e32 v62, 0xc0, v55
	v_mov_b32_e32 v58, 47
	s_mov_b32 s0, 48
.LBB98_796:                             ; =>This Inner Loop Header: Depth=1
	ds_read_b32 v63, v62
	v_mov_b32_e32 v64, s0
	s_add_i32 s0, s0, 1
	v_add_u32_e32 v62, 4, v62
	s_cmp_lg_u32 s22, s0
	s_waitcnt lgkmcnt(0)
	v_cmp_lt_f32_e64 vcc, |v60|, |v63|
	s_nop 1
	v_cndmask_b32_e32 v60, v60, v63, vcc
	v_cndmask_b32_e32 v58, v58, v64, vcc
	s_cbranch_scc1 .LBB98_796
.LBB98_797:
	s_waitcnt lgkmcnt(0)
	v_cmp_eq_f32_e32 vcc, 0, v60
	s_and_saveexec_b64 s[0:1], vcc
	s_xor_b64 s[0:1], exec, s[0:1]
; %bb.798:
	v_cmp_ne_u32_e32 vcc, 0, v57
	s_nop 1
	v_cndmask_b32_e32 v57, 48, v57, vcc
; %bb.799:
	s_andn2_saveexec_b64 s[0:1], s[0:1]
	s_cbranch_execz .LBB98_801
; %bb.800:
	v_div_scale_f32 v62, s[2:3], v60, v60, 1.0
	v_rcp_f32_e32 v63, v62
	v_div_scale_f32 v64, vcc, 1.0, v60, 1.0
	v_fma_f32 v65, -v62, v63, 1.0
	v_fmac_f32_e32 v63, v65, v63
	v_mul_f32_e32 v65, v64, v63
	v_fma_f32 v66, -v62, v65, v64
	v_fmac_f32_e32 v65, v66, v63
	v_fma_f32 v62, -v62, v65, v64
	v_div_fmas_f32 v62, v62, v63, v65
	v_div_fixup_f32 v60, v62, v60, 1.0
.LBB98_801:
	s_or_b64 exec, exec, s[0:1]
	v_cmp_ne_u32_e32 vcc, v61, v58
	s_and_saveexec_b64 s[0:1], vcc
	s_xor_b64 s[0:1], exec, s[0:1]
	s_cbranch_execz .LBB98_807
; %bb.802:
	v_cmp_eq_u32_e32 vcc, 47, v61
	s_and_saveexec_b64 s[2:3], vcc
	s_cbranch_execz .LBB98_806
; %bb.803:
	v_cmp_ne_u32_e32 vcc, 47, v58
	s_xor_b64 s[12:13], s[20:21], -1
	s_and_b64 s[14:15], s[12:13], vcc
	s_and_saveexec_b64 s[12:13], s[14:15]
	s_cbranch_execz .LBB98_805
; %bb.804:
	v_ashrrev_i32_e32 v59, 31, v58
	v_lshl_add_u64 v[62:63], v[58:59], 2, v[4:5]
	global_load_dword v59, v[62:63], off
	global_load_dword v61, v[4:5], off offset:188
	s_waitcnt vmcnt(1)
	global_store_dword v[4:5], v59, off offset:188
	s_waitcnt vmcnt(1)
	global_store_dword v[62:63], v61, off
.LBB98_805:
	s_or_b64 exec, exec, s[12:13]
	v_mov_b32_e32 v59, v58
	v_mov_b32_e32 v61, v58
.LBB98_806:
	s_or_b64 exec, exec, s[2:3]
.LBB98_807:
	s_andn2_saveexec_b64 s[0:1], s[0:1]
; %bb.808:
	v_mov_b32_e32 v61, 47
	ds_write2_b32 v55, v10, v11 offset0:48 offset1:49
; %bb.809:
	s_or_b64 exec, exec, s[0:1]
	v_cmp_lt_i32_e32 vcc, 47, v61
	s_waitcnt lgkmcnt(0)
	s_barrier
	s_and_saveexec_b64 s[0:1], vcc
	s_cbranch_execz .LBB98_811
; %bb.810:
	ds_read2_b32 v[62:63], v55 offset0:48 offset1:49
	v_mul_f32_e32 v58, v60, v1
	v_mov_b32_e32 v1, v58
	s_waitcnt lgkmcnt(0)
	v_pk_fma_f32 v[10:11], v[58:59], v[62:63], v[10:11] op_sel_hi:[0,1,1] neg_lo:[1,0,0] neg_hi:[1,0,0]
.LBB98_811:
	s_or_b64 exec, exec, s[0:1]
	v_lshl_add_u32 v58, v61, 2, v55
	s_barrier
	ds_write_b32 v58, v10
	s_waitcnt lgkmcnt(0)
	s_barrier
	ds_read_b32 v60, v55 offset:192
	s_cmp_lt_i32 s22, 50
	v_mov_b32_e32 v58, 48
	s_cbranch_scc1 .LBB98_814
; %bb.812:
	v_add_u32_e32 v62, 0xc4, v55
	v_mov_b32_e32 v58, 48
	s_mov_b32 s0, 49
.LBB98_813:                             ; =>This Inner Loop Header: Depth=1
	ds_read_b32 v63, v62
	v_mov_b32_e32 v64, s0
	s_add_i32 s0, s0, 1
	v_add_u32_e32 v62, 4, v62
	s_cmp_lg_u32 s22, s0
	s_waitcnt lgkmcnt(0)
	v_cmp_lt_f32_e64 vcc, |v60|, |v63|
	s_nop 1
	v_cndmask_b32_e32 v60, v60, v63, vcc
	v_cndmask_b32_e32 v58, v58, v64, vcc
	s_cbranch_scc1 .LBB98_813
.LBB98_814:
	s_waitcnt lgkmcnt(0)
	v_cmp_eq_f32_e32 vcc, 0, v60
	s_and_saveexec_b64 s[0:1], vcc
	s_xor_b64 s[0:1], exec, s[0:1]
; %bb.815:
	v_cmp_ne_u32_e32 vcc, 0, v57
	s_nop 1
	v_cndmask_b32_e32 v57, 49, v57, vcc
; %bb.816:
	s_andn2_saveexec_b64 s[0:1], s[0:1]
	s_cbranch_execz .LBB98_818
; %bb.817:
	v_div_scale_f32 v62, s[2:3], v60, v60, 1.0
	v_rcp_f32_e32 v63, v62
	v_div_scale_f32 v64, vcc, 1.0, v60, 1.0
	v_fma_f32 v65, -v62, v63, 1.0
	v_fmac_f32_e32 v63, v65, v63
	v_mul_f32_e32 v65, v64, v63
	v_fma_f32 v66, -v62, v65, v64
	v_fmac_f32_e32 v65, v66, v63
	v_fma_f32 v62, -v62, v65, v64
	v_div_fmas_f32 v62, v62, v63, v65
	v_div_fixup_f32 v60, v62, v60, 1.0
.LBB98_818:
	s_or_b64 exec, exec, s[0:1]
	v_cmp_ne_u32_e32 vcc, v61, v58
	s_and_saveexec_b64 s[0:1], vcc
	s_xor_b64 s[0:1], exec, s[0:1]
	s_cbranch_execz .LBB98_824
; %bb.819:
	v_cmp_eq_u32_e32 vcc, 48, v61
	s_and_saveexec_b64 s[2:3], vcc
	s_cbranch_execz .LBB98_823
; %bb.820:
	v_cmp_ne_u32_e32 vcc, 48, v58
	s_xor_b64 s[12:13], s[20:21], -1
	s_and_b64 s[14:15], s[12:13], vcc
	s_and_saveexec_b64 s[12:13], s[14:15]
	s_cbranch_execz .LBB98_822
; %bb.821:
	v_ashrrev_i32_e32 v59, 31, v58
	v_lshl_add_u64 v[62:63], v[58:59], 2, v[4:5]
	global_load_dword v59, v[62:63], off
	global_load_dword v61, v[4:5], off offset:192
	s_waitcnt vmcnt(1)
	global_store_dword v[4:5], v59, off offset:192
	s_waitcnt vmcnt(1)
	global_store_dword v[62:63], v61, off
.LBB98_822:
	s_or_b64 exec, exec, s[12:13]
	v_mov_b32_e32 v59, v58
	v_mov_b32_e32 v61, v58
.LBB98_823:
	s_or_b64 exec, exec, s[2:3]
.LBB98_824:
	s_andn2_saveexec_b64 s[0:1], s[0:1]
; %bb.825:
	v_mov_b32_e32 v61, 48
	ds_write_b32 v55, v11 offset:196
; %bb.826:
	s_or_b64 exec, exec, s[0:1]
	v_cmp_lt_i32_e32 vcc, 48, v61
	s_waitcnt lgkmcnt(0)
	s_barrier
	s_and_saveexec_b64 s[0:1], vcc
	s_cbranch_execz .LBB98_828
; %bb.827:
	ds_read_b32 v58, v55 offset:196
	v_mul_f32_e32 v10, v60, v10
	s_waitcnt lgkmcnt(0)
	v_fma_f32 v11, -v10, v58, v11
.LBB98_828:
	s_or_b64 exec, exec, s[0:1]
	v_lshl_add_u32 v58, v61, 2, v55
	s_barrier
	ds_write_b32 v58, v11
	s_waitcnt lgkmcnt(0)
	s_barrier
	ds_read_b32 v62, v55 offset:196
	s_cmp_lt_i32 s22, 51
	v_mov_b32_e32 v58, 49
	s_cbranch_scc1 .LBB98_831
; %bb.829:
	v_add_u32_e32 v55, 0xc8, v55
	v_mov_b32_e32 v58, 49
	s_mov_b32 s0, 50
.LBB98_830:                             ; =>This Inner Loop Header: Depth=1
	ds_read_b32 v60, v55
	v_mov_b32_e32 v63, s0
	s_add_i32 s0, s0, 1
	v_add_u32_e32 v55, 4, v55
	s_cmp_lg_u32 s22, s0
	s_waitcnt lgkmcnt(0)
	v_cmp_lt_f32_e64 vcc, |v62|, |v60|
	s_nop 1
	v_cndmask_b32_e32 v62, v62, v60, vcc
	v_cndmask_b32_e32 v58, v58, v63, vcc
	s_cbranch_scc1 .LBB98_830
.LBB98_831:
	s_waitcnt lgkmcnt(0)
	v_cmp_eq_f32_e32 vcc, 0, v62
	s_and_saveexec_b64 s[0:1], vcc
	s_xor_b64 s[0:1], exec, s[0:1]
; %bb.832:
	v_cmp_ne_u32_e32 vcc, 0, v57
	s_nop 1
	v_cndmask_b32_e32 v57, 50, v57, vcc
; %bb.833:
	s_andn2_saveexec_b64 s[0:1], s[0:1]
	s_cbranch_execz .LBB98_835
; %bb.834:
	v_div_scale_f32 v55, s[2:3], v62, v62, 1.0
	v_rcp_f32_e32 v60, v55
	v_div_scale_f32 v63, vcc, 1.0, v62, 1.0
	v_fma_f32 v64, -v55, v60, 1.0
	v_fmac_f32_e32 v60, v64, v60
	v_mul_f32_e32 v64, v63, v60
	v_fma_f32 v65, -v55, v64, v63
	v_fmac_f32_e32 v64, v65, v60
	v_fma_f32 v55, -v55, v64, v63
	v_div_fmas_f32 v55, v55, v60, v64
	v_div_fixup_f32 v62, v55, v62, 1.0
.LBB98_835:
	s_or_b64 exec, exec, s[0:1]
	v_cmp_ne_u32_e32 vcc, v61, v58
	v_mov_b32_e32 v60, 49
	s_and_saveexec_b64 s[0:1], vcc
	s_cbranch_execz .LBB98_841
; %bb.836:
	v_cmp_eq_u32_e32 vcc, 49, v61
	s_and_saveexec_b64 s[2:3], vcc
	s_cbranch_execz .LBB98_840
; %bb.837:
	v_cmp_ne_u32_e32 vcc, 49, v58
	s_xor_b64 s[12:13], s[20:21], -1
	s_and_b64 s[14:15], s[12:13], vcc
	s_and_saveexec_b64 s[12:13], s[14:15]
	s_cbranch_execz .LBB98_839
; %bb.838:
	v_ashrrev_i32_e32 v59, 31, v58
	v_lshl_add_u64 v[60:61], v[58:59], 2, v[4:5]
	global_load_dword v55, v[60:61], off
	global_load_dword v59, v[4:5], off offset:196
	s_waitcnt vmcnt(1)
	global_store_dword v[4:5], v55, off offset:196
	s_waitcnt vmcnt(1)
	global_store_dword v[60:61], v59, off
.LBB98_839:
	s_or_b64 exec, exec, s[12:13]
	v_mov_b32_e32 v59, v58
	v_mov_b32_e32 v61, v58
.LBB98_840:
	s_or_b64 exec, exec, s[2:3]
	v_mov_b32_e32 v60, v61
.LBB98_841:
	s_or_b64 exec, exec, s[0:1]
	v_cmp_gt_i32_e32 vcc, 50, v60
	v_ashrrev_i32_e32 v61, 31, v60
	s_barrier
	s_barrier
	s_and_saveexec_b64 s[0:1], vcc
	s_cbranch_execz .LBB98_843
; %bb.842:
	v_mul_lo_u32 v55, s11, v2
	v_mul_lo_u32 v58, s10, v3
	v_mad_u64_u32 v[64:65], s[2:3], s10, v2, 0
	v_mov_b32_e32 v4, s6
	v_mov_b32_e32 v5, s7
	v_add3_u32 v65, v65, v58, v55
	v_lshl_add_u64 v[4:5], v[64:65], 2, v[4:5]
	v_lshl_add_u64 v[4:5], s[8:9], 2, v[4:5]
	;; [unrolled: 1-line block ×3, first 2 shown]
	v_add3_u32 v55, v59, s19, 1
	global_store_dword v[4:5], v55, off
.LBB98_843:
	s_or_b64 exec, exec, s[0:1]
	v_cmp_eq_u32_e32 vcc, 0, v60
	s_and_saveexec_b64 s[2:3], vcc
	s_cbranch_execz .LBB98_846
; %bb.844:
	v_mov_b32_e32 v4, s4
	v_mov_b32_e32 v5, s5
	v_lshl_add_u64 v[2:3], v[2:3], 2, v[4:5]
	global_load_dword v4, v[2:3], off
	v_cmp_ne_u32_e64 s[0:1], 0, v57
	s_waitcnt vmcnt(0)
	v_cmp_eq_u32_e32 vcc, 0, v4
	s_and_b64 s[0:1], vcc, s[0:1]
	s_and_b64 exec, exec, s[0:1]
	s_cbranch_execz .LBB98_846
; %bb.845:
	v_add_u32_e32 v4, s19, v57
	global_store_dword v[2:3], v4, off
.LBB98_846:
	s_or_b64 exec, exec, s[2:3]
	v_mul_f32_e32 v2, v62, v11
	v_cmp_lt_i32_e32 vcc, 49, v60
	s_nop 1
	v_cndmask_b32_e32 v11, v11, v2, vcc
	v_lshl_add_u64 v[2:3], v[60:61], 2, v[6:7]
	global_store_dword v[2:3], v54, off
	v_lshl_add_u64 v[2:3], s[16:17], 2, v[2:3]
	global_store_dword v[2:3], v56, off
	v_add_u32_e32 v2, s18, v60
	v_ashrrev_i32_e32 v3, 31, v2
	v_lshl_add_u64 v[4:5], v[2:3], 2, v[6:7]
	v_add_u32_e32 v2, s16, v2
	v_ashrrev_i32_e32 v3, 31, v2
	global_store_dword v[4:5], v52, off
	v_lshl_add_u64 v[4:5], v[2:3], 2, v[6:7]
	v_add_u32_e32 v2, s16, v2
	v_ashrrev_i32_e32 v3, 31, v2
	global_store_dword v[4:5], v53, off
	;; [unrolled: 4-line block ×45, first 2 shown]
	v_lshl_add_u64 v[4:5], v[2:3], 2, v[6:7]
	v_add_u32_e32 v0, s16, v2
	global_store_dword v[4:5], v1, off
	v_ashrrev_i32_e32 v1, 31, v0
	v_lshl_add_u64 v[2:3], v[0:1], 2, v[6:7]
	v_add_u32_e32 v0, s16, v0
	v_ashrrev_i32_e32 v1, 31, v0
	v_lshl_add_u64 v[0:1], v[0:1], 2, v[6:7]
	global_store_dword v[2:3], v10, off
	global_store_dword v[0:1], v11, off
.LBB98_847:
	s_endpgm
	.section	.rodata,"a",@progbits
	.p2align	6, 0x0
	.amdhsa_kernel _ZN9rocsolver6v33100L18getf2_small_kernelILi50EfiiPfEEvT1_T3_lS3_lPS3_llPT2_S3_S3_S5_l
		.amdhsa_group_segment_fixed_size 0
		.amdhsa_private_segment_fixed_size 0
		.amdhsa_kernarg_size 352
		.amdhsa_user_sgpr_count 2
		.amdhsa_user_sgpr_dispatch_ptr 0
		.amdhsa_user_sgpr_queue_ptr 0
		.amdhsa_user_sgpr_kernarg_segment_ptr 1
		.amdhsa_user_sgpr_dispatch_id 0
		.amdhsa_user_sgpr_kernarg_preload_length 0
		.amdhsa_user_sgpr_kernarg_preload_offset 0
		.amdhsa_user_sgpr_private_segment_size 0
		.amdhsa_uses_dynamic_stack 0
		.amdhsa_enable_private_segment 0
		.amdhsa_system_sgpr_workgroup_id_x 1
		.amdhsa_system_sgpr_workgroup_id_y 1
		.amdhsa_system_sgpr_workgroup_id_z 0
		.amdhsa_system_sgpr_workgroup_info 0
		.amdhsa_system_vgpr_workitem_id 1
		.amdhsa_next_free_vgpr 78
		.amdhsa_next_free_sgpr 26
		.amdhsa_accum_offset 80
		.amdhsa_reserve_vcc 1
		.amdhsa_float_round_mode_32 0
		.amdhsa_float_round_mode_16_64 0
		.amdhsa_float_denorm_mode_32 3
		.amdhsa_float_denorm_mode_16_64 3
		.amdhsa_dx10_clamp 1
		.amdhsa_ieee_mode 1
		.amdhsa_fp16_overflow 0
		.amdhsa_tg_split 0
		.amdhsa_exception_fp_ieee_invalid_op 0
		.amdhsa_exception_fp_denorm_src 0
		.amdhsa_exception_fp_ieee_div_zero 0
		.amdhsa_exception_fp_ieee_overflow 0
		.amdhsa_exception_fp_ieee_underflow 0
		.amdhsa_exception_fp_ieee_inexact 0
		.amdhsa_exception_int_div_zero 0
	.end_amdhsa_kernel
	.section	.text._ZN9rocsolver6v33100L18getf2_small_kernelILi50EfiiPfEEvT1_T3_lS3_lPS3_llPT2_S3_S3_S5_l,"axG",@progbits,_ZN9rocsolver6v33100L18getf2_small_kernelILi50EfiiPfEEvT1_T3_lS3_lPS3_llPT2_S3_S3_S5_l,comdat
.Lfunc_end98:
	.size	_ZN9rocsolver6v33100L18getf2_small_kernelILi50EfiiPfEEvT1_T3_lS3_lPS3_llPT2_S3_S3_S5_l, .Lfunc_end98-_ZN9rocsolver6v33100L18getf2_small_kernelILi50EfiiPfEEvT1_T3_lS3_lPS3_llPT2_S3_S3_S5_l
                                        ; -- End function
	.set _ZN9rocsolver6v33100L18getf2_small_kernelILi50EfiiPfEEvT1_T3_lS3_lPS3_llPT2_S3_S3_S5_l.num_vgpr, 78
	.set _ZN9rocsolver6v33100L18getf2_small_kernelILi50EfiiPfEEvT1_T3_lS3_lPS3_llPT2_S3_S3_S5_l.num_agpr, 0
	.set _ZN9rocsolver6v33100L18getf2_small_kernelILi50EfiiPfEEvT1_T3_lS3_lPS3_llPT2_S3_S3_S5_l.numbered_sgpr, 26
	.set _ZN9rocsolver6v33100L18getf2_small_kernelILi50EfiiPfEEvT1_T3_lS3_lPS3_llPT2_S3_S3_S5_l.num_named_barrier, 0
	.set _ZN9rocsolver6v33100L18getf2_small_kernelILi50EfiiPfEEvT1_T3_lS3_lPS3_llPT2_S3_S3_S5_l.private_seg_size, 0
	.set _ZN9rocsolver6v33100L18getf2_small_kernelILi50EfiiPfEEvT1_T3_lS3_lPS3_llPT2_S3_S3_S5_l.uses_vcc, 1
	.set _ZN9rocsolver6v33100L18getf2_small_kernelILi50EfiiPfEEvT1_T3_lS3_lPS3_llPT2_S3_S3_S5_l.uses_flat_scratch, 0
	.set _ZN9rocsolver6v33100L18getf2_small_kernelILi50EfiiPfEEvT1_T3_lS3_lPS3_llPT2_S3_S3_S5_l.has_dyn_sized_stack, 0
	.set _ZN9rocsolver6v33100L18getf2_small_kernelILi50EfiiPfEEvT1_T3_lS3_lPS3_llPT2_S3_S3_S5_l.has_recursion, 0
	.set _ZN9rocsolver6v33100L18getf2_small_kernelILi50EfiiPfEEvT1_T3_lS3_lPS3_llPT2_S3_S3_S5_l.has_indirect_call, 0
	.section	.AMDGPU.csdata,"",@progbits
; Kernel info:
; codeLenInByte = 41996
; TotalNumSgprs: 32
; NumVgprs: 78
; NumAgprs: 0
; TotalNumVgprs: 78
; ScratchSize: 0
; MemoryBound: 0
; FloatMode: 240
; IeeeMode: 1
; LDSByteSize: 0 bytes/workgroup (compile time only)
; SGPRBlocks: 3
; VGPRBlocks: 9
; NumSGPRsForWavesPerEU: 32
; NumVGPRsForWavesPerEU: 78
; AccumOffset: 80
; Occupancy: 6
; WaveLimiterHint : 0
; COMPUTE_PGM_RSRC2:SCRATCH_EN: 0
; COMPUTE_PGM_RSRC2:USER_SGPR: 2
; COMPUTE_PGM_RSRC2:TRAP_HANDLER: 0
; COMPUTE_PGM_RSRC2:TGID_X_EN: 1
; COMPUTE_PGM_RSRC2:TGID_Y_EN: 1
; COMPUTE_PGM_RSRC2:TGID_Z_EN: 0
; COMPUTE_PGM_RSRC2:TIDIG_COMP_CNT: 1
; COMPUTE_PGM_RSRC3_GFX90A:ACCUM_OFFSET: 19
; COMPUTE_PGM_RSRC3_GFX90A:TG_SPLIT: 0
	.section	.text._ZN9rocsolver6v33100L23getf2_npvt_small_kernelILi50EfiiPfEEvT1_T3_lS3_lPT2_S3_S3_,"axG",@progbits,_ZN9rocsolver6v33100L23getf2_npvt_small_kernelILi50EfiiPfEEvT1_T3_lS3_lPT2_S3_S3_,comdat
	.globl	_ZN9rocsolver6v33100L23getf2_npvt_small_kernelILi50EfiiPfEEvT1_T3_lS3_lPT2_S3_S3_ ; -- Begin function _ZN9rocsolver6v33100L23getf2_npvt_small_kernelILi50EfiiPfEEvT1_T3_lS3_lPT2_S3_S3_
	.p2align	8
	.type	_ZN9rocsolver6v33100L23getf2_npvt_small_kernelILi50EfiiPfEEvT1_T3_lS3_lPT2_S3_S3_,@function
_ZN9rocsolver6v33100L23getf2_npvt_small_kernelILi50EfiiPfEEvT1_T3_lS3_lPT2_S3_S3_: ; @_ZN9rocsolver6v33100L23getf2_npvt_small_kernelILi50EfiiPfEEvT1_T3_lS3_lPT2_S3_S3_
; %bb.0:
	s_load_dword s2, s[0:1], 0x44
	s_load_dwordx2 s[8:9], s[0:1], 0x30
	v_bfe_u32 v153, v0, 10, 10
	s_waitcnt lgkmcnt(0)
	s_lshr_b32 s10, s2, 16
	s_mul_i32 s3, s3, s10
	v_add_u32_e32 v24, s3, v153
	v_cmp_gt_i32_e32 vcc, s8, v24
	s_and_saveexec_b64 s[2:3], vcc
	s_cbranch_execz .LBB99_276
; %bb.1:
	s_load_dwordx4 s[12:15], s[0:1], 0x8
	s_load_dword s2, s[0:1], 0x18
	s_load_dwordx4 s[4:7], s[0:1], 0x20
	v_ashrrev_i32_e32 v25, 31, v24
	v_and_b32_e32 v151, 0x3ff, v0
	s_waitcnt lgkmcnt(0)
	v_mov_b32_e32 v0, s12
	v_mov_b32_e32 v1, s13
	v_mad_u64_u32 v[2:3], s[0:1], s4, v24, 0
	v_mul_lo_u32 v4, s5, v24
	v_mul_lo_u32 v5, s4, v25
	s_add_i32 s0, s2, s2
	v_add3_u32 v3, v3, v5, v4
	v_add_u32_e32 v4, s0, v151
	v_add_u32_e32 v6, s2, v4
	;; [unrolled: 1-line block ×46, first 2 shown]
	v_lshl_add_u64 v[0:1], v[2:3], 2, v[0:1]
	v_add_u32_e32 v100, s2, v96
	v_lshl_add_u64 v[98:99], s[14:15], 2, v[0:1]
	v_ashrrev_i32_e32 v5, 31, v4
	v_ashrrev_i32_e32 v7, 31, v6
	;; [unrolled: 1-line block ×47, first 2 shown]
	v_lshl_add_u64 v[2:3], v[4:5], 2, v[98:99]
	v_lshl_add_u64 v[4:5], v[6:7], 2, v[98:99]
	;; [unrolled: 1-line block ×47, first 2 shown]
	v_add_u32_e32 v100, s2, v100
	v_lshlrev_b32_e32 v0, 2, v151
	v_mov_b32_e32 v1, 0
	v_ashrrev_i32_e32 v101, 31, v100
	v_lshl_add_u64 v[0:1], v[98:99], 0, v[0:1]
	v_lshl_add_u64 v[98:99], v[100:101], 2, v[98:99]
	global_load_dword v138, v[14:15], off
	global_load_dword v139, v[16:17], off
	global_load_dword v118, v[18:19], off
	global_load_dword v119, v[20:21], off
	global_load_dword v136, v[22:23], off
	global_load_dword v137, v[26:27], off
	global_load_dword v116, v[28:29], off
	global_load_dword v117, v[30:31], off
	global_load_dword v134, v[32:33], off
	global_load_dword v135, v[34:35], off
	global_load_dword v114, v[36:37], off
	global_load_dword v115, v[38:39], off
	global_load_dword v132, v[40:41], off
	global_load_dword v133, v[42:43], off
	global_load_dword v112, v[44:45], off
	global_load_dword v113, v[46:47], off
	global_load_dword v130, v[48:49], off
	global_load_dword v131, v[50:51], off
	global_load_dword v110, v[52:53], off
	global_load_dword v111, v[54:55], off
	global_load_dword v128, v[56:57], off
	global_load_dword v129, v[58:59], off
	global_load_dword v108, v[60:61], off
	global_load_dword v109, v[62:63], off
	global_load_dword v126, v[64:65], off
	global_load_dword v127, v[66:67], off
	global_load_dword v106, v[68:69], off
	global_load_dword v107, v[70:71], off
	global_load_dword v124, v[72:73], off
	global_load_dword v125, v[74:75], off
	global_load_dword v104, v[76:77], off
	global_load_dword v105, v[78:79], off
	global_load_dword v122, v[80:81], off
	global_load_dword v123, v[82:83], off
	global_load_dword v102, v[84:85], off
	global_load_dword v103, v[86:87], off
	global_load_dword v120, v[88:89], off
	global_load_dword v121, v[90:91], off
	global_load_dword v100, v[92:93], off
	global_load_dword v101, v[94:95], off
	global_load_dword v140, v[96:97], off
	global_load_dword v141, v[98:99], off
	s_ashr_i32 s3, s2, 31
	v_lshl_add_u64 v[148:149], s[2:3], 2, v[0:1]
	global_load_dword v144, v[2:3], off
	global_load_dword v145, v[4:5], off
	;; [unrolled: 1-line block ×8, first 2 shown]
	s_mulk_i32 s10, 0xc8
	s_movk_i32 s0, 0xc8
	s_add_i32 s1, s10, 0
	v_mad_u32_u24 v155, v153, s0, 0
	v_lshl_add_u32 v153, v153, 2, s1
	v_cmp_ne_u32_e64 s[2:3], 0, v151
	v_cmp_eq_u32_e64 s[0:1], 0, v151
	s_and_saveexec_b64 s[4:5], s[0:1]
	s_cbranch_execz .LBB99_4
; %bb.2:
	s_waitcnt vmcnt(1)
	ds_write_b32 v153, v150
	s_waitcnt vmcnt(0)
	ds_write2_b32 v155, v152, v144 offset0:1 offset1:2
	ds_write2_b32 v155, v145, v146 offset0:3 offset1:4
	;; [unrolled: 1-line block ×24, first 2 shown]
	ds_write_b32 v155, v141 offset:196
	ds_read_b32 v154, v153
	s_waitcnt lgkmcnt(0)
	v_cmp_neq_f32_e32 vcc, 0, v154
	s_and_b64 exec, exec, vcc
	s_cbranch_execz .LBB99_4
; %bb.3:
	v_div_scale_f32 v156, s[10:11], v154, v154, 1.0
	v_rcp_f32_e32 v157, v156
	v_div_scale_f32 v158, vcc, 1.0, v154, 1.0
	v_fma_f32 v159, -v156, v157, 1.0
	v_fmac_f32_e32 v157, v159, v157
	v_mul_f32_e32 v159, v158, v157
	v_fma_f32 v160, -v156, v159, v158
	v_fmac_f32_e32 v159, v160, v157
	v_fma_f32 v156, -v156, v159, v158
	v_div_fmas_f32 v156, v156, v157, v159
	v_div_fixup_f32 v154, v156, v154, 1.0
	ds_write_b32 v153, v154
.LBB99_4:
	s_or_b64 exec, exec, s[4:5]
	s_waitcnt lgkmcnt(0)
	s_barrier
	ds_read_b32 v154, v153
	s_and_saveexec_b64 s[4:5], s[2:3]
	s_cbranch_execz .LBB99_6
; %bb.5:
	ds_read_b32 v164, v155 offset:4
	ds_read2_b64 v[156:159], v155 offset0:1 offset1:2
	s_waitcnt vmcnt(1) lgkmcnt(2)
	v_mul_f32_e32 v150, v154, v150
	ds_read2_b64 v[160:163], v155 offset0:3 offset1:4
	s_waitcnt vmcnt(0) lgkmcnt(2)
	v_fma_f32 v152, -v150, v164, v152
	ds_read2_b64 v[164:167], v155 offset0:5 offset1:6
	s_waitcnt lgkmcnt(2)
	v_pk_fma_f32 v[144:145], v[150:151], v[156:157], v[144:145] op_sel_hi:[0,1,1] neg_lo:[1,0,0] neg_hi:[1,0,0]
	v_pk_fma_f32 v[146:147], v[150:151], v[158:159], v[146:147] op_sel_hi:[0,1,1] neg_lo:[1,0,0] neg_hi:[1,0,0]
	s_waitcnt lgkmcnt(1)
	v_pk_fma_f32 v[142:143], v[150:151], v[160:161], v[142:143] op_sel_hi:[0,1,1] neg_lo:[1,0,0] neg_hi:[1,0,0]
	ds_read2_b64 v[156:159], v155 offset0:7 offset1:8
	v_pk_fma_f32 v[138:139], v[150:151], v[162:163], v[138:139] op_sel_hi:[0,1,1] neg_lo:[1,0,0] neg_hi:[1,0,0]
	s_waitcnt lgkmcnt(1)
	v_pk_fma_f32 v[118:119], v[150:151], v[164:165], v[118:119] op_sel_hi:[0,1,1] neg_lo:[1,0,0] neg_hi:[1,0,0]
	ds_read2_b64 v[160:163], v155 offset0:9 offset1:10
	v_pk_fma_f32 v[136:137], v[150:151], v[166:167], v[136:137] op_sel_hi:[0,1,1] neg_lo:[1,0,0] neg_hi:[1,0,0]
	ds_read2_b64 v[164:167], v155 offset0:11 offset1:12
	s_waitcnt lgkmcnt(2)
	v_pk_fma_f32 v[116:117], v[150:151], v[156:157], v[116:117] op_sel_hi:[0,1,1] neg_lo:[1,0,0] neg_hi:[1,0,0]
	v_pk_fma_f32 v[134:135], v[150:151], v[158:159], v[134:135] op_sel_hi:[0,1,1] neg_lo:[1,0,0] neg_hi:[1,0,0]
	s_waitcnt lgkmcnt(1)
	v_pk_fma_f32 v[114:115], v[150:151], v[160:161], v[114:115] op_sel_hi:[0,1,1] neg_lo:[1,0,0] neg_hi:[1,0,0]
	ds_read2_b64 v[156:159], v155 offset0:13 offset1:14
	v_pk_fma_f32 v[132:133], v[150:151], v[162:163], v[132:133] op_sel_hi:[0,1,1] neg_lo:[1,0,0] neg_hi:[1,0,0]
	s_waitcnt lgkmcnt(1)
	v_pk_fma_f32 v[112:113], v[150:151], v[164:165], v[112:113] op_sel_hi:[0,1,1] neg_lo:[1,0,0] neg_hi:[1,0,0]
	ds_read2_b64 v[160:163], v155 offset0:15 offset1:16
	v_pk_fma_f32 v[130:131], v[150:151], v[166:167], v[130:131] op_sel_hi:[0,1,1] neg_lo:[1,0,0] neg_hi:[1,0,0]
	ds_read2_b64 v[164:167], v155 offset0:17 offset1:18
	s_waitcnt lgkmcnt(2)
	v_pk_fma_f32 v[110:111], v[150:151], v[156:157], v[110:111] op_sel_hi:[0,1,1] neg_lo:[1,0,0] neg_hi:[1,0,0]
	v_pk_fma_f32 v[128:129], v[150:151], v[158:159], v[128:129] op_sel_hi:[0,1,1] neg_lo:[1,0,0] neg_hi:[1,0,0]
	s_waitcnt lgkmcnt(1)
	v_pk_fma_f32 v[108:109], v[150:151], v[160:161], v[108:109] op_sel_hi:[0,1,1] neg_lo:[1,0,0] neg_hi:[1,0,0]
	v_pk_fma_f32 v[126:127], v[150:151], v[162:163], v[126:127] op_sel_hi:[0,1,1] neg_lo:[1,0,0] neg_hi:[1,0,0]
	ds_read2_b64 v[156:159], v155 offset0:19 offset1:20
	ds_read2_b64 v[160:163], v155 offset0:21 offset1:22
	s_waitcnt lgkmcnt(2)
	v_pk_fma_f32 v[106:107], v[150:151], v[164:165], v[106:107] op_sel_hi:[0,1,1] neg_lo:[1,0,0] neg_hi:[1,0,0]
	v_pk_fma_f32 v[124:125], v[150:151], v[166:167], v[124:125] op_sel_hi:[0,1,1] neg_lo:[1,0,0] neg_hi:[1,0,0]
	ds_read2_b64 v[164:167], v155 offset0:23 offset1:24
	s_waitcnt lgkmcnt(2)
	v_pk_fma_f32 v[104:105], v[150:151], v[156:157], v[104:105] op_sel_hi:[0,1,1] neg_lo:[1,0,0] neg_hi:[1,0,0]
	v_pk_fma_f32 v[122:123], v[150:151], v[158:159], v[122:123] op_sel_hi:[0,1,1] neg_lo:[1,0,0] neg_hi:[1,0,0]
	s_waitcnt lgkmcnt(1)
	v_pk_fma_f32 v[102:103], v[150:151], v[160:161], v[102:103] op_sel_hi:[0,1,1] neg_lo:[1,0,0] neg_hi:[1,0,0]
	v_pk_fma_f32 v[120:121], v[150:151], v[162:163], v[120:121] op_sel_hi:[0,1,1] neg_lo:[1,0,0] neg_hi:[1,0,0]
	;; [unrolled: 3-line block ×3, first 2 shown]
.LBB99_6:
	s_or_b64 exec, exec, s[4:5]
	v_cmp_eq_u32_e32 vcc, 1, v151
	s_waitcnt lgkmcnt(0)
	s_barrier
	s_and_saveexec_b64 s[2:3], vcc
	s_cbranch_execz .LBB99_9
; %bb.7:
	s_waitcnt vmcnt(0)
	ds_write_b32 v153, v152
	ds_write2_b64 v155, v[144:145], v[146:147] offset0:1 offset1:2
	ds_write2_b64 v155, v[142:143], v[138:139] offset0:3 offset1:4
	;; [unrolled: 1-line block ×12, first 2 shown]
	ds_read_b32 v156, v153
	s_waitcnt lgkmcnt(0)
	v_cmp_neq_f32_e32 vcc, 0, v156
	s_and_b64 exec, exec, vcc
	s_cbranch_execz .LBB99_9
; %bb.8:
	v_div_scale_f32 v157, s[4:5], v156, v156, 1.0
	v_rcp_f32_e32 v158, v157
	v_div_scale_f32 v159, vcc, 1.0, v156, 1.0
	v_fma_f32 v160, -v157, v158, 1.0
	v_fmac_f32_e32 v158, v160, v158
	v_mul_f32_e32 v160, v159, v158
	v_fma_f32 v161, -v157, v160, v159
	v_fmac_f32_e32 v160, v161, v158
	v_fma_f32 v157, -v157, v160, v159
	v_div_fmas_f32 v157, v157, v158, v160
	v_div_fixup_f32 v156, v157, v156, 1.0
	ds_write_b32 v153, v156
.LBB99_9:
	s_or_b64 exec, exec, s[2:3]
	s_waitcnt lgkmcnt(0)
	s_barrier
	ds_read_b32 v156, v153
	v_cmp_lt_u32_e32 vcc, 1, v151
	s_and_saveexec_b64 s[2:3], vcc
	s_cbranch_execz .LBB99_11
; %bb.10:
	ds_read2_b64 v[158:161], v155 offset0:1 offset1:2
	s_waitcnt vmcnt(0) lgkmcnt(1)
	v_mul_f32_e32 v152, v156, v152
	s_waitcnt lgkmcnt(0)
	v_pk_fma_f32 v[144:145], v[152:153], v[158:159], v[144:145] op_sel_hi:[0,1,1] neg_lo:[1,0,0] neg_hi:[1,0,0]
	v_pk_fma_f32 v[146:147], v[152:153], v[160:161], v[146:147] op_sel_hi:[0,1,1] neg_lo:[1,0,0] neg_hi:[1,0,0]
	ds_read2_b64 v[158:161], v155 offset0:3 offset1:4
	s_waitcnt lgkmcnt(0)
	v_pk_fma_f32 v[142:143], v[152:153], v[158:159], v[142:143] op_sel_hi:[0,1,1] neg_lo:[1,0,0] neg_hi:[1,0,0]
	v_pk_fma_f32 v[138:139], v[152:153], v[160:161], v[138:139] op_sel_hi:[0,1,1] neg_lo:[1,0,0] neg_hi:[1,0,0]
	ds_read2_b64 v[158:161], v155 offset0:5 offset1:6
	;; [unrolled: 4-line block ×11, first 2 shown]
	s_waitcnt lgkmcnt(0)
	v_pk_fma_f32 v[100:101], v[152:153], v[158:159], v[100:101] op_sel_hi:[0,1,1] neg_lo:[1,0,0] neg_hi:[1,0,0]
	v_pk_fma_f32 v[140:141], v[152:153], v[160:161], v[140:141] op_sel_hi:[0,1,1] neg_lo:[1,0,0] neg_hi:[1,0,0]
.LBB99_11:
	s_or_b64 exec, exec, s[2:3]
	v_cmp_eq_u32_e32 vcc, 2, v151
	s_waitcnt lgkmcnt(0)
	s_barrier
	s_and_saveexec_b64 s[2:3], vcc
	s_cbranch_execz .LBB99_14
; %bb.12:
	s_waitcnt vmcnt(4)
	v_pk_mov_b32 v[158:159], v[144:145], v[146:147] op_sel:[1,0]
	ds_write_b32 v153, v144
	ds_write2_b32 v155, v158, v159 offset0:3 offset1:4
	s_waitcnt vmcnt(2)
	v_pk_mov_b32 v[158:159], v[146:147], v[142:143] op_sel:[1,0]
	ds_write2_b32 v155, v158, v159 offset0:5 offset1:6
	v_pk_mov_b32 v[158:159], v[142:143], v[138:139] op_sel:[1,0]
	ds_write2_b32 v155, v158, v159 offset0:7 offset1:8
	v_pk_mov_b32 v[158:159], v[138:139], v[118:119] op_sel:[1,0]
	ds_write2_b32 v155, v158, v159 offset0:9 offset1:10
	v_pk_mov_b32 v[158:159], v[118:119], v[136:137] op_sel:[1,0]
	ds_write2_b32 v155, v158, v159 offset0:11 offset1:12
	v_pk_mov_b32 v[158:159], v[136:137], v[116:117] op_sel:[1,0]
	ds_write2_b32 v155, v158, v159 offset0:13 offset1:14
	v_pk_mov_b32 v[158:159], v[116:117], v[134:135] op_sel:[1,0]
	ds_write2_b32 v155, v158, v159 offset0:15 offset1:16
	v_pk_mov_b32 v[158:159], v[134:135], v[114:115] op_sel:[1,0]
	ds_write2_b32 v155, v158, v159 offset0:17 offset1:18
	v_pk_mov_b32 v[158:159], v[114:115], v[132:133] op_sel:[1,0]
	ds_write2_b32 v155, v158, v159 offset0:19 offset1:20
	v_pk_mov_b32 v[158:159], v[132:133], v[112:113] op_sel:[1,0]
	ds_write2_b32 v155, v158, v159 offset0:21 offset1:22
	v_pk_mov_b32 v[158:159], v[112:113], v[130:131] op_sel:[1,0]
	ds_write2_b32 v155, v158, v159 offset0:23 offset1:24
	v_pk_mov_b32 v[158:159], v[130:131], v[110:111] op_sel:[1,0]
	ds_write2_b32 v155, v158, v159 offset0:25 offset1:26
	v_pk_mov_b32 v[158:159], v[110:111], v[128:129] op_sel:[1,0]
	ds_write2_b32 v155, v158, v159 offset0:27 offset1:28
	v_pk_mov_b32 v[158:159], v[128:129], v[108:109] op_sel:[1,0]
	ds_write2_b32 v155, v158, v159 offset0:29 offset1:30
	v_pk_mov_b32 v[158:159], v[108:109], v[126:127] op_sel:[1,0]
	ds_write2_b32 v155, v158, v159 offset0:31 offset1:32
	v_pk_mov_b32 v[158:159], v[126:127], v[106:107] op_sel:[1,0]
	ds_write2_b32 v155, v158, v159 offset0:33 offset1:34
	v_pk_mov_b32 v[158:159], v[106:107], v[124:125] op_sel:[1,0]
	ds_write2_b32 v155, v158, v159 offset0:35 offset1:36
	v_pk_mov_b32 v[158:159], v[124:125], v[104:105] op_sel:[1,0]
	ds_write2_b32 v155, v158, v159 offset0:37 offset1:38
	v_pk_mov_b32 v[158:159], v[104:105], v[122:123] op_sel:[1,0]
	ds_write2_b32 v155, v158, v159 offset0:39 offset1:40
	v_pk_mov_b32 v[158:159], v[122:123], v[102:103] op_sel:[1,0]
	ds_write2_b32 v155, v158, v159 offset0:41 offset1:42
	v_pk_mov_b32 v[158:159], v[102:103], v[120:121] op_sel:[1,0]
	ds_write2_b32 v155, v158, v159 offset0:43 offset1:44
	v_pk_mov_b32 v[158:159], v[120:121], v[100:101] op_sel:[1,0]
	ds_write2_b32 v155, v158, v159 offset0:45 offset1:46
	v_pk_mov_b32 v[158:159], v[100:101], v[140:141] op_sel:[1,0]
	ds_write2_b32 v155, v158, v159 offset0:47 offset1:48
	ds_write_b32 v155, v141 offset:196
	ds_read_b32 v157, v153
	s_waitcnt lgkmcnt(0)
	v_cmp_neq_f32_e32 vcc, 0, v157
	s_and_b64 exec, exec, vcc
	s_cbranch_execz .LBB99_14
; %bb.13:
	v_div_scale_f32 v158, s[4:5], v157, v157, 1.0
	v_rcp_f32_e32 v159, v158
	v_div_scale_f32 v160, vcc, 1.0, v157, 1.0
	v_fma_f32 v161, -v158, v159, 1.0
	v_fmac_f32_e32 v159, v161, v159
	v_mul_f32_e32 v161, v160, v159
	v_fma_f32 v162, -v158, v161, v160
	v_fmac_f32_e32 v161, v162, v159
	v_fma_f32 v158, -v158, v161, v160
	v_div_fmas_f32 v158, v158, v159, v161
	v_div_fixup_f32 v157, v158, v157, 1.0
	ds_write_b32 v153, v157
.LBB99_14:
	s_or_b64 exec, exec, s[2:3]
	s_waitcnt lgkmcnt(0)
	s_barrier
	ds_read_b32 v157, v153
	v_cmp_lt_u32_e32 vcc, 2, v151
	s_and_saveexec_b64 s[2:3], vcc
	s_cbranch_execz .LBB99_16
; %bb.15:
	ds_read_b32 v158, v155 offset:12
	s_waitcnt vmcnt(7) lgkmcnt(1)
	v_mul_f32_e32 v144, v157, v144
	s_waitcnt vmcnt(6) lgkmcnt(0)
	v_fma_f32 v145, -v144, v158, v145
	ds_read2_b64 v[158:161], v155 offset0:2 offset1:3
	s_waitcnt vmcnt(4) lgkmcnt(0)
	v_pk_fma_f32 v[146:147], v[144:145], v[158:159], v[146:147] op_sel_hi:[0,1,1] neg_lo:[1,0,0] neg_hi:[1,0,0]
	s_waitcnt vmcnt(2)
	v_pk_fma_f32 v[142:143], v[144:145], v[160:161], v[142:143] op_sel_hi:[0,1,1] neg_lo:[1,0,0] neg_hi:[1,0,0]
	ds_read2_b64 v[158:161], v155 offset0:4 offset1:5
	s_waitcnt lgkmcnt(0)
	v_pk_fma_f32 v[138:139], v[144:145], v[158:159], v[138:139] op_sel_hi:[0,1,1] neg_lo:[1,0,0] neg_hi:[1,0,0]
	v_pk_fma_f32 v[118:119], v[144:145], v[160:161], v[118:119] op_sel_hi:[0,1,1] neg_lo:[1,0,0] neg_hi:[1,0,0]
	ds_read2_b64 v[158:161], v155 offset0:6 offset1:7
	s_waitcnt lgkmcnt(0)
	v_pk_fma_f32 v[136:137], v[144:145], v[158:159], v[136:137] op_sel_hi:[0,1,1] neg_lo:[1,0,0] neg_hi:[1,0,0]
	;; [unrolled: 4-line block ×10, first 2 shown]
	ds_read_b64 v[158:159], v155 offset:192
	v_pk_fma_f32 v[100:101], v[144:145], v[160:161], v[100:101] op_sel_hi:[0,1,1] neg_lo:[1,0,0] neg_hi:[1,0,0]
	s_waitcnt lgkmcnt(0)
	v_pk_fma_f32 v[140:141], v[144:145], v[158:159], v[140:141] op_sel_hi:[0,1,1] neg_lo:[1,0,0] neg_hi:[1,0,0]
.LBB99_16:
	s_or_b64 exec, exec, s[2:3]
	v_cmp_eq_u32_e32 vcc, 3, v151
	s_waitcnt lgkmcnt(0)
	s_barrier
	s_and_saveexec_b64 s[2:3], vcc
	s_cbranch_execz .LBB99_19
; %bb.17:
	s_waitcnt vmcnt(5)
	v_mov_b32_e32 v158, v146
	s_waitcnt vmcnt(4)
	v_mov_b32_e32 v159, v147
	;; [unrolled: 2-line block ×4, first 2 shown]
	ds_write_b32 v153, v145
	ds_write2_b64 v155, v[158:159], v[160:161] offset0:2 offset1:3
	v_mov_b32_e32 v158, v138
	v_mov_b32_e32 v159, v139
	v_mov_b32_e32 v160, v118
	v_mov_b32_e32 v161, v119
	ds_write2_b64 v155, v[158:159], v[160:161] offset0:4 offset1:5
	v_mov_b32_e32 v158, v136
	v_mov_b32_e32 v159, v137
	v_mov_b32_e32 v160, v116
	v_mov_b32_e32 v161, v117
	ds_write2_b64 v155, v[158:159], v[160:161] offset0:6 offset1:7
	v_mov_b32_e32 v158, v134
	v_mov_b32_e32 v159, v135
	v_mov_b32_e32 v160, v114
	v_mov_b32_e32 v161, v115
	ds_write2_b64 v155, v[158:159], v[160:161] offset0:8 offset1:9
	v_mov_b32_e32 v158, v132
	v_mov_b32_e32 v159, v133
	v_mov_b32_e32 v160, v112
	v_mov_b32_e32 v161, v113
	ds_write2_b64 v155, v[158:159], v[160:161] offset0:10 offset1:11
	v_mov_b32_e32 v158, v130
	v_mov_b32_e32 v159, v131
	v_mov_b32_e32 v160, v110
	v_mov_b32_e32 v161, v111
	ds_write2_b64 v155, v[158:159], v[160:161] offset0:12 offset1:13
	v_mov_b32_e32 v158, v128
	v_mov_b32_e32 v159, v129
	v_mov_b32_e32 v160, v108
	v_mov_b32_e32 v161, v109
	ds_write2_b64 v155, v[158:159], v[160:161] offset0:14 offset1:15
	v_mov_b32_e32 v158, v126
	v_mov_b32_e32 v159, v127
	v_mov_b32_e32 v160, v106
	v_mov_b32_e32 v161, v107
	ds_write2_b64 v155, v[158:159], v[160:161] offset0:16 offset1:17
	v_mov_b32_e32 v158, v124
	v_mov_b32_e32 v159, v125
	v_mov_b32_e32 v160, v104
	v_mov_b32_e32 v161, v105
	ds_write2_b64 v155, v[158:159], v[160:161] offset0:18 offset1:19
	v_mov_b32_e32 v158, v122
	v_mov_b32_e32 v159, v123
	v_mov_b32_e32 v160, v102
	v_mov_b32_e32 v161, v103
	ds_write2_b64 v155, v[158:159], v[160:161] offset0:20 offset1:21
	v_mov_b32_e32 v158, v120
	v_mov_b32_e32 v159, v121
	v_mov_b32_e32 v160, v100
	v_mov_b32_e32 v161, v101
	ds_write2_b64 v155, v[158:159], v[160:161] offset0:22 offset1:23
	ds_write_b64 v155, v[140:141] offset:192
	ds_read_b32 v158, v153
	s_waitcnt lgkmcnt(0)
	v_cmp_neq_f32_e32 vcc, 0, v158
	s_and_b64 exec, exec, vcc
	s_cbranch_execz .LBB99_19
; %bb.18:
	v_div_scale_f32 v159, s[4:5], v158, v158, 1.0
	v_rcp_f32_e32 v160, v159
	v_div_scale_f32 v161, vcc, 1.0, v158, 1.0
	v_fma_f32 v162, -v159, v160, 1.0
	v_fmac_f32_e32 v160, v162, v160
	v_mul_f32_e32 v162, v161, v160
	v_fma_f32 v163, -v159, v162, v161
	v_fmac_f32_e32 v162, v163, v160
	v_fma_f32 v159, -v159, v162, v161
	v_div_fmas_f32 v159, v159, v160, v162
	v_div_fixup_f32 v158, v159, v158, 1.0
	ds_write_b32 v153, v158
.LBB99_19:
	s_or_b64 exec, exec, s[2:3]
	s_waitcnt lgkmcnt(0)
	s_barrier
	ds_read_b32 v158, v153
	v_cmp_lt_u32_e32 vcc, 3, v151
	s_and_saveexec_b64 s[2:3], vcc
	s_cbranch_execz .LBB99_21
; %bb.20:
	ds_read2_b64 v[160:163], v155 offset0:2 offset1:3
	s_waitcnt vmcnt(6) lgkmcnt(1)
	v_mul_f32_e32 v164, v158, v145
	v_mov_b32_e32 v145, v164
	s_waitcnt vmcnt(4) lgkmcnt(0)
	v_pk_fma_f32 v[146:147], v[164:165], v[160:161], v[146:147] op_sel_hi:[0,1,1] neg_lo:[1,0,0] neg_hi:[1,0,0]
	s_waitcnt vmcnt(2)
	v_pk_fma_f32 v[142:143], v[164:165], v[162:163], v[142:143] op_sel_hi:[0,1,1] neg_lo:[1,0,0] neg_hi:[1,0,0]
	ds_read2_b64 v[160:163], v155 offset0:4 offset1:5
	s_waitcnt lgkmcnt(0)
	v_pk_fma_f32 v[138:139], v[164:165], v[160:161], v[138:139] op_sel_hi:[0,1,1] neg_lo:[1,0,0] neg_hi:[1,0,0]
	v_pk_fma_f32 v[118:119], v[164:165], v[162:163], v[118:119] op_sel_hi:[0,1,1] neg_lo:[1,0,0] neg_hi:[1,0,0]
	ds_read2_b64 v[160:163], v155 offset0:6 offset1:7
	s_waitcnt lgkmcnt(0)
	v_pk_fma_f32 v[136:137], v[164:165], v[160:161], v[136:137] op_sel_hi:[0,1,1] neg_lo:[1,0,0] neg_hi:[1,0,0]
	;; [unrolled: 4-line block ×10, first 2 shown]
	ds_read_b64 v[160:161], v155 offset:192
	v_pk_fma_f32 v[100:101], v[164:165], v[162:163], v[100:101] op_sel_hi:[0,1,1] neg_lo:[1,0,0] neg_hi:[1,0,0]
	s_waitcnt lgkmcnt(0)
	v_pk_fma_f32 v[140:141], v[164:165], v[160:161], v[140:141] op_sel_hi:[0,1,1] neg_lo:[1,0,0] neg_hi:[1,0,0]
.LBB99_21:
	s_or_b64 exec, exec, s[2:3]
	v_cmp_eq_u32_e32 vcc, 4, v151
	s_waitcnt lgkmcnt(0)
	s_barrier
	s_and_saveexec_b64 s[2:3], vcc
	s_cbranch_execz .LBB99_24
; %bb.22:
	s_waitcnt vmcnt(2)
	v_pk_mov_b32 v[160:161], v[146:147], v[142:143] op_sel:[1,0]
	ds_write_b32 v153, v146
	ds_write2_b32 v155, v160, v161 offset0:5 offset1:6
	v_pk_mov_b32 v[160:161], v[142:143], v[138:139] op_sel:[1,0]
	ds_write2_b32 v155, v160, v161 offset0:7 offset1:8
	v_pk_mov_b32 v[160:161], v[138:139], v[118:119] op_sel:[1,0]
	ds_write2_b32 v155, v160, v161 offset0:9 offset1:10
	v_pk_mov_b32 v[160:161], v[118:119], v[136:137] op_sel:[1,0]
	ds_write2_b32 v155, v160, v161 offset0:11 offset1:12
	v_pk_mov_b32 v[160:161], v[136:137], v[116:117] op_sel:[1,0]
	ds_write2_b32 v155, v160, v161 offset0:13 offset1:14
	v_pk_mov_b32 v[160:161], v[116:117], v[134:135] op_sel:[1,0]
	ds_write2_b32 v155, v160, v161 offset0:15 offset1:16
	v_pk_mov_b32 v[160:161], v[134:135], v[114:115] op_sel:[1,0]
	ds_write2_b32 v155, v160, v161 offset0:17 offset1:18
	v_pk_mov_b32 v[160:161], v[114:115], v[132:133] op_sel:[1,0]
	ds_write2_b32 v155, v160, v161 offset0:19 offset1:20
	v_pk_mov_b32 v[160:161], v[132:133], v[112:113] op_sel:[1,0]
	ds_write2_b32 v155, v160, v161 offset0:21 offset1:22
	v_pk_mov_b32 v[160:161], v[112:113], v[130:131] op_sel:[1,0]
	ds_write2_b32 v155, v160, v161 offset0:23 offset1:24
	v_pk_mov_b32 v[160:161], v[130:131], v[110:111] op_sel:[1,0]
	ds_write2_b32 v155, v160, v161 offset0:25 offset1:26
	v_pk_mov_b32 v[160:161], v[110:111], v[128:129] op_sel:[1,0]
	ds_write2_b32 v155, v160, v161 offset0:27 offset1:28
	v_pk_mov_b32 v[160:161], v[128:129], v[108:109] op_sel:[1,0]
	ds_write2_b32 v155, v160, v161 offset0:29 offset1:30
	v_pk_mov_b32 v[160:161], v[108:109], v[126:127] op_sel:[1,0]
	ds_write2_b32 v155, v160, v161 offset0:31 offset1:32
	v_pk_mov_b32 v[160:161], v[126:127], v[106:107] op_sel:[1,0]
	ds_write2_b32 v155, v160, v161 offset0:33 offset1:34
	v_pk_mov_b32 v[160:161], v[106:107], v[124:125] op_sel:[1,0]
	ds_write2_b32 v155, v160, v161 offset0:35 offset1:36
	v_pk_mov_b32 v[160:161], v[124:125], v[104:105] op_sel:[1,0]
	ds_write2_b32 v155, v160, v161 offset0:37 offset1:38
	v_pk_mov_b32 v[160:161], v[104:105], v[122:123] op_sel:[1,0]
	ds_write2_b32 v155, v160, v161 offset0:39 offset1:40
	v_pk_mov_b32 v[160:161], v[122:123], v[102:103] op_sel:[1,0]
	ds_write2_b32 v155, v160, v161 offset0:41 offset1:42
	v_pk_mov_b32 v[160:161], v[102:103], v[120:121] op_sel:[1,0]
	ds_write2_b32 v155, v160, v161 offset0:43 offset1:44
	v_pk_mov_b32 v[160:161], v[120:121], v[100:101] op_sel:[1,0]
	ds_write2_b32 v155, v160, v161 offset0:45 offset1:46
	v_pk_mov_b32 v[160:161], v[100:101], v[140:141] op_sel:[1,0]
	ds_write2_b32 v155, v160, v161 offset0:47 offset1:48
	ds_write_b32 v155, v141 offset:196
	ds_read_b32 v159, v153
	s_waitcnt lgkmcnt(0)
	v_cmp_neq_f32_e32 vcc, 0, v159
	s_and_b64 exec, exec, vcc
	s_cbranch_execz .LBB99_24
; %bb.23:
	v_div_scale_f32 v160, s[4:5], v159, v159, 1.0
	v_rcp_f32_e32 v161, v160
	v_div_scale_f32 v162, vcc, 1.0, v159, 1.0
	v_fma_f32 v163, -v160, v161, 1.0
	v_fmac_f32_e32 v161, v163, v161
	v_mul_f32_e32 v163, v162, v161
	v_fma_f32 v164, -v160, v163, v162
	v_fmac_f32_e32 v163, v164, v161
	v_fma_f32 v160, -v160, v163, v162
	v_div_fmas_f32 v160, v160, v161, v163
	v_div_fixup_f32 v159, v160, v159, 1.0
	ds_write_b32 v153, v159
.LBB99_24:
	s_or_b64 exec, exec, s[2:3]
	s_waitcnt lgkmcnt(0)
	s_barrier
	ds_read_b32 v159, v153
	v_cmp_lt_u32_e32 vcc, 4, v151
	s_and_saveexec_b64 s[2:3], vcc
	s_cbranch_execz .LBB99_26
; %bb.25:
	ds_read_b32 v160, v155 offset:20
	s_waitcnt vmcnt(5) lgkmcnt(1)
	v_mul_f32_e32 v146, v159, v146
	s_waitcnt vmcnt(4) lgkmcnt(0)
	v_fma_f32 v147, -v146, v160, v147
	ds_read2_b64 v[160:163], v155 offset0:3 offset1:4
	s_waitcnt vmcnt(2) lgkmcnt(0)
	v_pk_fma_f32 v[142:143], v[146:147], v[160:161], v[142:143] op_sel_hi:[0,1,1] neg_lo:[1,0,0] neg_hi:[1,0,0]
	v_pk_fma_f32 v[138:139], v[146:147], v[162:163], v[138:139] op_sel_hi:[0,1,1] neg_lo:[1,0,0] neg_hi:[1,0,0]
	ds_read2_b64 v[160:163], v155 offset0:5 offset1:6
	s_waitcnt lgkmcnt(0)
	v_pk_fma_f32 v[118:119], v[146:147], v[160:161], v[118:119] op_sel_hi:[0,1,1] neg_lo:[1,0,0] neg_hi:[1,0,0]
	v_pk_fma_f32 v[136:137], v[146:147], v[162:163], v[136:137] op_sel_hi:[0,1,1] neg_lo:[1,0,0] neg_hi:[1,0,0]
	ds_read2_b64 v[160:163], v155 offset0:7 offset1:8
	s_waitcnt lgkmcnt(0)
	;; [unrolled: 4-line block ×10, first 2 shown]
	v_pk_fma_f32 v[100:101], v[146:147], v[160:161], v[100:101] op_sel_hi:[0,1,1] neg_lo:[1,0,0] neg_hi:[1,0,0]
	v_pk_fma_f32 v[140:141], v[146:147], v[162:163], v[140:141] op_sel_hi:[0,1,1] neg_lo:[1,0,0] neg_hi:[1,0,0]
.LBB99_26:
	s_or_b64 exec, exec, s[2:3]
	v_cmp_ne_u32_e32 vcc, 5, v151
	s_waitcnt lgkmcnt(0)
	s_barrier
	s_and_saveexec_b64 s[2:3], vcc
	s_xor_b64 s[2:3], exec, s[2:3]
	s_andn2_saveexec_b64 s[2:3], s[2:3]
	s_cbranch_execz .LBB99_30
; %bb.27:
	s_waitcnt vmcnt(4)
	ds_write_b32 v153, v147
	s_waitcnt vmcnt(2)
	ds_write2_b64 v155, v[142:143], v[138:139] offset0:3 offset1:4
	ds_write2_b64 v155, v[118:119], v[136:137] offset0:5 offset1:6
	;; [unrolled: 1-line block ×11, first 2 shown]
	ds_read_b32 v160, v153
	s_waitcnt lgkmcnt(0)
	v_cmp_neq_f32_e32 vcc, 0, v160
	s_and_saveexec_b64 s[4:5], vcc
	s_cbranch_execz .LBB99_29
; %bb.28:
	v_div_scale_f32 v161, s[10:11], v160, v160, 1.0
	v_rcp_f32_e32 v162, v161
	v_div_scale_f32 v163, vcc, 1.0, v160, 1.0
	v_fma_f32 v164, -v161, v162, 1.0
	v_fmac_f32_e32 v162, v164, v162
	v_mul_f32_e32 v164, v163, v162
	v_fma_f32 v165, -v161, v164, v163
	v_fmac_f32_e32 v164, v165, v162
	v_fma_f32 v161, -v161, v164, v163
	v_div_fmas_f32 v161, v161, v162, v164
	v_div_fixup_f32 v160, v161, v160, 1.0
	ds_write_b32 v153, v160
.LBB99_29:
	s_or_b64 exec, exec, s[4:5]
.LBB99_30:
	s_or_b64 exec, exec, s[2:3]
	s_waitcnt lgkmcnt(0)
	s_barrier
	ds_read_b32 v160, v153
	v_cmp_lt_u32_e32 vcc, 5, v151
	s_and_saveexec_b64 s[2:3], vcc
	s_cbranch_execz .LBB99_32
; %bb.31:
	ds_read2_b64 v[162:165], v155 offset0:3 offset1:4
	s_waitcnt vmcnt(4) lgkmcnt(1)
	v_mul_f32_e32 v166, v160, v147
	v_mov_b32_e32 v147, v166
	s_waitcnt vmcnt(2) lgkmcnt(0)
	v_pk_fma_f32 v[142:143], v[166:167], v[162:163], v[142:143] op_sel_hi:[0,1,1] neg_lo:[1,0,0] neg_hi:[1,0,0]
	v_pk_fma_f32 v[138:139], v[166:167], v[164:165], v[138:139] op_sel_hi:[0,1,1] neg_lo:[1,0,0] neg_hi:[1,0,0]
	ds_read2_b64 v[162:165], v155 offset0:5 offset1:6
	s_waitcnt lgkmcnt(0)
	v_pk_fma_f32 v[118:119], v[166:167], v[162:163], v[118:119] op_sel_hi:[0,1,1] neg_lo:[1,0,0] neg_hi:[1,0,0]
	v_pk_fma_f32 v[136:137], v[166:167], v[164:165], v[136:137] op_sel_hi:[0,1,1] neg_lo:[1,0,0] neg_hi:[1,0,0]
	ds_read2_b64 v[162:165], v155 offset0:7 offset1:8
	s_waitcnt lgkmcnt(0)
	;; [unrolled: 4-line block ×10, first 2 shown]
	v_pk_fma_f32 v[100:101], v[166:167], v[162:163], v[100:101] op_sel_hi:[0,1,1] neg_lo:[1,0,0] neg_hi:[1,0,0]
	v_pk_fma_f32 v[140:141], v[166:167], v[164:165], v[140:141] op_sel_hi:[0,1,1] neg_lo:[1,0,0] neg_hi:[1,0,0]
.LBB99_32:
	s_or_b64 exec, exec, s[2:3]
	v_cmp_eq_u32_e32 vcc, 6, v151
	s_waitcnt lgkmcnt(0)
	s_barrier
	s_and_saveexec_b64 s[2:3], vcc
	s_cbranch_execz .LBB99_35
; %bb.33:
	s_waitcnt vmcnt(2)
	v_pk_mov_b32 v[162:163], v[142:143], v[138:139] op_sel:[1,0]
	ds_write_b32 v153, v142
	ds_write2_b32 v155, v162, v163 offset0:7 offset1:8
	v_pk_mov_b32 v[162:163], v[138:139], v[118:119] op_sel:[1,0]
	ds_write2_b32 v155, v162, v163 offset0:9 offset1:10
	v_pk_mov_b32 v[162:163], v[118:119], v[136:137] op_sel:[1,0]
	ds_write2_b32 v155, v162, v163 offset0:11 offset1:12
	v_pk_mov_b32 v[162:163], v[136:137], v[116:117] op_sel:[1,0]
	ds_write2_b32 v155, v162, v163 offset0:13 offset1:14
	v_pk_mov_b32 v[162:163], v[116:117], v[134:135] op_sel:[1,0]
	ds_write2_b32 v155, v162, v163 offset0:15 offset1:16
	v_pk_mov_b32 v[162:163], v[134:135], v[114:115] op_sel:[1,0]
	ds_write2_b32 v155, v162, v163 offset0:17 offset1:18
	v_pk_mov_b32 v[162:163], v[114:115], v[132:133] op_sel:[1,0]
	ds_write2_b32 v155, v162, v163 offset0:19 offset1:20
	v_pk_mov_b32 v[162:163], v[132:133], v[112:113] op_sel:[1,0]
	ds_write2_b32 v155, v162, v163 offset0:21 offset1:22
	v_pk_mov_b32 v[162:163], v[112:113], v[130:131] op_sel:[1,0]
	ds_write2_b32 v155, v162, v163 offset0:23 offset1:24
	v_pk_mov_b32 v[162:163], v[130:131], v[110:111] op_sel:[1,0]
	ds_write2_b32 v155, v162, v163 offset0:25 offset1:26
	v_pk_mov_b32 v[162:163], v[110:111], v[128:129] op_sel:[1,0]
	ds_write2_b32 v155, v162, v163 offset0:27 offset1:28
	v_pk_mov_b32 v[162:163], v[128:129], v[108:109] op_sel:[1,0]
	ds_write2_b32 v155, v162, v163 offset0:29 offset1:30
	v_pk_mov_b32 v[162:163], v[108:109], v[126:127] op_sel:[1,0]
	ds_write2_b32 v155, v162, v163 offset0:31 offset1:32
	v_pk_mov_b32 v[162:163], v[126:127], v[106:107] op_sel:[1,0]
	ds_write2_b32 v155, v162, v163 offset0:33 offset1:34
	v_pk_mov_b32 v[162:163], v[106:107], v[124:125] op_sel:[1,0]
	ds_write2_b32 v155, v162, v163 offset0:35 offset1:36
	v_pk_mov_b32 v[162:163], v[124:125], v[104:105] op_sel:[1,0]
	ds_write2_b32 v155, v162, v163 offset0:37 offset1:38
	v_pk_mov_b32 v[162:163], v[104:105], v[122:123] op_sel:[1,0]
	ds_write2_b32 v155, v162, v163 offset0:39 offset1:40
	v_pk_mov_b32 v[162:163], v[122:123], v[102:103] op_sel:[1,0]
	ds_write2_b32 v155, v162, v163 offset0:41 offset1:42
	v_pk_mov_b32 v[162:163], v[102:103], v[120:121] op_sel:[1,0]
	ds_write2_b32 v155, v162, v163 offset0:43 offset1:44
	v_pk_mov_b32 v[162:163], v[120:121], v[100:101] op_sel:[1,0]
	ds_write2_b32 v155, v162, v163 offset0:45 offset1:46
	v_pk_mov_b32 v[162:163], v[100:101], v[140:141] op_sel:[1,0]
	ds_write2_b32 v155, v162, v163 offset0:47 offset1:48
	ds_write_b32 v155, v141 offset:196
	ds_read_b32 v161, v153
	s_waitcnt lgkmcnt(0)
	v_cmp_neq_f32_e32 vcc, 0, v161
	s_and_b64 exec, exec, vcc
	s_cbranch_execz .LBB99_35
; %bb.34:
	v_div_scale_f32 v162, s[4:5], v161, v161, 1.0
	v_rcp_f32_e32 v163, v162
	v_div_scale_f32 v164, vcc, 1.0, v161, 1.0
	v_fma_f32 v165, -v162, v163, 1.0
	v_fmac_f32_e32 v163, v165, v163
	v_mul_f32_e32 v165, v164, v163
	v_fma_f32 v166, -v162, v165, v164
	v_fmac_f32_e32 v165, v166, v163
	v_fma_f32 v162, -v162, v165, v164
	v_div_fmas_f32 v162, v162, v163, v165
	v_div_fixup_f32 v161, v162, v161, 1.0
	ds_write_b32 v153, v161
.LBB99_35:
	s_or_b64 exec, exec, s[2:3]
	s_waitcnt lgkmcnt(0)
	s_barrier
	ds_read_b32 v161, v153
	v_cmp_lt_u32_e32 vcc, 6, v151
	s_and_saveexec_b64 s[2:3], vcc
	s_cbranch_execz .LBB99_37
; %bb.36:
	ds_read_b32 v162, v155 offset:28
	s_waitcnt vmcnt(3) lgkmcnt(1)
	v_mul_f32_e32 v142, v161, v142
	s_waitcnt vmcnt(2) lgkmcnt(0)
	v_fma_f32 v143, -v142, v162, v143
	ds_read2_b64 v[162:165], v155 offset0:4 offset1:5
	s_waitcnt lgkmcnt(0)
	v_pk_fma_f32 v[138:139], v[142:143], v[162:163], v[138:139] op_sel_hi:[0,1,1] neg_lo:[1,0,0] neg_hi:[1,0,0]
	v_pk_fma_f32 v[118:119], v[142:143], v[164:165], v[118:119] op_sel_hi:[0,1,1] neg_lo:[1,0,0] neg_hi:[1,0,0]
	ds_read2_b64 v[162:165], v155 offset0:6 offset1:7
	s_waitcnt lgkmcnt(0)
	v_pk_fma_f32 v[136:137], v[142:143], v[162:163], v[136:137] op_sel_hi:[0,1,1] neg_lo:[1,0,0] neg_hi:[1,0,0]
	v_pk_fma_f32 v[116:117], v[142:143], v[164:165], v[116:117] op_sel_hi:[0,1,1] neg_lo:[1,0,0] neg_hi:[1,0,0]
	ds_read2_b64 v[162:165], v155 offset0:8 offset1:9
	s_waitcnt lgkmcnt(0)
	v_pk_fma_f32 v[134:135], v[142:143], v[162:163], v[134:135] op_sel_hi:[0,1,1] neg_lo:[1,0,0] neg_hi:[1,0,0]
	v_pk_fma_f32 v[114:115], v[142:143], v[164:165], v[114:115] op_sel_hi:[0,1,1] neg_lo:[1,0,0] neg_hi:[1,0,0]
	ds_read2_b64 v[162:165], v155 offset0:10 offset1:11
	s_waitcnt lgkmcnt(0)
	v_pk_fma_f32 v[132:133], v[142:143], v[162:163], v[132:133] op_sel_hi:[0,1,1] neg_lo:[1,0,0] neg_hi:[1,0,0]
	v_pk_fma_f32 v[112:113], v[142:143], v[164:165], v[112:113] op_sel_hi:[0,1,1] neg_lo:[1,0,0] neg_hi:[1,0,0]
	ds_read2_b64 v[162:165], v155 offset0:12 offset1:13
	s_waitcnt lgkmcnt(0)
	v_pk_fma_f32 v[130:131], v[142:143], v[162:163], v[130:131] op_sel_hi:[0,1,1] neg_lo:[1,0,0] neg_hi:[1,0,0]
	v_pk_fma_f32 v[110:111], v[142:143], v[164:165], v[110:111] op_sel_hi:[0,1,1] neg_lo:[1,0,0] neg_hi:[1,0,0]
	ds_read2_b64 v[162:165], v155 offset0:14 offset1:15
	s_waitcnt lgkmcnt(0)
	v_pk_fma_f32 v[128:129], v[142:143], v[162:163], v[128:129] op_sel_hi:[0,1,1] neg_lo:[1,0,0] neg_hi:[1,0,0]
	v_pk_fma_f32 v[108:109], v[142:143], v[164:165], v[108:109] op_sel_hi:[0,1,1] neg_lo:[1,0,0] neg_hi:[1,0,0]
	ds_read2_b64 v[162:165], v155 offset0:16 offset1:17
	s_waitcnt lgkmcnt(0)
	v_pk_fma_f32 v[126:127], v[142:143], v[162:163], v[126:127] op_sel_hi:[0,1,1] neg_lo:[1,0,0] neg_hi:[1,0,0]
	v_pk_fma_f32 v[106:107], v[142:143], v[164:165], v[106:107] op_sel_hi:[0,1,1] neg_lo:[1,0,0] neg_hi:[1,0,0]
	ds_read2_b64 v[162:165], v155 offset0:18 offset1:19
	s_waitcnt lgkmcnt(0)
	v_pk_fma_f32 v[124:125], v[142:143], v[162:163], v[124:125] op_sel_hi:[0,1,1] neg_lo:[1,0,0] neg_hi:[1,0,0]
	v_pk_fma_f32 v[104:105], v[142:143], v[164:165], v[104:105] op_sel_hi:[0,1,1] neg_lo:[1,0,0] neg_hi:[1,0,0]
	ds_read2_b64 v[162:165], v155 offset0:20 offset1:21
	s_waitcnt lgkmcnt(0)
	v_pk_fma_f32 v[122:123], v[142:143], v[162:163], v[122:123] op_sel_hi:[0,1,1] neg_lo:[1,0,0] neg_hi:[1,0,0]
	v_pk_fma_f32 v[102:103], v[142:143], v[164:165], v[102:103] op_sel_hi:[0,1,1] neg_lo:[1,0,0] neg_hi:[1,0,0]
	ds_read2_b64 v[162:165], v155 offset0:22 offset1:23
	s_waitcnt lgkmcnt(0)
	v_pk_fma_f32 v[120:121], v[142:143], v[162:163], v[120:121] op_sel_hi:[0,1,1] neg_lo:[1,0,0] neg_hi:[1,0,0]
	ds_read_b64 v[162:163], v155 offset:192
	v_pk_fma_f32 v[100:101], v[142:143], v[164:165], v[100:101] op_sel_hi:[0,1,1] neg_lo:[1,0,0] neg_hi:[1,0,0]
	s_waitcnt lgkmcnt(0)
	v_pk_fma_f32 v[140:141], v[142:143], v[162:163], v[140:141] op_sel_hi:[0,1,1] neg_lo:[1,0,0] neg_hi:[1,0,0]
.LBB99_37:
	s_or_b64 exec, exec, s[2:3]
	v_cmp_ne_u32_e32 vcc, 7, v151
	s_waitcnt lgkmcnt(0)
	s_barrier
	s_and_saveexec_b64 s[2:3], vcc
	s_xor_b64 s[2:3], exec, s[2:3]
	s_andn2_saveexec_b64 s[2:3], s[2:3]
	s_cbranch_execz .LBB99_41
; %bb.38:
	s_waitcnt vmcnt(49)
	v_mov_b32_e32 v162, v138
	s_waitcnt vmcnt(48)
	v_mov_b32_e32 v163, v139
	s_waitcnt vmcnt(47)
	v_mov_b32_e32 v164, v118
	s_waitcnt vmcnt(46)
	v_mov_b32_e32 v165, v119
	s_waitcnt vmcnt(2)
	ds_write_b32 v153, v143
	ds_write2_b64 v155, v[162:163], v[164:165] offset0:4 offset1:5
	v_mov_b32_e32 v162, v136
	v_mov_b32_e32 v163, v137
	v_mov_b32_e32 v164, v116
	v_mov_b32_e32 v165, v117
	ds_write2_b64 v155, v[162:163], v[164:165] offset0:6 offset1:7
	v_mov_b32_e32 v162, v134
	v_mov_b32_e32 v163, v135
	v_mov_b32_e32 v164, v114
	v_mov_b32_e32 v165, v115
	;; [unrolled: 5-line block ×9, first 2 shown]
	ds_write2_b64 v155, v[162:163], v[164:165] offset0:22 offset1:23
	ds_write_b64 v155, v[140:141] offset:192
	ds_read_b32 v162, v153
	s_waitcnt lgkmcnt(0)
	v_cmp_neq_f32_e32 vcc, 0, v162
	s_and_saveexec_b64 s[4:5], vcc
	s_cbranch_execz .LBB99_40
; %bb.39:
	v_div_scale_f32 v163, s[10:11], v162, v162, 1.0
	v_rcp_f32_e32 v164, v163
	v_div_scale_f32 v165, vcc, 1.0, v162, 1.0
	v_fma_f32 v166, -v163, v164, 1.0
	v_fmac_f32_e32 v164, v166, v164
	v_mul_f32_e32 v166, v165, v164
	v_fma_f32 v167, -v163, v166, v165
	v_fmac_f32_e32 v166, v167, v164
	v_fma_f32 v163, -v163, v166, v165
	v_div_fmas_f32 v163, v163, v164, v166
	v_div_fixup_f32 v162, v163, v162, 1.0
	ds_write_b32 v153, v162
.LBB99_40:
	s_or_b64 exec, exec, s[4:5]
.LBB99_41:
	s_or_b64 exec, exec, s[2:3]
	s_waitcnt lgkmcnt(0)
	s_barrier
	ds_read_b32 v162, v153
	v_cmp_lt_u32_e32 vcc, 7, v151
	s_and_saveexec_b64 s[2:3], vcc
	s_cbranch_execz .LBB99_43
; %bb.42:
	ds_read2_b64 v[164:167], v155 offset0:4 offset1:5
	s_waitcnt vmcnt(2) lgkmcnt(1)
	v_mul_f32_e32 v168, v162, v143
	v_mov_b32_e32 v143, v168
	s_waitcnt lgkmcnt(0)
	v_pk_fma_f32 v[138:139], v[168:169], v[164:165], v[138:139] op_sel_hi:[0,1,1] neg_lo:[1,0,0] neg_hi:[1,0,0]
	v_pk_fma_f32 v[118:119], v[168:169], v[166:167], v[118:119] op_sel_hi:[0,1,1] neg_lo:[1,0,0] neg_hi:[1,0,0]
	ds_read2_b64 v[164:167], v155 offset0:6 offset1:7
	s_waitcnt lgkmcnt(0)
	v_pk_fma_f32 v[136:137], v[168:169], v[164:165], v[136:137] op_sel_hi:[0,1,1] neg_lo:[1,0,0] neg_hi:[1,0,0]
	v_pk_fma_f32 v[116:117], v[168:169], v[166:167], v[116:117] op_sel_hi:[0,1,1] neg_lo:[1,0,0] neg_hi:[1,0,0]
	ds_read2_b64 v[164:167], v155 offset0:8 offset1:9
	;; [unrolled: 4-line block ×9, first 2 shown]
	s_waitcnt lgkmcnt(0)
	v_pk_fma_f32 v[120:121], v[168:169], v[164:165], v[120:121] op_sel_hi:[0,1,1] neg_lo:[1,0,0] neg_hi:[1,0,0]
	ds_read_b64 v[164:165], v155 offset:192
	v_pk_fma_f32 v[100:101], v[168:169], v[166:167], v[100:101] op_sel_hi:[0,1,1] neg_lo:[1,0,0] neg_hi:[1,0,0]
	s_waitcnt lgkmcnt(0)
	v_pk_fma_f32 v[140:141], v[168:169], v[164:165], v[140:141] op_sel_hi:[0,1,1] neg_lo:[1,0,0] neg_hi:[1,0,0]
.LBB99_43:
	s_or_b64 exec, exec, s[2:3]
	v_cmp_eq_u32_e32 vcc, 8, v151
	s_waitcnt lgkmcnt(0)
	s_barrier
	s_and_saveexec_b64 s[2:3], vcc
	s_cbranch_execz .LBB99_46
; %bb.44:
	s_waitcnt vmcnt(46)
	v_pk_mov_b32 v[164:165], v[138:139], v[118:119] op_sel:[1,0]
	ds_write_b32 v153, v138
	ds_write2_b32 v155, v164, v165 offset0:9 offset1:10
	s_waitcnt vmcnt(44)
	v_pk_mov_b32 v[164:165], v[118:119], v[136:137] op_sel:[1,0]
	ds_write2_b32 v155, v164, v165 offset0:11 offset1:12
	s_waitcnt vmcnt(42)
	v_pk_mov_b32 v[164:165], v[136:137], v[116:117] op_sel:[1,0]
	ds_write2_b32 v155, v164, v165 offset0:13 offset1:14
	s_waitcnt vmcnt(40)
	v_pk_mov_b32 v[164:165], v[116:117], v[134:135] op_sel:[1,0]
	ds_write2_b32 v155, v164, v165 offset0:15 offset1:16
	s_waitcnt vmcnt(38)
	v_pk_mov_b32 v[164:165], v[134:135], v[114:115] op_sel:[1,0]
	ds_write2_b32 v155, v164, v165 offset0:17 offset1:18
	s_waitcnt vmcnt(36)
	v_pk_mov_b32 v[164:165], v[114:115], v[132:133] op_sel:[1,0]
	ds_write2_b32 v155, v164, v165 offset0:19 offset1:20
	s_waitcnt vmcnt(34)
	v_pk_mov_b32 v[164:165], v[132:133], v[112:113] op_sel:[1,0]
	ds_write2_b32 v155, v164, v165 offset0:21 offset1:22
	s_waitcnt vmcnt(32)
	v_pk_mov_b32 v[164:165], v[112:113], v[130:131] op_sel:[1,0]
	ds_write2_b32 v155, v164, v165 offset0:23 offset1:24
	s_waitcnt vmcnt(30)
	v_pk_mov_b32 v[164:165], v[130:131], v[110:111] op_sel:[1,0]
	ds_write2_b32 v155, v164, v165 offset0:25 offset1:26
	s_waitcnt vmcnt(28)
	v_pk_mov_b32 v[164:165], v[110:111], v[128:129] op_sel:[1,0]
	ds_write2_b32 v155, v164, v165 offset0:27 offset1:28
	s_waitcnt vmcnt(26)
	v_pk_mov_b32 v[164:165], v[128:129], v[108:109] op_sel:[1,0]
	ds_write2_b32 v155, v164, v165 offset0:29 offset1:30
	s_waitcnt vmcnt(24)
	v_pk_mov_b32 v[164:165], v[108:109], v[126:127] op_sel:[1,0]
	ds_write2_b32 v155, v164, v165 offset0:31 offset1:32
	s_waitcnt vmcnt(22)
	v_pk_mov_b32 v[164:165], v[126:127], v[106:107] op_sel:[1,0]
	ds_write2_b32 v155, v164, v165 offset0:33 offset1:34
	s_waitcnt vmcnt(20)
	v_pk_mov_b32 v[164:165], v[106:107], v[124:125] op_sel:[1,0]
	ds_write2_b32 v155, v164, v165 offset0:35 offset1:36
	s_waitcnt vmcnt(18)
	v_pk_mov_b32 v[164:165], v[124:125], v[104:105] op_sel:[1,0]
	ds_write2_b32 v155, v164, v165 offset0:37 offset1:38
	s_waitcnt vmcnt(16)
	v_pk_mov_b32 v[164:165], v[104:105], v[122:123] op_sel:[1,0]
	ds_write2_b32 v155, v164, v165 offset0:39 offset1:40
	s_waitcnt vmcnt(14)
	v_pk_mov_b32 v[164:165], v[122:123], v[102:103] op_sel:[1,0]
	ds_write2_b32 v155, v164, v165 offset0:41 offset1:42
	s_waitcnt vmcnt(12)
	v_pk_mov_b32 v[164:165], v[102:103], v[120:121] op_sel:[1,0]
	ds_write2_b32 v155, v164, v165 offset0:43 offset1:44
	s_waitcnt vmcnt(10)
	v_pk_mov_b32 v[164:165], v[120:121], v[100:101] op_sel:[1,0]
	ds_write2_b32 v155, v164, v165 offset0:45 offset1:46
	s_waitcnt vmcnt(8)
	v_pk_mov_b32 v[164:165], v[100:101], v[140:141] op_sel:[1,0]
	ds_write2_b32 v155, v164, v165 offset0:47 offset1:48
	ds_write_b32 v155, v141 offset:196
	ds_read_b32 v163, v153
	s_waitcnt lgkmcnt(0)
	v_cmp_neq_f32_e32 vcc, 0, v163
	s_and_b64 exec, exec, vcc
	s_cbranch_execz .LBB99_46
; %bb.45:
	v_div_scale_f32 v164, s[4:5], v163, v163, 1.0
	v_rcp_f32_e32 v165, v164
	v_div_scale_f32 v166, vcc, 1.0, v163, 1.0
	v_fma_f32 v167, -v164, v165, 1.0
	v_fmac_f32_e32 v165, v167, v165
	v_mul_f32_e32 v167, v166, v165
	v_fma_f32 v168, -v164, v167, v166
	v_fmac_f32_e32 v167, v168, v165
	v_fma_f32 v164, -v164, v167, v166
	v_div_fmas_f32 v164, v164, v165, v167
	v_div_fixup_f32 v163, v164, v163, 1.0
	ds_write_b32 v153, v163
.LBB99_46:
	s_or_b64 exec, exec, s[2:3]
	s_waitcnt lgkmcnt(0)
	s_barrier
	ds_read_b32 v163, v153
	v_cmp_lt_u32_e32 vcc, 8, v151
	s_and_saveexec_b64 s[2:3], vcc
	s_cbranch_execz .LBB99_48
; %bb.47:
	ds_read_b32 v176, v155 offset:36
	ds_read2_b64 v[164:167], v155 offset0:5 offset1:6
	s_waitcnt vmcnt(49) lgkmcnt(2)
	v_mul_f32_e32 v138, v163, v138
	ds_read2_b64 v[168:171], v155 offset0:7 offset1:8
	ds_read2_b64 v[172:175], v155 offset0:9 offset1:10
	s_waitcnt vmcnt(48) lgkmcnt(3)
	v_fma_f32 v139, -v138, v176, v139
	s_waitcnt vmcnt(46) lgkmcnt(2)
	v_pk_fma_f32 v[118:119], v[138:139], v[164:165], v[118:119] op_sel_hi:[0,1,1] neg_lo:[1,0,0] neg_hi:[1,0,0]
	s_waitcnt vmcnt(44)
	v_pk_fma_f32 v[136:137], v[138:139], v[166:167], v[136:137] op_sel_hi:[0,1,1] neg_lo:[1,0,0] neg_hi:[1,0,0]
	ds_read2_b64 v[164:167], v155 offset0:11 offset1:12
	s_waitcnt vmcnt(42) lgkmcnt(2)
	v_pk_fma_f32 v[116:117], v[138:139], v[168:169], v[116:117] op_sel_hi:[0,1,1] neg_lo:[1,0,0] neg_hi:[1,0,0]
	s_waitcnt vmcnt(40)
	v_pk_fma_f32 v[134:135], v[138:139], v[170:171], v[134:135] op_sel_hi:[0,1,1] neg_lo:[1,0,0] neg_hi:[1,0,0]
	s_waitcnt vmcnt(38) lgkmcnt(1)
	v_pk_fma_f32 v[114:115], v[138:139], v[172:173], v[114:115] op_sel_hi:[0,1,1] neg_lo:[1,0,0] neg_hi:[1,0,0]
	ds_read2_b64 v[168:171], v155 offset0:13 offset1:14
	s_waitcnt vmcnt(36)
	v_pk_fma_f32 v[132:133], v[138:139], v[174:175], v[132:133] op_sel_hi:[0,1,1] neg_lo:[1,0,0] neg_hi:[1,0,0]
	s_waitcnt vmcnt(34) lgkmcnt(1)
	v_pk_fma_f32 v[112:113], v[138:139], v[164:165], v[112:113] op_sel_hi:[0,1,1] neg_lo:[1,0,0] neg_hi:[1,0,0]
	ds_read2_b64 v[172:175], v155 offset0:15 offset1:16
	s_waitcnt vmcnt(32)
	v_pk_fma_f32 v[130:131], v[138:139], v[166:167], v[130:131] op_sel_hi:[0,1,1] neg_lo:[1,0,0] neg_hi:[1,0,0]
	ds_read2_b64 v[164:167], v155 offset0:17 offset1:18
	s_waitcnt vmcnt(30) lgkmcnt(2)
	v_pk_fma_f32 v[110:111], v[138:139], v[168:169], v[110:111] op_sel_hi:[0,1,1] neg_lo:[1,0,0] neg_hi:[1,0,0]
	s_waitcnt vmcnt(28)
	v_pk_fma_f32 v[128:129], v[138:139], v[170:171], v[128:129] op_sel_hi:[0,1,1] neg_lo:[1,0,0] neg_hi:[1,0,0]
	s_waitcnt vmcnt(26) lgkmcnt(1)
	v_pk_fma_f32 v[108:109], v[138:139], v[172:173], v[108:109] op_sel_hi:[0,1,1] neg_lo:[1,0,0] neg_hi:[1,0,0]
	s_waitcnt vmcnt(24)
	v_pk_fma_f32 v[126:127], v[138:139], v[174:175], v[126:127] op_sel_hi:[0,1,1] neg_lo:[1,0,0] neg_hi:[1,0,0]
	ds_read2_b64 v[168:171], v155 offset0:19 offset1:20
	ds_read2_b64 v[172:175], v155 offset0:21 offset1:22
	s_waitcnt vmcnt(22) lgkmcnt(2)
	v_pk_fma_f32 v[106:107], v[138:139], v[164:165], v[106:107] op_sel_hi:[0,1,1] neg_lo:[1,0,0] neg_hi:[1,0,0]
	s_waitcnt vmcnt(20)
	v_pk_fma_f32 v[124:125], v[138:139], v[166:167], v[124:125] op_sel_hi:[0,1,1] neg_lo:[1,0,0] neg_hi:[1,0,0]
	ds_read2_b64 v[164:167], v155 offset0:23 offset1:24
	s_waitcnt vmcnt(18) lgkmcnt(2)
	v_pk_fma_f32 v[104:105], v[138:139], v[168:169], v[104:105] op_sel_hi:[0,1,1] neg_lo:[1,0,0] neg_hi:[1,0,0]
	s_waitcnt vmcnt(16)
	v_pk_fma_f32 v[122:123], v[138:139], v[170:171], v[122:123] op_sel_hi:[0,1,1] neg_lo:[1,0,0] neg_hi:[1,0,0]
	s_waitcnt vmcnt(14) lgkmcnt(1)
	v_pk_fma_f32 v[102:103], v[138:139], v[172:173], v[102:103] op_sel_hi:[0,1,1] neg_lo:[1,0,0] neg_hi:[1,0,0]
	s_waitcnt vmcnt(12)
	v_pk_fma_f32 v[120:121], v[138:139], v[174:175], v[120:121] op_sel_hi:[0,1,1] neg_lo:[1,0,0] neg_hi:[1,0,0]
	;; [unrolled: 4-line block ×3, first 2 shown]
.LBB99_48:
	s_or_b64 exec, exec, s[2:3]
	v_cmp_ne_u32_e32 vcc, 9, v151
	s_waitcnt lgkmcnt(0)
	s_barrier
	s_and_saveexec_b64 s[2:3], vcc
	s_xor_b64 s[2:3], exec, s[2:3]
	s_andn2_saveexec_b64 s[2:3], s[2:3]
	s_cbranch_execz .LBB99_52
; %bb.49:
	s_waitcnt vmcnt(48)
	ds_write_b32 v153, v139
	s_waitcnt vmcnt(44)
	ds_write2_b64 v155, v[118:119], v[136:137] offset0:5 offset1:6
	s_waitcnt vmcnt(40)
	ds_write2_b64 v155, v[116:117], v[134:135] offset0:7 offset1:8
	;; [unrolled: 2-line block ×10, first 2 shown]
	ds_read_b32 v164, v153
	s_waitcnt lgkmcnt(0)
	v_cmp_neq_f32_e32 vcc, 0, v164
	s_and_saveexec_b64 s[4:5], vcc
	s_cbranch_execz .LBB99_51
; %bb.50:
	v_div_scale_f32 v165, s[10:11], v164, v164, 1.0
	v_rcp_f32_e32 v166, v165
	v_div_scale_f32 v167, vcc, 1.0, v164, 1.0
	v_fma_f32 v168, -v165, v166, 1.0
	v_fmac_f32_e32 v166, v168, v166
	v_mul_f32_e32 v168, v167, v166
	v_fma_f32 v169, -v165, v168, v167
	v_fmac_f32_e32 v168, v169, v166
	v_fma_f32 v165, -v165, v168, v167
	v_div_fmas_f32 v165, v165, v166, v168
	v_div_fixup_f32 v164, v165, v164, 1.0
	ds_write_b32 v153, v164
.LBB99_51:
	s_or_b64 exec, exec, s[4:5]
.LBB99_52:
	s_or_b64 exec, exec, s[2:3]
	s_waitcnt lgkmcnt(0)
	s_barrier
	ds_read_b32 v164, v153
	v_cmp_lt_u32_e32 vcc, 9, v151
	s_and_saveexec_b64 s[2:3], vcc
	s_cbranch_execz .LBB99_54
; %bb.53:
	ds_read2_b64 v[166:169], v155 offset0:5 offset1:6
	ds_read2_b64 v[170:173], v155 offset0:7 offset1:8
	s_waitcnt vmcnt(48) lgkmcnt(2)
	v_mul_f32_e32 v178, v164, v139
	ds_read2_b64 v[174:177], v155 offset0:9 offset1:10
	v_mov_b32_e32 v139, v178
	s_waitcnt vmcnt(46) lgkmcnt(2)
	v_pk_fma_f32 v[118:119], v[178:179], v[166:167], v[118:119] op_sel_hi:[0,1,1] neg_lo:[1,0,0] neg_hi:[1,0,0]
	s_waitcnt vmcnt(44)
	v_pk_fma_f32 v[136:137], v[178:179], v[168:169], v[136:137] op_sel_hi:[0,1,1] neg_lo:[1,0,0] neg_hi:[1,0,0]
	ds_read2_b64 v[166:169], v155 offset0:11 offset1:12
	s_waitcnt vmcnt(42) lgkmcnt(2)
	v_pk_fma_f32 v[116:117], v[178:179], v[170:171], v[116:117] op_sel_hi:[0,1,1] neg_lo:[1,0,0] neg_hi:[1,0,0]
	s_waitcnt vmcnt(40)
	v_pk_fma_f32 v[134:135], v[178:179], v[172:173], v[134:135] op_sel_hi:[0,1,1] neg_lo:[1,0,0] neg_hi:[1,0,0]
	s_waitcnt vmcnt(38) lgkmcnt(1)
	v_pk_fma_f32 v[114:115], v[178:179], v[174:175], v[114:115] op_sel_hi:[0,1,1] neg_lo:[1,0,0] neg_hi:[1,0,0]
	ds_read2_b64 v[170:173], v155 offset0:13 offset1:14
	s_waitcnt vmcnt(36)
	v_pk_fma_f32 v[132:133], v[178:179], v[176:177], v[132:133] op_sel_hi:[0,1,1] neg_lo:[1,0,0] neg_hi:[1,0,0]
	s_waitcnt vmcnt(34) lgkmcnt(1)
	v_pk_fma_f32 v[112:113], v[178:179], v[166:167], v[112:113] op_sel_hi:[0,1,1] neg_lo:[1,0,0] neg_hi:[1,0,0]
	ds_read2_b64 v[174:177], v155 offset0:15 offset1:16
	s_waitcnt vmcnt(32)
	v_pk_fma_f32 v[130:131], v[178:179], v[168:169], v[130:131] op_sel_hi:[0,1,1] neg_lo:[1,0,0] neg_hi:[1,0,0]
	ds_read2_b64 v[166:169], v155 offset0:17 offset1:18
	s_waitcnt vmcnt(30) lgkmcnt(2)
	v_pk_fma_f32 v[110:111], v[178:179], v[170:171], v[110:111] op_sel_hi:[0,1,1] neg_lo:[1,0,0] neg_hi:[1,0,0]
	s_waitcnt vmcnt(28)
	v_pk_fma_f32 v[128:129], v[178:179], v[172:173], v[128:129] op_sel_hi:[0,1,1] neg_lo:[1,0,0] neg_hi:[1,0,0]
	s_waitcnt vmcnt(26) lgkmcnt(1)
	v_pk_fma_f32 v[108:109], v[178:179], v[174:175], v[108:109] op_sel_hi:[0,1,1] neg_lo:[1,0,0] neg_hi:[1,0,0]
	s_waitcnt vmcnt(24)
	v_pk_fma_f32 v[126:127], v[178:179], v[176:177], v[126:127] op_sel_hi:[0,1,1] neg_lo:[1,0,0] neg_hi:[1,0,0]
	ds_read2_b64 v[170:173], v155 offset0:19 offset1:20
	s_waitcnt vmcnt(22) lgkmcnt(1)
	v_pk_fma_f32 v[106:107], v[178:179], v[166:167], v[106:107] op_sel_hi:[0,1,1] neg_lo:[1,0,0] neg_hi:[1,0,0]
	ds_read2_b64 v[174:177], v155 offset0:21 offset1:22
	s_waitcnt vmcnt(20)
	v_pk_fma_f32 v[124:125], v[178:179], v[168:169], v[124:125] op_sel_hi:[0,1,1] neg_lo:[1,0,0] neg_hi:[1,0,0]
	ds_read2_b64 v[166:169], v155 offset0:23 offset1:24
	s_waitcnt vmcnt(18) lgkmcnt(2)
	v_pk_fma_f32 v[104:105], v[178:179], v[170:171], v[104:105] op_sel_hi:[0,1,1] neg_lo:[1,0,0] neg_hi:[1,0,0]
	s_waitcnt vmcnt(16)
	v_pk_fma_f32 v[122:123], v[178:179], v[172:173], v[122:123] op_sel_hi:[0,1,1] neg_lo:[1,0,0] neg_hi:[1,0,0]
	s_waitcnt vmcnt(14) lgkmcnt(1)
	v_pk_fma_f32 v[102:103], v[178:179], v[174:175], v[102:103] op_sel_hi:[0,1,1] neg_lo:[1,0,0] neg_hi:[1,0,0]
	s_waitcnt vmcnt(12)
	v_pk_fma_f32 v[120:121], v[178:179], v[176:177], v[120:121] op_sel_hi:[0,1,1] neg_lo:[1,0,0] neg_hi:[1,0,0]
	;; [unrolled: 4-line block ×3, first 2 shown]
.LBB99_54:
	s_or_b64 exec, exec, s[2:3]
	v_cmp_eq_u32_e32 vcc, 10, v151
	s_waitcnt lgkmcnt(0)
	s_barrier
	s_and_saveexec_b64 s[2:3], vcc
	s_cbranch_execz .LBB99_57
; %bb.55:
	s_waitcnt vmcnt(44)
	v_pk_mov_b32 v[166:167], v[118:119], v[136:137] op_sel:[1,0]
	ds_write_b32 v153, v118
	ds_write2_b32 v155, v166, v167 offset0:11 offset1:12
	s_waitcnt vmcnt(42)
	v_pk_mov_b32 v[166:167], v[136:137], v[116:117] op_sel:[1,0]
	ds_write2_b32 v155, v166, v167 offset0:13 offset1:14
	s_waitcnt vmcnt(40)
	v_pk_mov_b32 v[166:167], v[116:117], v[134:135] op_sel:[1,0]
	;; [unrolled: 3-line block ×18, first 2 shown]
	ds_write2_b32 v155, v166, v167 offset0:47 offset1:48
	ds_write_b32 v155, v141 offset:196
	ds_read_b32 v165, v153
	s_waitcnt lgkmcnt(0)
	v_cmp_neq_f32_e32 vcc, 0, v165
	s_and_b64 exec, exec, vcc
	s_cbranch_execz .LBB99_57
; %bb.56:
	v_div_scale_f32 v166, s[4:5], v165, v165, 1.0
	v_rcp_f32_e32 v167, v166
	v_div_scale_f32 v168, vcc, 1.0, v165, 1.0
	v_fma_f32 v169, -v166, v167, 1.0
	v_fmac_f32_e32 v167, v169, v167
	v_mul_f32_e32 v169, v168, v167
	v_fma_f32 v170, -v166, v169, v168
	v_fmac_f32_e32 v169, v170, v167
	v_fma_f32 v166, -v166, v169, v168
	v_div_fmas_f32 v166, v166, v167, v169
	v_div_fixup_f32 v165, v166, v165, 1.0
	ds_write_b32 v153, v165
.LBB99_57:
	s_or_b64 exec, exec, s[2:3]
	s_waitcnt lgkmcnt(0)
	s_barrier
	ds_read_b32 v165, v153
	v_cmp_lt_u32_e32 vcc, 10, v151
	s_and_saveexec_b64 s[2:3], vcc
	s_cbranch_execz .LBB99_59
; %bb.58:
	ds_read_b32 v178, v155 offset:44
	ds_read2_b64 v[166:169], v155 offset0:6 offset1:7
	s_waitcnt vmcnt(47) lgkmcnt(2)
	v_mul_f32_e32 v118, v165, v118
	ds_read2_b64 v[170:173], v155 offset0:8 offset1:9
	ds_read2_b64 v[174:177], v155 offset0:10 offset1:11
	s_waitcnt vmcnt(46) lgkmcnt(3)
	v_fma_f32 v119, -v118, v178, v119
	s_waitcnt vmcnt(44) lgkmcnt(2)
	v_pk_fma_f32 v[136:137], v[118:119], v[166:167], v[136:137] op_sel_hi:[0,1,1] neg_lo:[1,0,0] neg_hi:[1,0,0]
	s_waitcnt vmcnt(42)
	v_pk_fma_f32 v[116:117], v[118:119], v[168:169], v[116:117] op_sel_hi:[0,1,1] neg_lo:[1,0,0] neg_hi:[1,0,0]
	ds_read2_b64 v[166:169], v155 offset0:12 offset1:13
	s_waitcnt vmcnt(40) lgkmcnt(2)
	v_pk_fma_f32 v[134:135], v[118:119], v[170:171], v[134:135] op_sel_hi:[0,1,1] neg_lo:[1,0,0] neg_hi:[1,0,0]
	s_waitcnt vmcnt(38)
	v_pk_fma_f32 v[114:115], v[118:119], v[172:173], v[114:115] op_sel_hi:[0,1,1] neg_lo:[1,0,0] neg_hi:[1,0,0]
	s_waitcnt vmcnt(36) lgkmcnt(1)
	v_pk_fma_f32 v[132:133], v[118:119], v[174:175], v[132:133] op_sel_hi:[0,1,1] neg_lo:[1,0,0] neg_hi:[1,0,0]
	ds_read2_b64 v[170:173], v155 offset0:14 offset1:15
	s_waitcnt vmcnt(34)
	v_pk_fma_f32 v[112:113], v[118:119], v[176:177], v[112:113] op_sel_hi:[0,1,1] neg_lo:[1,0,0] neg_hi:[1,0,0]
	s_waitcnt vmcnt(32) lgkmcnt(1)
	v_pk_fma_f32 v[130:131], v[118:119], v[166:167], v[130:131] op_sel_hi:[0,1,1] neg_lo:[1,0,0] neg_hi:[1,0,0]
	ds_read2_b64 v[174:177], v155 offset0:16 offset1:17
	s_waitcnt vmcnt(30)
	v_pk_fma_f32 v[110:111], v[118:119], v[168:169], v[110:111] op_sel_hi:[0,1,1] neg_lo:[1,0,0] neg_hi:[1,0,0]
	ds_read2_b64 v[166:169], v155 offset0:18 offset1:19
	s_waitcnt vmcnt(28) lgkmcnt(2)
	v_pk_fma_f32 v[128:129], v[118:119], v[170:171], v[128:129] op_sel_hi:[0,1,1] neg_lo:[1,0,0] neg_hi:[1,0,0]
	s_waitcnt vmcnt(26)
	v_pk_fma_f32 v[108:109], v[118:119], v[172:173], v[108:109] op_sel_hi:[0,1,1] neg_lo:[1,0,0] neg_hi:[1,0,0]
	s_waitcnt vmcnt(24) lgkmcnt(1)
	v_pk_fma_f32 v[126:127], v[118:119], v[174:175], v[126:127] op_sel_hi:[0,1,1] neg_lo:[1,0,0] neg_hi:[1,0,0]
	s_waitcnt vmcnt(22)
	v_pk_fma_f32 v[106:107], v[118:119], v[176:177], v[106:107] op_sel_hi:[0,1,1] neg_lo:[1,0,0] neg_hi:[1,0,0]
	ds_read2_b64 v[170:173], v155 offset0:20 offset1:21
	ds_read2_b64 v[174:177], v155 offset0:22 offset1:23
	s_waitcnt vmcnt(20) lgkmcnt(2)
	v_pk_fma_f32 v[124:125], v[118:119], v[166:167], v[124:125] op_sel_hi:[0,1,1] neg_lo:[1,0,0] neg_hi:[1,0,0]
	ds_read_b64 v[166:167], v155 offset:192
	s_waitcnt vmcnt(18)
	v_pk_fma_f32 v[104:105], v[118:119], v[168:169], v[104:105] op_sel_hi:[0,1,1] neg_lo:[1,0,0] neg_hi:[1,0,0]
	s_waitcnt vmcnt(16) lgkmcnt(2)
	v_pk_fma_f32 v[122:123], v[118:119], v[170:171], v[122:123] op_sel_hi:[0,1,1] neg_lo:[1,0,0] neg_hi:[1,0,0]
	s_waitcnt vmcnt(14)
	v_pk_fma_f32 v[102:103], v[118:119], v[172:173], v[102:103] op_sel_hi:[0,1,1] neg_lo:[1,0,0] neg_hi:[1,0,0]
	s_waitcnt vmcnt(12) lgkmcnt(1)
	v_pk_fma_f32 v[120:121], v[118:119], v[174:175], v[120:121] op_sel_hi:[0,1,1] neg_lo:[1,0,0] neg_hi:[1,0,0]
	;; [unrolled: 4-line block ×3, first 2 shown]
.LBB99_59:
	s_or_b64 exec, exec, s[2:3]
	v_cmp_ne_u32_e32 vcc, 11, v151
	s_waitcnt lgkmcnt(0)
	s_barrier
	s_and_saveexec_b64 s[2:3], vcc
	s_xor_b64 s[2:3], exec, s[2:3]
	s_andn2_saveexec_b64 s[2:3], s[2:3]
	s_cbranch_execz .LBB99_63
; %bb.60:
	s_waitcnt vmcnt(45)
	v_mov_b32_e32 v166, v136
	s_waitcnt vmcnt(44)
	v_mov_b32_e32 v167, v137
	;; [unrolled: 2-line block ×4, first 2 shown]
	ds_write_b32 v153, v119
	ds_write2_b64 v155, v[166:167], v[168:169] offset0:6 offset1:7
	s_waitcnt vmcnt(41)
	v_mov_b32_e32 v166, v134
	s_waitcnt vmcnt(40)
	v_mov_b32_e32 v167, v135
	s_waitcnt vmcnt(39)
	v_mov_b32_e32 v168, v114
	s_waitcnt vmcnt(38)
	v_mov_b32_e32 v169, v115
	ds_write2_b64 v155, v[166:167], v[168:169] offset0:8 offset1:9
	s_waitcnt vmcnt(37)
	v_mov_b32_e32 v166, v132
	s_waitcnt vmcnt(36)
	v_mov_b32_e32 v167, v133
	s_waitcnt vmcnt(35)
	v_mov_b32_e32 v168, v112
	s_waitcnt vmcnt(34)
	v_mov_b32_e32 v169, v113
	ds_write2_b64 v155, v[166:167], v[168:169] offset0:10 offset1:11
	s_waitcnt vmcnt(33)
	v_mov_b32_e32 v166, v130
	s_waitcnt vmcnt(32)
	v_mov_b32_e32 v167, v131
	s_waitcnt vmcnt(31)
	v_mov_b32_e32 v168, v110
	s_waitcnt vmcnt(30)
	v_mov_b32_e32 v169, v111
	ds_write2_b64 v155, v[166:167], v[168:169] offset0:12 offset1:13
	s_waitcnt vmcnt(29)
	v_mov_b32_e32 v166, v128
	s_waitcnt vmcnt(28)
	v_mov_b32_e32 v167, v129
	s_waitcnt vmcnt(27)
	v_mov_b32_e32 v168, v108
	s_waitcnt vmcnt(26)
	v_mov_b32_e32 v169, v109
	ds_write2_b64 v155, v[166:167], v[168:169] offset0:14 offset1:15
	s_waitcnt vmcnt(25)
	v_mov_b32_e32 v166, v126
	s_waitcnt vmcnt(24)
	v_mov_b32_e32 v167, v127
	s_waitcnt vmcnt(23)
	v_mov_b32_e32 v168, v106
	s_waitcnt vmcnt(22)
	v_mov_b32_e32 v169, v107
	ds_write2_b64 v155, v[166:167], v[168:169] offset0:16 offset1:17
	s_waitcnt vmcnt(21)
	v_mov_b32_e32 v166, v124
	s_waitcnt vmcnt(20)
	v_mov_b32_e32 v167, v125
	s_waitcnt vmcnt(19)
	v_mov_b32_e32 v168, v104
	s_waitcnt vmcnt(18)
	v_mov_b32_e32 v169, v105
	ds_write2_b64 v155, v[166:167], v[168:169] offset0:18 offset1:19
	s_waitcnt vmcnt(17)
	v_mov_b32_e32 v166, v122
	s_waitcnt vmcnt(16)
	v_mov_b32_e32 v167, v123
	s_waitcnt vmcnt(15)
	v_mov_b32_e32 v168, v102
	s_waitcnt vmcnt(14)
	v_mov_b32_e32 v169, v103
	ds_write2_b64 v155, v[166:167], v[168:169] offset0:20 offset1:21
	s_waitcnt vmcnt(13)
	v_mov_b32_e32 v166, v120
	s_waitcnt vmcnt(12)
	v_mov_b32_e32 v167, v121
	s_waitcnt vmcnt(11)
	v_mov_b32_e32 v168, v100
	s_waitcnt vmcnt(10)
	v_mov_b32_e32 v169, v101
	ds_write2_b64 v155, v[166:167], v[168:169] offset0:22 offset1:23
	s_waitcnt vmcnt(8)
	ds_write_b64 v155, v[140:141] offset:192
	ds_read_b32 v166, v153
	s_waitcnt lgkmcnt(0)
	v_cmp_neq_f32_e32 vcc, 0, v166
	s_and_saveexec_b64 s[4:5], vcc
	s_cbranch_execz .LBB99_62
; %bb.61:
	v_div_scale_f32 v167, s[10:11], v166, v166, 1.0
	v_rcp_f32_e32 v168, v167
	v_div_scale_f32 v169, vcc, 1.0, v166, 1.0
	v_fma_f32 v170, -v167, v168, 1.0
	v_fmac_f32_e32 v168, v170, v168
	v_mul_f32_e32 v170, v169, v168
	v_fma_f32 v171, -v167, v170, v169
	v_fmac_f32_e32 v170, v171, v168
	v_fma_f32 v167, -v167, v170, v169
	v_div_fmas_f32 v167, v167, v168, v170
	v_div_fixup_f32 v166, v167, v166, 1.0
	ds_write_b32 v153, v166
.LBB99_62:
	s_or_b64 exec, exec, s[4:5]
.LBB99_63:
	s_or_b64 exec, exec, s[2:3]
	s_waitcnt lgkmcnt(0)
	s_barrier
	ds_read_b32 v166, v153
	v_cmp_lt_u32_e32 vcc, 11, v151
	s_and_saveexec_b64 s[2:3], vcc
	s_cbranch_execz .LBB99_65
; %bb.64:
	ds_read2_b64 v[168:171], v155 offset0:6 offset1:7
	ds_read2_b64 v[172:175], v155 offset0:8 offset1:9
	s_waitcnt vmcnt(46) lgkmcnt(2)
	v_mul_f32_e32 v180, v166, v119
	ds_read2_b64 v[176:179], v155 offset0:10 offset1:11
	v_mov_b32_e32 v119, v180
	s_waitcnt vmcnt(44) lgkmcnt(2)
	v_pk_fma_f32 v[136:137], v[180:181], v[168:169], v[136:137] op_sel_hi:[0,1,1] neg_lo:[1,0,0] neg_hi:[1,0,0]
	s_waitcnt vmcnt(42)
	v_pk_fma_f32 v[116:117], v[180:181], v[170:171], v[116:117] op_sel_hi:[0,1,1] neg_lo:[1,0,0] neg_hi:[1,0,0]
	ds_read2_b64 v[168:171], v155 offset0:12 offset1:13
	s_waitcnt vmcnt(40) lgkmcnt(2)
	v_pk_fma_f32 v[134:135], v[180:181], v[172:173], v[134:135] op_sel_hi:[0,1,1] neg_lo:[1,0,0] neg_hi:[1,0,0]
	s_waitcnt vmcnt(38)
	v_pk_fma_f32 v[114:115], v[180:181], v[174:175], v[114:115] op_sel_hi:[0,1,1] neg_lo:[1,0,0] neg_hi:[1,0,0]
	s_waitcnt vmcnt(36) lgkmcnt(1)
	v_pk_fma_f32 v[132:133], v[180:181], v[176:177], v[132:133] op_sel_hi:[0,1,1] neg_lo:[1,0,0] neg_hi:[1,0,0]
	ds_read2_b64 v[172:175], v155 offset0:14 offset1:15
	s_waitcnt vmcnt(34)
	v_pk_fma_f32 v[112:113], v[180:181], v[178:179], v[112:113] op_sel_hi:[0,1,1] neg_lo:[1,0,0] neg_hi:[1,0,0]
	s_waitcnt vmcnt(32) lgkmcnt(1)
	v_pk_fma_f32 v[130:131], v[180:181], v[168:169], v[130:131] op_sel_hi:[0,1,1] neg_lo:[1,0,0] neg_hi:[1,0,0]
	ds_read2_b64 v[176:179], v155 offset0:16 offset1:17
	s_waitcnt vmcnt(30)
	v_pk_fma_f32 v[110:111], v[180:181], v[170:171], v[110:111] op_sel_hi:[0,1,1] neg_lo:[1,0,0] neg_hi:[1,0,0]
	ds_read2_b64 v[168:171], v155 offset0:18 offset1:19
	s_waitcnt vmcnt(28) lgkmcnt(2)
	v_pk_fma_f32 v[128:129], v[180:181], v[172:173], v[128:129] op_sel_hi:[0,1,1] neg_lo:[1,0,0] neg_hi:[1,0,0]
	s_waitcnt vmcnt(26)
	v_pk_fma_f32 v[108:109], v[180:181], v[174:175], v[108:109] op_sel_hi:[0,1,1] neg_lo:[1,0,0] neg_hi:[1,0,0]
	s_waitcnt vmcnt(24) lgkmcnt(1)
	v_pk_fma_f32 v[126:127], v[180:181], v[176:177], v[126:127] op_sel_hi:[0,1,1] neg_lo:[1,0,0] neg_hi:[1,0,0]
	s_waitcnt vmcnt(22)
	v_pk_fma_f32 v[106:107], v[180:181], v[178:179], v[106:107] op_sel_hi:[0,1,1] neg_lo:[1,0,0] neg_hi:[1,0,0]
	ds_read2_b64 v[172:175], v155 offset0:20 offset1:21
	s_waitcnt vmcnt(20) lgkmcnt(1)
	v_pk_fma_f32 v[124:125], v[180:181], v[168:169], v[124:125] op_sel_hi:[0,1,1] neg_lo:[1,0,0] neg_hi:[1,0,0]
	ds_read2_b64 v[176:179], v155 offset0:22 offset1:23
	ds_read_b64 v[168:169], v155 offset:192
	s_waitcnt vmcnt(18)
	v_pk_fma_f32 v[104:105], v[180:181], v[170:171], v[104:105] op_sel_hi:[0,1,1] neg_lo:[1,0,0] neg_hi:[1,0,0]
	s_waitcnt vmcnt(16) lgkmcnt(2)
	v_pk_fma_f32 v[122:123], v[180:181], v[172:173], v[122:123] op_sel_hi:[0,1,1] neg_lo:[1,0,0] neg_hi:[1,0,0]
	s_waitcnt vmcnt(14)
	v_pk_fma_f32 v[102:103], v[180:181], v[174:175], v[102:103] op_sel_hi:[0,1,1] neg_lo:[1,0,0] neg_hi:[1,0,0]
	s_waitcnt vmcnt(12) lgkmcnt(1)
	v_pk_fma_f32 v[120:121], v[180:181], v[176:177], v[120:121] op_sel_hi:[0,1,1] neg_lo:[1,0,0] neg_hi:[1,0,0]
	;; [unrolled: 4-line block ×3, first 2 shown]
.LBB99_65:
	s_or_b64 exec, exec, s[2:3]
	v_cmp_eq_u32_e32 vcc, 12, v151
	s_waitcnt lgkmcnt(0)
	s_barrier
	s_and_saveexec_b64 s[2:3], vcc
	s_cbranch_execz .LBB99_68
; %bb.66:
	s_waitcnt vmcnt(42)
	v_pk_mov_b32 v[168:169], v[136:137], v[116:117] op_sel:[1,0]
	ds_write_b32 v153, v136
	ds_write2_b32 v155, v168, v169 offset0:13 offset1:14
	s_waitcnt vmcnt(40)
	v_pk_mov_b32 v[168:169], v[116:117], v[134:135] op_sel:[1,0]
	ds_write2_b32 v155, v168, v169 offset0:15 offset1:16
	s_waitcnt vmcnt(38)
	v_pk_mov_b32 v[168:169], v[134:135], v[114:115] op_sel:[1,0]
	;; [unrolled: 3-line block ×17, first 2 shown]
	ds_write2_b32 v155, v168, v169 offset0:47 offset1:48
	ds_write_b32 v155, v141 offset:196
	ds_read_b32 v167, v153
	s_waitcnt lgkmcnt(0)
	v_cmp_neq_f32_e32 vcc, 0, v167
	s_and_b64 exec, exec, vcc
	s_cbranch_execz .LBB99_68
; %bb.67:
	v_div_scale_f32 v168, s[4:5], v167, v167, 1.0
	v_rcp_f32_e32 v169, v168
	v_div_scale_f32 v170, vcc, 1.0, v167, 1.0
	v_fma_f32 v171, -v168, v169, 1.0
	v_fmac_f32_e32 v169, v171, v169
	v_mul_f32_e32 v171, v170, v169
	v_fma_f32 v172, -v168, v171, v170
	v_fmac_f32_e32 v171, v172, v169
	v_fma_f32 v168, -v168, v171, v170
	v_div_fmas_f32 v168, v168, v169, v171
	v_div_fixup_f32 v167, v168, v167, 1.0
	ds_write_b32 v153, v167
.LBB99_68:
	s_or_b64 exec, exec, s[2:3]
	s_waitcnt lgkmcnt(0)
	s_barrier
	ds_read_b32 v167, v153
	v_cmp_lt_u32_e32 vcc, 12, v151
	s_and_saveexec_b64 s[2:3], vcc
	s_cbranch_execz .LBB99_70
; %bb.69:
	ds_read_b32 v180, v155 offset:52
	ds_read2_b64 v[168:171], v155 offset0:7 offset1:8
	ds_read2_b64 v[172:175], v155 offset0:9 offset1:10
	;; [unrolled: 1-line block ×3, first 2 shown]
	s_waitcnt vmcnt(45) lgkmcnt(4)
	v_mul_f32_e32 v136, v167, v136
	s_waitcnt vmcnt(44) lgkmcnt(3)
	v_fma_f32 v137, -v136, v180, v137
	s_waitcnt vmcnt(42) lgkmcnt(2)
	v_pk_fma_f32 v[116:117], v[136:137], v[168:169], v[116:117] op_sel_hi:[0,1,1] neg_lo:[1,0,0] neg_hi:[1,0,0]
	s_waitcnt vmcnt(40)
	v_pk_fma_f32 v[134:135], v[136:137], v[170:171], v[134:135] op_sel_hi:[0,1,1] neg_lo:[1,0,0] neg_hi:[1,0,0]
	s_waitcnt vmcnt(38) lgkmcnt(1)
	v_pk_fma_f32 v[114:115], v[136:137], v[172:173], v[114:115] op_sel_hi:[0,1,1] neg_lo:[1,0,0] neg_hi:[1,0,0]
	ds_read2_b64 v[168:171], v155 offset0:13 offset1:14
	s_waitcnt vmcnt(36)
	v_pk_fma_f32 v[132:133], v[136:137], v[174:175], v[132:133] op_sel_hi:[0,1,1] neg_lo:[1,0,0] neg_hi:[1,0,0]
	s_waitcnt vmcnt(34) lgkmcnt(1)
	v_pk_fma_f32 v[112:113], v[136:137], v[176:177], v[112:113] op_sel_hi:[0,1,1] neg_lo:[1,0,0] neg_hi:[1,0,0]
	ds_read2_b64 v[172:175], v155 offset0:15 offset1:16
	s_waitcnt vmcnt(32)
	v_pk_fma_f32 v[130:131], v[136:137], v[178:179], v[130:131] op_sel_hi:[0,1,1] neg_lo:[1,0,0] neg_hi:[1,0,0]
	ds_read2_b64 v[176:179], v155 offset0:17 offset1:18
	s_waitcnt vmcnt(30) lgkmcnt(2)
	v_pk_fma_f32 v[110:111], v[136:137], v[168:169], v[110:111] op_sel_hi:[0,1,1] neg_lo:[1,0,0] neg_hi:[1,0,0]
	s_waitcnt vmcnt(28)
	v_pk_fma_f32 v[128:129], v[136:137], v[170:171], v[128:129] op_sel_hi:[0,1,1] neg_lo:[1,0,0] neg_hi:[1,0,0]
	s_waitcnt vmcnt(26) lgkmcnt(1)
	v_pk_fma_f32 v[108:109], v[136:137], v[172:173], v[108:109] op_sel_hi:[0,1,1] neg_lo:[1,0,0] neg_hi:[1,0,0]
	s_waitcnt vmcnt(24)
	v_pk_fma_f32 v[126:127], v[136:137], v[174:175], v[126:127] op_sel_hi:[0,1,1] neg_lo:[1,0,0] neg_hi:[1,0,0]
	ds_read2_b64 v[168:171], v155 offset0:19 offset1:20
	s_waitcnt vmcnt(22) lgkmcnt(1)
	v_pk_fma_f32 v[106:107], v[136:137], v[176:177], v[106:107] op_sel_hi:[0,1,1] neg_lo:[1,0,0] neg_hi:[1,0,0]
	ds_read2_b64 v[172:175], v155 offset0:21 offset1:22
	s_waitcnt vmcnt(20)
	v_pk_fma_f32 v[124:125], v[136:137], v[178:179], v[124:125] op_sel_hi:[0,1,1] neg_lo:[1,0,0] neg_hi:[1,0,0]
	ds_read2_b64 v[176:179], v155 offset0:23 offset1:24
	s_waitcnt vmcnt(18) lgkmcnt(2)
	v_pk_fma_f32 v[104:105], v[136:137], v[168:169], v[104:105] op_sel_hi:[0,1,1] neg_lo:[1,0,0] neg_hi:[1,0,0]
	s_waitcnt vmcnt(16)
	v_pk_fma_f32 v[122:123], v[136:137], v[170:171], v[122:123] op_sel_hi:[0,1,1] neg_lo:[1,0,0] neg_hi:[1,0,0]
	s_waitcnt vmcnt(14) lgkmcnt(1)
	v_pk_fma_f32 v[102:103], v[136:137], v[172:173], v[102:103] op_sel_hi:[0,1,1] neg_lo:[1,0,0] neg_hi:[1,0,0]
	s_waitcnt vmcnt(12)
	v_pk_fma_f32 v[120:121], v[136:137], v[174:175], v[120:121] op_sel_hi:[0,1,1] neg_lo:[1,0,0] neg_hi:[1,0,0]
	;; [unrolled: 4-line block ×3, first 2 shown]
.LBB99_70:
	s_or_b64 exec, exec, s[2:3]
	v_cmp_ne_u32_e32 vcc, 13, v151
	s_waitcnt lgkmcnt(0)
	s_barrier
	s_and_saveexec_b64 s[2:3], vcc
	s_xor_b64 s[2:3], exec, s[2:3]
	s_andn2_saveexec_b64 s[2:3], s[2:3]
	s_cbranch_execz .LBB99_74
; %bb.71:
	s_waitcnt vmcnt(44)
	ds_write_b32 v153, v137
	s_waitcnt vmcnt(40)
	ds_write2_b64 v155, v[116:117], v[134:135] offset0:7 offset1:8
	s_waitcnt vmcnt(36)
	ds_write2_b64 v155, v[114:115], v[132:133] offset0:9 offset1:10
	;; [unrolled: 2-line block ×9, first 2 shown]
	ds_read_b32 v168, v153
	s_waitcnt lgkmcnt(0)
	v_cmp_neq_f32_e32 vcc, 0, v168
	s_and_saveexec_b64 s[4:5], vcc
	s_cbranch_execz .LBB99_73
; %bb.72:
	v_div_scale_f32 v169, s[10:11], v168, v168, 1.0
	v_rcp_f32_e32 v170, v169
	v_div_scale_f32 v171, vcc, 1.0, v168, 1.0
	v_fma_f32 v172, -v169, v170, 1.0
	v_fmac_f32_e32 v170, v172, v170
	v_mul_f32_e32 v172, v171, v170
	v_fma_f32 v173, -v169, v172, v171
	v_fmac_f32_e32 v172, v173, v170
	v_fma_f32 v169, -v169, v172, v171
	v_div_fmas_f32 v169, v169, v170, v172
	v_div_fixup_f32 v168, v169, v168, 1.0
	ds_write_b32 v153, v168
.LBB99_73:
	s_or_b64 exec, exec, s[4:5]
.LBB99_74:
	s_or_b64 exec, exec, s[2:3]
	s_waitcnt lgkmcnt(0)
	s_barrier
	ds_read_b32 v168, v153
	v_cmp_lt_u32_e32 vcc, 13, v151
	s_and_saveexec_b64 s[2:3], vcc
	s_cbranch_execz .LBB99_76
; %bb.75:
	ds_read2_b64 v[170:173], v155 offset0:7 offset1:8
	ds_read2_b64 v[174:177], v155 offset0:9 offset1:10
	;; [unrolled: 1-line block ×3, first 2 shown]
	s_waitcnt vmcnt(44) lgkmcnt(3)
	v_mul_f32_e32 v182, v168, v137
	v_mov_b32_e32 v137, v182
	s_waitcnt vmcnt(42) lgkmcnt(2)
	v_pk_fma_f32 v[116:117], v[182:183], v[170:171], v[116:117] op_sel_hi:[0,1,1] neg_lo:[1,0,0] neg_hi:[1,0,0]
	s_waitcnt vmcnt(40)
	v_pk_fma_f32 v[134:135], v[182:183], v[172:173], v[134:135] op_sel_hi:[0,1,1] neg_lo:[1,0,0] neg_hi:[1,0,0]
	s_waitcnt vmcnt(38) lgkmcnt(1)
	v_pk_fma_f32 v[114:115], v[182:183], v[174:175], v[114:115] op_sel_hi:[0,1,1] neg_lo:[1,0,0] neg_hi:[1,0,0]
	ds_read2_b64 v[170:173], v155 offset0:13 offset1:14
	s_waitcnt vmcnt(36)
	v_pk_fma_f32 v[132:133], v[182:183], v[176:177], v[132:133] op_sel_hi:[0,1,1] neg_lo:[1,0,0] neg_hi:[1,0,0]
	s_waitcnt vmcnt(34) lgkmcnt(1)
	v_pk_fma_f32 v[112:113], v[182:183], v[178:179], v[112:113] op_sel_hi:[0,1,1] neg_lo:[1,0,0] neg_hi:[1,0,0]
	ds_read2_b64 v[174:177], v155 offset0:15 offset1:16
	s_waitcnt vmcnt(32)
	v_pk_fma_f32 v[130:131], v[182:183], v[180:181], v[130:131] op_sel_hi:[0,1,1] neg_lo:[1,0,0] neg_hi:[1,0,0]
	ds_read2_b64 v[178:181], v155 offset0:17 offset1:18
	s_waitcnt vmcnt(30) lgkmcnt(2)
	v_pk_fma_f32 v[110:111], v[182:183], v[170:171], v[110:111] op_sel_hi:[0,1,1] neg_lo:[1,0,0] neg_hi:[1,0,0]
	s_waitcnt vmcnt(28)
	v_pk_fma_f32 v[128:129], v[182:183], v[172:173], v[128:129] op_sel_hi:[0,1,1] neg_lo:[1,0,0] neg_hi:[1,0,0]
	s_waitcnt vmcnt(26) lgkmcnt(1)
	v_pk_fma_f32 v[108:109], v[182:183], v[174:175], v[108:109] op_sel_hi:[0,1,1] neg_lo:[1,0,0] neg_hi:[1,0,0]
	s_waitcnt vmcnt(24)
	v_pk_fma_f32 v[126:127], v[182:183], v[176:177], v[126:127] op_sel_hi:[0,1,1] neg_lo:[1,0,0] neg_hi:[1,0,0]
	ds_read2_b64 v[170:173], v155 offset0:19 offset1:20
	ds_read2_b64 v[174:177], v155 offset0:21 offset1:22
	s_waitcnt vmcnt(22) lgkmcnt(2)
	v_pk_fma_f32 v[106:107], v[182:183], v[178:179], v[106:107] op_sel_hi:[0,1,1] neg_lo:[1,0,0] neg_hi:[1,0,0]
	s_waitcnt vmcnt(20)
	v_pk_fma_f32 v[124:125], v[182:183], v[180:181], v[124:125] op_sel_hi:[0,1,1] neg_lo:[1,0,0] neg_hi:[1,0,0]
	ds_read2_b64 v[178:181], v155 offset0:23 offset1:24
	s_waitcnt vmcnt(18) lgkmcnt(2)
	v_pk_fma_f32 v[104:105], v[182:183], v[170:171], v[104:105] op_sel_hi:[0,1,1] neg_lo:[1,0,0] neg_hi:[1,0,0]
	s_waitcnt vmcnt(16)
	v_pk_fma_f32 v[122:123], v[182:183], v[172:173], v[122:123] op_sel_hi:[0,1,1] neg_lo:[1,0,0] neg_hi:[1,0,0]
	s_waitcnt vmcnt(14) lgkmcnt(1)
	v_pk_fma_f32 v[102:103], v[182:183], v[174:175], v[102:103] op_sel_hi:[0,1,1] neg_lo:[1,0,0] neg_hi:[1,0,0]
	s_waitcnt vmcnt(12)
	v_pk_fma_f32 v[120:121], v[182:183], v[176:177], v[120:121] op_sel_hi:[0,1,1] neg_lo:[1,0,0] neg_hi:[1,0,0]
	;; [unrolled: 4-line block ×3, first 2 shown]
.LBB99_76:
	s_or_b64 exec, exec, s[2:3]
	v_cmp_eq_u32_e32 vcc, 14, v151
	s_waitcnt lgkmcnt(0)
	s_barrier
	s_and_saveexec_b64 s[2:3], vcc
	s_cbranch_execz .LBB99_79
; %bb.77:
	s_waitcnt vmcnt(40)
	v_pk_mov_b32 v[170:171], v[116:117], v[134:135] op_sel:[1,0]
	ds_write_b32 v153, v116
	ds_write2_b32 v155, v170, v171 offset0:15 offset1:16
	s_waitcnt vmcnt(38)
	v_pk_mov_b32 v[170:171], v[134:135], v[114:115] op_sel:[1,0]
	ds_write2_b32 v155, v170, v171 offset0:17 offset1:18
	s_waitcnt vmcnt(36)
	v_pk_mov_b32 v[170:171], v[114:115], v[132:133] op_sel:[1,0]
	;; [unrolled: 3-line block ×16, first 2 shown]
	ds_write2_b32 v155, v170, v171 offset0:47 offset1:48
	ds_write_b32 v155, v141 offset:196
	ds_read_b32 v169, v153
	s_waitcnt lgkmcnt(0)
	v_cmp_neq_f32_e32 vcc, 0, v169
	s_and_b64 exec, exec, vcc
	s_cbranch_execz .LBB99_79
; %bb.78:
	v_div_scale_f32 v170, s[4:5], v169, v169, 1.0
	v_rcp_f32_e32 v171, v170
	v_div_scale_f32 v172, vcc, 1.0, v169, 1.0
	v_fma_f32 v173, -v170, v171, 1.0
	v_fmac_f32_e32 v171, v173, v171
	v_mul_f32_e32 v173, v172, v171
	v_fma_f32 v174, -v170, v173, v172
	v_fmac_f32_e32 v173, v174, v171
	v_fma_f32 v170, -v170, v173, v172
	v_div_fmas_f32 v170, v170, v171, v173
	v_div_fixup_f32 v169, v170, v169, 1.0
	ds_write_b32 v153, v169
.LBB99_79:
	s_or_b64 exec, exec, s[2:3]
	s_waitcnt lgkmcnt(0)
	s_barrier
	ds_read_b32 v169, v153
	v_cmp_lt_u32_e32 vcc, 14, v151
	s_and_saveexec_b64 s[2:3], vcc
	s_cbranch_execz .LBB99_81
; %bb.80:
	ds_read_b32 v182, v155 offset:60
	ds_read2_b64 v[170:173], v155 offset0:8 offset1:9
	ds_read2_b64 v[174:177], v155 offset0:10 offset1:11
	;; [unrolled: 1-line block ×3, first 2 shown]
	s_waitcnt vmcnt(43) lgkmcnt(4)
	v_mul_f32_e32 v116, v169, v116
	s_waitcnt vmcnt(42) lgkmcnt(3)
	v_fma_f32 v117, -v116, v182, v117
	s_waitcnt vmcnt(40) lgkmcnt(2)
	v_pk_fma_f32 v[134:135], v[116:117], v[170:171], v[134:135] op_sel_hi:[0,1,1] neg_lo:[1,0,0] neg_hi:[1,0,0]
	s_waitcnt vmcnt(38)
	v_pk_fma_f32 v[114:115], v[116:117], v[172:173], v[114:115] op_sel_hi:[0,1,1] neg_lo:[1,0,0] neg_hi:[1,0,0]
	s_waitcnt vmcnt(36) lgkmcnt(1)
	v_pk_fma_f32 v[132:133], v[116:117], v[174:175], v[132:133] op_sel_hi:[0,1,1] neg_lo:[1,0,0] neg_hi:[1,0,0]
	ds_read2_b64 v[170:173], v155 offset0:14 offset1:15
	s_waitcnt vmcnt(34)
	v_pk_fma_f32 v[112:113], v[116:117], v[176:177], v[112:113] op_sel_hi:[0,1,1] neg_lo:[1,0,0] neg_hi:[1,0,0]
	s_waitcnt vmcnt(32) lgkmcnt(1)
	v_pk_fma_f32 v[130:131], v[116:117], v[178:179], v[130:131] op_sel_hi:[0,1,1] neg_lo:[1,0,0] neg_hi:[1,0,0]
	ds_read2_b64 v[174:177], v155 offset0:16 offset1:17
	s_waitcnt vmcnt(30)
	v_pk_fma_f32 v[110:111], v[116:117], v[180:181], v[110:111] op_sel_hi:[0,1,1] neg_lo:[1,0,0] neg_hi:[1,0,0]
	ds_read2_b64 v[178:181], v155 offset0:18 offset1:19
	s_waitcnt vmcnt(28) lgkmcnt(2)
	v_pk_fma_f32 v[128:129], v[116:117], v[170:171], v[128:129] op_sel_hi:[0,1,1] neg_lo:[1,0,0] neg_hi:[1,0,0]
	s_waitcnt vmcnt(26)
	v_pk_fma_f32 v[108:109], v[116:117], v[172:173], v[108:109] op_sel_hi:[0,1,1] neg_lo:[1,0,0] neg_hi:[1,0,0]
	s_waitcnt vmcnt(24) lgkmcnt(1)
	v_pk_fma_f32 v[126:127], v[116:117], v[174:175], v[126:127] op_sel_hi:[0,1,1] neg_lo:[1,0,0] neg_hi:[1,0,0]
	s_waitcnt vmcnt(22)
	v_pk_fma_f32 v[106:107], v[116:117], v[176:177], v[106:107] op_sel_hi:[0,1,1] neg_lo:[1,0,0] neg_hi:[1,0,0]
	ds_read2_b64 v[170:173], v155 offset0:20 offset1:21
	s_waitcnt vmcnt(20) lgkmcnt(1)
	v_pk_fma_f32 v[124:125], v[116:117], v[178:179], v[124:125] op_sel_hi:[0,1,1] neg_lo:[1,0,0] neg_hi:[1,0,0]
	ds_read2_b64 v[174:177], v155 offset0:22 offset1:23
	ds_read_b64 v[178:179], v155 offset:192
	s_waitcnt vmcnt(18)
	v_pk_fma_f32 v[104:105], v[116:117], v[180:181], v[104:105] op_sel_hi:[0,1,1] neg_lo:[1,0,0] neg_hi:[1,0,0]
	s_waitcnt vmcnt(16) lgkmcnt(2)
	v_pk_fma_f32 v[122:123], v[116:117], v[170:171], v[122:123] op_sel_hi:[0,1,1] neg_lo:[1,0,0] neg_hi:[1,0,0]
	s_waitcnt vmcnt(14)
	v_pk_fma_f32 v[102:103], v[116:117], v[172:173], v[102:103] op_sel_hi:[0,1,1] neg_lo:[1,0,0] neg_hi:[1,0,0]
	s_waitcnt vmcnt(12) lgkmcnt(1)
	v_pk_fma_f32 v[120:121], v[116:117], v[174:175], v[120:121] op_sel_hi:[0,1,1] neg_lo:[1,0,0] neg_hi:[1,0,0]
	;; [unrolled: 4-line block ×3, first 2 shown]
.LBB99_81:
	s_or_b64 exec, exec, s[2:3]
	v_cmp_ne_u32_e32 vcc, 15, v151
	s_waitcnt lgkmcnt(0)
	s_barrier
	s_and_saveexec_b64 s[2:3], vcc
	s_xor_b64 s[2:3], exec, s[2:3]
	s_andn2_saveexec_b64 s[2:3], s[2:3]
	s_cbranch_execz .LBB99_85
; %bb.82:
	s_waitcnt vmcnt(41)
	v_mov_b32_e32 v170, v134
	s_waitcnt vmcnt(40)
	v_mov_b32_e32 v171, v135
	;; [unrolled: 2-line block ×4, first 2 shown]
	ds_write_b32 v153, v117
	ds_write2_b64 v155, v[170:171], v[172:173] offset0:8 offset1:9
	s_waitcnt vmcnt(37)
	v_mov_b32_e32 v170, v132
	s_waitcnt vmcnt(36)
	v_mov_b32_e32 v171, v133
	s_waitcnt vmcnt(35)
	v_mov_b32_e32 v172, v112
	s_waitcnt vmcnt(34)
	v_mov_b32_e32 v173, v113
	ds_write2_b64 v155, v[170:171], v[172:173] offset0:10 offset1:11
	s_waitcnt vmcnt(33)
	v_mov_b32_e32 v170, v130
	s_waitcnt vmcnt(32)
	v_mov_b32_e32 v171, v131
	s_waitcnt vmcnt(31)
	v_mov_b32_e32 v172, v110
	s_waitcnt vmcnt(30)
	v_mov_b32_e32 v173, v111
	;; [unrolled: 9-line block ×7, first 2 shown]
	ds_write2_b64 v155, v[170:171], v[172:173] offset0:22 offset1:23
	s_waitcnt vmcnt(8)
	ds_write_b64 v155, v[140:141] offset:192
	ds_read_b32 v170, v153
	s_waitcnt lgkmcnt(0)
	v_cmp_neq_f32_e32 vcc, 0, v170
	s_and_saveexec_b64 s[4:5], vcc
	s_cbranch_execz .LBB99_84
; %bb.83:
	v_div_scale_f32 v171, s[10:11], v170, v170, 1.0
	v_rcp_f32_e32 v172, v171
	v_div_scale_f32 v173, vcc, 1.0, v170, 1.0
	v_fma_f32 v174, -v171, v172, 1.0
	v_fmac_f32_e32 v172, v174, v172
	v_mul_f32_e32 v174, v173, v172
	v_fma_f32 v175, -v171, v174, v173
	v_fmac_f32_e32 v174, v175, v172
	v_fma_f32 v171, -v171, v174, v173
	v_div_fmas_f32 v171, v171, v172, v174
	v_div_fixup_f32 v170, v171, v170, 1.0
	ds_write_b32 v153, v170
.LBB99_84:
	s_or_b64 exec, exec, s[4:5]
.LBB99_85:
	s_or_b64 exec, exec, s[2:3]
	s_waitcnt lgkmcnt(0)
	s_barrier
	ds_read_b32 v170, v153
	v_cmp_lt_u32_e32 vcc, 15, v151
	s_and_saveexec_b64 s[2:3], vcc
	s_cbranch_execz .LBB99_87
; %bb.86:
	ds_read2_b64 v[172:175], v155 offset0:8 offset1:9
	ds_read2_b64 v[176:179], v155 offset0:10 offset1:11
	;; [unrolled: 1-line block ×3, first 2 shown]
	s_waitcnt vmcnt(42) lgkmcnt(3)
	v_mul_f32_e32 v184, v170, v117
	v_mov_b32_e32 v117, v184
	s_waitcnt vmcnt(40) lgkmcnt(2)
	v_pk_fma_f32 v[134:135], v[184:185], v[172:173], v[134:135] op_sel_hi:[0,1,1] neg_lo:[1,0,0] neg_hi:[1,0,0]
	s_waitcnt vmcnt(38)
	v_pk_fma_f32 v[114:115], v[184:185], v[174:175], v[114:115] op_sel_hi:[0,1,1] neg_lo:[1,0,0] neg_hi:[1,0,0]
	s_waitcnt vmcnt(36) lgkmcnt(1)
	v_pk_fma_f32 v[132:133], v[184:185], v[176:177], v[132:133] op_sel_hi:[0,1,1] neg_lo:[1,0,0] neg_hi:[1,0,0]
	ds_read2_b64 v[172:175], v155 offset0:14 offset1:15
	s_waitcnt vmcnt(34)
	v_pk_fma_f32 v[112:113], v[184:185], v[178:179], v[112:113] op_sel_hi:[0,1,1] neg_lo:[1,0,0] neg_hi:[1,0,0]
	s_waitcnt vmcnt(32) lgkmcnt(1)
	v_pk_fma_f32 v[130:131], v[184:185], v[180:181], v[130:131] op_sel_hi:[0,1,1] neg_lo:[1,0,0] neg_hi:[1,0,0]
	ds_read2_b64 v[176:179], v155 offset0:16 offset1:17
	s_waitcnt vmcnt(30)
	v_pk_fma_f32 v[110:111], v[184:185], v[182:183], v[110:111] op_sel_hi:[0,1,1] neg_lo:[1,0,0] neg_hi:[1,0,0]
	ds_read2_b64 v[180:183], v155 offset0:18 offset1:19
	s_waitcnt vmcnt(28) lgkmcnt(2)
	v_pk_fma_f32 v[128:129], v[184:185], v[172:173], v[128:129] op_sel_hi:[0,1,1] neg_lo:[1,0,0] neg_hi:[1,0,0]
	s_waitcnt vmcnt(26)
	v_pk_fma_f32 v[108:109], v[184:185], v[174:175], v[108:109] op_sel_hi:[0,1,1] neg_lo:[1,0,0] neg_hi:[1,0,0]
	s_waitcnt vmcnt(24) lgkmcnt(1)
	v_pk_fma_f32 v[126:127], v[184:185], v[176:177], v[126:127] op_sel_hi:[0,1,1] neg_lo:[1,0,0] neg_hi:[1,0,0]
	s_waitcnt vmcnt(22)
	v_pk_fma_f32 v[106:107], v[184:185], v[178:179], v[106:107] op_sel_hi:[0,1,1] neg_lo:[1,0,0] neg_hi:[1,0,0]
	ds_read2_b64 v[172:175], v155 offset0:20 offset1:21
	ds_read2_b64 v[176:179], v155 offset0:22 offset1:23
	s_waitcnt vmcnt(20) lgkmcnt(2)
	v_pk_fma_f32 v[124:125], v[184:185], v[180:181], v[124:125] op_sel_hi:[0,1,1] neg_lo:[1,0,0] neg_hi:[1,0,0]
	ds_read_b64 v[180:181], v155 offset:192
	s_waitcnt vmcnt(18)
	v_pk_fma_f32 v[104:105], v[184:185], v[182:183], v[104:105] op_sel_hi:[0,1,1] neg_lo:[1,0,0] neg_hi:[1,0,0]
	s_waitcnt vmcnt(16) lgkmcnt(2)
	v_pk_fma_f32 v[122:123], v[184:185], v[172:173], v[122:123] op_sel_hi:[0,1,1] neg_lo:[1,0,0] neg_hi:[1,0,0]
	s_waitcnt vmcnt(14)
	v_pk_fma_f32 v[102:103], v[184:185], v[174:175], v[102:103] op_sel_hi:[0,1,1] neg_lo:[1,0,0] neg_hi:[1,0,0]
	s_waitcnt vmcnt(12) lgkmcnt(1)
	v_pk_fma_f32 v[120:121], v[184:185], v[176:177], v[120:121] op_sel_hi:[0,1,1] neg_lo:[1,0,0] neg_hi:[1,0,0]
	;; [unrolled: 4-line block ×3, first 2 shown]
.LBB99_87:
	s_or_b64 exec, exec, s[2:3]
	v_cmp_eq_u32_e32 vcc, 16, v151
	s_waitcnt lgkmcnt(0)
	s_barrier
	s_and_saveexec_b64 s[2:3], vcc
	s_cbranch_execz .LBB99_90
; %bb.88:
	s_waitcnt vmcnt(38)
	v_pk_mov_b32 v[172:173], v[134:135], v[114:115] op_sel:[1,0]
	ds_write_b32 v153, v134
	ds_write2_b32 v155, v172, v173 offset0:17 offset1:18
	s_waitcnt vmcnt(36)
	v_pk_mov_b32 v[172:173], v[114:115], v[132:133] op_sel:[1,0]
	ds_write2_b32 v155, v172, v173 offset0:19 offset1:20
	s_waitcnt vmcnt(34)
	v_pk_mov_b32 v[172:173], v[132:133], v[112:113] op_sel:[1,0]
	;; [unrolled: 3-line block ×15, first 2 shown]
	ds_write2_b32 v155, v172, v173 offset0:47 offset1:48
	ds_write_b32 v155, v141 offset:196
	ds_read_b32 v171, v153
	s_waitcnt lgkmcnt(0)
	v_cmp_neq_f32_e32 vcc, 0, v171
	s_and_b64 exec, exec, vcc
	s_cbranch_execz .LBB99_90
; %bb.89:
	v_div_scale_f32 v172, s[4:5], v171, v171, 1.0
	v_rcp_f32_e32 v173, v172
	v_div_scale_f32 v174, vcc, 1.0, v171, 1.0
	v_fma_f32 v175, -v172, v173, 1.0
	v_fmac_f32_e32 v173, v175, v173
	v_mul_f32_e32 v175, v174, v173
	v_fma_f32 v176, -v172, v175, v174
	v_fmac_f32_e32 v175, v176, v173
	v_fma_f32 v172, -v172, v175, v174
	v_div_fmas_f32 v172, v172, v173, v175
	v_div_fixup_f32 v171, v172, v171, 1.0
	ds_write_b32 v153, v171
.LBB99_90:
	s_or_b64 exec, exec, s[2:3]
	s_waitcnt lgkmcnt(0)
	s_barrier
	ds_read_b32 v171, v153
	v_cmp_lt_u32_e32 vcc, 16, v151
	s_and_saveexec_b64 s[2:3], vcc
	s_cbranch_execz .LBB99_92
; %bb.91:
	ds_read_b32 v184, v155 offset:68
	ds_read2_b64 v[172:175], v155 offset0:9 offset1:10
	ds_read2_b64 v[176:179], v155 offset0:11 offset1:12
	;; [unrolled: 1-line block ×3, first 2 shown]
	s_waitcnt vmcnt(41) lgkmcnt(4)
	v_mul_f32_e32 v134, v171, v134
	s_waitcnt vmcnt(40) lgkmcnt(3)
	v_fma_f32 v135, -v134, v184, v135
	s_waitcnt vmcnt(38) lgkmcnt(2)
	v_pk_fma_f32 v[114:115], v[134:135], v[172:173], v[114:115] op_sel_hi:[0,1,1] neg_lo:[1,0,0] neg_hi:[1,0,0]
	s_waitcnt vmcnt(36)
	v_pk_fma_f32 v[132:133], v[134:135], v[174:175], v[132:133] op_sel_hi:[0,1,1] neg_lo:[1,0,0] neg_hi:[1,0,0]
	s_waitcnt vmcnt(34) lgkmcnt(1)
	v_pk_fma_f32 v[112:113], v[134:135], v[176:177], v[112:113] op_sel_hi:[0,1,1] neg_lo:[1,0,0] neg_hi:[1,0,0]
	ds_read2_b64 v[172:175], v155 offset0:15 offset1:16
	s_waitcnt vmcnt(32)
	v_pk_fma_f32 v[130:131], v[134:135], v[178:179], v[130:131] op_sel_hi:[0,1,1] neg_lo:[1,0,0] neg_hi:[1,0,0]
	ds_read2_b64 v[176:179], v155 offset0:17 offset1:18
	s_waitcnt vmcnt(30) lgkmcnt(2)
	v_pk_fma_f32 v[110:111], v[134:135], v[180:181], v[110:111] op_sel_hi:[0,1,1] neg_lo:[1,0,0] neg_hi:[1,0,0]
	s_waitcnt vmcnt(28)
	v_pk_fma_f32 v[128:129], v[134:135], v[182:183], v[128:129] op_sel_hi:[0,1,1] neg_lo:[1,0,0] neg_hi:[1,0,0]
	s_waitcnt vmcnt(26) lgkmcnt(1)
	v_pk_fma_f32 v[108:109], v[134:135], v[172:173], v[108:109] op_sel_hi:[0,1,1] neg_lo:[1,0,0] neg_hi:[1,0,0]
	s_waitcnt vmcnt(24)
	v_pk_fma_f32 v[126:127], v[134:135], v[174:175], v[126:127] op_sel_hi:[0,1,1] neg_lo:[1,0,0] neg_hi:[1,0,0]
	ds_read2_b64 v[172:175], v155 offset0:19 offset1:20
	ds_read2_b64 v[180:183], v155 offset0:21 offset1:22
	s_waitcnt vmcnt(22) lgkmcnt(2)
	v_pk_fma_f32 v[106:107], v[134:135], v[176:177], v[106:107] op_sel_hi:[0,1,1] neg_lo:[1,0,0] neg_hi:[1,0,0]
	s_waitcnt vmcnt(20)
	v_pk_fma_f32 v[124:125], v[134:135], v[178:179], v[124:125] op_sel_hi:[0,1,1] neg_lo:[1,0,0] neg_hi:[1,0,0]
	ds_read2_b64 v[176:179], v155 offset0:23 offset1:24
	s_waitcnt vmcnt(18) lgkmcnt(2)
	v_pk_fma_f32 v[104:105], v[134:135], v[172:173], v[104:105] op_sel_hi:[0,1,1] neg_lo:[1,0,0] neg_hi:[1,0,0]
	s_waitcnt vmcnt(16)
	v_pk_fma_f32 v[122:123], v[134:135], v[174:175], v[122:123] op_sel_hi:[0,1,1] neg_lo:[1,0,0] neg_hi:[1,0,0]
	s_waitcnt vmcnt(14) lgkmcnt(1)
	v_pk_fma_f32 v[102:103], v[134:135], v[180:181], v[102:103] op_sel_hi:[0,1,1] neg_lo:[1,0,0] neg_hi:[1,0,0]
	s_waitcnt vmcnt(12)
	v_pk_fma_f32 v[120:121], v[134:135], v[182:183], v[120:121] op_sel_hi:[0,1,1] neg_lo:[1,0,0] neg_hi:[1,0,0]
	s_waitcnt vmcnt(10) lgkmcnt(0)
	v_pk_fma_f32 v[100:101], v[134:135], v[176:177], v[100:101] op_sel_hi:[0,1,1] neg_lo:[1,0,0] neg_hi:[1,0,0]
	s_waitcnt vmcnt(8)
	v_pk_fma_f32 v[140:141], v[134:135], v[178:179], v[140:141] op_sel_hi:[0,1,1] neg_lo:[1,0,0] neg_hi:[1,0,0]
.LBB99_92:
	s_or_b64 exec, exec, s[2:3]
	v_cmp_ne_u32_e32 vcc, 17, v151
	s_waitcnt lgkmcnt(0)
	s_barrier
	s_and_saveexec_b64 s[2:3], vcc
	s_xor_b64 s[2:3], exec, s[2:3]
	s_andn2_saveexec_b64 s[2:3], s[2:3]
	s_cbranch_execz .LBB99_96
; %bb.93:
	s_waitcnt vmcnt(40)
	ds_write_b32 v153, v135
	s_waitcnt vmcnt(36)
	ds_write2_b64 v155, v[114:115], v[132:133] offset0:9 offset1:10
	s_waitcnt vmcnt(32)
	ds_write2_b64 v155, v[112:113], v[130:131] offset0:11 offset1:12
	;; [unrolled: 2-line block ×8, first 2 shown]
	ds_read_b32 v172, v153
	s_waitcnt lgkmcnt(0)
	v_cmp_neq_f32_e32 vcc, 0, v172
	s_and_saveexec_b64 s[4:5], vcc
	s_cbranch_execz .LBB99_95
; %bb.94:
	v_div_scale_f32 v173, s[10:11], v172, v172, 1.0
	v_rcp_f32_e32 v174, v173
	v_div_scale_f32 v175, vcc, 1.0, v172, 1.0
	v_fma_f32 v176, -v173, v174, 1.0
	v_fmac_f32_e32 v174, v176, v174
	v_mul_f32_e32 v176, v175, v174
	v_fma_f32 v177, -v173, v176, v175
	v_fmac_f32_e32 v176, v177, v174
	v_fma_f32 v173, -v173, v176, v175
	v_div_fmas_f32 v173, v173, v174, v176
	v_div_fixup_f32 v172, v173, v172, 1.0
	ds_write_b32 v153, v172
.LBB99_95:
	s_or_b64 exec, exec, s[4:5]
.LBB99_96:
	s_or_b64 exec, exec, s[2:3]
	s_waitcnt lgkmcnt(0)
	s_barrier
	ds_read_b32 v172, v153
	v_cmp_lt_u32_e32 vcc, 17, v151
	s_and_saveexec_b64 s[2:3], vcc
	s_cbranch_execz .LBB99_98
; %bb.97:
	ds_read2_b64 v[174:177], v155 offset0:9 offset1:10
	ds_read2_b64 v[178:181], v155 offset0:11 offset1:12
	s_waitcnt vmcnt(40) lgkmcnt(2)
	v_mul_f32_e32 v186, v172, v135
	ds_read2_b64 v[182:185], v155 offset0:13 offset1:14
	v_mov_b32_e32 v135, v186
	s_waitcnt vmcnt(38) lgkmcnt(2)
	v_pk_fma_f32 v[114:115], v[186:187], v[174:175], v[114:115] op_sel_hi:[0,1,1] neg_lo:[1,0,0] neg_hi:[1,0,0]
	s_waitcnt vmcnt(36)
	v_pk_fma_f32 v[132:133], v[186:187], v[176:177], v[132:133] op_sel_hi:[0,1,1] neg_lo:[1,0,0] neg_hi:[1,0,0]
	s_waitcnt vmcnt(34) lgkmcnt(1)
	v_pk_fma_f32 v[112:113], v[186:187], v[178:179], v[112:113] op_sel_hi:[0,1,1] neg_lo:[1,0,0] neg_hi:[1,0,0]
	ds_read2_b64 v[174:177], v155 offset0:15 offset1:16
	s_waitcnt vmcnt(32)
	v_pk_fma_f32 v[130:131], v[186:187], v[180:181], v[130:131] op_sel_hi:[0,1,1] neg_lo:[1,0,0] neg_hi:[1,0,0]
	ds_read2_b64 v[178:181], v155 offset0:17 offset1:18
	s_waitcnt vmcnt(30) lgkmcnt(2)
	v_pk_fma_f32 v[110:111], v[186:187], v[182:183], v[110:111] op_sel_hi:[0,1,1] neg_lo:[1,0,0] neg_hi:[1,0,0]
	s_waitcnt vmcnt(28)
	v_pk_fma_f32 v[128:129], v[186:187], v[184:185], v[128:129] op_sel_hi:[0,1,1] neg_lo:[1,0,0] neg_hi:[1,0,0]
	s_waitcnt vmcnt(26) lgkmcnt(1)
	v_pk_fma_f32 v[108:109], v[186:187], v[174:175], v[108:109] op_sel_hi:[0,1,1] neg_lo:[1,0,0] neg_hi:[1,0,0]
	s_waitcnt vmcnt(24)
	v_pk_fma_f32 v[126:127], v[186:187], v[176:177], v[126:127] op_sel_hi:[0,1,1] neg_lo:[1,0,0] neg_hi:[1,0,0]
	ds_read2_b64 v[174:177], v155 offset0:19 offset1:20
	s_waitcnt vmcnt(22) lgkmcnt(1)
	v_pk_fma_f32 v[106:107], v[186:187], v[178:179], v[106:107] op_sel_hi:[0,1,1] neg_lo:[1,0,0] neg_hi:[1,0,0]
	ds_read2_b64 v[182:185], v155 offset0:21 offset1:22
	s_waitcnt vmcnt(20)
	v_pk_fma_f32 v[124:125], v[186:187], v[180:181], v[124:125] op_sel_hi:[0,1,1] neg_lo:[1,0,0] neg_hi:[1,0,0]
	ds_read2_b64 v[178:181], v155 offset0:23 offset1:24
	s_waitcnt vmcnt(18) lgkmcnt(2)
	v_pk_fma_f32 v[104:105], v[186:187], v[174:175], v[104:105] op_sel_hi:[0,1,1] neg_lo:[1,0,0] neg_hi:[1,0,0]
	s_waitcnt vmcnt(16)
	v_pk_fma_f32 v[122:123], v[186:187], v[176:177], v[122:123] op_sel_hi:[0,1,1] neg_lo:[1,0,0] neg_hi:[1,0,0]
	s_waitcnt vmcnt(14) lgkmcnt(1)
	v_pk_fma_f32 v[102:103], v[186:187], v[182:183], v[102:103] op_sel_hi:[0,1,1] neg_lo:[1,0,0] neg_hi:[1,0,0]
	s_waitcnt vmcnt(12)
	v_pk_fma_f32 v[120:121], v[186:187], v[184:185], v[120:121] op_sel_hi:[0,1,1] neg_lo:[1,0,0] neg_hi:[1,0,0]
	;; [unrolled: 4-line block ×3, first 2 shown]
.LBB99_98:
	s_or_b64 exec, exec, s[2:3]
	v_cmp_eq_u32_e32 vcc, 18, v151
	s_waitcnt lgkmcnt(0)
	s_barrier
	s_and_saveexec_b64 s[2:3], vcc
	s_cbranch_execz .LBB99_101
; %bb.99:
	s_waitcnt vmcnt(36)
	v_pk_mov_b32 v[174:175], v[114:115], v[132:133] op_sel:[1,0]
	ds_write_b32 v153, v114
	ds_write2_b32 v155, v174, v175 offset0:19 offset1:20
	s_waitcnt vmcnt(34)
	v_pk_mov_b32 v[174:175], v[132:133], v[112:113] op_sel:[1,0]
	ds_write2_b32 v155, v174, v175 offset0:21 offset1:22
	s_waitcnt vmcnt(32)
	v_pk_mov_b32 v[174:175], v[112:113], v[130:131] op_sel:[1,0]
	;; [unrolled: 3-line block ×14, first 2 shown]
	ds_write2_b32 v155, v174, v175 offset0:47 offset1:48
	ds_write_b32 v155, v141 offset:196
	ds_read_b32 v173, v153
	s_waitcnt lgkmcnt(0)
	v_cmp_neq_f32_e32 vcc, 0, v173
	s_and_b64 exec, exec, vcc
	s_cbranch_execz .LBB99_101
; %bb.100:
	v_div_scale_f32 v174, s[4:5], v173, v173, 1.0
	v_rcp_f32_e32 v175, v174
	v_div_scale_f32 v176, vcc, 1.0, v173, 1.0
	v_fma_f32 v177, -v174, v175, 1.0
	v_fmac_f32_e32 v175, v177, v175
	v_mul_f32_e32 v177, v176, v175
	v_fma_f32 v178, -v174, v177, v176
	v_fmac_f32_e32 v177, v178, v175
	v_fma_f32 v174, -v174, v177, v176
	v_div_fmas_f32 v174, v174, v175, v177
	v_div_fixup_f32 v173, v174, v173, 1.0
	ds_write_b32 v153, v173
.LBB99_101:
	s_or_b64 exec, exec, s[2:3]
	s_waitcnt lgkmcnt(0)
	s_barrier
	ds_read_b32 v173, v153
	v_cmp_lt_u32_e32 vcc, 18, v151
	s_and_saveexec_b64 s[2:3], vcc
	s_cbranch_execz .LBB99_103
; %bb.102:
	ds_read_b32 v186, v155 offset:76
	ds_read2_b64 v[174:177], v155 offset0:10 offset1:11
	ds_read2_b64 v[178:181], v155 offset0:12 offset1:13
	ds_read2_b64 v[182:185], v155 offset0:14 offset1:15
	s_waitcnt vmcnt(39) lgkmcnt(4)
	v_mul_f32_e32 v114, v173, v114
	s_waitcnt vmcnt(38) lgkmcnt(3)
	v_fma_f32 v115, -v114, v186, v115
	s_waitcnt vmcnt(36) lgkmcnt(2)
	v_pk_fma_f32 v[132:133], v[114:115], v[174:175], v[132:133] op_sel_hi:[0,1,1] neg_lo:[1,0,0] neg_hi:[1,0,0]
	s_waitcnt vmcnt(34)
	v_pk_fma_f32 v[112:113], v[114:115], v[176:177], v[112:113] op_sel_hi:[0,1,1] neg_lo:[1,0,0] neg_hi:[1,0,0]
	s_waitcnt vmcnt(32) lgkmcnt(1)
	v_pk_fma_f32 v[130:131], v[114:115], v[178:179], v[130:131] op_sel_hi:[0,1,1] neg_lo:[1,0,0] neg_hi:[1,0,0]
	ds_read2_b64 v[174:177], v155 offset0:16 offset1:17
	s_waitcnt vmcnt(30)
	v_pk_fma_f32 v[110:111], v[114:115], v[180:181], v[110:111] op_sel_hi:[0,1,1] neg_lo:[1,0,0] neg_hi:[1,0,0]
	ds_read2_b64 v[178:181], v155 offset0:18 offset1:19
	s_waitcnt vmcnt(28) lgkmcnt(2)
	v_pk_fma_f32 v[128:129], v[114:115], v[182:183], v[128:129] op_sel_hi:[0,1,1] neg_lo:[1,0,0] neg_hi:[1,0,0]
	s_waitcnt vmcnt(26)
	v_pk_fma_f32 v[108:109], v[114:115], v[184:185], v[108:109] op_sel_hi:[0,1,1] neg_lo:[1,0,0] neg_hi:[1,0,0]
	s_waitcnt vmcnt(24) lgkmcnt(1)
	v_pk_fma_f32 v[126:127], v[114:115], v[174:175], v[126:127] op_sel_hi:[0,1,1] neg_lo:[1,0,0] neg_hi:[1,0,0]
	s_waitcnt vmcnt(22)
	v_pk_fma_f32 v[106:107], v[114:115], v[176:177], v[106:107] op_sel_hi:[0,1,1] neg_lo:[1,0,0] neg_hi:[1,0,0]
	ds_read2_b64 v[174:177], v155 offset0:20 offset1:21
	ds_read2_b64 v[182:185], v155 offset0:22 offset1:23
	s_waitcnt vmcnt(20) lgkmcnt(2)
	v_pk_fma_f32 v[124:125], v[114:115], v[178:179], v[124:125] op_sel_hi:[0,1,1] neg_lo:[1,0,0] neg_hi:[1,0,0]
	ds_read_b64 v[178:179], v155 offset:192
	s_waitcnt vmcnt(18)
	v_pk_fma_f32 v[104:105], v[114:115], v[180:181], v[104:105] op_sel_hi:[0,1,1] neg_lo:[1,0,0] neg_hi:[1,0,0]
	s_waitcnt vmcnt(16) lgkmcnt(2)
	v_pk_fma_f32 v[122:123], v[114:115], v[174:175], v[122:123] op_sel_hi:[0,1,1] neg_lo:[1,0,0] neg_hi:[1,0,0]
	s_waitcnt vmcnt(14)
	v_pk_fma_f32 v[102:103], v[114:115], v[176:177], v[102:103] op_sel_hi:[0,1,1] neg_lo:[1,0,0] neg_hi:[1,0,0]
	s_waitcnt vmcnt(12) lgkmcnt(1)
	v_pk_fma_f32 v[120:121], v[114:115], v[182:183], v[120:121] op_sel_hi:[0,1,1] neg_lo:[1,0,0] neg_hi:[1,0,0]
	;; [unrolled: 4-line block ×3, first 2 shown]
.LBB99_103:
	s_or_b64 exec, exec, s[2:3]
	v_cmp_ne_u32_e32 vcc, 19, v151
	s_waitcnt lgkmcnt(0)
	s_barrier
	s_and_saveexec_b64 s[2:3], vcc
	s_xor_b64 s[2:3], exec, s[2:3]
	s_andn2_saveexec_b64 s[2:3], s[2:3]
	s_cbranch_execz .LBB99_107
; %bb.104:
	s_waitcnt vmcnt(37)
	v_mov_b32_e32 v174, v132
	s_waitcnt vmcnt(36)
	v_mov_b32_e32 v175, v133
	;; [unrolled: 2-line block ×4, first 2 shown]
	ds_write_b32 v153, v115
	ds_write2_b64 v155, v[174:175], v[176:177] offset0:10 offset1:11
	s_waitcnt vmcnt(33)
	v_mov_b32_e32 v174, v130
	s_waitcnt vmcnt(32)
	v_mov_b32_e32 v175, v131
	s_waitcnt vmcnt(31)
	v_mov_b32_e32 v176, v110
	s_waitcnt vmcnt(30)
	v_mov_b32_e32 v177, v111
	ds_write2_b64 v155, v[174:175], v[176:177] offset0:12 offset1:13
	s_waitcnt vmcnt(29)
	v_mov_b32_e32 v174, v128
	s_waitcnt vmcnt(28)
	v_mov_b32_e32 v175, v129
	s_waitcnt vmcnt(27)
	v_mov_b32_e32 v176, v108
	s_waitcnt vmcnt(26)
	v_mov_b32_e32 v177, v109
	ds_write2_b64 v155, v[174:175], v[176:177] offset0:14 offset1:15
	s_waitcnt vmcnt(25)
	v_mov_b32_e32 v174, v126
	s_waitcnt vmcnt(24)
	v_mov_b32_e32 v175, v127
	s_waitcnt vmcnt(23)
	v_mov_b32_e32 v176, v106
	s_waitcnt vmcnt(22)
	v_mov_b32_e32 v177, v107
	ds_write2_b64 v155, v[174:175], v[176:177] offset0:16 offset1:17
	s_waitcnt vmcnt(21)
	v_mov_b32_e32 v174, v124
	s_waitcnt vmcnt(20)
	v_mov_b32_e32 v175, v125
	s_waitcnt vmcnt(19)
	v_mov_b32_e32 v176, v104
	s_waitcnt vmcnt(18)
	v_mov_b32_e32 v177, v105
	ds_write2_b64 v155, v[174:175], v[176:177] offset0:18 offset1:19
	s_waitcnt vmcnt(17)
	v_mov_b32_e32 v174, v122
	s_waitcnt vmcnt(16)
	v_mov_b32_e32 v175, v123
	s_waitcnt vmcnt(15)
	v_mov_b32_e32 v176, v102
	s_waitcnt vmcnt(14)
	v_mov_b32_e32 v177, v103
	ds_write2_b64 v155, v[174:175], v[176:177] offset0:20 offset1:21
	s_waitcnt vmcnt(13)
	v_mov_b32_e32 v174, v120
	s_waitcnt vmcnt(12)
	v_mov_b32_e32 v175, v121
	s_waitcnt vmcnt(11)
	v_mov_b32_e32 v176, v100
	s_waitcnt vmcnt(10)
	v_mov_b32_e32 v177, v101
	ds_write2_b64 v155, v[174:175], v[176:177] offset0:22 offset1:23
	s_waitcnt vmcnt(8)
	ds_write_b64 v155, v[140:141] offset:192
	ds_read_b32 v174, v153
	s_waitcnt lgkmcnt(0)
	v_cmp_neq_f32_e32 vcc, 0, v174
	s_and_saveexec_b64 s[4:5], vcc
	s_cbranch_execz .LBB99_106
; %bb.105:
	v_div_scale_f32 v175, s[10:11], v174, v174, 1.0
	v_rcp_f32_e32 v176, v175
	v_div_scale_f32 v177, vcc, 1.0, v174, 1.0
	v_fma_f32 v178, -v175, v176, 1.0
	v_fmac_f32_e32 v176, v178, v176
	v_mul_f32_e32 v178, v177, v176
	v_fma_f32 v179, -v175, v178, v177
	v_fmac_f32_e32 v178, v179, v176
	v_fma_f32 v175, -v175, v178, v177
	v_div_fmas_f32 v175, v175, v176, v178
	v_div_fixup_f32 v174, v175, v174, 1.0
	ds_write_b32 v153, v174
.LBB99_106:
	s_or_b64 exec, exec, s[4:5]
.LBB99_107:
	s_or_b64 exec, exec, s[2:3]
	s_waitcnt lgkmcnt(0)
	s_barrier
	ds_read_b32 v174, v153
	v_cmp_lt_u32_e32 vcc, 19, v151
	s_and_saveexec_b64 s[2:3], vcc
	s_cbranch_execz .LBB99_109
; %bb.108:
	ds_read2_b64 v[176:179], v155 offset0:10 offset1:11
	ds_read2_b64 v[180:183], v155 offset0:12 offset1:13
	s_waitcnt vmcnt(38) lgkmcnt(2)
	v_mul_f32_e32 v188, v174, v115
	ds_read2_b64 v[184:187], v155 offset0:14 offset1:15
	v_mov_b32_e32 v115, v188
	s_waitcnt vmcnt(36) lgkmcnt(2)
	v_pk_fma_f32 v[132:133], v[188:189], v[176:177], v[132:133] op_sel_hi:[0,1,1] neg_lo:[1,0,0] neg_hi:[1,0,0]
	s_waitcnt vmcnt(34)
	v_pk_fma_f32 v[112:113], v[188:189], v[178:179], v[112:113] op_sel_hi:[0,1,1] neg_lo:[1,0,0] neg_hi:[1,0,0]
	s_waitcnt vmcnt(32) lgkmcnt(1)
	v_pk_fma_f32 v[130:131], v[188:189], v[180:181], v[130:131] op_sel_hi:[0,1,1] neg_lo:[1,0,0] neg_hi:[1,0,0]
	ds_read2_b64 v[176:179], v155 offset0:16 offset1:17
	s_waitcnt vmcnt(30)
	v_pk_fma_f32 v[110:111], v[188:189], v[182:183], v[110:111] op_sel_hi:[0,1,1] neg_lo:[1,0,0] neg_hi:[1,0,0]
	ds_read2_b64 v[180:183], v155 offset0:18 offset1:19
	s_waitcnt vmcnt(28) lgkmcnt(2)
	v_pk_fma_f32 v[128:129], v[188:189], v[184:185], v[128:129] op_sel_hi:[0,1,1] neg_lo:[1,0,0] neg_hi:[1,0,0]
	s_waitcnt vmcnt(26)
	v_pk_fma_f32 v[108:109], v[188:189], v[186:187], v[108:109] op_sel_hi:[0,1,1] neg_lo:[1,0,0] neg_hi:[1,0,0]
	s_waitcnt vmcnt(24) lgkmcnt(1)
	v_pk_fma_f32 v[126:127], v[188:189], v[176:177], v[126:127] op_sel_hi:[0,1,1] neg_lo:[1,0,0] neg_hi:[1,0,0]
	s_waitcnt vmcnt(22)
	v_pk_fma_f32 v[106:107], v[188:189], v[178:179], v[106:107] op_sel_hi:[0,1,1] neg_lo:[1,0,0] neg_hi:[1,0,0]
	ds_read2_b64 v[176:179], v155 offset0:20 offset1:21
	s_waitcnt vmcnt(20) lgkmcnt(1)
	v_pk_fma_f32 v[124:125], v[188:189], v[180:181], v[124:125] op_sel_hi:[0,1,1] neg_lo:[1,0,0] neg_hi:[1,0,0]
	ds_read2_b64 v[184:187], v155 offset0:22 offset1:23
	ds_read_b64 v[180:181], v155 offset:192
	s_waitcnt vmcnt(18)
	v_pk_fma_f32 v[104:105], v[188:189], v[182:183], v[104:105] op_sel_hi:[0,1,1] neg_lo:[1,0,0] neg_hi:[1,0,0]
	s_waitcnt vmcnt(16) lgkmcnt(2)
	v_pk_fma_f32 v[122:123], v[188:189], v[176:177], v[122:123] op_sel_hi:[0,1,1] neg_lo:[1,0,0] neg_hi:[1,0,0]
	s_waitcnt vmcnt(14)
	v_pk_fma_f32 v[102:103], v[188:189], v[178:179], v[102:103] op_sel_hi:[0,1,1] neg_lo:[1,0,0] neg_hi:[1,0,0]
	s_waitcnt vmcnt(12) lgkmcnt(1)
	v_pk_fma_f32 v[120:121], v[188:189], v[184:185], v[120:121] op_sel_hi:[0,1,1] neg_lo:[1,0,0] neg_hi:[1,0,0]
	;; [unrolled: 4-line block ×3, first 2 shown]
.LBB99_109:
	s_or_b64 exec, exec, s[2:3]
	v_cmp_eq_u32_e32 vcc, 20, v151
	s_waitcnt lgkmcnt(0)
	s_barrier
	s_and_saveexec_b64 s[2:3], vcc
	s_cbranch_execz .LBB99_112
; %bb.110:
	s_waitcnt vmcnt(34)
	v_pk_mov_b32 v[176:177], v[132:133], v[112:113] op_sel:[1,0]
	ds_write_b32 v153, v132
	ds_write2_b32 v155, v176, v177 offset0:21 offset1:22
	s_waitcnt vmcnt(32)
	v_pk_mov_b32 v[176:177], v[112:113], v[130:131] op_sel:[1,0]
	ds_write2_b32 v155, v176, v177 offset0:23 offset1:24
	s_waitcnt vmcnt(30)
	v_pk_mov_b32 v[176:177], v[130:131], v[110:111] op_sel:[1,0]
	;; [unrolled: 3-line block ×13, first 2 shown]
	ds_write2_b32 v155, v176, v177 offset0:47 offset1:48
	ds_write_b32 v155, v141 offset:196
	ds_read_b32 v175, v153
	s_waitcnt lgkmcnt(0)
	v_cmp_neq_f32_e32 vcc, 0, v175
	s_and_b64 exec, exec, vcc
	s_cbranch_execz .LBB99_112
; %bb.111:
	v_div_scale_f32 v176, s[4:5], v175, v175, 1.0
	v_rcp_f32_e32 v177, v176
	v_div_scale_f32 v178, vcc, 1.0, v175, 1.0
	v_fma_f32 v179, -v176, v177, 1.0
	v_fmac_f32_e32 v177, v179, v177
	v_mul_f32_e32 v179, v178, v177
	v_fma_f32 v180, -v176, v179, v178
	v_fmac_f32_e32 v179, v180, v177
	v_fma_f32 v176, -v176, v179, v178
	v_div_fmas_f32 v176, v176, v177, v179
	v_div_fixup_f32 v175, v176, v175, 1.0
	ds_write_b32 v153, v175
.LBB99_112:
	s_or_b64 exec, exec, s[2:3]
	s_waitcnt lgkmcnt(0)
	s_barrier
	ds_read_b32 v175, v153
	v_cmp_lt_u32_e32 vcc, 20, v151
	s_and_saveexec_b64 s[2:3], vcc
	s_cbranch_execz .LBB99_114
; %bb.113:
	ds_read_b32 v188, v155 offset:84
	ds_read2_b64 v[176:179], v155 offset0:11 offset1:12
	s_waitcnt vmcnt(37) lgkmcnt(2)
	v_mul_f32_e32 v132, v175, v132
	ds_read2_b64 v[180:183], v155 offset0:13 offset1:14
	ds_read2_b64 v[184:187], v155 offset0:15 offset1:16
	s_waitcnt vmcnt(36) lgkmcnt(3)
	v_fma_f32 v133, -v132, v188, v133
	s_waitcnt vmcnt(34) lgkmcnt(2)
	v_pk_fma_f32 v[112:113], v[132:133], v[176:177], v[112:113] op_sel_hi:[0,1,1] neg_lo:[1,0,0] neg_hi:[1,0,0]
	s_waitcnt vmcnt(32)
	v_pk_fma_f32 v[130:131], v[132:133], v[178:179], v[130:131] op_sel_hi:[0,1,1] neg_lo:[1,0,0] neg_hi:[1,0,0]
	ds_read2_b64 v[176:179], v155 offset0:17 offset1:18
	s_waitcnt vmcnt(30) lgkmcnt(2)
	v_pk_fma_f32 v[110:111], v[132:133], v[180:181], v[110:111] op_sel_hi:[0,1,1] neg_lo:[1,0,0] neg_hi:[1,0,0]
	s_waitcnt vmcnt(28)
	v_pk_fma_f32 v[128:129], v[132:133], v[182:183], v[128:129] op_sel_hi:[0,1,1] neg_lo:[1,0,0] neg_hi:[1,0,0]
	s_waitcnt vmcnt(26) lgkmcnt(1)
	v_pk_fma_f32 v[108:109], v[132:133], v[184:185], v[108:109] op_sel_hi:[0,1,1] neg_lo:[1,0,0] neg_hi:[1,0,0]
	s_waitcnt vmcnt(24)
	v_pk_fma_f32 v[126:127], v[132:133], v[186:187], v[126:127] op_sel_hi:[0,1,1] neg_lo:[1,0,0] neg_hi:[1,0,0]
	ds_read2_b64 v[180:183], v155 offset0:19 offset1:20
	s_waitcnt vmcnt(22) lgkmcnt(1)
	v_pk_fma_f32 v[106:107], v[132:133], v[176:177], v[106:107] op_sel_hi:[0,1,1] neg_lo:[1,0,0] neg_hi:[1,0,0]
	ds_read2_b64 v[184:187], v155 offset0:21 offset1:22
	s_waitcnt vmcnt(20)
	v_pk_fma_f32 v[124:125], v[132:133], v[178:179], v[124:125] op_sel_hi:[0,1,1] neg_lo:[1,0,0] neg_hi:[1,0,0]
	ds_read2_b64 v[176:179], v155 offset0:23 offset1:24
	s_waitcnt vmcnt(18) lgkmcnt(2)
	v_pk_fma_f32 v[104:105], v[132:133], v[180:181], v[104:105] op_sel_hi:[0,1,1] neg_lo:[1,0,0] neg_hi:[1,0,0]
	s_waitcnt vmcnt(16)
	v_pk_fma_f32 v[122:123], v[132:133], v[182:183], v[122:123] op_sel_hi:[0,1,1] neg_lo:[1,0,0] neg_hi:[1,0,0]
	s_waitcnt vmcnt(14) lgkmcnt(1)
	v_pk_fma_f32 v[102:103], v[132:133], v[184:185], v[102:103] op_sel_hi:[0,1,1] neg_lo:[1,0,0] neg_hi:[1,0,0]
	s_waitcnt vmcnt(12)
	v_pk_fma_f32 v[120:121], v[132:133], v[186:187], v[120:121] op_sel_hi:[0,1,1] neg_lo:[1,0,0] neg_hi:[1,0,0]
	;; [unrolled: 4-line block ×3, first 2 shown]
.LBB99_114:
	s_or_b64 exec, exec, s[2:3]
	v_cmp_ne_u32_e32 vcc, 21, v151
	s_waitcnt lgkmcnt(0)
	s_barrier
	s_and_saveexec_b64 s[2:3], vcc
	s_xor_b64 s[2:3], exec, s[2:3]
	s_andn2_saveexec_b64 s[2:3], s[2:3]
	s_cbranch_execz .LBB99_118
; %bb.115:
	s_waitcnt vmcnt(36)
	ds_write_b32 v153, v133
	s_waitcnt vmcnt(32)
	ds_write2_b64 v155, v[112:113], v[130:131] offset0:11 offset1:12
	s_waitcnt vmcnt(28)
	ds_write2_b64 v155, v[110:111], v[128:129] offset0:13 offset1:14
	;; [unrolled: 2-line block ×7, first 2 shown]
	ds_read_b32 v176, v153
	s_waitcnt lgkmcnt(0)
	v_cmp_neq_f32_e32 vcc, 0, v176
	s_and_saveexec_b64 s[4:5], vcc
	s_cbranch_execz .LBB99_117
; %bb.116:
	v_div_scale_f32 v177, s[10:11], v176, v176, 1.0
	v_rcp_f32_e32 v178, v177
	v_div_scale_f32 v179, vcc, 1.0, v176, 1.0
	v_fma_f32 v180, -v177, v178, 1.0
	v_fmac_f32_e32 v178, v180, v178
	v_mul_f32_e32 v180, v179, v178
	v_fma_f32 v181, -v177, v180, v179
	v_fmac_f32_e32 v180, v181, v178
	v_fma_f32 v177, -v177, v180, v179
	v_div_fmas_f32 v177, v177, v178, v180
	v_div_fixup_f32 v176, v177, v176, 1.0
	ds_write_b32 v153, v176
.LBB99_117:
	s_or_b64 exec, exec, s[4:5]
.LBB99_118:
	s_or_b64 exec, exec, s[2:3]
	s_waitcnt lgkmcnt(0)
	s_barrier
	ds_read_b32 v176, v153
	v_cmp_lt_u32_e32 vcc, 21, v151
	s_and_saveexec_b64 s[2:3], vcc
	s_cbranch_execz .LBB99_120
; %bb.119:
	ds_read2_b64 v[178:181], v155 offset0:11 offset1:12
	ds_read2_b64 v[182:185], v155 offset0:13 offset1:14
	s_waitcnt vmcnt(36) lgkmcnt(2)
	v_mul_f32_e32 v190, v176, v133
	ds_read2_b64 v[186:189], v155 offset0:15 offset1:16
	v_mov_b32_e32 v133, v190
	s_waitcnt vmcnt(34) lgkmcnt(2)
	v_pk_fma_f32 v[112:113], v[190:191], v[178:179], v[112:113] op_sel_hi:[0,1,1] neg_lo:[1,0,0] neg_hi:[1,0,0]
	s_waitcnt vmcnt(32)
	v_pk_fma_f32 v[130:131], v[190:191], v[180:181], v[130:131] op_sel_hi:[0,1,1] neg_lo:[1,0,0] neg_hi:[1,0,0]
	ds_read2_b64 v[178:181], v155 offset0:17 offset1:18
	s_waitcnt vmcnt(30) lgkmcnt(2)
	v_pk_fma_f32 v[110:111], v[190:191], v[182:183], v[110:111] op_sel_hi:[0,1,1] neg_lo:[1,0,0] neg_hi:[1,0,0]
	s_waitcnt vmcnt(28)
	v_pk_fma_f32 v[128:129], v[190:191], v[184:185], v[128:129] op_sel_hi:[0,1,1] neg_lo:[1,0,0] neg_hi:[1,0,0]
	s_waitcnt vmcnt(26) lgkmcnt(1)
	v_pk_fma_f32 v[108:109], v[190:191], v[186:187], v[108:109] op_sel_hi:[0,1,1] neg_lo:[1,0,0] neg_hi:[1,0,0]
	s_waitcnt vmcnt(24)
	v_pk_fma_f32 v[126:127], v[190:191], v[188:189], v[126:127] op_sel_hi:[0,1,1] neg_lo:[1,0,0] neg_hi:[1,0,0]
	ds_read2_b64 v[182:185], v155 offset0:19 offset1:20
	ds_read2_b64 v[186:189], v155 offset0:21 offset1:22
	s_waitcnt vmcnt(22) lgkmcnt(2)
	v_pk_fma_f32 v[106:107], v[190:191], v[178:179], v[106:107] op_sel_hi:[0,1,1] neg_lo:[1,0,0] neg_hi:[1,0,0]
	s_waitcnt vmcnt(20)
	v_pk_fma_f32 v[124:125], v[190:191], v[180:181], v[124:125] op_sel_hi:[0,1,1] neg_lo:[1,0,0] neg_hi:[1,0,0]
	ds_read2_b64 v[178:181], v155 offset0:23 offset1:24
	s_waitcnt vmcnt(18) lgkmcnt(2)
	v_pk_fma_f32 v[104:105], v[190:191], v[182:183], v[104:105] op_sel_hi:[0,1,1] neg_lo:[1,0,0] neg_hi:[1,0,0]
	s_waitcnt vmcnt(16)
	v_pk_fma_f32 v[122:123], v[190:191], v[184:185], v[122:123] op_sel_hi:[0,1,1] neg_lo:[1,0,0] neg_hi:[1,0,0]
	s_waitcnt vmcnt(14) lgkmcnt(1)
	v_pk_fma_f32 v[102:103], v[190:191], v[186:187], v[102:103] op_sel_hi:[0,1,1] neg_lo:[1,0,0] neg_hi:[1,0,0]
	s_waitcnt vmcnt(12)
	v_pk_fma_f32 v[120:121], v[190:191], v[188:189], v[120:121] op_sel_hi:[0,1,1] neg_lo:[1,0,0] neg_hi:[1,0,0]
	;; [unrolled: 4-line block ×3, first 2 shown]
.LBB99_120:
	s_or_b64 exec, exec, s[2:3]
	v_cmp_eq_u32_e32 vcc, 22, v151
	s_waitcnt lgkmcnt(0)
	s_barrier
	s_and_saveexec_b64 s[2:3], vcc
	s_cbranch_execz .LBB99_123
; %bb.121:
	s_waitcnt vmcnt(32)
	v_pk_mov_b32 v[178:179], v[112:113], v[130:131] op_sel:[1,0]
	ds_write_b32 v153, v112
	ds_write2_b32 v155, v178, v179 offset0:23 offset1:24
	s_waitcnt vmcnt(30)
	v_pk_mov_b32 v[178:179], v[130:131], v[110:111] op_sel:[1,0]
	ds_write2_b32 v155, v178, v179 offset0:25 offset1:26
	s_waitcnt vmcnt(28)
	v_pk_mov_b32 v[178:179], v[110:111], v[128:129] op_sel:[1,0]
	;; [unrolled: 3-line block ×12, first 2 shown]
	ds_write2_b32 v155, v178, v179 offset0:47 offset1:48
	ds_write_b32 v155, v141 offset:196
	ds_read_b32 v177, v153
	s_waitcnt lgkmcnt(0)
	v_cmp_neq_f32_e32 vcc, 0, v177
	s_and_b64 exec, exec, vcc
	s_cbranch_execz .LBB99_123
; %bb.122:
	v_div_scale_f32 v178, s[4:5], v177, v177, 1.0
	v_rcp_f32_e32 v179, v178
	v_div_scale_f32 v180, vcc, 1.0, v177, 1.0
	v_fma_f32 v181, -v178, v179, 1.0
	v_fmac_f32_e32 v179, v181, v179
	v_mul_f32_e32 v181, v180, v179
	v_fma_f32 v182, -v178, v181, v180
	v_fmac_f32_e32 v181, v182, v179
	v_fma_f32 v178, -v178, v181, v180
	v_div_fmas_f32 v178, v178, v179, v181
	v_div_fixup_f32 v177, v178, v177, 1.0
	ds_write_b32 v153, v177
.LBB99_123:
	s_or_b64 exec, exec, s[2:3]
	s_waitcnt lgkmcnt(0)
	s_barrier
	ds_read_b32 v177, v153
	v_cmp_lt_u32_e32 vcc, 22, v151
	s_and_saveexec_b64 s[2:3], vcc
	s_cbranch_execz .LBB99_125
; %bb.124:
	ds_read_b32 v190, v155 offset:92
	ds_read2_b64 v[178:181], v155 offset0:12 offset1:13
	s_waitcnt vmcnt(35) lgkmcnt(2)
	v_mul_f32_e32 v112, v177, v112
	ds_read2_b64 v[182:185], v155 offset0:14 offset1:15
	ds_read2_b64 v[186:189], v155 offset0:16 offset1:17
	s_waitcnt vmcnt(34) lgkmcnt(3)
	v_fma_f32 v113, -v112, v190, v113
	s_waitcnt vmcnt(32) lgkmcnt(2)
	v_pk_fma_f32 v[130:131], v[112:113], v[178:179], v[130:131] op_sel_hi:[0,1,1] neg_lo:[1,0,0] neg_hi:[1,0,0]
	s_waitcnt vmcnt(30)
	v_pk_fma_f32 v[110:111], v[112:113], v[180:181], v[110:111] op_sel_hi:[0,1,1] neg_lo:[1,0,0] neg_hi:[1,0,0]
	ds_read2_b64 v[178:181], v155 offset0:18 offset1:19
	s_waitcnt vmcnt(28) lgkmcnt(2)
	v_pk_fma_f32 v[128:129], v[112:113], v[182:183], v[128:129] op_sel_hi:[0,1,1] neg_lo:[1,0,0] neg_hi:[1,0,0]
	s_waitcnt vmcnt(26)
	v_pk_fma_f32 v[108:109], v[112:113], v[184:185], v[108:109] op_sel_hi:[0,1,1] neg_lo:[1,0,0] neg_hi:[1,0,0]
	s_waitcnt vmcnt(24) lgkmcnt(1)
	v_pk_fma_f32 v[126:127], v[112:113], v[186:187], v[126:127] op_sel_hi:[0,1,1] neg_lo:[1,0,0] neg_hi:[1,0,0]
	s_waitcnt vmcnt(22)
	v_pk_fma_f32 v[106:107], v[112:113], v[188:189], v[106:107] op_sel_hi:[0,1,1] neg_lo:[1,0,0] neg_hi:[1,0,0]
	ds_read2_b64 v[182:185], v155 offset0:20 offset1:21
	s_waitcnt vmcnt(20) lgkmcnt(1)
	v_pk_fma_f32 v[124:125], v[112:113], v[178:179], v[124:125] op_sel_hi:[0,1,1] neg_lo:[1,0,0] neg_hi:[1,0,0]
	ds_read2_b64 v[186:189], v155 offset0:22 offset1:23
	ds_read_b64 v[178:179], v155 offset:192
	s_waitcnt vmcnt(18)
	v_pk_fma_f32 v[104:105], v[112:113], v[180:181], v[104:105] op_sel_hi:[0,1,1] neg_lo:[1,0,0] neg_hi:[1,0,0]
	s_waitcnt vmcnt(16) lgkmcnt(2)
	v_pk_fma_f32 v[122:123], v[112:113], v[182:183], v[122:123] op_sel_hi:[0,1,1] neg_lo:[1,0,0] neg_hi:[1,0,0]
	s_waitcnt vmcnt(14)
	v_pk_fma_f32 v[102:103], v[112:113], v[184:185], v[102:103] op_sel_hi:[0,1,1] neg_lo:[1,0,0] neg_hi:[1,0,0]
	s_waitcnt vmcnt(12) lgkmcnt(1)
	v_pk_fma_f32 v[120:121], v[112:113], v[186:187], v[120:121] op_sel_hi:[0,1,1] neg_lo:[1,0,0] neg_hi:[1,0,0]
	;; [unrolled: 4-line block ×3, first 2 shown]
.LBB99_125:
	s_or_b64 exec, exec, s[2:3]
	v_cmp_ne_u32_e32 vcc, 23, v151
	s_waitcnt lgkmcnt(0)
	s_barrier
	s_and_saveexec_b64 s[2:3], vcc
	s_xor_b64 s[2:3], exec, s[2:3]
	s_andn2_saveexec_b64 s[2:3], s[2:3]
	s_cbranch_execz .LBB99_129
; %bb.126:
	s_waitcnt vmcnt(33)
	v_mov_b32_e32 v178, v130
	s_waitcnt vmcnt(32)
	v_mov_b32_e32 v179, v131
	;; [unrolled: 2-line block ×4, first 2 shown]
	ds_write_b32 v153, v113
	ds_write2_b64 v155, v[178:179], v[180:181] offset0:12 offset1:13
	s_waitcnt vmcnt(29)
	v_mov_b32_e32 v178, v128
	s_waitcnt vmcnt(28)
	v_mov_b32_e32 v179, v129
	s_waitcnt vmcnt(27)
	v_mov_b32_e32 v180, v108
	s_waitcnt vmcnt(26)
	v_mov_b32_e32 v181, v109
	ds_write2_b64 v155, v[178:179], v[180:181] offset0:14 offset1:15
	s_waitcnt vmcnt(25)
	v_mov_b32_e32 v178, v126
	s_waitcnt vmcnt(24)
	v_mov_b32_e32 v179, v127
	s_waitcnt vmcnt(23)
	v_mov_b32_e32 v180, v106
	s_waitcnt vmcnt(22)
	v_mov_b32_e32 v181, v107
	;; [unrolled: 9-line block ×5, first 2 shown]
	ds_write2_b64 v155, v[178:179], v[180:181] offset0:22 offset1:23
	s_waitcnt vmcnt(8)
	ds_write_b64 v155, v[140:141] offset:192
	ds_read_b32 v178, v153
	s_waitcnt lgkmcnt(0)
	v_cmp_neq_f32_e32 vcc, 0, v178
	s_and_saveexec_b64 s[4:5], vcc
	s_cbranch_execz .LBB99_128
; %bb.127:
	v_div_scale_f32 v179, s[10:11], v178, v178, 1.0
	v_rcp_f32_e32 v180, v179
	v_div_scale_f32 v181, vcc, 1.0, v178, 1.0
	v_fma_f32 v182, -v179, v180, 1.0
	v_fmac_f32_e32 v180, v182, v180
	v_mul_f32_e32 v182, v181, v180
	v_fma_f32 v183, -v179, v182, v181
	v_fmac_f32_e32 v182, v183, v180
	v_fma_f32 v179, -v179, v182, v181
	v_div_fmas_f32 v179, v179, v180, v182
	v_div_fixup_f32 v178, v179, v178, 1.0
	ds_write_b32 v153, v178
.LBB99_128:
	s_or_b64 exec, exec, s[4:5]
.LBB99_129:
	s_or_b64 exec, exec, s[2:3]
	s_waitcnt lgkmcnt(0)
	s_barrier
	ds_read_b32 v178, v153
	v_cmp_lt_u32_e32 vcc, 23, v151
	s_and_saveexec_b64 s[2:3], vcc
	s_cbranch_execz .LBB99_131
; %bb.130:
	ds_read2_b64 v[180:183], v155 offset0:12 offset1:13
	ds_read2_b64 v[184:187], v155 offset0:14 offset1:15
	s_waitcnt vmcnt(34) lgkmcnt(2)
	v_mul_f32_e32 v192, v178, v113
	ds_read2_b64 v[188:191], v155 offset0:16 offset1:17
	v_mov_b32_e32 v113, v192
	s_waitcnt vmcnt(32) lgkmcnt(2)
	v_pk_fma_f32 v[130:131], v[192:193], v[180:181], v[130:131] op_sel_hi:[0,1,1] neg_lo:[1,0,0] neg_hi:[1,0,0]
	s_waitcnt vmcnt(30)
	v_pk_fma_f32 v[110:111], v[192:193], v[182:183], v[110:111] op_sel_hi:[0,1,1] neg_lo:[1,0,0] neg_hi:[1,0,0]
	ds_read2_b64 v[180:183], v155 offset0:18 offset1:19
	s_waitcnt vmcnt(28) lgkmcnt(2)
	v_pk_fma_f32 v[128:129], v[192:193], v[184:185], v[128:129] op_sel_hi:[0,1,1] neg_lo:[1,0,0] neg_hi:[1,0,0]
	s_waitcnt vmcnt(26)
	v_pk_fma_f32 v[108:109], v[192:193], v[186:187], v[108:109] op_sel_hi:[0,1,1] neg_lo:[1,0,0] neg_hi:[1,0,0]
	s_waitcnt vmcnt(24) lgkmcnt(1)
	v_pk_fma_f32 v[126:127], v[192:193], v[188:189], v[126:127] op_sel_hi:[0,1,1] neg_lo:[1,0,0] neg_hi:[1,0,0]
	s_waitcnt vmcnt(22)
	v_pk_fma_f32 v[106:107], v[192:193], v[190:191], v[106:107] op_sel_hi:[0,1,1] neg_lo:[1,0,0] neg_hi:[1,0,0]
	ds_read2_b64 v[184:187], v155 offset0:20 offset1:21
	ds_read2_b64 v[188:191], v155 offset0:22 offset1:23
	s_waitcnt vmcnt(20) lgkmcnt(2)
	v_pk_fma_f32 v[124:125], v[192:193], v[180:181], v[124:125] op_sel_hi:[0,1,1] neg_lo:[1,0,0] neg_hi:[1,0,0]
	ds_read_b64 v[180:181], v155 offset:192
	s_waitcnt vmcnt(18)
	v_pk_fma_f32 v[104:105], v[192:193], v[182:183], v[104:105] op_sel_hi:[0,1,1] neg_lo:[1,0,0] neg_hi:[1,0,0]
	s_waitcnt vmcnt(16) lgkmcnt(2)
	v_pk_fma_f32 v[122:123], v[192:193], v[184:185], v[122:123] op_sel_hi:[0,1,1] neg_lo:[1,0,0] neg_hi:[1,0,0]
	s_waitcnt vmcnt(14)
	v_pk_fma_f32 v[102:103], v[192:193], v[186:187], v[102:103] op_sel_hi:[0,1,1] neg_lo:[1,0,0] neg_hi:[1,0,0]
	s_waitcnt vmcnt(12) lgkmcnt(1)
	v_pk_fma_f32 v[120:121], v[192:193], v[188:189], v[120:121] op_sel_hi:[0,1,1] neg_lo:[1,0,0] neg_hi:[1,0,0]
	;; [unrolled: 4-line block ×3, first 2 shown]
.LBB99_131:
	s_or_b64 exec, exec, s[2:3]
	v_cmp_eq_u32_e32 vcc, 24, v151
	s_waitcnt lgkmcnt(0)
	s_barrier
	s_and_saveexec_b64 s[2:3], vcc
	s_cbranch_execz .LBB99_134
; %bb.132:
	s_waitcnt vmcnt(30)
	v_pk_mov_b32 v[180:181], v[130:131], v[110:111] op_sel:[1,0]
	ds_write_b32 v153, v130
	ds_write2_b32 v155, v180, v181 offset0:25 offset1:26
	s_waitcnt vmcnt(28)
	v_pk_mov_b32 v[180:181], v[110:111], v[128:129] op_sel:[1,0]
	ds_write2_b32 v155, v180, v181 offset0:27 offset1:28
	s_waitcnt vmcnt(26)
	v_pk_mov_b32 v[180:181], v[128:129], v[108:109] op_sel:[1,0]
	;; [unrolled: 3-line block ×11, first 2 shown]
	ds_write2_b32 v155, v180, v181 offset0:47 offset1:48
	ds_write_b32 v155, v141 offset:196
	ds_read_b32 v179, v153
	s_waitcnt lgkmcnt(0)
	v_cmp_neq_f32_e32 vcc, 0, v179
	s_and_b64 exec, exec, vcc
	s_cbranch_execz .LBB99_134
; %bb.133:
	v_div_scale_f32 v180, s[4:5], v179, v179, 1.0
	v_rcp_f32_e32 v181, v180
	v_div_scale_f32 v182, vcc, 1.0, v179, 1.0
	v_fma_f32 v183, -v180, v181, 1.0
	v_fmac_f32_e32 v181, v183, v181
	v_mul_f32_e32 v183, v182, v181
	v_fma_f32 v184, -v180, v183, v182
	v_fmac_f32_e32 v183, v184, v181
	v_fma_f32 v180, -v180, v183, v182
	v_div_fmas_f32 v180, v180, v181, v183
	v_div_fixup_f32 v179, v180, v179, 1.0
	ds_write_b32 v153, v179
.LBB99_134:
	s_or_b64 exec, exec, s[2:3]
	s_waitcnt lgkmcnt(0)
	s_barrier
	ds_read_b32 v179, v153
	v_cmp_lt_u32_e32 vcc, 24, v151
	s_and_saveexec_b64 s[2:3], vcc
	s_cbranch_execz .LBB99_136
; %bb.135:
	ds_read_b32 v192, v155 offset:100
	ds_read2_b64 v[180:183], v155 offset0:13 offset1:14
	ds_read2_b64 v[184:187], v155 offset0:15 offset1:16
	;; [unrolled: 1-line block ×3, first 2 shown]
	s_waitcnt vmcnt(33) lgkmcnt(4)
	v_mul_f32_e32 v130, v179, v130
	s_waitcnt vmcnt(32) lgkmcnt(3)
	v_fma_f32 v131, -v130, v192, v131
	s_waitcnt vmcnt(30) lgkmcnt(2)
	v_pk_fma_f32 v[110:111], v[130:131], v[180:181], v[110:111] op_sel_hi:[0,1,1] neg_lo:[1,0,0] neg_hi:[1,0,0]
	s_waitcnt vmcnt(28)
	v_pk_fma_f32 v[128:129], v[130:131], v[182:183], v[128:129] op_sel_hi:[0,1,1] neg_lo:[1,0,0] neg_hi:[1,0,0]
	s_waitcnt vmcnt(26) lgkmcnt(1)
	v_pk_fma_f32 v[108:109], v[130:131], v[184:185], v[108:109] op_sel_hi:[0,1,1] neg_lo:[1,0,0] neg_hi:[1,0,0]
	s_waitcnt vmcnt(24)
	v_pk_fma_f32 v[126:127], v[130:131], v[186:187], v[126:127] op_sel_hi:[0,1,1] neg_lo:[1,0,0] neg_hi:[1,0,0]
	ds_read2_b64 v[180:183], v155 offset0:19 offset1:20
	ds_read2_b64 v[184:187], v155 offset0:21 offset1:22
	s_waitcnt vmcnt(22) lgkmcnt(2)
	v_pk_fma_f32 v[106:107], v[130:131], v[188:189], v[106:107] op_sel_hi:[0,1,1] neg_lo:[1,0,0] neg_hi:[1,0,0]
	s_waitcnt vmcnt(20)
	v_pk_fma_f32 v[124:125], v[130:131], v[190:191], v[124:125] op_sel_hi:[0,1,1] neg_lo:[1,0,0] neg_hi:[1,0,0]
	ds_read2_b64 v[188:191], v155 offset0:23 offset1:24
	s_waitcnt vmcnt(18) lgkmcnt(2)
	v_pk_fma_f32 v[104:105], v[130:131], v[180:181], v[104:105] op_sel_hi:[0,1,1] neg_lo:[1,0,0] neg_hi:[1,0,0]
	s_waitcnt vmcnt(16)
	v_pk_fma_f32 v[122:123], v[130:131], v[182:183], v[122:123] op_sel_hi:[0,1,1] neg_lo:[1,0,0] neg_hi:[1,0,0]
	s_waitcnt vmcnt(14) lgkmcnt(1)
	v_pk_fma_f32 v[102:103], v[130:131], v[184:185], v[102:103] op_sel_hi:[0,1,1] neg_lo:[1,0,0] neg_hi:[1,0,0]
	s_waitcnt vmcnt(12)
	v_pk_fma_f32 v[120:121], v[130:131], v[186:187], v[120:121] op_sel_hi:[0,1,1] neg_lo:[1,0,0] neg_hi:[1,0,0]
	;; [unrolled: 4-line block ×3, first 2 shown]
.LBB99_136:
	s_or_b64 exec, exec, s[2:3]
	v_cmp_ne_u32_e32 vcc, 25, v151
	s_waitcnt lgkmcnt(0)
	s_barrier
	s_and_saveexec_b64 s[2:3], vcc
	s_xor_b64 s[2:3], exec, s[2:3]
	s_andn2_saveexec_b64 s[2:3], s[2:3]
	s_cbranch_execz .LBB99_140
; %bb.137:
	s_waitcnt vmcnt(32)
	ds_write_b32 v153, v131
	s_waitcnt vmcnt(28)
	ds_write2_b64 v155, v[110:111], v[128:129] offset0:13 offset1:14
	s_waitcnt vmcnt(24)
	ds_write2_b64 v155, v[108:109], v[126:127] offset0:15 offset1:16
	;; [unrolled: 2-line block ×6, first 2 shown]
	ds_read_b32 v180, v153
	s_waitcnt lgkmcnt(0)
	v_cmp_neq_f32_e32 vcc, 0, v180
	s_and_saveexec_b64 s[4:5], vcc
	s_cbranch_execz .LBB99_139
; %bb.138:
	v_div_scale_f32 v181, s[10:11], v180, v180, 1.0
	v_rcp_f32_e32 v182, v181
	v_div_scale_f32 v183, vcc, 1.0, v180, 1.0
	v_fma_f32 v184, -v181, v182, 1.0
	v_fmac_f32_e32 v182, v184, v182
	v_mul_f32_e32 v184, v183, v182
	v_fma_f32 v185, -v181, v184, v183
	v_fmac_f32_e32 v184, v185, v182
	v_fma_f32 v181, -v181, v184, v183
	v_div_fmas_f32 v181, v181, v182, v184
	v_div_fixup_f32 v180, v181, v180, 1.0
	ds_write_b32 v153, v180
.LBB99_139:
	s_or_b64 exec, exec, s[4:5]
.LBB99_140:
	s_or_b64 exec, exec, s[2:3]
	s_waitcnt lgkmcnt(0)
	s_barrier
	ds_read_b32 v180, v153
	v_cmp_lt_u32_e32 vcc, 25, v151
	s_and_saveexec_b64 s[2:3], vcc
	s_cbranch_execz .LBB99_142
; %bb.141:
	ds_read2_b64 v[182:185], v155 offset0:13 offset1:14
	ds_read2_b64 v[186:189], v155 offset0:15 offset1:16
	ds_read2_b64 v[190:193], v155 offset0:17 offset1:18
	s_waitcnt vmcnt(32) lgkmcnt(3)
	v_mul_f32_e32 v194, v180, v131
	v_mov_b32_e32 v131, v194
	s_waitcnt vmcnt(30) lgkmcnt(2)
	v_pk_fma_f32 v[110:111], v[194:195], v[182:183], v[110:111] op_sel_hi:[0,1,1] neg_lo:[1,0,0] neg_hi:[1,0,0]
	s_waitcnt vmcnt(28)
	v_pk_fma_f32 v[128:129], v[194:195], v[184:185], v[128:129] op_sel_hi:[0,1,1] neg_lo:[1,0,0] neg_hi:[1,0,0]
	s_waitcnt vmcnt(26) lgkmcnt(1)
	v_pk_fma_f32 v[108:109], v[194:195], v[186:187], v[108:109] op_sel_hi:[0,1,1] neg_lo:[1,0,0] neg_hi:[1,0,0]
	s_waitcnt vmcnt(24)
	v_pk_fma_f32 v[126:127], v[194:195], v[188:189], v[126:127] op_sel_hi:[0,1,1] neg_lo:[1,0,0] neg_hi:[1,0,0]
	ds_read2_b64 v[182:185], v155 offset0:19 offset1:20
	s_waitcnt vmcnt(22) lgkmcnt(1)
	v_pk_fma_f32 v[106:107], v[194:195], v[190:191], v[106:107] op_sel_hi:[0,1,1] neg_lo:[1,0,0] neg_hi:[1,0,0]
	ds_read2_b64 v[186:189], v155 offset0:21 offset1:22
	s_waitcnt vmcnt(20)
	v_pk_fma_f32 v[124:125], v[194:195], v[192:193], v[124:125] op_sel_hi:[0,1,1] neg_lo:[1,0,0] neg_hi:[1,0,0]
	ds_read2_b64 v[190:193], v155 offset0:23 offset1:24
	s_waitcnt vmcnt(18) lgkmcnt(2)
	v_pk_fma_f32 v[104:105], v[194:195], v[182:183], v[104:105] op_sel_hi:[0,1,1] neg_lo:[1,0,0] neg_hi:[1,0,0]
	s_waitcnt vmcnt(16)
	v_pk_fma_f32 v[122:123], v[194:195], v[184:185], v[122:123] op_sel_hi:[0,1,1] neg_lo:[1,0,0] neg_hi:[1,0,0]
	s_waitcnt vmcnt(14) lgkmcnt(1)
	v_pk_fma_f32 v[102:103], v[194:195], v[186:187], v[102:103] op_sel_hi:[0,1,1] neg_lo:[1,0,0] neg_hi:[1,0,0]
	s_waitcnt vmcnt(12)
	v_pk_fma_f32 v[120:121], v[194:195], v[188:189], v[120:121] op_sel_hi:[0,1,1] neg_lo:[1,0,0] neg_hi:[1,0,0]
	;; [unrolled: 4-line block ×3, first 2 shown]
.LBB99_142:
	s_or_b64 exec, exec, s[2:3]
	v_cmp_eq_u32_e32 vcc, 26, v151
	s_waitcnt lgkmcnt(0)
	s_barrier
	s_and_saveexec_b64 s[2:3], vcc
	s_cbranch_execz .LBB99_145
; %bb.143:
	s_waitcnt vmcnt(28)
	v_pk_mov_b32 v[182:183], v[110:111], v[128:129] op_sel:[1,0]
	ds_write_b32 v153, v110
	ds_write2_b32 v155, v182, v183 offset0:27 offset1:28
	s_waitcnt vmcnt(26)
	v_pk_mov_b32 v[182:183], v[128:129], v[108:109] op_sel:[1,0]
	ds_write2_b32 v155, v182, v183 offset0:29 offset1:30
	s_waitcnt vmcnt(24)
	v_pk_mov_b32 v[182:183], v[108:109], v[126:127] op_sel:[1,0]
	;; [unrolled: 3-line block ×10, first 2 shown]
	ds_write2_b32 v155, v182, v183 offset0:47 offset1:48
	ds_write_b32 v155, v141 offset:196
	ds_read_b32 v181, v153
	s_waitcnt lgkmcnt(0)
	v_cmp_neq_f32_e32 vcc, 0, v181
	s_and_b64 exec, exec, vcc
	s_cbranch_execz .LBB99_145
; %bb.144:
	v_div_scale_f32 v182, s[4:5], v181, v181, 1.0
	v_rcp_f32_e32 v183, v182
	v_div_scale_f32 v184, vcc, 1.0, v181, 1.0
	v_fma_f32 v185, -v182, v183, 1.0
	v_fmac_f32_e32 v183, v185, v183
	v_mul_f32_e32 v185, v184, v183
	v_fma_f32 v186, -v182, v185, v184
	v_fmac_f32_e32 v185, v186, v183
	v_fma_f32 v182, -v182, v185, v184
	v_div_fmas_f32 v182, v182, v183, v185
	v_div_fixup_f32 v181, v182, v181, 1.0
	ds_write_b32 v153, v181
.LBB99_145:
	s_or_b64 exec, exec, s[2:3]
	s_waitcnt lgkmcnt(0)
	s_barrier
	ds_read_b32 v181, v153
	v_cmp_lt_u32_e32 vcc, 26, v151
	s_and_saveexec_b64 s[2:3], vcc
	s_cbranch_execz .LBB99_147
; %bb.146:
	ds_read_b32 v194, v155 offset:108
	ds_read2_b64 v[182:185], v155 offset0:14 offset1:15
	ds_read2_b64 v[186:189], v155 offset0:16 offset1:17
	;; [unrolled: 1-line block ×3, first 2 shown]
	s_waitcnt vmcnt(31) lgkmcnt(4)
	v_mul_f32_e32 v110, v181, v110
	s_waitcnt vmcnt(30) lgkmcnt(3)
	v_fma_f32 v111, -v110, v194, v111
	s_waitcnt vmcnt(28) lgkmcnt(2)
	v_pk_fma_f32 v[128:129], v[110:111], v[182:183], v[128:129] op_sel_hi:[0,1,1] neg_lo:[1,0,0] neg_hi:[1,0,0]
	s_waitcnt vmcnt(26)
	v_pk_fma_f32 v[108:109], v[110:111], v[184:185], v[108:109] op_sel_hi:[0,1,1] neg_lo:[1,0,0] neg_hi:[1,0,0]
	s_waitcnt vmcnt(24) lgkmcnt(1)
	v_pk_fma_f32 v[126:127], v[110:111], v[186:187], v[126:127] op_sel_hi:[0,1,1] neg_lo:[1,0,0] neg_hi:[1,0,0]
	s_waitcnt vmcnt(22)
	v_pk_fma_f32 v[106:107], v[110:111], v[188:189], v[106:107] op_sel_hi:[0,1,1] neg_lo:[1,0,0] neg_hi:[1,0,0]
	ds_read2_b64 v[182:185], v155 offset0:20 offset1:21
	ds_read2_b64 v[186:189], v155 offset0:22 offset1:23
	s_waitcnt vmcnt(20) lgkmcnt(2)
	v_pk_fma_f32 v[124:125], v[110:111], v[190:191], v[124:125] op_sel_hi:[0,1,1] neg_lo:[1,0,0] neg_hi:[1,0,0]
	ds_read_b64 v[190:191], v155 offset:192
	s_waitcnt vmcnt(18)
	v_pk_fma_f32 v[104:105], v[110:111], v[192:193], v[104:105] op_sel_hi:[0,1,1] neg_lo:[1,0,0] neg_hi:[1,0,0]
	s_waitcnt vmcnt(16) lgkmcnt(2)
	v_pk_fma_f32 v[122:123], v[110:111], v[182:183], v[122:123] op_sel_hi:[0,1,1] neg_lo:[1,0,0] neg_hi:[1,0,0]
	s_waitcnt vmcnt(14)
	v_pk_fma_f32 v[102:103], v[110:111], v[184:185], v[102:103] op_sel_hi:[0,1,1] neg_lo:[1,0,0] neg_hi:[1,0,0]
	s_waitcnt vmcnt(12) lgkmcnt(1)
	v_pk_fma_f32 v[120:121], v[110:111], v[186:187], v[120:121] op_sel_hi:[0,1,1] neg_lo:[1,0,0] neg_hi:[1,0,0]
	;; [unrolled: 4-line block ×3, first 2 shown]
.LBB99_147:
	s_or_b64 exec, exec, s[2:3]
	v_cmp_ne_u32_e32 vcc, 27, v151
	s_waitcnt lgkmcnt(0)
	s_barrier
	s_and_saveexec_b64 s[2:3], vcc
	s_xor_b64 s[2:3], exec, s[2:3]
	s_andn2_saveexec_b64 s[2:3], s[2:3]
	s_cbranch_execz .LBB99_151
; %bb.148:
	s_waitcnt vmcnt(29)
	v_mov_b32_e32 v182, v128
	s_waitcnt vmcnt(28)
	v_mov_b32_e32 v183, v129
	;; [unrolled: 2-line block ×4, first 2 shown]
	ds_write_b32 v153, v111
	ds_write2_b64 v155, v[182:183], v[184:185] offset0:14 offset1:15
	s_waitcnt vmcnt(25)
	v_mov_b32_e32 v182, v126
	s_waitcnt vmcnt(24)
	v_mov_b32_e32 v183, v127
	s_waitcnt vmcnt(23)
	v_mov_b32_e32 v184, v106
	s_waitcnt vmcnt(22)
	v_mov_b32_e32 v185, v107
	ds_write2_b64 v155, v[182:183], v[184:185] offset0:16 offset1:17
	s_waitcnt vmcnt(21)
	v_mov_b32_e32 v182, v124
	s_waitcnt vmcnt(20)
	v_mov_b32_e32 v183, v125
	s_waitcnt vmcnt(19)
	v_mov_b32_e32 v184, v104
	s_waitcnt vmcnt(18)
	v_mov_b32_e32 v185, v105
	;; [unrolled: 9-line block ×4, first 2 shown]
	ds_write2_b64 v155, v[182:183], v[184:185] offset0:22 offset1:23
	s_waitcnt vmcnt(8)
	ds_write_b64 v155, v[140:141] offset:192
	ds_read_b32 v182, v153
	s_waitcnt lgkmcnt(0)
	v_cmp_neq_f32_e32 vcc, 0, v182
	s_and_saveexec_b64 s[4:5], vcc
	s_cbranch_execz .LBB99_150
; %bb.149:
	v_div_scale_f32 v183, s[10:11], v182, v182, 1.0
	v_rcp_f32_e32 v184, v183
	v_div_scale_f32 v185, vcc, 1.0, v182, 1.0
	v_fma_f32 v186, -v183, v184, 1.0
	v_fmac_f32_e32 v184, v186, v184
	v_mul_f32_e32 v186, v185, v184
	v_fma_f32 v187, -v183, v186, v185
	v_fmac_f32_e32 v186, v187, v184
	v_fma_f32 v183, -v183, v186, v185
	v_div_fmas_f32 v183, v183, v184, v186
	v_div_fixup_f32 v182, v183, v182, 1.0
	ds_write_b32 v153, v182
.LBB99_150:
	s_or_b64 exec, exec, s[4:5]
.LBB99_151:
	s_or_b64 exec, exec, s[2:3]
	s_waitcnt lgkmcnt(0)
	s_barrier
	ds_read_b32 v182, v153
	v_cmp_lt_u32_e32 vcc, 27, v151
	s_and_saveexec_b64 s[2:3], vcc
	s_cbranch_execz .LBB99_153
; %bb.152:
	ds_read2_b64 v[184:187], v155 offset0:14 offset1:15
	ds_read2_b64 v[188:191], v155 offset0:16 offset1:17
	;; [unrolled: 1-line block ×3, first 2 shown]
	s_waitcnt vmcnt(30) lgkmcnt(3)
	v_mul_f32_e32 v196, v182, v111
	v_mov_b32_e32 v111, v196
	s_waitcnt vmcnt(28) lgkmcnt(2)
	v_pk_fma_f32 v[128:129], v[196:197], v[184:185], v[128:129] op_sel_hi:[0,1,1] neg_lo:[1,0,0] neg_hi:[1,0,0]
	s_waitcnt vmcnt(26)
	v_pk_fma_f32 v[108:109], v[196:197], v[186:187], v[108:109] op_sel_hi:[0,1,1] neg_lo:[1,0,0] neg_hi:[1,0,0]
	s_waitcnt vmcnt(24) lgkmcnt(1)
	v_pk_fma_f32 v[126:127], v[196:197], v[188:189], v[126:127] op_sel_hi:[0,1,1] neg_lo:[1,0,0] neg_hi:[1,0,0]
	s_waitcnt vmcnt(22)
	v_pk_fma_f32 v[106:107], v[196:197], v[190:191], v[106:107] op_sel_hi:[0,1,1] neg_lo:[1,0,0] neg_hi:[1,0,0]
	ds_read2_b64 v[184:187], v155 offset0:20 offset1:21
	s_waitcnt vmcnt(20) lgkmcnt(1)
	v_pk_fma_f32 v[124:125], v[196:197], v[192:193], v[124:125] op_sel_hi:[0,1,1] neg_lo:[1,0,0] neg_hi:[1,0,0]
	ds_read2_b64 v[188:191], v155 offset0:22 offset1:23
	ds_read_b64 v[192:193], v155 offset:192
	s_waitcnt vmcnt(18)
	v_pk_fma_f32 v[104:105], v[196:197], v[194:195], v[104:105] op_sel_hi:[0,1,1] neg_lo:[1,0,0] neg_hi:[1,0,0]
	s_waitcnt vmcnt(16) lgkmcnt(2)
	v_pk_fma_f32 v[122:123], v[196:197], v[184:185], v[122:123] op_sel_hi:[0,1,1] neg_lo:[1,0,0] neg_hi:[1,0,0]
	s_waitcnt vmcnt(14)
	v_pk_fma_f32 v[102:103], v[196:197], v[186:187], v[102:103] op_sel_hi:[0,1,1] neg_lo:[1,0,0] neg_hi:[1,0,0]
	s_waitcnt vmcnt(12) lgkmcnt(1)
	v_pk_fma_f32 v[120:121], v[196:197], v[188:189], v[120:121] op_sel_hi:[0,1,1] neg_lo:[1,0,0] neg_hi:[1,0,0]
	;; [unrolled: 4-line block ×3, first 2 shown]
.LBB99_153:
	s_or_b64 exec, exec, s[2:3]
	v_cmp_eq_u32_e32 vcc, 28, v151
	s_waitcnt lgkmcnt(0)
	s_barrier
	s_and_saveexec_b64 s[2:3], vcc
	s_cbranch_execz .LBB99_156
; %bb.154:
	s_waitcnt vmcnt(26)
	v_pk_mov_b32 v[184:185], v[128:129], v[108:109] op_sel:[1,0]
	ds_write_b32 v153, v128
	ds_write2_b32 v155, v184, v185 offset0:29 offset1:30
	s_waitcnt vmcnt(24)
	v_pk_mov_b32 v[184:185], v[108:109], v[126:127] op_sel:[1,0]
	ds_write2_b32 v155, v184, v185 offset0:31 offset1:32
	s_waitcnt vmcnt(22)
	v_pk_mov_b32 v[184:185], v[126:127], v[106:107] op_sel:[1,0]
	ds_write2_b32 v155, v184, v185 offset0:33 offset1:34
	s_waitcnt vmcnt(20)
	v_pk_mov_b32 v[184:185], v[106:107], v[124:125] op_sel:[1,0]
	ds_write2_b32 v155, v184, v185 offset0:35 offset1:36
	s_waitcnt vmcnt(18)
	v_pk_mov_b32 v[184:185], v[124:125], v[104:105] op_sel:[1,0]
	ds_write2_b32 v155, v184, v185 offset0:37 offset1:38
	s_waitcnt vmcnt(16)
	v_pk_mov_b32 v[184:185], v[104:105], v[122:123] op_sel:[1,0]
	ds_write2_b32 v155, v184, v185 offset0:39 offset1:40
	s_waitcnt vmcnt(14)
	v_pk_mov_b32 v[184:185], v[122:123], v[102:103] op_sel:[1,0]
	ds_write2_b32 v155, v184, v185 offset0:41 offset1:42
	s_waitcnt vmcnt(12)
	v_pk_mov_b32 v[184:185], v[102:103], v[120:121] op_sel:[1,0]
	ds_write2_b32 v155, v184, v185 offset0:43 offset1:44
	s_waitcnt vmcnt(10)
	v_pk_mov_b32 v[184:185], v[120:121], v[100:101] op_sel:[1,0]
	ds_write2_b32 v155, v184, v185 offset0:45 offset1:46
	s_waitcnt vmcnt(8)
	v_pk_mov_b32 v[184:185], v[100:101], v[140:141] op_sel:[1,0]
	ds_write2_b32 v155, v184, v185 offset0:47 offset1:48
	ds_write_b32 v155, v141 offset:196
	ds_read_b32 v183, v153
	s_waitcnt lgkmcnt(0)
	v_cmp_neq_f32_e32 vcc, 0, v183
	s_and_b64 exec, exec, vcc
	s_cbranch_execz .LBB99_156
; %bb.155:
	v_div_scale_f32 v184, s[4:5], v183, v183, 1.0
	v_rcp_f32_e32 v185, v184
	v_div_scale_f32 v186, vcc, 1.0, v183, 1.0
	v_fma_f32 v187, -v184, v185, 1.0
	v_fmac_f32_e32 v185, v187, v185
	v_mul_f32_e32 v187, v186, v185
	v_fma_f32 v188, -v184, v187, v186
	v_fmac_f32_e32 v187, v188, v185
	v_fma_f32 v184, -v184, v187, v186
	v_div_fmas_f32 v184, v184, v185, v187
	v_div_fixup_f32 v183, v184, v183, 1.0
	ds_write_b32 v153, v183
.LBB99_156:
	s_or_b64 exec, exec, s[2:3]
	s_waitcnt lgkmcnt(0)
	s_barrier
	ds_read_b32 v183, v153
	v_cmp_lt_u32_e32 vcc, 28, v151
	s_and_saveexec_b64 s[2:3], vcc
	s_cbranch_execz .LBB99_158
; %bb.157:
	ds_read_b32 v192, v155 offset:116
	ds_read2_b64 v[184:187], v155 offset0:15 offset1:16
	ds_read2_b64 v[188:191], v155 offset0:17 offset1:18
	s_waitcnt vmcnt(29) lgkmcnt(3)
	v_mul_f32_e32 v128, v183, v128
	s_waitcnt vmcnt(28) lgkmcnt(2)
	v_fma_f32 v129, -v128, v192, v129
	s_waitcnt vmcnt(26) lgkmcnt(1)
	v_pk_fma_f32 v[108:109], v[128:129], v[184:185], v[108:109] op_sel_hi:[0,1,1] neg_lo:[1,0,0] neg_hi:[1,0,0]
	s_waitcnt vmcnt(24)
	v_pk_fma_f32 v[126:127], v[128:129], v[186:187], v[126:127] op_sel_hi:[0,1,1] neg_lo:[1,0,0] neg_hi:[1,0,0]
	ds_read2_b64 v[184:187], v155 offset0:19 offset1:20
	s_waitcnt vmcnt(22) lgkmcnt(1)
	v_pk_fma_f32 v[106:107], v[128:129], v[188:189], v[106:107] op_sel_hi:[0,1,1] neg_lo:[1,0,0] neg_hi:[1,0,0]
	ds_read2_b64 v[192:195], v155 offset0:21 offset1:22
	s_waitcnt vmcnt(20)
	v_pk_fma_f32 v[124:125], v[128:129], v[190:191], v[124:125] op_sel_hi:[0,1,1] neg_lo:[1,0,0] neg_hi:[1,0,0]
	ds_read2_b64 v[188:191], v155 offset0:23 offset1:24
	s_waitcnt vmcnt(18) lgkmcnt(2)
	v_pk_fma_f32 v[104:105], v[128:129], v[184:185], v[104:105] op_sel_hi:[0,1,1] neg_lo:[1,0,0] neg_hi:[1,0,0]
	s_waitcnt vmcnt(16)
	v_pk_fma_f32 v[122:123], v[128:129], v[186:187], v[122:123] op_sel_hi:[0,1,1] neg_lo:[1,0,0] neg_hi:[1,0,0]
	s_waitcnt vmcnt(14) lgkmcnt(1)
	v_pk_fma_f32 v[102:103], v[128:129], v[192:193], v[102:103] op_sel_hi:[0,1,1] neg_lo:[1,0,0] neg_hi:[1,0,0]
	s_waitcnt vmcnt(12)
	v_pk_fma_f32 v[120:121], v[128:129], v[194:195], v[120:121] op_sel_hi:[0,1,1] neg_lo:[1,0,0] neg_hi:[1,0,0]
	s_waitcnt vmcnt(10) lgkmcnt(0)
	v_pk_fma_f32 v[100:101], v[128:129], v[188:189], v[100:101] op_sel_hi:[0,1,1] neg_lo:[1,0,0] neg_hi:[1,0,0]
	s_waitcnt vmcnt(8)
	v_pk_fma_f32 v[140:141], v[128:129], v[190:191], v[140:141] op_sel_hi:[0,1,1] neg_lo:[1,0,0] neg_hi:[1,0,0]
.LBB99_158:
	s_or_b64 exec, exec, s[2:3]
	v_cmp_ne_u32_e32 vcc, 29, v151
	s_waitcnt lgkmcnt(0)
	s_barrier
	s_and_saveexec_b64 s[2:3], vcc
	s_xor_b64 s[2:3], exec, s[2:3]
	s_andn2_saveexec_b64 s[2:3], s[2:3]
	s_cbranch_execz .LBB99_162
; %bb.159:
	s_waitcnt vmcnt(28)
	ds_write_b32 v153, v129
	s_waitcnt vmcnt(24)
	ds_write2_b64 v155, v[108:109], v[126:127] offset0:15 offset1:16
	s_waitcnt vmcnt(20)
	ds_write2_b64 v155, v[106:107], v[124:125] offset0:17 offset1:18
	;; [unrolled: 2-line block ×5, first 2 shown]
	ds_read_b32 v184, v153
	s_waitcnt lgkmcnt(0)
	v_cmp_neq_f32_e32 vcc, 0, v184
	s_and_saveexec_b64 s[4:5], vcc
	s_cbranch_execz .LBB99_161
; %bb.160:
	v_div_scale_f32 v185, s[10:11], v184, v184, 1.0
	v_rcp_f32_e32 v186, v185
	v_div_scale_f32 v187, vcc, 1.0, v184, 1.0
	v_fma_f32 v188, -v185, v186, 1.0
	v_fmac_f32_e32 v186, v188, v186
	v_mul_f32_e32 v188, v187, v186
	v_fma_f32 v189, -v185, v188, v187
	v_fmac_f32_e32 v188, v189, v186
	v_fma_f32 v185, -v185, v188, v187
	v_div_fmas_f32 v185, v185, v186, v188
	v_div_fixup_f32 v184, v185, v184, 1.0
	ds_write_b32 v153, v184
.LBB99_161:
	s_or_b64 exec, exec, s[4:5]
.LBB99_162:
	s_or_b64 exec, exec, s[2:3]
	s_waitcnt lgkmcnt(0)
	s_barrier
	ds_read_b32 v184, v153
	v_cmp_lt_u32_e32 vcc, 29, v151
	s_and_saveexec_b64 s[2:3], vcc
	s_cbranch_execz .LBB99_164
; %bb.163:
	ds_read2_b64 v[186:189], v155 offset0:15 offset1:16
	ds_read2_b64 v[190:193], v155 offset0:17 offset1:18
	s_waitcnt vmcnt(28) lgkmcnt(2)
	v_mul_f32_e32 v198, v184, v129
	ds_read2_b64 v[194:197], v155 offset0:19 offset1:20
	v_mov_b32_e32 v129, v198
	s_waitcnt vmcnt(26) lgkmcnt(2)
	v_pk_fma_f32 v[108:109], v[198:199], v[186:187], v[108:109] op_sel_hi:[0,1,1] neg_lo:[1,0,0] neg_hi:[1,0,0]
	s_waitcnt vmcnt(24)
	v_pk_fma_f32 v[126:127], v[198:199], v[188:189], v[126:127] op_sel_hi:[0,1,1] neg_lo:[1,0,0] neg_hi:[1,0,0]
	s_waitcnt vmcnt(22) lgkmcnt(1)
	v_pk_fma_f32 v[106:107], v[198:199], v[190:191], v[106:107] op_sel_hi:[0,1,1] neg_lo:[1,0,0] neg_hi:[1,0,0]
	ds_read2_b64 v[186:189], v155 offset0:21 offset1:22
	s_waitcnt vmcnt(20)
	v_pk_fma_f32 v[124:125], v[198:199], v[192:193], v[124:125] op_sel_hi:[0,1,1] neg_lo:[1,0,0] neg_hi:[1,0,0]
	ds_read2_b64 v[190:193], v155 offset0:23 offset1:24
	s_waitcnt vmcnt(18) lgkmcnt(2)
	v_pk_fma_f32 v[104:105], v[198:199], v[194:195], v[104:105] op_sel_hi:[0,1,1] neg_lo:[1,0,0] neg_hi:[1,0,0]
	s_waitcnt vmcnt(16)
	v_pk_fma_f32 v[122:123], v[198:199], v[196:197], v[122:123] op_sel_hi:[0,1,1] neg_lo:[1,0,0] neg_hi:[1,0,0]
	s_waitcnt vmcnt(14) lgkmcnt(1)
	v_pk_fma_f32 v[102:103], v[198:199], v[186:187], v[102:103] op_sel_hi:[0,1,1] neg_lo:[1,0,0] neg_hi:[1,0,0]
	s_waitcnt vmcnt(12)
	v_pk_fma_f32 v[120:121], v[198:199], v[188:189], v[120:121] op_sel_hi:[0,1,1] neg_lo:[1,0,0] neg_hi:[1,0,0]
	;; [unrolled: 4-line block ×3, first 2 shown]
.LBB99_164:
	s_or_b64 exec, exec, s[2:3]
	v_cmp_eq_u32_e32 vcc, 30, v151
	s_waitcnt lgkmcnt(0)
	s_barrier
	s_and_saveexec_b64 s[2:3], vcc
	s_cbranch_execz .LBB99_167
; %bb.165:
	s_waitcnt vmcnt(24)
	v_pk_mov_b32 v[186:187], v[108:109], v[126:127] op_sel:[1,0]
	ds_write_b32 v153, v108
	ds_write2_b32 v155, v186, v187 offset0:31 offset1:32
	s_waitcnt vmcnt(22)
	v_pk_mov_b32 v[186:187], v[126:127], v[106:107] op_sel:[1,0]
	ds_write2_b32 v155, v186, v187 offset0:33 offset1:34
	s_waitcnt vmcnt(20)
	v_pk_mov_b32 v[186:187], v[106:107], v[124:125] op_sel:[1,0]
	;; [unrolled: 3-line block ×8, first 2 shown]
	ds_write2_b32 v155, v186, v187 offset0:47 offset1:48
	ds_write_b32 v155, v141 offset:196
	ds_read_b32 v185, v153
	s_waitcnt lgkmcnt(0)
	v_cmp_neq_f32_e32 vcc, 0, v185
	s_and_b64 exec, exec, vcc
	s_cbranch_execz .LBB99_167
; %bb.166:
	v_div_scale_f32 v186, s[4:5], v185, v185, 1.0
	v_rcp_f32_e32 v187, v186
	v_div_scale_f32 v188, vcc, 1.0, v185, 1.0
	v_fma_f32 v189, -v186, v187, 1.0
	v_fmac_f32_e32 v187, v189, v187
	v_mul_f32_e32 v189, v188, v187
	v_fma_f32 v190, -v186, v189, v188
	v_fmac_f32_e32 v189, v190, v187
	v_fma_f32 v186, -v186, v189, v188
	v_div_fmas_f32 v186, v186, v187, v189
	v_div_fixup_f32 v185, v186, v185, 1.0
	ds_write_b32 v153, v185
.LBB99_167:
	s_or_b64 exec, exec, s[2:3]
	s_waitcnt lgkmcnt(0)
	s_barrier
	ds_read_b32 v185, v153
	v_cmp_lt_u32_e32 vcc, 30, v151
	s_and_saveexec_b64 s[2:3], vcc
	s_cbranch_execz .LBB99_169
; %bb.168:
	ds_read_b32 v194, v155 offset:124
	ds_read2_b64 v[186:189], v155 offset0:16 offset1:17
	ds_read2_b64 v[190:193], v155 offset0:18 offset1:19
	s_waitcnt vmcnt(27) lgkmcnt(3)
	v_mul_f32_e32 v108, v185, v108
	s_waitcnt vmcnt(26) lgkmcnt(2)
	v_fma_f32 v109, -v108, v194, v109
	s_waitcnt vmcnt(24) lgkmcnt(1)
	v_pk_fma_f32 v[126:127], v[108:109], v[186:187], v[126:127] op_sel_hi:[0,1,1] neg_lo:[1,0,0] neg_hi:[1,0,0]
	s_waitcnt vmcnt(22)
	v_pk_fma_f32 v[106:107], v[108:109], v[188:189], v[106:107] op_sel_hi:[0,1,1] neg_lo:[1,0,0] neg_hi:[1,0,0]
	ds_read2_b64 v[186:189], v155 offset0:20 offset1:21
	s_waitcnt vmcnt(20) lgkmcnt(1)
	v_pk_fma_f32 v[124:125], v[108:109], v[190:191], v[124:125] op_sel_hi:[0,1,1] neg_lo:[1,0,0] neg_hi:[1,0,0]
	ds_read2_b64 v[194:197], v155 offset0:22 offset1:23
	ds_read_b64 v[190:191], v155 offset:192
	s_waitcnt vmcnt(18)
	v_pk_fma_f32 v[104:105], v[108:109], v[192:193], v[104:105] op_sel_hi:[0,1,1] neg_lo:[1,0,0] neg_hi:[1,0,0]
	s_waitcnt vmcnt(16) lgkmcnt(2)
	v_pk_fma_f32 v[122:123], v[108:109], v[186:187], v[122:123] op_sel_hi:[0,1,1] neg_lo:[1,0,0] neg_hi:[1,0,0]
	s_waitcnt vmcnt(14)
	v_pk_fma_f32 v[102:103], v[108:109], v[188:189], v[102:103] op_sel_hi:[0,1,1] neg_lo:[1,0,0] neg_hi:[1,0,0]
	s_waitcnt vmcnt(12) lgkmcnt(1)
	v_pk_fma_f32 v[120:121], v[108:109], v[194:195], v[120:121] op_sel_hi:[0,1,1] neg_lo:[1,0,0] neg_hi:[1,0,0]
	;; [unrolled: 4-line block ×3, first 2 shown]
.LBB99_169:
	s_or_b64 exec, exec, s[2:3]
	v_cmp_ne_u32_e32 vcc, 31, v151
	s_waitcnt lgkmcnt(0)
	s_barrier
	s_and_saveexec_b64 s[2:3], vcc
	s_xor_b64 s[2:3], exec, s[2:3]
	s_andn2_saveexec_b64 s[2:3], s[2:3]
	s_cbranch_execz .LBB99_173
; %bb.170:
	s_waitcnt vmcnt(25)
	v_mov_b32_e32 v186, v126
	s_waitcnt vmcnt(24)
	v_mov_b32_e32 v187, v127
	;; [unrolled: 2-line block ×4, first 2 shown]
	ds_write_b32 v153, v109
	ds_write2_b64 v155, v[186:187], v[188:189] offset0:16 offset1:17
	s_waitcnt vmcnt(21)
	v_mov_b32_e32 v186, v124
	s_waitcnt vmcnt(20)
	v_mov_b32_e32 v187, v125
	s_waitcnt vmcnt(19)
	v_mov_b32_e32 v188, v104
	s_waitcnt vmcnt(18)
	v_mov_b32_e32 v189, v105
	ds_write2_b64 v155, v[186:187], v[188:189] offset0:18 offset1:19
	s_waitcnt vmcnt(17)
	v_mov_b32_e32 v186, v122
	s_waitcnt vmcnt(16)
	v_mov_b32_e32 v187, v123
	s_waitcnt vmcnt(15)
	v_mov_b32_e32 v188, v102
	s_waitcnt vmcnt(14)
	v_mov_b32_e32 v189, v103
	;; [unrolled: 9-line block ×3, first 2 shown]
	ds_write2_b64 v155, v[186:187], v[188:189] offset0:22 offset1:23
	s_waitcnt vmcnt(8)
	ds_write_b64 v155, v[140:141] offset:192
	ds_read_b32 v186, v153
	s_waitcnt lgkmcnt(0)
	v_cmp_neq_f32_e32 vcc, 0, v186
	s_and_saveexec_b64 s[4:5], vcc
	s_cbranch_execz .LBB99_172
; %bb.171:
	v_div_scale_f32 v187, s[10:11], v186, v186, 1.0
	v_rcp_f32_e32 v188, v187
	v_div_scale_f32 v189, vcc, 1.0, v186, 1.0
	v_fma_f32 v190, -v187, v188, 1.0
	v_fmac_f32_e32 v188, v190, v188
	v_mul_f32_e32 v190, v189, v188
	v_fma_f32 v191, -v187, v190, v189
	v_fmac_f32_e32 v190, v191, v188
	v_fma_f32 v187, -v187, v190, v189
	v_div_fmas_f32 v187, v187, v188, v190
	v_div_fixup_f32 v186, v187, v186, 1.0
	ds_write_b32 v153, v186
.LBB99_172:
	s_or_b64 exec, exec, s[4:5]
.LBB99_173:
	s_or_b64 exec, exec, s[2:3]
	s_waitcnt lgkmcnt(0)
	s_barrier
	ds_read_b32 v186, v153
	v_cmp_lt_u32_e32 vcc, 31, v151
	s_and_saveexec_b64 s[2:3], vcc
	s_cbranch_execz .LBB99_175
; %bb.174:
	ds_read2_b64 v[188:191], v155 offset0:16 offset1:17
	ds_read2_b64 v[192:195], v155 offset0:18 offset1:19
	s_waitcnt vmcnt(26) lgkmcnt(2)
	v_mul_f32_e32 v200, v186, v109
	ds_read2_b64 v[196:199], v155 offset0:20 offset1:21
	v_mov_b32_e32 v109, v200
	s_waitcnt vmcnt(24) lgkmcnt(2)
	v_pk_fma_f32 v[126:127], v[200:201], v[188:189], v[126:127] op_sel_hi:[0,1,1] neg_lo:[1,0,0] neg_hi:[1,0,0]
	s_waitcnt vmcnt(22)
	v_pk_fma_f32 v[106:107], v[200:201], v[190:191], v[106:107] op_sel_hi:[0,1,1] neg_lo:[1,0,0] neg_hi:[1,0,0]
	s_waitcnt vmcnt(20) lgkmcnt(1)
	v_pk_fma_f32 v[124:125], v[200:201], v[192:193], v[124:125] op_sel_hi:[0,1,1] neg_lo:[1,0,0] neg_hi:[1,0,0]
	ds_read2_b64 v[188:191], v155 offset0:22 offset1:23
	ds_read_b64 v[192:193], v155 offset:192
	s_waitcnt vmcnt(18)
	v_pk_fma_f32 v[104:105], v[200:201], v[194:195], v[104:105] op_sel_hi:[0,1,1] neg_lo:[1,0,0] neg_hi:[1,0,0]
	s_waitcnt vmcnt(16) lgkmcnt(2)
	v_pk_fma_f32 v[122:123], v[200:201], v[196:197], v[122:123] op_sel_hi:[0,1,1] neg_lo:[1,0,0] neg_hi:[1,0,0]
	s_waitcnt vmcnt(14)
	v_pk_fma_f32 v[102:103], v[200:201], v[198:199], v[102:103] op_sel_hi:[0,1,1] neg_lo:[1,0,0] neg_hi:[1,0,0]
	s_waitcnt vmcnt(12) lgkmcnt(1)
	v_pk_fma_f32 v[120:121], v[200:201], v[188:189], v[120:121] op_sel_hi:[0,1,1] neg_lo:[1,0,0] neg_hi:[1,0,0]
	s_waitcnt vmcnt(10)
	v_pk_fma_f32 v[100:101], v[200:201], v[190:191], v[100:101] op_sel_hi:[0,1,1] neg_lo:[1,0,0] neg_hi:[1,0,0]
	s_waitcnt vmcnt(8) lgkmcnt(0)
	v_pk_fma_f32 v[140:141], v[200:201], v[192:193], v[140:141] op_sel_hi:[0,1,1] neg_lo:[1,0,0] neg_hi:[1,0,0]
.LBB99_175:
	s_or_b64 exec, exec, s[2:3]
	v_cmp_eq_u32_e32 vcc, 32, v151
	s_waitcnt lgkmcnt(0)
	s_barrier
	s_and_saveexec_b64 s[2:3], vcc
	s_cbranch_execz .LBB99_178
; %bb.176:
	s_waitcnt vmcnt(22)
	v_pk_mov_b32 v[188:189], v[126:127], v[106:107] op_sel:[1,0]
	ds_write_b32 v153, v126
	ds_write2_b32 v155, v188, v189 offset0:33 offset1:34
	s_waitcnt vmcnt(20)
	v_pk_mov_b32 v[188:189], v[106:107], v[124:125] op_sel:[1,0]
	ds_write2_b32 v155, v188, v189 offset0:35 offset1:36
	s_waitcnt vmcnt(18)
	v_pk_mov_b32 v[188:189], v[124:125], v[104:105] op_sel:[1,0]
	;; [unrolled: 3-line block ×7, first 2 shown]
	ds_write2_b32 v155, v188, v189 offset0:47 offset1:48
	ds_write_b32 v155, v141 offset:196
	ds_read_b32 v187, v153
	s_waitcnt lgkmcnt(0)
	v_cmp_neq_f32_e32 vcc, 0, v187
	s_and_b64 exec, exec, vcc
	s_cbranch_execz .LBB99_178
; %bb.177:
	v_div_scale_f32 v188, s[4:5], v187, v187, 1.0
	v_rcp_f32_e32 v189, v188
	v_div_scale_f32 v190, vcc, 1.0, v187, 1.0
	v_fma_f32 v191, -v188, v189, 1.0
	v_fmac_f32_e32 v189, v191, v189
	v_mul_f32_e32 v191, v190, v189
	v_fma_f32 v192, -v188, v191, v190
	v_fmac_f32_e32 v191, v192, v189
	v_fma_f32 v188, -v188, v191, v190
	v_div_fmas_f32 v188, v188, v189, v191
	v_div_fixup_f32 v187, v188, v187, 1.0
	ds_write_b32 v153, v187
.LBB99_178:
	s_or_b64 exec, exec, s[2:3]
	s_waitcnt lgkmcnt(0)
	s_barrier
	ds_read_b32 v187, v153
	v_cmp_lt_u32_e32 vcc, 32, v151
	s_and_saveexec_b64 s[2:3], vcc
	s_cbranch_execz .LBB99_180
; %bb.179:
	ds_read_b32 v200, v155 offset:132
	ds_read2_b64 v[188:191], v155 offset0:17 offset1:18
	s_waitcnt vmcnt(25) lgkmcnt(2)
	v_mul_f32_e32 v126, v187, v126
	ds_read2_b64 v[192:195], v155 offset0:19 offset1:20
	ds_read2_b64 v[196:199], v155 offset0:21 offset1:22
	s_waitcnt vmcnt(24) lgkmcnt(3)
	v_fma_f32 v127, -v126, v200, v127
	s_waitcnt vmcnt(22) lgkmcnt(2)
	v_pk_fma_f32 v[106:107], v[126:127], v[188:189], v[106:107] op_sel_hi:[0,1,1] neg_lo:[1,0,0] neg_hi:[1,0,0]
	s_waitcnt vmcnt(20)
	v_pk_fma_f32 v[124:125], v[126:127], v[190:191], v[124:125] op_sel_hi:[0,1,1] neg_lo:[1,0,0] neg_hi:[1,0,0]
	ds_read2_b64 v[188:191], v155 offset0:23 offset1:24
	s_waitcnt vmcnt(18) lgkmcnt(2)
	v_pk_fma_f32 v[104:105], v[126:127], v[192:193], v[104:105] op_sel_hi:[0,1,1] neg_lo:[1,0,0] neg_hi:[1,0,0]
	s_waitcnt vmcnt(16)
	v_pk_fma_f32 v[122:123], v[126:127], v[194:195], v[122:123] op_sel_hi:[0,1,1] neg_lo:[1,0,0] neg_hi:[1,0,0]
	s_waitcnt vmcnt(14) lgkmcnt(1)
	v_pk_fma_f32 v[102:103], v[126:127], v[196:197], v[102:103] op_sel_hi:[0,1,1] neg_lo:[1,0,0] neg_hi:[1,0,0]
	s_waitcnt vmcnt(12)
	v_pk_fma_f32 v[120:121], v[126:127], v[198:199], v[120:121] op_sel_hi:[0,1,1] neg_lo:[1,0,0] neg_hi:[1,0,0]
	s_waitcnt vmcnt(10) lgkmcnt(0)
	v_pk_fma_f32 v[100:101], v[126:127], v[188:189], v[100:101] op_sel_hi:[0,1,1] neg_lo:[1,0,0] neg_hi:[1,0,0]
	s_waitcnt vmcnt(8)
	v_pk_fma_f32 v[140:141], v[126:127], v[190:191], v[140:141] op_sel_hi:[0,1,1] neg_lo:[1,0,0] neg_hi:[1,0,0]
.LBB99_180:
	s_or_b64 exec, exec, s[2:3]
	v_cmp_ne_u32_e32 vcc, 33, v151
	s_waitcnt lgkmcnt(0)
	s_barrier
	s_and_saveexec_b64 s[2:3], vcc
	s_xor_b64 s[2:3], exec, s[2:3]
	s_andn2_saveexec_b64 s[2:3], s[2:3]
	s_cbranch_execz .LBB99_184
; %bb.181:
	s_waitcnt vmcnt(24)
	ds_write_b32 v153, v127
	s_waitcnt vmcnt(20)
	ds_write2_b64 v155, v[106:107], v[124:125] offset0:17 offset1:18
	s_waitcnt vmcnt(16)
	ds_write2_b64 v155, v[104:105], v[122:123] offset0:19 offset1:20
	;; [unrolled: 2-line block ×4, first 2 shown]
	ds_read_b32 v188, v153
	s_waitcnt lgkmcnt(0)
	v_cmp_neq_f32_e32 vcc, 0, v188
	s_and_saveexec_b64 s[4:5], vcc
	s_cbranch_execz .LBB99_183
; %bb.182:
	v_div_scale_f32 v189, s[10:11], v188, v188, 1.0
	v_rcp_f32_e32 v190, v189
	v_div_scale_f32 v191, vcc, 1.0, v188, 1.0
	v_fma_f32 v192, -v189, v190, 1.0
	v_fmac_f32_e32 v190, v192, v190
	v_mul_f32_e32 v192, v191, v190
	v_fma_f32 v193, -v189, v192, v191
	v_fmac_f32_e32 v192, v193, v190
	v_fma_f32 v189, -v189, v192, v191
	v_div_fmas_f32 v189, v189, v190, v192
	v_div_fixup_f32 v188, v189, v188, 1.0
	ds_write_b32 v153, v188
.LBB99_183:
	s_or_b64 exec, exec, s[4:5]
.LBB99_184:
	s_or_b64 exec, exec, s[2:3]
	s_waitcnt lgkmcnt(0)
	s_barrier
	ds_read_b32 v188, v153
	v_cmp_lt_u32_e32 vcc, 33, v151
	s_and_saveexec_b64 s[2:3], vcc
	s_cbranch_execz .LBB99_186
; %bb.185:
	ds_read2_b64 v[190:193], v155 offset0:17 offset1:18
	s_waitcnt vmcnt(24) lgkmcnt(1)
	v_mul_f32_e32 v202, v188, v127
	ds_read2_b64 v[194:197], v155 offset0:19 offset1:20
	ds_read2_b64 v[198:201], v155 offset0:21 offset1:22
	v_mov_b32_e32 v127, v202
	s_waitcnt vmcnt(22) lgkmcnt(2)
	v_pk_fma_f32 v[106:107], v[202:203], v[190:191], v[106:107] op_sel_hi:[0,1,1] neg_lo:[1,0,0] neg_hi:[1,0,0]
	s_waitcnt vmcnt(20)
	v_pk_fma_f32 v[124:125], v[202:203], v[192:193], v[124:125] op_sel_hi:[0,1,1] neg_lo:[1,0,0] neg_hi:[1,0,0]
	ds_read2_b64 v[190:193], v155 offset0:23 offset1:24
	s_waitcnt vmcnt(18) lgkmcnt(2)
	v_pk_fma_f32 v[104:105], v[202:203], v[194:195], v[104:105] op_sel_hi:[0,1,1] neg_lo:[1,0,0] neg_hi:[1,0,0]
	s_waitcnt vmcnt(16)
	v_pk_fma_f32 v[122:123], v[202:203], v[196:197], v[122:123] op_sel_hi:[0,1,1] neg_lo:[1,0,0] neg_hi:[1,0,0]
	s_waitcnt vmcnt(14) lgkmcnt(1)
	v_pk_fma_f32 v[102:103], v[202:203], v[198:199], v[102:103] op_sel_hi:[0,1,1] neg_lo:[1,0,0] neg_hi:[1,0,0]
	s_waitcnt vmcnt(12)
	v_pk_fma_f32 v[120:121], v[202:203], v[200:201], v[120:121] op_sel_hi:[0,1,1] neg_lo:[1,0,0] neg_hi:[1,0,0]
	;; [unrolled: 4-line block ×3, first 2 shown]
.LBB99_186:
	s_or_b64 exec, exec, s[2:3]
	v_cmp_eq_u32_e32 vcc, 34, v151
	s_waitcnt lgkmcnt(0)
	s_barrier
	s_and_saveexec_b64 s[2:3], vcc
	s_cbranch_execz .LBB99_189
; %bb.187:
	s_waitcnt vmcnt(20)
	v_pk_mov_b32 v[190:191], v[106:107], v[124:125] op_sel:[1,0]
	ds_write_b32 v153, v106
	ds_write2_b32 v155, v190, v191 offset0:35 offset1:36
	s_waitcnt vmcnt(18)
	v_pk_mov_b32 v[190:191], v[124:125], v[104:105] op_sel:[1,0]
	ds_write2_b32 v155, v190, v191 offset0:37 offset1:38
	s_waitcnt vmcnt(16)
	v_pk_mov_b32 v[190:191], v[104:105], v[122:123] op_sel:[1,0]
	;; [unrolled: 3-line block ×6, first 2 shown]
	ds_write2_b32 v155, v190, v191 offset0:47 offset1:48
	ds_write_b32 v155, v141 offset:196
	ds_read_b32 v189, v153
	s_waitcnt lgkmcnt(0)
	v_cmp_neq_f32_e32 vcc, 0, v189
	s_and_b64 exec, exec, vcc
	s_cbranch_execz .LBB99_189
; %bb.188:
	v_div_scale_f32 v190, s[4:5], v189, v189, 1.0
	v_rcp_f32_e32 v191, v190
	v_div_scale_f32 v192, vcc, 1.0, v189, 1.0
	v_fma_f32 v193, -v190, v191, 1.0
	v_fmac_f32_e32 v191, v193, v191
	v_mul_f32_e32 v193, v192, v191
	v_fma_f32 v194, -v190, v193, v192
	v_fmac_f32_e32 v193, v194, v191
	v_fma_f32 v190, -v190, v193, v192
	v_div_fmas_f32 v190, v190, v191, v193
	v_div_fixup_f32 v189, v190, v189, 1.0
	ds_write_b32 v153, v189
.LBB99_189:
	s_or_b64 exec, exec, s[2:3]
	s_waitcnt lgkmcnt(0)
	s_barrier
	ds_read_b32 v189, v153
	v_cmp_lt_u32_e32 vcc, 34, v151
	s_and_saveexec_b64 s[2:3], vcc
	s_cbranch_execz .LBB99_191
; %bb.190:
	ds_read_b32 v198, v155 offset:140
	s_waitcnt vmcnt(23) lgkmcnt(1)
	v_mul_f32_e32 v106, v189, v106
	ds_read2_b64 v[190:193], v155 offset0:18 offset1:19
	ds_read_b64 v[202:203], v155 offset:192
	ds_read2_b64 v[194:197], v155 offset0:20 offset1:21
	s_waitcnt vmcnt(22) lgkmcnt(3)
	v_fma_f32 v107, -v106, v198, v107
	ds_read2_b64 v[198:201], v155 offset0:22 offset1:23
	s_waitcnt vmcnt(20) lgkmcnt(3)
	v_pk_fma_f32 v[124:125], v[106:107], v[190:191], v[124:125] op_sel_hi:[0,1,1] neg_lo:[1,0,0] neg_hi:[1,0,0]
	s_waitcnt vmcnt(18)
	v_pk_fma_f32 v[104:105], v[106:107], v[192:193], v[104:105] op_sel_hi:[0,1,1] neg_lo:[1,0,0] neg_hi:[1,0,0]
	s_waitcnt vmcnt(16) lgkmcnt(1)
	v_pk_fma_f32 v[122:123], v[106:107], v[194:195], v[122:123] op_sel_hi:[0,1,1] neg_lo:[1,0,0] neg_hi:[1,0,0]
	s_waitcnt vmcnt(14)
	v_pk_fma_f32 v[102:103], v[106:107], v[196:197], v[102:103] op_sel_hi:[0,1,1] neg_lo:[1,0,0] neg_hi:[1,0,0]
	;; [unrolled: 4-line block ×3, first 2 shown]
	s_waitcnt vmcnt(8)
	v_pk_fma_f32 v[140:141], v[106:107], v[202:203], v[140:141] op_sel_hi:[0,1,1] neg_lo:[1,0,0] neg_hi:[1,0,0]
.LBB99_191:
	s_or_b64 exec, exec, s[2:3]
	v_cmp_ne_u32_e32 vcc, 35, v151
	s_waitcnt lgkmcnt(0)
	s_barrier
	s_and_saveexec_b64 s[2:3], vcc
	s_xor_b64 s[2:3], exec, s[2:3]
	s_andn2_saveexec_b64 s[2:3], s[2:3]
	s_cbranch_execz .LBB99_195
; %bb.192:
	s_waitcnt vmcnt(21)
	v_mov_b32_e32 v190, v124
	s_waitcnt vmcnt(20)
	v_mov_b32_e32 v191, v125
	;; [unrolled: 2-line block ×4, first 2 shown]
	ds_write_b32 v153, v107
	ds_write2_b64 v155, v[190:191], v[192:193] offset0:18 offset1:19
	s_waitcnt vmcnt(17)
	v_mov_b32_e32 v190, v122
	s_waitcnt vmcnt(16)
	v_mov_b32_e32 v191, v123
	;; [unrolled: 2-line block ×4, first 2 shown]
	ds_write2_b64 v155, v[190:191], v[192:193] offset0:20 offset1:21
	s_waitcnt vmcnt(13)
	v_mov_b32_e32 v190, v120
	s_waitcnt vmcnt(12)
	v_mov_b32_e32 v191, v121
	;; [unrolled: 2-line block ×4, first 2 shown]
	ds_write2_b64 v155, v[190:191], v[192:193] offset0:22 offset1:23
	s_waitcnt vmcnt(8)
	ds_write_b64 v155, v[140:141] offset:192
	ds_read_b32 v190, v153
	s_waitcnt lgkmcnt(0)
	v_cmp_neq_f32_e32 vcc, 0, v190
	s_and_saveexec_b64 s[4:5], vcc
	s_cbranch_execz .LBB99_194
; %bb.193:
	v_div_scale_f32 v191, s[10:11], v190, v190, 1.0
	v_rcp_f32_e32 v192, v191
	v_div_scale_f32 v193, vcc, 1.0, v190, 1.0
	v_fma_f32 v194, -v191, v192, 1.0
	v_fmac_f32_e32 v192, v194, v192
	v_mul_f32_e32 v194, v193, v192
	v_fma_f32 v195, -v191, v194, v193
	v_fmac_f32_e32 v194, v195, v192
	v_fma_f32 v191, -v191, v194, v193
	v_div_fmas_f32 v191, v191, v192, v194
	v_div_fixup_f32 v190, v191, v190, 1.0
	ds_write_b32 v153, v190
.LBB99_194:
	s_or_b64 exec, exec, s[4:5]
.LBB99_195:
	s_or_b64 exec, exec, s[2:3]
	s_waitcnt lgkmcnt(0)
	s_barrier
	ds_read_b32 v190, v153
	v_cmp_lt_u32_e32 vcc, 35, v151
	s_and_saveexec_b64 s[2:3], vcc
	s_cbranch_execz .LBB99_197
; %bb.196:
	ds_read2_b64 v[192:195], v155 offset0:18 offset1:19
	s_waitcnt vmcnt(22) lgkmcnt(1)
	v_mul_f32_e32 v204, v190, v107
	ds_read2_b64 v[196:199], v155 offset0:20 offset1:21
	ds_read2_b64 v[200:203], v155 offset0:22 offset1:23
	v_mov_b32_e32 v107, v204
	s_waitcnt vmcnt(20) lgkmcnt(2)
	v_pk_fma_f32 v[124:125], v[204:205], v[192:193], v[124:125] op_sel_hi:[0,1,1] neg_lo:[1,0,0] neg_hi:[1,0,0]
	ds_read_b64 v[192:193], v155 offset:192
	s_waitcnt vmcnt(18)
	v_pk_fma_f32 v[104:105], v[204:205], v[194:195], v[104:105] op_sel_hi:[0,1,1] neg_lo:[1,0,0] neg_hi:[1,0,0]
	s_waitcnt vmcnt(16) lgkmcnt(2)
	v_pk_fma_f32 v[122:123], v[204:205], v[196:197], v[122:123] op_sel_hi:[0,1,1] neg_lo:[1,0,0] neg_hi:[1,0,0]
	s_waitcnt vmcnt(14)
	v_pk_fma_f32 v[102:103], v[204:205], v[198:199], v[102:103] op_sel_hi:[0,1,1] neg_lo:[1,0,0] neg_hi:[1,0,0]
	s_waitcnt vmcnt(12) lgkmcnt(1)
	v_pk_fma_f32 v[120:121], v[204:205], v[200:201], v[120:121] op_sel_hi:[0,1,1] neg_lo:[1,0,0] neg_hi:[1,0,0]
	;; [unrolled: 4-line block ×3, first 2 shown]
.LBB99_197:
	s_or_b64 exec, exec, s[2:3]
	v_cmp_eq_u32_e32 vcc, 36, v151
	s_waitcnt lgkmcnt(0)
	s_barrier
	s_and_saveexec_b64 s[2:3], vcc
	s_cbranch_execz .LBB99_200
; %bb.198:
	s_waitcnt vmcnt(18)
	v_pk_mov_b32 v[192:193], v[124:125], v[104:105] op_sel:[1,0]
	ds_write_b32 v153, v124
	ds_write2_b32 v155, v192, v193 offset0:37 offset1:38
	s_waitcnt vmcnt(16)
	v_pk_mov_b32 v[192:193], v[104:105], v[122:123] op_sel:[1,0]
	ds_write2_b32 v155, v192, v193 offset0:39 offset1:40
	s_waitcnt vmcnt(14)
	v_pk_mov_b32 v[192:193], v[122:123], v[102:103] op_sel:[1,0]
	;; [unrolled: 3-line block ×5, first 2 shown]
	ds_write2_b32 v155, v192, v193 offset0:47 offset1:48
	ds_write_b32 v155, v141 offset:196
	ds_read_b32 v191, v153
	s_waitcnt lgkmcnt(0)
	v_cmp_neq_f32_e32 vcc, 0, v191
	s_and_b64 exec, exec, vcc
	s_cbranch_execz .LBB99_200
; %bb.199:
	v_div_scale_f32 v192, s[4:5], v191, v191, 1.0
	v_rcp_f32_e32 v193, v192
	v_div_scale_f32 v194, vcc, 1.0, v191, 1.0
	v_fma_f32 v195, -v192, v193, 1.0
	v_fmac_f32_e32 v193, v195, v193
	v_mul_f32_e32 v195, v194, v193
	v_fma_f32 v196, -v192, v195, v194
	v_fmac_f32_e32 v195, v196, v193
	v_fma_f32 v192, -v192, v195, v194
	v_div_fmas_f32 v192, v192, v193, v195
	v_div_fixup_f32 v191, v192, v191, 1.0
	ds_write_b32 v153, v191
.LBB99_200:
	s_or_b64 exec, exec, s[2:3]
	s_waitcnt lgkmcnt(0)
	s_barrier
	ds_read_b32 v191, v153
	v_cmp_lt_u32_e32 vcc, 36, v151
	s_and_saveexec_b64 s[2:3], vcc
	s_cbranch_execz .LBB99_202
; %bb.201:
	ds_read_b32 v204, v155 offset:148
	ds_read2_b64 v[192:195], v155 offset0:19 offset1:20
	ds_read2_b64 v[196:199], v155 offset0:21 offset1:22
	;; [unrolled: 1-line block ×3, first 2 shown]
	s_waitcnt vmcnt(21) lgkmcnt(4)
	v_mul_f32_e32 v124, v191, v124
	s_waitcnt vmcnt(20) lgkmcnt(3)
	v_fma_f32 v125, -v124, v204, v125
	s_waitcnt vmcnt(18) lgkmcnt(2)
	v_pk_fma_f32 v[104:105], v[124:125], v[192:193], v[104:105] op_sel_hi:[0,1,1] neg_lo:[1,0,0] neg_hi:[1,0,0]
	s_waitcnt vmcnt(16)
	v_pk_fma_f32 v[122:123], v[124:125], v[194:195], v[122:123] op_sel_hi:[0,1,1] neg_lo:[1,0,0] neg_hi:[1,0,0]
	s_waitcnt vmcnt(14) lgkmcnt(1)
	v_pk_fma_f32 v[102:103], v[124:125], v[196:197], v[102:103] op_sel_hi:[0,1,1] neg_lo:[1,0,0] neg_hi:[1,0,0]
	s_waitcnt vmcnt(12)
	v_pk_fma_f32 v[120:121], v[124:125], v[198:199], v[120:121] op_sel_hi:[0,1,1] neg_lo:[1,0,0] neg_hi:[1,0,0]
	;; [unrolled: 4-line block ×3, first 2 shown]
.LBB99_202:
	s_or_b64 exec, exec, s[2:3]
	v_cmp_ne_u32_e32 vcc, 37, v151
	s_waitcnt lgkmcnt(0)
	s_barrier
	s_and_saveexec_b64 s[2:3], vcc
	s_xor_b64 s[2:3], exec, s[2:3]
	s_andn2_saveexec_b64 s[2:3], s[2:3]
	s_cbranch_execz .LBB99_206
; %bb.203:
	s_waitcnt vmcnt(20)
	ds_write_b32 v153, v125
	s_waitcnt vmcnt(16)
	ds_write2_b64 v155, v[104:105], v[122:123] offset0:19 offset1:20
	s_waitcnt vmcnt(12)
	ds_write2_b64 v155, v[102:103], v[120:121] offset0:21 offset1:22
	;; [unrolled: 2-line block ×3, first 2 shown]
	ds_read_b32 v192, v153
	s_waitcnt lgkmcnt(0)
	v_cmp_neq_f32_e32 vcc, 0, v192
	s_and_saveexec_b64 s[4:5], vcc
	s_cbranch_execz .LBB99_205
; %bb.204:
	v_div_scale_f32 v193, s[10:11], v192, v192, 1.0
	v_rcp_f32_e32 v194, v193
	v_div_scale_f32 v195, vcc, 1.0, v192, 1.0
	v_fma_f32 v196, -v193, v194, 1.0
	v_fmac_f32_e32 v194, v196, v194
	v_mul_f32_e32 v196, v195, v194
	v_fma_f32 v197, -v193, v196, v195
	v_fmac_f32_e32 v196, v197, v194
	v_fma_f32 v193, -v193, v196, v195
	v_div_fmas_f32 v193, v193, v194, v196
	v_div_fixup_f32 v192, v193, v192, 1.0
	ds_write_b32 v153, v192
.LBB99_205:
	s_or_b64 exec, exec, s[4:5]
.LBB99_206:
	s_or_b64 exec, exec, s[2:3]
	s_waitcnt lgkmcnt(0)
	s_barrier
	ds_read_b32 v192, v153
	v_cmp_lt_u32_e32 vcc, 37, v151
	s_and_saveexec_b64 s[2:3], vcc
	s_cbranch_execz .LBB99_208
; %bb.207:
	ds_read2_b64 v[194:197], v155 offset0:19 offset1:20
	ds_read2_b64 v[198:201], v155 offset0:21 offset1:22
	;; [unrolled: 1-line block ×3, first 2 shown]
	s_waitcnt vmcnt(20) lgkmcnt(3)
	v_mul_f32_e32 v206, v192, v125
	v_mov_b32_e32 v125, v206
	s_waitcnt vmcnt(18) lgkmcnt(2)
	v_pk_fma_f32 v[104:105], v[206:207], v[194:195], v[104:105] op_sel_hi:[0,1,1] neg_lo:[1,0,0] neg_hi:[1,0,0]
	s_waitcnt vmcnt(16)
	v_pk_fma_f32 v[122:123], v[206:207], v[196:197], v[122:123] op_sel_hi:[0,1,1] neg_lo:[1,0,0] neg_hi:[1,0,0]
	s_waitcnt vmcnt(14) lgkmcnt(1)
	v_pk_fma_f32 v[102:103], v[206:207], v[198:199], v[102:103] op_sel_hi:[0,1,1] neg_lo:[1,0,0] neg_hi:[1,0,0]
	s_waitcnt vmcnt(12)
	v_pk_fma_f32 v[120:121], v[206:207], v[200:201], v[120:121] op_sel_hi:[0,1,1] neg_lo:[1,0,0] neg_hi:[1,0,0]
	;; [unrolled: 4-line block ×3, first 2 shown]
.LBB99_208:
	s_or_b64 exec, exec, s[2:3]
	v_cmp_eq_u32_e32 vcc, 38, v151
	s_waitcnt lgkmcnt(0)
	s_barrier
	s_and_saveexec_b64 s[2:3], vcc
	s_cbranch_execz .LBB99_211
; %bb.209:
	s_waitcnt vmcnt(16)
	v_pk_mov_b32 v[194:195], v[104:105], v[122:123] op_sel:[1,0]
	ds_write_b32 v153, v104
	ds_write2_b32 v155, v194, v195 offset0:39 offset1:40
	s_waitcnt vmcnt(14)
	v_pk_mov_b32 v[194:195], v[122:123], v[102:103] op_sel:[1,0]
	ds_write2_b32 v155, v194, v195 offset0:41 offset1:42
	s_waitcnt vmcnt(12)
	v_pk_mov_b32 v[194:195], v[102:103], v[120:121] op_sel:[1,0]
	;; [unrolled: 3-line block ×4, first 2 shown]
	ds_write2_b32 v155, v194, v195 offset0:47 offset1:48
	ds_write_b32 v155, v141 offset:196
	ds_read_b32 v193, v153
	s_waitcnt lgkmcnt(0)
	v_cmp_neq_f32_e32 vcc, 0, v193
	s_and_b64 exec, exec, vcc
	s_cbranch_execz .LBB99_211
; %bb.210:
	v_div_scale_f32 v194, s[4:5], v193, v193, 1.0
	v_rcp_f32_e32 v195, v194
	v_div_scale_f32 v196, vcc, 1.0, v193, 1.0
	v_fma_f32 v197, -v194, v195, 1.0
	v_fmac_f32_e32 v195, v197, v195
	v_mul_f32_e32 v197, v196, v195
	v_fma_f32 v198, -v194, v197, v196
	v_fmac_f32_e32 v197, v198, v195
	v_fma_f32 v194, -v194, v197, v196
	v_div_fmas_f32 v194, v194, v195, v197
	v_div_fixup_f32 v193, v194, v193, 1.0
	ds_write_b32 v153, v193
.LBB99_211:
	s_or_b64 exec, exec, s[2:3]
	s_waitcnt lgkmcnt(0)
	s_barrier
	ds_read_b32 v193, v153
	v_cmp_lt_u32_e32 vcc, 38, v151
	s_and_saveexec_b64 s[2:3], vcc
	s_cbranch_execz .LBB99_213
; %bb.212:
	ds_read_b32 v204, v155 offset:156
	ds_read2_b64 v[194:197], v155 offset0:20 offset1:21
	ds_read_b64 v[202:203], v155 offset:192
	ds_read2_b64 v[198:201], v155 offset0:22 offset1:23
	s_waitcnt vmcnt(19) lgkmcnt(4)
	v_mul_f32_e32 v104, v193, v104
	s_waitcnt vmcnt(18) lgkmcnt(3)
	v_fma_f32 v105, -v104, v204, v105
	s_waitcnt vmcnt(16) lgkmcnt(2)
	v_pk_fma_f32 v[122:123], v[104:105], v[194:195], v[122:123] op_sel_hi:[0,1,1] neg_lo:[1,0,0] neg_hi:[1,0,0]
	s_waitcnt vmcnt(14)
	v_pk_fma_f32 v[102:103], v[104:105], v[196:197], v[102:103] op_sel_hi:[0,1,1] neg_lo:[1,0,0] neg_hi:[1,0,0]
	s_waitcnt vmcnt(12) lgkmcnt(0)
	v_pk_fma_f32 v[120:121], v[104:105], v[198:199], v[120:121] op_sel_hi:[0,1,1] neg_lo:[1,0,0] neg_hi:[1,0,0]
	s_waitcnt vmcnt(10)
	v_pk_fma_f32 v[100:101], v[104:105], v[200:201], v[100:101] op_sel_hi:[0,1,1] neg_lo:[1,0,0] neg_hi:[1,0,0]
	s_waitcnt vmcnt(8)
	v_pk_fma_f32 v[140:141], v[104:105], v[202:203], v[140:141] op_sel_hi:[0,1,1] neg_lo:[1,0,0] neg_hi:[1,0,0]
.LBB99_213:
	s_or_b64 exec, exec, s[2:3]
	v_cmp_ne_u32_e32 vcc, 39, v151
	s_waitcnt lgkmcnt(0)
	s_barrier
	s_and_saveexec_b64 s[2:3], vcc
	s_xor_b64 s[2:3], exec, s[2:3]
	s_andn2_saveexec_b64 s[2:3], s[2:3]
	s_cbranch_execz .LBB99_217
; %bb.214:
	s_waitcnt vmcnt(17)
	v_mov_b32_e32 v194, v122
	s_waitcnt vmcnt(16)
	v_mov_b32_e32 v195, v123
	;; [unrolled: 2-line block ×4, first 2 shown]
	ds_write_b32 v153, v105
	ds_write2_b64 v155, v[194:195], v[196:197] offset0:20 offset1:21
	s_waitcnt vmcnt(13)
	v_mov_b32_e32 v194, v120
	s_waitcnt vmcnt(12)
	v_mov_b32_e32 v195, v121
	;; [unrolled: 2-line block ×4, first 2 shown]
	ds_write2_b64 v155, v[194:195], v[196:197] offset0:22 offset1:23
	s_waitcnt vmcnt(8)
	ds_write_b64 v155, v[140:141] offset:192
	ds_read_b32 v194, v153
	s_waitcnt lgkmcnt(0)
	v_cmp_neq_f32_e32 vcc, 0, v194
	s_and_saveexec_b64 s[4:5], vcc
	s_cbranch_execz .LBB99_216
; %bb.215:
	v_div_scale_f32 v195, s[10:11], v194, v194, 1.0
	v_rcp_f32_e32 v196, v195
	v_div_scale_f32 v197, vcc, 1.0, v194, 1.0
	v_fma_f32 v198, -v195, v196, 1.0
	v_fmac_f32_e32 v196, v198, v196
	v_mul_f32_e32 v198, v197, v196
	v_fma_f32 v199, -v195, v198, v197
	v_fmac_f32_e32 v198, v199, v196
	v_fma_f32 v195, -v195, v198, v197
	v_div_fmas_f32 v195, v195, v196, v198
	v_div_fixup_f32 v194, v195, v194, 1.0
	ds_write_b32 v153, v194
.LBB99_216:
	s_or_b64 exec, exec, s[4:5]
.LBB99_217:
	s_or_b64 exec, exec, s[2:3]
	s_waitcnt lgkmcnt(0)
	s_barrier
	ds_read_b32 v194, v153
	v_cmp_lt_u32_e32 vcc, 39, v151
	s_and_saveexec_b64 s[2:3], vcc
	s_cbranch_execz .LBB99_219
; %bb.218:
	ds_read2_b64 v[196:199], v155 offset0:20 offset1:21
	ds_read2_b64 v[200:203], v155 offset0:22 offset1:23
	ds_read_b64 v[206:207], v155 offset:192
	s_waitcnt vmcnt(18) lgkmcnt(3)
	v_mul_f32_e32 v204, v194, v105
	v_mov_b32_e32 v105, v204
	s_waitcnt vmcnt(16) lgkmcnt(2)
	v_pk_fma_f32 v[122:123], v[204:205], v[196:197], v[122:123] op_sel_hi:[0,1,1] neg_lo:[1,0,0] neg_hi:[1,0,0]
	s_waitcnt vmcnt(14)
	v_pk_fma_f32 v[102:103], v[204:205], v[198:199], v[102:103] op_sel_hi:[0,1,1] neg_lo:[1,0,0] neg_hi:[1,0,0]
	s_waitcnt vmcnt(12) lgkmcnt(1)
	v_pk_fma_f32 v[120:121], v[204:205], v[200:201], v[120:121] op_sel_hi:[0,1,1] neg_lo:[1,0,0] neg_hi:[1,0,0]
	s_waitcnt vmcnt(10)
	v_pk_fma_f32 v[100:101], v[204:205], v[202:203], v[100:101] op_sel_hi:[0,1,1] neg_lo:[1,0,0] neg_hi:[1,0,0]
	s_waitcnt vmcnt(8) lgkmcnt(0)
	v_pk_fma_f32 v[140:141], v[204:205], v[206:207], v[140:141] op_sel_hi:[0,1,1] neg_lo:[1,0,0] neg_hi:[1,0,0]
.LBB99_219:
	s_or_b64 exec, exec, s[2:3]
	v_cmp_eq_u32_e32 vcc, 40, v151
	s_waitcnt lgkmcnt(0)
	s_barrier
	s_and_saveexec_b64 s[2:3], vcc
	s_cbranch_execz .LBB99_222
; %bb.220:
	s_waitcnt vmcnt(14)
	v_pk_mov_b32 v[196:197], v[122:123], v[102:103] op_sel:[1,0]
	ds_write_b32 v153, v122
	ds_write2_b32 v155, v196, v197 offset0:41 offset1:42
	s_waitcnt vmcnt(12)
	v_pk_mov_b32 v[196:197], v[102:103], v[120:121] op_sel:[1,0]
	ds_write2_b32 v155, v196, v197 offset0:43 offset1:44
	s_waitcnt vmcnt(10)
	v_pk_mov_b32 v[196:197], v[120:121], v[100:101] op_sel:[1,0]
	;; [unrolled: 3-line block ×3, first 2 shown]
	ds_write2_b32 v155, v196, v197 offset0:47 offset1:48
	ds_write_b32 v155, v141 offset:196
	ds_read_b32 v195, v153
	s_waitcnt lgkmcnt(0)
	v_cmp_neq_f32_e32 vcc, 0, v195
	s_and_b64 exec, exec, vcc
	s_cbranch_execz .LBB99_222
; %bb.221:
	v_div_scale_f32 v196, s[4:5], v195, v195, 1.0
	v_rcp_f32_e32 v197, v196
	v_div_scale_f32 v198, vcc, 1.0, v195, 1.0
	v_fma_f32 v199, -v196, v197, 1.0
	v_fmac_f32_e32 v197, v199, v197
	v_mul_f32_e32 v199, v198, v197
	v_fma_f32 v200, -v196, v199, v198
	v_fmac_f32_e32 v199, v200, v197
	v_fma_f32 v196, -v196, v199, v198
	v_div_fmas_f32 v196, v196, v197, v199
	v_div_fixup_f32 v195, v196, v195, 1.0
	ds_write_b32 v153, v195
.LBB99_222:
	s_or_b64 exec, exec, s[2:3]
	s_waitcnt lgkmcnt(0)
	s_barrier
	ds_read_b32 v195, v153
	v_cmp_lt_u32_e32 vcc, 40, v151
	s_and_saveexec_b64 s[2:3], vcc
	s_cbranch_execz .LBB99_224
; %bb.223:
	ds_read_b32 v204, v155 offset:164
	ds_read2_b64 v[196:199], v155 offset0:21 offset1:22
	ds_read2_b64 v[200:203], v155 offset0:23 offset1:24
	s_waitcnt vmcnt(17) lgkmcnt(3)
	v_mul_f32_e32 v122, v195, v122
	s_waitcnt vmcnt(16) lgkmcnt(2)
	v_fma_f32 v123, -v122, v204, v123
	s_waitcnt vmcnt(14) lgkmcnt(1)
	v_pk_fma_f32 v[102:103], v[122:123], v[196:197], v[102:103] op_sel_hi:[0,1,1] neg_lo:[1,0,0] neg_hi:[1,0,0]
	s_waitcnt vmcnt(12)
	v_pk_fma_f32 v[120:121], v[122:123], v[198:199], v[120:121] op_sel_hi:[0,1,1] neg_lo:[1,0,0] neg_hi:[1,0,0]
	s_waitcnt vmcnt(10) lgkmcnt(0)
	v_pk_fma_f32 v[100:101], v[122:123], v[200:201], v[100:101] op_sel_hi:[0,1,1] neg_lo:[1,0,0] neg_hi:[1,0,0]
	s_waitcnt vmcnt(8)
	v_pk_fma_f32 v[140:141], v[122:123], v[202:203], v[140:141] op_sel_hi:[0,1,1] neg_lo:[1,0,0] neg_hi:[1,0,0]
.LBB99_224:
	s_or_b64 exec, exec, s[2:3]
	v_cmp_ne_u32_e32 vcc, 41, v151
	s_waitcnt lgkmcnt(0)
	s_barrier
	s_and_saveexec_b64 s[2:3], vcc
	s_xor_b64 s[2:3], exec, s[2:3]
	s_andn2_saveexec_b64 s[2:3], s[2:3]
	s_cbranch_execz .LBB99_228
; %bb.225:
	s_waitcnt vmcnt(16)
	ds_write_b32 v153, v123
	s_waitcnt vmcnt(12)
	ds_write2_b64 v155, v[102:103], v[120:121] offset0:21 offset1:22
	s_waitcnt vmcnt(8)
	ds_write2_b64 v155, v[100:101], v[140:141] offset0:23 offset1:24
	ds_read_b32 v196, v153
	s_waitcnt lgkmcnt(0)
	v_cmp_neq_f32_e32 vcc, 0, v196
	s_and_saveexec_b64 s[4:5], vcc
	s_cbranch_execz .LBB99_227
; %bb.226:
	v_div_scale_f32 v197, s[10:11], v196, v196, 1.0
	v_rcp_f32_e32 v198, v197
	v_div_scale_f32 v199, vcc, 1.0, v196, 1.0
	v_fma_f32 v200, -v197, v198, 1.0
	v_fmac_f32_e32 v198, v200, v198
	v_mul_f32_e32 v200, v199, v198
	v_fma_f32 v201, -v197, v200, v199
	v_fmac_f32_e32 v200, v201, v198
	v_fma_f32 v197, -v197, v200, v199
	v_div_fmas_f32 v197, v197, v198, v200
	v_div_fixup_f32 v196, v197, v196, 1.0
	ds_write_b32 v153, v196
.LBB99_227:
	s_or_b64 exec, exec, s[4:5]
.LBB99_228:
	s_or_b64 exec, exec, s[2:3]
	s_waitcnt lgkmcnt(0)
	s_barrier
	ds_read_b32 v196, v153
	v_cmp_lt_u32_e32 vcc, 41, v151
	s_and_saveexec_b64 s[2:3], vcc
	s_cbranch_execz .LBB99_230
; %bb.229:
	ds_read2_b64 v[198:201], v155 offset0:21 offset1:22
	ds_read2_b64 v[202:205], v155 offset0:23 offset1:24
	s_waitcnt vmcnt(16) lgkmcnt(2)
	v_mul_f32_e32 v206, v196, v123
	v_mov_b32_e32 v123, v206
	s_waitcnt vmcnt(14) lgkmcnt(1)
	v_pk_fma_f32 v[102:103], v[206:207], v[198:199], v[102:103] op_sel_hi:[0,1,1] neg_lo:[1,0,0] neg_hi:[1,0,0]
	s_waitcnt vmcnt(12)
	v_pk_fma_f32 v[120:121], v[206:207], v[200:201], v[120:121] op_sel_hi:[0,1,1] neg_lo:[1,0,0] neg_hi:[1,0,0]
	s_waitcnt vmcnt(10) lgkmcnt(0)
	v_pk_fma_f32 v[100:101], v[206:207], v[202:203], v[100:101] op_sel_hi:[0,1,1] neg_lo:[1,0,0] neg_hi:[1,0,0]
	s_waitcnt vmcnt(8)
	v_pk_fma_f32 v[140:141], v[206:207], v[204:205], v[140:141] op_sel_hi:[0,1,1] neg_lo:[1,0,0] neg_hi:[1,0,0]
.LBB99_230:
	s_or_b64 exec, exec, s[2:3]
	v_cmp_eq_u32_e32 vcc, 42, v151
	s_waitcnt lgkmcnt(0)
	s_barrier
	s_and_saveexec_b64 s[2:3], vcc
	s_cbranch_execz .LBB99_233
; %bb.231:
	s_waitcnt vmcnt(12)
	v_pk_mov_b32 v[198:199], v[102:103], v[120:121] op_sel:[1,0]
	ds_write_b32 v153, v102
	ds_write2_b32 v155, v198, v199 offset0:43 offset1:44
	s_waitcnt vmcnt(10)
	v_pk_mov_b32 v[198:199], v[120:121], v[100:101] op_sel:[1,0]
	ds_write2_b32 v155, v198, v199 offset0:45 offset1:46
	s_waitcnt vmcnt(8)
	v_pk_mov_b32 v[198:199], v[100:101], v[140:141] op_sel:[1,0]
	ds_write2_b32 v155, v198, v199 offset0:47 offset1:48
	ds_write_b32 v155, v141 offset:196
	ds_read_b32 v197, v153
	s_waitcnt lgkmcnt(0)
	v_cmp_neq_f32_e32 vcc, 0, v197
	s_and_b64 exec, exec, vcc
	s_cbranch_execz .LBB99_233
; %bb.232:
	v_div_scale_f32 v198, s[4:5], v197, v197, 1.0
	v_rcp_f32_e32 v199, v198
	v_div_scale_f32 v200, vcc, 1.0, v197, 1.0
	v_fma_f32 v201, -v198, v199, 1.0
	v_fmac_f32_e32 v199, v201, v199
	v_mul_f32_e32 v201, v200, v199
	v_fma_f32 v202, -v198, v201, v200
	v_fmac_f32_e32 v201, v202, v199
	v_fma_f32 v198, -v198, v201, v200
	v_div_fmas_f32 v198, v198, v199, v201
	v_div_fixup_f32 v197, v198, v197, 1.0
	ds_write_b32 v153, v197
.LBB99_233:
	s_or_b64 exec, exec, s[2:3]
	s_waitcnt lgkmcnt(0)
	s_barrier
	ds_read_b32 v197, v153
	v_cmp_lt_u32_e32 vcc, 42, v151
	s_and_saveexec_b64 s[2:3], vcc
	s_cbranch_execz .LBB99_235
; %bb.234:
	ds_read_b32 v204, v155 offset:172
	ds_read2_b64 v[198:201], v155 offset0:22 offset1:23
	ds_read_b64 v[202:203], v155 offset:192
	s_waitcnt vmcnt(15) lgkmcnt(3)
	v_mul_f32_e32 v102, v197, v102
	s_waitcnt vmcnt(14) lgkmcnt(2)
	v_fma_f32 v103, -v102, v204, v103
	s_waitcnt vmcnt(12) lgkmcnt(1)
	v_pk_fma_f32 v[120:121], v[102:103], v[198:199], v[120:121] op_sel_hi:[0,1,1] neg_lo:[1,0,0] neg_hi:[1,0,0]
	s_waitcnt vmcnt(10)
	v_pk_fma_f32 v[100:101], v[102:103], v[200:201], v[100:101] op_sel_hi:[0,1,1] neg_lo:[1,0,0] neg_hi:[1,0,0]
	s_waitcnt vmcnt(8) lgkmcnt(0)
	v_pk_fma_f32 v[140:141], v[102:103], v[202:203], v[140:141] op_sel_hi:[0,1,1] neg_lo:[1,0,0] neg_hi:[1,0,0]
.LBB99_235:
	s_or_b64 exec, exec, s[2:3]
	v_cmp_ne_u32_e32 vcc, 43, v151
	s_waitcnt lgkmcnt(0)
	s_barrier
	s_and_saveexec_b64 s[2:3], vcc
	s_xor_b64 s[2:3], exec, s[2:3]
	s_andn2_saveexec_b64 s[2:3], s[2:3]
	s_cbranch_execz .LBB99_239
; %bb.236:
	s_waitcnt vmcnt(13)
	v_mov_b32_e32 v198, v120
	s_waitcnt vmcnt(12)
	v_mov_b32_e32 v199, v121
	;; [unrolled: 2-line block ×4, first 2 shown]
	ds_write_b32 v153, v103
	ds_write2_b64 v155, v[198:199], v[200:201] offset0:22 offset1:23
	s_waitcnt vmcnt(8)
	ds_write_b64 v155, v[140:141] offset:192
	ds_read_b32 v198, v153
	s_waitcnt lgkmcnt(0)
	v_cmp_neq_f32_e32 vcc, 0, v198
	s_and_saveexec_b64 s[4:5], vcc
	s_cbranch_execz .LBB99_238
; %bb.237:
	v_div_scale_f32 v199, s[10:11], v198, v198, 1.0
	v_rcp_f32_e32 v200, v199
	v_div_scale_f32 v201, vcc, 1.0, v198, 1.0
	v_fma_f32 v202, -v199, v200, 1.0
	v_fmac_f32_e32 v200, v202, v200
	v_mul_f32_e32 v202, v201, v200
	v_fma_f32 v203, -v199, v202, v201
	v_fmac_f32_e32 v202, v203, v200
	v_fma_f32 v199, -v199, v202, v201
	v_div_fmas_f32 v199, v199, v200, v202
	v_div_fixup_f32 v198, v199, v198, 1.0
	ds_write_b32 v153, v198
.LBB99_238:
	s_or_b64 exec, exec, s[4:5]
.LBB99_239:
	s_or_b64 exec, exec, s[2:3]
	s_waitcnt lgkmcnt(0)
	s_barrier
	ds_read_b32 v198, v153
	v_cmp_lt_u32_e32 vcc, 43, v151
	s_and_saveexec_b64 s[2:3], vcc
	s_cbranch_execz .LBB99_241
; %bb.240:
	ds_read2_b64 v[200:203], v155 offset0:22 offset1:23
	ds_read_b64 v[204:205], v155 offset:192
	s_waitcnt vmcnt(14) lgkmcnt(2)
	v_mul_f32_e32 v206, v198, v103
	v_mov_b32_e32 v103, v206
	s_waitcnt vmcnt(12) lgkmcnt(1)
	v_pk_fma_f32 v[120:121], v[206:207], v[200:201], v[120:121] op_sel_hi:[0,1,1] neg_lo:[1,0,0] neg_hi:[1,0,0]
	s_waitcnt vmcnt(10)
	v_pk_fma_f32 v[100:101], v[206:207], v[202:203], v[100:101] op_sel_hi:[0,1,1] neg_lo:[1,0,0] neg_hi:[1,0,0]
	s_waitcnt vmcnt(8) lgkmcnt(0)
	v_pk_fma_f32 v[140:141], v[206:207], v[204:205], v[140:141] op_sel_hi:[0,1,1] neg_lo:[1,0,0] neg_hi:[1,0,0]
.LBB99_241:
	s_or_b64 exec, exec, s[2:3]
	v_cmp_eq_u32_e32 vcc, 44, v151
	s_waitcnt lgkmcnt(0)
	s_barrier
	s_and_saveexec_b64 s[2:3], vcc
	s_cbranch_execz .LBB99_244
; %bb.242:
	s_waitcnt vmcnt(10)
	v_pk_mov_b32 v[200:201], v[120:121], v[100:101] op_sel:[1,0]
	ds_write_b32 v153, v120
	ds_write2_b32 v155, v200, v201 offset0:45 offset1:46
	s_waitcnt vmcnt(8)
	v_pk_mov_b32 v[200:201], v[100:101], v[140:141] op_sel:[1,0]
	ds_write2_b32 v155, v200, v201 offset0:47 offset1:48
	ds_write_b32 v155, v141 offset:196
	ds_read_b32 v199, v153
	s_waitcnt lgkmcnt(0)
	v_cmp_neq_f32_e32 vcc, 0, v199
	s_and_b64 exec, exec, vcc
	s_cbranch_execz .LBB99_244
; %bb.243:
	v_div_scale_f32 v200, s[4:5], v199, v199, 1.0
	v_rcp_f32_e32 v201, v200
	v_div_scale_f32 v202, vcc, 1.0, v199, 1.0
	v_fma_f32 v203, -v200, v201, 1.0
	v_fmac_f32_e32 v201, v203, v201
	v_mul_f32_e32 v203, v202, v201
	v_fma_f32 v204, -v200, v203, v202
	v_fmac_f32_e32 v203, v204, v201
	v_fma_f32 v200, -v200, v203, v202
	v_div_fmas_f32 v200, v200, v201, v203
	v_div_fixup_f32 v199, v200, v199, 1.0
	ds_write_b32 v153, v199
.LBB99_244:
	s_or_b64 exec, exec, s[2:3]
	s_waitcnt lgkmcnt(0)
	s_barrier
	ds_read_b32 v199, v153
	v_cmp_lt_u32_e32 vcc, 44, v151
	s_and_saveexec_b64 s[2:3], vcc
	s_cbranch_execz .LBB99_246
; %bb.245:
	ds_read_b32 v204, v155 offset:180
	ds_read2_b64 v[200:203], v155 offset0:23 offset1:24
	s_waitcnt vmcnt(13) lgkmcnt(2)
	v_mul_f32_e32 v120, v199, v120
	s_waitcnt vmcnt(12) lgkmcnt(1)
	v_fma_f32 v121, -v120, v204, v121
	s_waitcnt vmcnt(10) lgkmcnt(0)
	v_pk_fma_f32 v[100:101], v[120:121], v[200:201], v[100:101] op_sel_hi:[0,1,1] neg_lo:[1,0,0] neg_hi:[1,0,0]
	s_waitcnt vmcnt(8)
	v_pk_fma_f32 v[140:141], v[120:121], v[202:203], v[140:141] op_sel_hi:[0,1,1] neg_lo:[1,0,0] neg_hi:[1,0,0]
.LBB99_246:
	s_or_b64 exec, exec, s[2:3]
	v_cmp_ne_u32_e32 vcc, 45, v151
	s_waitcnt lgkmcnt(0)
	s_barrier
	s_and_saveexec_b64 s[2:3], vcc
	s_xor_b64 s[2:3], exec, s[2:3]
	s_andn2_saveexec_b64 s[2:3], s[2:3]
	s_cbranch_execz .LBB99_250
; %bb.247:
	s_waitcnt vmcnt(12)
	ds_write_b32 v153, v121
	s_waitcnt vmcnt(8)
	ds_write2_b64 v155, v[100:101], v[140:141] offset0:23 offset1:24
	ds_read_b32 v200, v153
	s_waitcnt lgkmcnt(0)
	v_cmp_neq_f32_e32 vcc, 0, v200
	s_and_saveexec_b64 s[4:5], vcc
	s_cbranch_execz .LBB99_249
; %bb.248:
	v_div_scale_f32 v201, s[10:11], v200, v200, 1.0
	v_rcp_f32_e32 v202, v201
	v_div_scale_f32 v203, vcc, 1.0, v200, 1.0
	v_fma_f32 v204, -v201, v202, 1.0
	v_fmac_f32_e32 v202, v204, v202
	v_mul_f32_e32 v204, v203, v202
	v_fma_f32 v205, -v201, v204, v203
	v_fmac_f32_e32 v204, v205, v202
	v_fma_f32 v201, -v201, v204, v203
	v_div_fmas_f32 v201, v201, v202, v204
	v_div_fixup_f32 v200, v201, v200, 1.0
	ds_write_b32 v153, v200
.LBB99_249:
	s_or_b64 exec, exec, s[4:5]
.LBB99_250:
	s_or_b64 exec, exec, s[2:3]
	s_waitcnt lgkmcnt(0)
	s_barrier
	ds_read_b32 v200, v153
	v_cmp_lt_u32_e32 vcc, 45, v151
	s_and_saveexec_b64 s[2:3], vcc
	s_cbranch_execz .LBB99_252
; %bb.251:
	ds_read2_b64 v[202:205], v155 offset0:23 offset1:24
	s_waitcnt vmcnt(12) lgkmcnt(1)
	v_mul_f32_e32 v206, v200, v121
	v_mov_b32_e32 v121, v206
	s_waitcnt vmcnt(10) lgkmcnt(0)
	v_pk_fma_f32 v[100:101], v[206:207], v[202:203], v[100:101] op_sel_hi:[0,1,1] neg_lo:[1,0,0] neg_hi:[1,0,0]
	s_waitcnt vmcnt(8)
	v_pk_fma_f32 v[140:141], v[206:207], v[204:205], v[140:141] op_sel_hi:[0,1,1] neg_lo:[1,0,0] neg_hi:[1,0,0]
.LBB99_252:
	s_or_b64 exec, exec, s[2:3]
	v_cmp_eq_u32_e32 vcc, 46, v151
	s_waitcnt lgkmcnt(0)
	s_barrier
	s_and_saveexec_b64 s[2:3], vcc
	s_cbranch_execz .LBB99_255
; %bb.253:
	s_waitcnt vmcnt(8)
	v_pk_mov_b32 v[202:203], v[100:101], v[140:141] op_sel:[1,0]
	ds_write_b32 v153, v100
	ds_write2_b32 v155, v202, v203 offset0:47 offset1:48
	ds_write_b32 v155, v141 offset:196
	ds_read_b32 v201, v153
	s_waitcnt lgkmcnt(0)
	v_cmp_neq_f32_e32 vcc, 0, v201
	s_and_b64 exec, exec, vcc
	s_cbranch_execz .LBB99_255
; %bb.254:
	v_div_scale_f32 v202, s[4:5], v201, v201, 1.0
	v_rcp_f32_e32 v203, v202
	v_div_scale_f32 v204, vcc, 1.0, v201, 1.0
	v_fma_f32 v205, -v202, v203, 1.0
	v_fmac_f32_e32 v203, v205, v203
	v_mul_f32_e32 v205, v204, v203
	v_fma_f32 v206, -v202, v205, v204
	v_fmac_f32_e32 v205, v206, v203
	v_fma_f32 v202, -v202, v205, v204
	v_div_fmas_f32 v202, v202, v203, v205
	v_div_fixup_f32 v201, v202, v201, 1.0
	ds_write_b32 v153, v201
.LBB99_255:
	s_or_b64 exec, exec, s[2:3]
	s_waitcnt lgkmcnt(0)
	s_barrier
	ds_read_b32 v201, v153
	v_cmp_lt_u32_e32 vcc, 46, v151
	s_and_saveexec_b64 s[2:3], vcc
	s_cbranch_execz .LBB99_257
; %bb.256:
	ds_read_b32 v204, v155 offset:188
	ds_read_b64 v[202:203], v155 offset:192
	s_waitcnt vmcnt(11) lgkmcnt(2)
	v_mul_f32_e32 v100, v201, v100
	s_waitcnt vmcnt(10) lgkmcnt(1)
	v_fma_f32 v101, -v100, v204, v101
	s_waitcnt vmcnt(8) lgkmcnt(0)
	v_pk_fma_f32 v[140:141], v[100:101], v[202:203], v[140:141] op_sel_hi:[0,1,1] neg_lo:[1,0,0] neg_hi:[1,0,0]
.LBB99_257:
	s_or_b64 exec, exec, s[2:3]
	v_cmp_ne_u32_e32 vcc, 47, v151
	s_waitcnt lgkmcnt(0)
	s_barrier
	s_and_saveexec_b64 s[2:3], vcc
	s_xor_b64 s[2:3], exec, s[2:3]
	s_andn2_saveexec_b64 s[2:3], s[2:3]
	s_cbranch_execz .LBB99_261
; %bb.258:
	s_waitcnt vmcnt(10)
	ds_write_b32 v153, v101
	s_waitcnt vmcnt(8)
	ds_write_b64 v155, v[140:141] offset:192
	ds_read_b32 v202, v153
	s_waitcnt lgkmcnt(0)
	v_cmp_neq_f32_e32 vcc, 0, v202
	s_and_saveexec_b64 s[4:5], vcc
	s_cbranch_execz .LBB99_260
; %bb.259:
	v_div_scale_f32 v203, s[10:11], v202, v202, 1.0
	v_rcp_f32_e32 v204, v203
	v_div_scale_f32 v205, vcc, 1.0, v202, 1.0
	v_fma_f32 v206, -v203, v204, 1.0
	v_fmac_f32_e32 v204, v206, v204
	v_mul_f32_e32 v206, v205, v204
	v_fma_f32 v207, -v203, v206, v205
	v_fmac_f32_e32 v206, v207, v204
	v_fma_f32 v203, -v203, v206, v205
	v_div_fmas_f32 v203, v203, v204, v206
	v_div_fixup_f32 v202, v203, v202, 1.0
	ds_write_b32 v153, v202
.LBB99_260:
	s_or_b64 exec, exec, s[4:5]
.LBB99_261:
	s_or_b64 exec, exec, s[2:3]
	s_waitcnt lgkmcnt(0)
	s_barrier
	ds_read_b32 v202, v153
	v_cmp_lt_u32_e32 vcc, 47, v151
	s_and_saveexec_b64 s[2:3], vcc
	s_cbranch_execz .LBB99_263
; %bb.262:
	ds_read_b64 v[204:205], v155 offset:192
	s_waitcnt vmcnt(10) lgkmcnt(1)
	v_mul_f32_e32 v206, v202, v101
	v_mov_b32_e32 v101, v206
	s_waitcnt vmcnt(8) lgkmcnt(0)
	v_pk_fma_f32 v[140:141], v[206:207], v[204:205], v[140:141] op_sel_hi:[0,1,1] neg_lo:[1,0,0] neg_hi:[1,0,0]
.LBB99_263:
	s_or_b64 exec, exec, s[2:3]
	v_cmp_eq_u32_e32 vcc, 48, v151
	s_waitcnt lgkmcnt(0)
	s_barrier
	s_and_saveexec_b64 s[2:3], vcc
	s_cbranch_execz .LBB99_266
; %bb.264:
	s_waitcnt vmcnt(9)
	ds_write_b32 v153, v140
	s_waitcnt vmcnt(8)
	ds_write_b32 v155, v141 offset:196
	ds_read_b32 v203, v153
	s_waitcnt lgkmcnt(0)
	v_cmp_neq_f32_e32 vcc, 0, v203
	s_and_b64 exec, exec, vcc
	s_cbranch_execz .LBB99_266
; %bb.265:
	v_div_scale_f32 v204, s[4:5], v203, v203, 1.0
	v_rcp_f32_e32 v205, v204
	v_div_scale_f32 v206, vcc, 1.0, v203, 1.0
	v_fma_f32 v207, -v204, v205, 1.0
	v_fmac_f32_e32 v205, v207, v205
	v_mul_f32_e32 v207, v206, v205
	v_fma_f32 v208, -v204, v207, v206
	v_fmac_f32_e32 v207, v208, v205
	v_fma_f32 v204, -v204, v207, v206
	v_div_fmas_f32 v204, v204, v205, v207
	v_div_fixup_f32 v203, v204, v203, 1.0
	ds_write_b32 v153, v203
.LBB99_266:
	s_or_b64 exec, exec, s[2:3]
	s_waitcnt lgkmcnt(0)
	s_barrier
	ds_read_b32 v203, v153
	v_cmp_lt_u32_e32 vcc, 48, v151
	s_and_saveexec_b64 s[2:3], vcc
	s_cbranch_execz .LBB99_268
; %bb.267:
	ds_read_b32 v155, v155 offset:196
	s_waitcnt vmcnt(9) lgkmcnt(1)
	v_mul_f32_e32 v140, v203, v140
	s_waitcnt vmcnt(8) lgkmcnt(0)
	v_fma_f32 v141, -v140, v155, v141
.LBB99_268:
	s_or_b64 exec, exec, s[2:3]
	v_cmp_ne_u32_e32 vcc, 49, v151
	s_waitcnt lgkmcnt(0)
	s_barrier
	s_and_saveexec_b64 s[2:3], vcc
	s_xor_b64 s[2:3], exec, s[2:3]
	s_andn2_saveexec_b64 s[2:3], s[2:3]
	s_cbranch_execz .LBB99_272
; %bb.269:
	s_waitcnt vmcnt(8)
	v_cmp_neq_f32_e32 vcc, 0, v141
	ds_write_b32 v153, v141
	s_and_saveexec_b64 s[4:5], vcc
	s_cbranch_execz .LBB99_271
; %bb.270:
	v_div_scale_f32 v155, s[10:11], v141, v141, 1.0
	v_rcp_f32_e32 v204, v155
	v_div_scale_f32 v205, vcc, 1.0, v141, 1.0
	v_fma_f32 v206, -v155, v204, 1.0
	v_fmac_f32_e32 v204, v206, v204
	v_mul_f32_e32 v206, v205, v204
	v_fma_f32 v207, -v155, v206, v205
	v_fmac_f32_e32 v206, v207, v204
	v_fma_f32 v155, -v155, v206, v205
	v_div_fmas_f32 v155, v155, v204, v206
	v_div_fixup_f32 v155, v155, v141, 1.0
	ds_write_b32 v153, v155
.LBB99_271:
	s_or_b64 exec, exec, s[4:5]
.LBB99_272:
	s_or_b64 exec, exec, s[2:3]
	s_waitcnt lgkmcnt(0)
	s_barrier
	ds_read_b32 v153, v153
	s_waitcnt lgkmcnt(0)
	s_barrier
	s_and_saveexec_b64 s[2:3], s[0:1]
	s_cbranch_execz .LBB99_275
; %bb.273:
	v_cmp_eq_f32_e32 vcc, 0, v154
	v_cmp_neq_f32_e64 s[0:1], 0, v156
	v_mov_b32_e32 v155, s7
	v_cndmask_b32_e64 v154, 0, 1, vcc
	s_or_b64 vcc, s[0:1], vcc
	v_cndmask_b32_e32 v154, 2, v154, vcc
	v_cmp_eq_f32_e32 vcc, 0, v157
	v_cmp_eq_u32_e64 s[0:1], 0, v154
	s_and_b64 s[0:1], vcc, s[0:1]
	v_cmp_eq_f32_e32 vcc, 0, v158
	v_cndmask_b32_e64 v154, v154, 3, s[0:1]
	v_cmp_eq_u32_e64 s[0:1], 0, v154
	s_and_b64 s[0:1], vcc, s[0:1]
	v_cmp_eq_f32_e32 vcc, 0, v159
	v_cndmask_b32_e64 v154, v154, 4, s[0:1]
	;; [unrolled: 4-line block ×28, first 2 shown]
	v_mov_b32_e32 v154, s6
	v_lshl_add_u64 v[24:25], v[24:25], 2, v[154:155]
	global_load_dword v155, v[24:25], off
	v_cmp_eq_u32_e64 s[0:1], 0, v156
	s_and_b64 s[0:1], vcc, s[0:1]
	v_cmp_eq_f32_e32 vcc, 0, v186
	v_cndmask_b32_e64 v154, v156, 31, s[0:1]
	v_cmp_eq_u32_e64 s[0:1], 0, v154
	s_and_b64 s[0:1], vcc, s[0:1]
	v_cmp_eq_f32_e32 vcc, 0, v187
	v_cndmask_b32_e64 v154, v154, 32, s[0:1]
	;; [unrolled: 4-line block ×19, first 2 shown]
	v_cmp_eq_u32_e64 s[0:1], 0, v154
	s_and_b64 s[0:1], vcc, s[0:1]
	s_waitcnt vmcnt(0)
	v_cmp_eq_u32_e32 vcc, 0, v155
	v_cndmask_b32_e64 v154, v154, 50, s[0:1]
	v_cmp_ne_u32_e64 s[0:1], 0, v154
	s_and_b64 s[0:1], vcc, s[0:1]
	s_and_b64 exec, exec, s[0:1]
	s_cbranch_execz .LBB99_275
; %bb.274:
	v_add_u32_e32 v154, s9, v154
	global_store_dword v[24:25], v154, off
.LBB99_275:
	s_or_b64 exec, exec, s[2:3]
	s_waitcnt vmcnt(8)
	v_mul_f32_e32 v24, v153, v141
	v_cmp_lt_u32_e32 vcc, 49, v151
	s_nop 1
	v_cndmask_b32_e32 v24, v141, v24, vcc
	s_waitcnt vmcnt(1)
	global_store_dword v[0:1], v150, off
	s_waitcnt vmcnt(1)
	global_store_dword v[148:149], v152, off
	global_store_dword v[2:3], v144, off
	global_store_dword v[4:5], v145, off
	global_store_dword v[6:7], v146, off
	global_store_dword v[8:9], v147, off
	global_store_dword v[10:11], v142, off
	global_store_dword v[12:13], v143, off
	global_store_dword v[14:15], v138, off
	global_store_dword v[16:17], v139, off
	global_store_dword v[18:19], v118, off
	global_store_dword v[20:21], v119, off
	global_store_dword v[22:23], v136, off
	global_store_dword v[26:27], v137, off
	global_store_dword v[28:29], v116, off
	global_store_dword v[30:31], v117, off
	global_store_dword v[32:33], v134, off
	global_store_dword v[34:35], v135, off
	global_store_dword v[36:37], v114, off
	global_store_dword v[38:39], v115, off
	global_store_dword v[40:41], v132, off
	global_store_dword v[42:43], v133, off
	global_store_dword v[44:45], v112, off
	global_store_dword v[46:47], v113, off
	global_store_dword v[48:49], v130, off
	global_store_dword v[50:51], v131, off
	global_store_dword v[52:53], v110, off
	global_store_dword v[54:55], v111, off
	global_store_dword v[56:57], v128, off
	global_store_dword v[58:59], v129, off
	global_store_dword v[60:61], v108, off
	global_store_dword v[62:63], v109, off
	global_store_dword v[64:65], v126, off
	global_store_dword v[66:67], v127, off
	global_store_dword v[68:69], v106, off
	global_store_dword v[70:71], v107, off
	global_store_dword v[72:73], v124, off
	global_store_dword v[74:75], v125, off
	global_store_dword v[76:77], v104, off
	global_store_dword v[78:79], v105, off
	global_store_dword v[80:81], v122, off
	global_store_dword v[82:83], v123, off
	global_store_dword v[84:85], v102, off
	global_store_dword v[86:87], v103, off
	global_store_dword v[88:89], v120, off
	global_store_dword v[90:91], v121, off
	global_store_dword v[92:93], v100, off
	global_store_dword v[94:95], v101, off
	global_store_dword v[96:97], v140, off
	global_store_dword v[98:99], v24, off
.LBB99_276:
	s_endpgm
	.section	.rodata,"a",@progbits
	.p2align	6, 0x0
	.amdhsa_kernel _ZN9rocsolver6v33100L23getf2_npvt_small_kernelILi50EfiiPfEEvT1_T3_lS3_lPT2_S3_S3_
		.amdhsa_group_segment_fixed_size 0
		.amdhsa_private_segment_fixed_size 0
		.amdhsa_kernarg_size 312
		.amdhsa_user_sgpr_count 2
		.amdhsa_user_sgpr_dispatch_ptr 0
		.amdhsa_user_sgpr_queue_ptr 0
		.amdhsa_user_sgpr_kernarg_segment_ptr 1
		.amdhsa_user_sgpr_dispatch_id 0
		.amdhsa_user_sgpr_kernarg_preload_length 0
		.amdhsa_user_sgpr_kernarg_preload_offset 0
		.amdhsa_user_sgpr_private_segment_size 0
		.amdhsa_uses_dynamic_stack 0
		.amdhsa_enable_private_segment 0
		.amdhsa_system_sgpr_workgroup_id_x 1
		.amdhsa_system_sgpr_workgroup_id_y 1
		.amdhsa_system_sgpr_workgroup_id_z 0
		.amdhsa_system_sgpr_workgroup_info 0
		.amdhsa_system_vgpr_workitem_id 1
		.amdhsa_next_free_vgpr 209
		.amdhsa_next_free_sgpr 16
		.amdhsa_accum_offset 212
		.amdhsa_reserve_vcc 1
		.amdhsa_float_round_mode_32 0
		.amdhsa_float_round_mode_16_64 0
		.amdhsa_float_denorm_mode_32 3
		.amdhsa_float_denorm_mode_16_64 3
		.amdhsa_dx10_clamp 1
		.amdhsa_ieee_mode 1
		.amdhsa_fp16_overflow 0
		.amdhsa_tg_split 0
		.amdhsa_exception_fp_ieee_invalid_op 0
		.amdhsa_exception_fp_denorm_src 0
		.amdhsa_exception_fp_ieee_div_zero 0
		.amdhsa_exception_fp_ieee_overflow 0
		.amdhsa_exception_fp_ieee_underflow 0
		.amdhsa_exception_fp_ieee_inexact 0
		.amdhsa_exception_int_div_zero 0
	.end_amdhsa_kernel
	.section	.text._ZN9rocsolver6v33100L23getf2_npvt_small_kernelILi50EfiiPfEEvT1_T3_lS3_lPT2_S3_S3_,"axG",@progbits,_ZN9rocsolver6v33100L23getf2_npvt_small_kernelILi50EfiiPfEEvT1_T3_lS3_lPT2_S3_S3_,comdat
.Lfunc_end99:
	.size	_ZN9rocsolver6v33100L23getf2_npvt_small_kernelILi50EfiiPfEEvT1_T3_lS3_lPT2_S3_S3_, .Lfunc_end99-_ZN9rocsolver6v33100L23getf2_npvt_small_kernelILi50EfiiPfEEvT1_T3_lS3_lPT2_S3_S3_
                                        ; -- End function
	.set _ZN9rocsolver6v33100L23getf2_npvt_small_kernelILi50EfiiPfEEvT1_T3_lS3_lPT2_S3_S3_.num_vgpr, 209
	.set _ZN9rocsolver6v33100L23getf2_npvt_small_kernelILi50EfiiPfEEvT1_T3_lS3_lPT2_S3_S3_.num_agpr, 0
	.set _ZN9rocsolver6v33100L23getf2_npvt_small_kernelILi50EfiiPfEEvT1_T3_lS3_lPT2_S3_S3_.numbered_sgpr, 16
	.set _ZN9rocsolver6v33100L23getf2_npvt_small_kernelILi50EfiiPfEEvT1_T3_lS3_lPT2_S3_S3_.num_named_barrier, 0
	.set _ZN9rocsolver6v33100L23getf2_npvt_small_kernelILi50EfiiPfEEvT1_T3_lS3_lPT2_S3_S3_.private_seg_size, 0
	.set _ZN9rocsolver6v33100L23getf2_npvt_small_kernelILi50EfiiPfEEvT1_T3_lS3_lPT2_S3_S3_.uses_vcc, 1
	.set _ZN9rocsolver6v33100L23getf2_npvt_small_kernelILi50EfiiPfEEvT1_T3_lS3_lPT2_S3_S3_.uses_flat_scratch, 0
	.set _ZN9rocsolver6v33100L23getf2_npvt_small_kernelILi50EfiiPfEEvT1_T3_lS3_lPT2_S3_S3_.has_dyn_sized_stack, 0
	.set _ZN9rocsolver6v33100L23getf2_npvt_small_kernelILi50EfiiPfEEvT1_T3_lS3_lPT2_S3_S3_.has_recursion, 0
	.set _ZN9rocsolver6v33100L23getf2_npvt_small_kernelILi50EfiiPfEEvT1_T3_lS3_lPT2_S3_S3_.has_indirect_call, 0
	.section	.AMDGPU.csdata,"",@progbits
; Kernel info:
; codeLenInByte = 31116
; TotalNumSgprs: 22
; NumVgprs: 209
; NumAgprs: 0
; TotalNumVgprs: 209
; ScratchSize: 0
; MemoryBound: 0
; FloatMode: 240
; IeeeMode: 1
; LDSByteSize: 0 bytes/workgroup (compile time only)
; SGPRBlocks: 2
; VGPRBlocks: 26
; NumSGPRsForWavesPerEU: 22
; NumVGPRsForWavesPerEU: 209
; AccumOffset: 212
; Occupancy: 2
; WaveLimiterHint : 0
; COMPUTE_PGM_RSRC2:SCRATCH_EN: 0
; COMPUTE_PGM_RSRC2:USER_SGPR: 2
; COMPUTE_PGM_RSRC2:TRAP_HANDLER: 0
; COMPUTE_PGM_RSRC2:TGID_X_EN: 1
; COMPUTE_PGM_RSRC2:TGID_Y_EN: 1
; COMPUTE_PGM_RSRC2:TGID_Z_EN: 0
; COMPUTE_PGM_RSRC2:TIDIG_COMP_CNT: 1
; COMPUTE_PGM_RSRC3_GFX90A:ACCUM_OFFSET: 52
; COMPUTE_PGM_RSRC3_GFX90A:TG_SPLIT: 0
	.section	.text._ZN9rocsolver6v33100L18getf2_small_kernelILi51EfiiPfEEvT1_T3_lS3_lPS3_llPT2_S3_S3_S5_l,"axG",@progbits,_ZN9rocsolver6v33100L18getf2_small_kernelILi51EfiiPfEEvT1_T3_lS3_lPS3_llPT2_S3_S3_S5_l,comdat
	.globl	_ZN9rocsolver6v33100L18getf2_small_kernelILi51EfiiPfEEvT1_T3_lS3_lPS3_llPT2_S3_S3_S5_l ; -- Begin function _ZN9rocsolver6v33100L18getf2_small_kernelILi51EfiiPfEEvT1_T3_lS3_lPS3_llPT2_S3_S3_S5_l
	.p2align	8
	.type	_ZN9rocsolver6v33100L18getf2_small_kernelILi51EfiiPfEEvT1_T3_lS3_lPS3_llPT2_S3_S3_S5_l,@function
_ZN9rocsolver6v33100L18getf2_small_kernelILi51EfiiPfEEvT1_T3_lS3_lPS3_llPT2_S3_S3_S5_l: ; @_ZN9rocsolver6v33100L18getf2_small_kernelILi51EfiiPfEEvT1_T3_lS3_lPS3_llPT2_S3_S3_S5_l
; %bb.0:
	s_load_dword s2, s[0:1], 0x6c
	s_load_dwordx2 s[18:19], s[0:1], 0x48
	v_bfe_u32 v57, v0, 10, 10
	s_waitcnt lgkmcnt(0)
	s_lshr_b32 s2, s2, 16
	s_mul_i32 s3, s3, s2
	v_add_u32_e32 v2, s3, v57
	v_cmp_gt_i32_e32 vcc, s18, v2
	s_and_saveexec_b64 s[2:3], vcc
	s_cbranch_execz .LBB100_864
; %bb.1:
	s_load_dwordx4 s[4:7], s[0:1], 0x50
	v_ashrrev_i32_e32 v3, 31, v2
	v_mov_b64_e32 v[4:5], 0
	s_waitcnt lgkmcnt(0)
	s_cmp_eq_u64 s[4:5], 0
	s_cselect_b64 s[20:21], -1, 0
	s_and_b64 vcc, exec, s[20:21]
	s_cbranch_vccnz .LBB100_3
; %bb.2:
	v_mul_lo_u32 v1, s7, v2
	v_mul_lo_u32 v6, s6, v3
	v_mad_u64_u32 v[4:5], s[2:3], s6, v2, 0
	v_add3_u32 v5, v5, v6, v1
	v_lshl_add_u64 v[4:5], v[4:5], 2, s[4:5]
.LBB100_3:
	s_load_dwordx4 s[12:15], s[0:1], 0x8
	s_load_dwordx8 s[4:11], s[0:1], 0x20
	s_load_dword s16, s[0:1], 0x18
	s_load_dword s22, s[0:1], 0x0
	v_and_b32_e32 v62, 0x3ff, v0
	s_waitcnt lgkmcnt(0)
	v_mov_b32_e32 v6, s12
	v_mul_lo_u32 v1, s5, v2
	v_mul_lo_u32 v10, s4, v3
	v_mad_u64_u32 v[8:9], s[2:3], s4, v2, 0
	v_mov_b32_e32 v7, s13
	v_add3_u32 v9, v9, v10, v1
	s_add_i32 s18, s16, s16
	v_lshl_add_u64 v[6:7], v[8:9], 2, v[6:7]
	v_add_u32_e32 v8, s18, v62
	v_lshl_add_u64 v[6:7], s[14:15], 2, v[6:7]
	v_ashrrev_i32_e32 v9, 31, v8
	v_lshl_add_u64 v[10:11], v[8:9], 2, v[6:7]
	v_add_u32_e32 v8, s16, v8
	v_ashrrev_i32_e32 v9, 31, v8
	v_lshl_add_u64 v[12:13], v[8:9], 2, v[6:7]
	v_add_u32_e32 v8, s16, v8
	v_ashrrev_i32_e32 v9, 31, v8
	v_lshl_add_u64 v[14:15], v[8:9], 2, v[6:7]
	v_add_u32_e32 v8, s16, v8
	v_ashrrev_i32_e32 v9, 31, v8
	v_lshlrev_b32_e32 v58, 2, v62
	v_mov_b32_e32 v59, 0
	v_lshl_add_u64 v[16:17], v[8:9], 2, v[6:7]
	v_add_u32_e32 v8, s16, v8
	v_lshl_add_u64 v[50:51], v[6:7], 0, v[58:59]
	s_ashr_i32 s17, s16, 31
	v_add_u32_e32 v52, s16, v8
	v_lshl_add_u64 v[0:1], s[16:17], 2, v[50:51]
	v_ashrrev_i32_e32 v9, 31, v8
	v_add_u32_e32 v60, s16, v52
	v_lshl_add_u64 v[18:19], v[8:9], 2, v[6:7]
	global_load_dword v46, v[0:1], off
	global_load_dword v47, v[10:11], off
	;; [unrolled: 1-line block ×6, first 2 shown]
	v_add_u32_e32 v0, s16, v60
	v_ashrrev_i32_e32 v1, 31, v0
	v_lshl_add_u64 v[8:9], v[0:1], 2, v[6:7]
	v_add_u32_e32 v0, s16, v0
	v_add_u32_e32 v54, s16, v0
	;; [unrolled: 1-line block ×6, first 2 shown]
	v_ashrrev_i32_e32 v1, 31, v0
	v_add_u32_e32 v48, s16, v70
	v_lshl_add_u64 v[10:11], v[0:1], 2, v[6:7]
	v_add_u32_e32 v0, s16, v48
	v_ashrrev_i32_e32 v1, 31, v0
	global_load_dword v40, v[8:9], off
	global_load_dword v41, v[10:11], off
	v_lshl_add_u64 v[8:9], v[0:1], 2, v[6:7]
	v_add_u32_e32 v0, s16, v0
	v_ashrrev_i32_e32 v1, 31, v0
	v_lshl_add_u64 v[10:11], v[0:1], 2, v[6:7]
	v_add_u32_e32 v0, s16, v0
	v_ashrrev_i32_e32 v1, 31, v0
	;; [unrolled: 3-line block ×7, first 2 shown]
	global_load_dword v38, v[8:9], off
	global_load_dword v39, v[10:11], off
	;; [unrolled: 1-line block ×7, first 2 shown]
	v_lshl_add_u64 v[8:9], v[0:1], 2, v[6:7]
	v_add_u32_e32 v0, s16, v0
	v_ashrrev_i32_e32 v1, 31, v0
	v_lshl_add_u64 v[10:11], v[0:1], 2, v[6:7]
	v_add_u32_e32 v0, s16, v0
	v_ashrrev_i32_e32 v1, 31, v0
	;; [unrolled: 3-line block ×8, first 2 shown]
	global_load_dword v23, v[8:9], off
	global_load_dword v36, v[10:11], off
	;; [unrolled: 1-line block ×8, first 2 shown]
	v_lshl_add_u64 v[10:11], v[0:1], 2, v[6:7]
	v_add_u32_e32 v0, s16, v0
	v_ashrrev_i32_e32 v1, 31, v0
	v_lshl_add_u64 v[12:13], v[0:1], 2, v[6:7]
	v_add_u32_e32 v0, s16, v0
	v_ashrrev_i32_e32 v1, 31, v0
	;; [unrolled: 3-line block ×8, first 2 shown]
	global_load_dword v17, v[10:11], off
	global_load_dword v32, v[12:13], off
	;; [unrolled: 1-line block ×8, first 2 shown]
	v_lshl_add_u64 v[10:11], v[0:1], 2, v[6:7]
	v_add_u32_e32 v0, s16, v0
	v_ashrrev_i32_e32 v1, 31, v0
	v_lshl_add_u64 v[12:13], v[0:1], 2, v[6:7]
	v_add_u32_e32 v0, s16, v0
	v_ashrrev_i32_e32 v1, 31, v0
	;; [unrolled: 3-line block ×5, first 2 shown]
	global_load_dword v9, v[10:11], off
	global_load_dword v20, v[12:13], off
	;; [unrolled: 1-line block ×3, first 2 shown]
	s_nop 0
	global_load_dword v10, v[72:73], off
	global_load_dword v11, v[74:75], off
	v_lshl_add_u64 v[12:13], v[0:1], 2, v[6:7]
	v_add_u32_e32 v0, s16, v0
	v_ashrrev_i32_e32 v1, 31, v0
	v_lshl_add_u64 v[72:73], v[0:1], 2, v[6:7]
	global_load_dword v14, v[12:13], off
	global_load_dword v15, v[72:73], off
	v_add_u32_e32 v12, s16, v0
	v_ashrrev_i32_e32 v13, 31, v12
	v_lshl_add_u64 v[0:1], v[12:13], 2, v[6:7]
	v_add_u32_e32 v12, s16, v12
	v_ashrrev_i32_e32 v13, 31, v12
	v_lshl_add_u64 v[72:73], v[12:13], 2, v[6:7]
	v_add_u32_e32 v12, s16, v12
	v_ashrrev_i32_e32 v13, 31, v12
	global_load_dword v0, v[0:1], off
	v_ashrrev_i32_e32 v49, 31, v48
	global_load_dword v1, v[72:73], off
	v_lshl_add_u64 v[72:73], v[12:13], 2, v[6:7]
	v_add_u32_e32 v12, s16, v12
	v_ashrrev_i32_e32 v13, 31, v12
	v_ashrrev_i32_e32 v55, 31, v54
	;; [unrolled: 1-line block ×3, first 2 shown]
	v_lshl_add_u64 v[74:75], v[12:13], 2, v[6:7]
	global_load_dword v12, v[72:73], off
	global_load_dword v13, v[74:75], off
	v_lshl_add_u64 v[48:49], v[48:49], 2, v[6:7]
	v_lshl_add_u64 v[72:73], v[54:55], 2, v[6:7]
	v_ashrrev_i32_e32 v65, 31, v64
	v_ashrrev_i32_e32 v67, 31, v66
	;; [unrolled: 1-line block ×3, first 2 shown]
	v_lshl_add_u64 v[52:53], v[52:53], 2, v[6:7]
	v_ashrrev_i32_e32 v71, 31, v70
	v_ashrrev_i32_e32 v61, 31, v60
	global_load_dword v49, v[48:49], off
	v_lshl_add_u64 v[64:65], v[64:65], 2, v[6:7]
	v_lshl_add_u64 v[66:67], v[66:67], 2, v[6:7]
	v_lshl_add_u64 v[68:69], v[68:69], 2, v[6:7]
	global_load_dword v54, v[52:53], off
	global_load_dword v56, v[50:51], off
	v_lshl_add_u64 v[70:71], v[70:71], 2, v[6:7]
	v_lshl_add_u64 v[60:61], v[60:61], 2, v[6:7]
	global_load_dword v52, v[72:73], off
	global_load_dword v53, v[64:65], off
	;; [unrolled: 1-line block ×5, first 2 shown]
                                        ; kill: killed $vgpr72_vgpr73
                                        ; kill: killed $vgpr64_vgpr65
                                        ; kill: killed $vgpr66_vgpr67
                                        ; kill: killed $vgpr68_vgpr69
                                        ; kill: killed $vgpr70_vgpr71
	global_load_dword v55, v[60:61], off
	s_max_i32 s2, s22, 51
	v_mul_lo_u32 v60, s2, v57
	v_lshl_add_u32 v57, v60, 2, 0
	v_add_u32_e32 v58, v57, v58
	s_load_dwordx2 s[4:5], s[0:1], 0x40
	s_cmp_lt_i32 s22, 2
	v_lshlrev_b32_e32 v60, 2, v60
	s_waitcnt vmcnt(6)
	ds_write_b32 v58, v56
	s_waitcnt lgkmcnt(0)
	s_barrier
	ds_read_b32 v58, v57
	s_cbranch_scc1 .LBB100_6
; %bb.4:
	v_add3_u32 v61, v60, 0, 4
	v_mov_b32_e32 v59, 0
	s_mov_b32 s0, 1
.LBB100_5:                              ; =>This Inner Loop Header: Depth=1
	ds_read_b32 v63, v61
	v_mov_b32_e32 v64, s0
	s_add_i32 s0, s0, 1
	v_add_u32_e32 v61, 4, v61
	s_cmp_eq_u32 s22, s0
	s_waitcnt lgkmcnt(0)
	v_cmp_lt_f32_e64 vcc, |v58|, |v63|
	s_nop 1
	v_cndmask_b32_e32 v58, v58, v63, vcc
	v_cndmask_b32_e32 v59, v59, v64, vcc
	s_cbranch_scc0 .LBB100_5
.LBB100_6:
	v_cmp_ne_u32_e32 vcc, v62, v59
                                        ; implicit-def: $vgpr61
	s_and_saveexec_b64 s[0:1], vcc
	s_xor_b64 s[0:1], exec, s[0:1]
	s_cbranch_execz .LBB100_12
; %bb.7:
	v_cmp_eq_u32_e32 vcc, 0, v62
	s_and_saveexec_b64 s[2:3], vcc
	s_cbranch_execz .LBB100_11
; %bb.8:
	v_cmp_ne_u32_e32 vcc, 0, v59
	s_xor_b64 s[12:13], s[20:21], -1
	s_and_b64 s[14:15], s[12:13], vcc
	s_and_saveexec_b64 s[12:13], s[14:15]
	s_cbranch_execz .LBB100_10
; %bb.9:
	v_ashrrev_i32_e32 v63, 31, v59
	v_mov_b32_e32 v62, v59
	v_lshl_add_u64 v[62:63], v[62:63], 2, v[4:5]
	global_load_dword v61, v[62:63], off
	global_load_dword v64, v[4:5], off
	s_waitcnt vmcnt(1)
	global_store_dword v[4:5], v61, off
	s_waitcnt vmcnt(1)
	global_store_dword v[62:63], v64, off
.LBB100_10:
	s_or_b64 exec, exec, s[12:13]
	v_mov_b32_e32 v62, v59
.LBB100_11:
	s_or_b64 exec, exec, s[2:3]
	v_mov_b32_e32 v61, v62
                                        ; implicit-def: $vgpr62
.LBB100_12:
	s_or_saveexec_b64 s[0:1], s[0:1]
	v_mov_b32_e32 v59, v61
	s_xor_b64 exec, exec, s[0:1]
	s_cbranch_execz .LBB100_14
; %bb.13:
	v_mov_b32_e32 v61, 0
	v_mov_b32_e32 v59, v62
	ds_write2_b32 v57, v46, v47 offset0:1 offset1:2
	ds_write2_b32 v57, v44, v45 offset0:3 offset1:4
	;; [unrolled: 1-line block ×3, first 2 shown]
	s_waitcnt vmcnt(0)
	ds_write2_b32 v57, v54, v55 offset0:7 offset1:8
	ds_write2_b32 v57, v40, v41 offset0:9 offset1:10
	;; [unrolled: 1-line block ×22, first 2 shown]
.LBB100_14:
	s_or_b64 exec, exec, s[0:1]
	s_waitcnt lgkmcnt(0)
	v_cmp_eq_f32_e64 s[0:1], 0, v58
	v_cmp_lt_i32_e32 vcc, 0, v61
	s_barrier
	s_and_saveexec_b64 s[2:3], vcc
	s_cbranch_execz .LBB100_16
; %bb.15:
	v_div_scale_f32 v62, s[12:13], v58, v58, 1.0
	v_rcp_f32_e32 v63, v62
	v_div_scale_f32 v64, vcc, 1.0, v58, 1.0
	v_fma_f32 v65, -v62, v63, 1.0
	v_fmac_f32_e32 v63, v65, v63
	v_mul_f32_e32 v65, v64, v63
	v_fma_f32 v66, -v62, v65, v64
	v_fmac_f32_e32 v65, v66, v63
	v_fma_f32 v62, -v62, v65, v64
	v_div_fmas_f32 v62, v62, v63, v65
	v_div_fixup_f32 v62, v62, v58, 1.0
	v_cndmask_b32_e64 v58, v62, v58, s[0:1]
	ds_read2_b32 v[62:63], v57 offset0:1 offset1:2
	ds_read2_b32 v[64:65], v57 offset0:3 offset1:4
	;; [unrolled: 1-line block ×3, first 2 shown]
	v_mul_f32_e32 v56, v58, v56
	ds_read2_b32 v[68:69], v57 offset0:7 offset1:8
	s_waitcnt lgkmcnt(3)
	v_pk_fma_f32 v[46:47], v[56:57], v[62:63], v[46:47] op_sel_hi:[0,1,1] neg_lo:[1,0,0] neg_hi:[1,0,0]
	s_waitcnt lgkmcnt(2)
	v_pk_fma_f32 v[44:45], v[56:57], v[64:65], v[44:45] op_sel_hi:[0,1,1] neg_lo:[1,0,0] neg_hi:[1,0,0]
	;; [unrolled: 2-line block ×3, first 2 shown]
	ds_read2_b32 v[62:63], v57 offset0:9 offset1:10
	ds_read2_b32 v[64:65], v57 offset0:11 offset1:12
	;; [unrolled: 1-line block ×3, first 2 shown]
	s_waitcnt vmcnt(0) lgkmcnt(3)
	v_pk_fma_f32 v[54:55], v[56:57], v[68:69], v[54:55] op_sel_hi:[0,1,1] neg_lo:[1,0,0] neg_hi:[1,0,0]
	ds_read2_b32 v[68:69], v57 offset0:15 offset1:16
	s_waitcnt lgkmcnt(3)
	v_pk_fma_f32 v[40:41], v[56:57], v[62:63], v[40:41] op_sel_hi:[0,1,1] neg_lo:[1,0,0] neg_hi:[1,0,0]
	s_waitcnt lgkmcnt(2)
	v_pk_fma_f32 v[52:53], v[56:57], v[64:65], v[52:53] op_sel_hi:[0,1,1] neg_lo:[1,0,0] neg_hi:[1,0,0]
	;; [unrolled: 2-line block ×3, first 2 shown]
	ds_read2_b32 v[62:63], v57 offset0:17 offset1:18
	ds_read2_b32 v[64:65], v57 offset0:19 offset1:20
	;; [unrolled: 1-line block ×3, first 2 shown]
	s_waitcnt lgkmcnt(3)
	v_pk_fma_f32 v[48:49], v[56:57], v[68:69], v[48:49] op_sel_hi:[0,1,1] neg_lo:[1,0,0] neg_hi:[1,0,0]
	ds_read2_b32 v[68:69], v57 offset0:23 offset1:24
	s_waitcnt lgkmcnt(3)
	v_pk_fma_f32 v[38:39], v[56:57], v[62:63], v[38:39] op_sel_hi:[0,1,1] neg_lo:[1,0,0] neg_hi:[1,0,0]
	s_waitcnt lgkmcnt(2)
	v_pk_fma_f32 v[34:35], v[56:57], v[64:65], v[34:35] op_sel_hi:[0,1,1] neg_lo:[1,0,0] neg_hi:[1,0,0]
	;; [unrolled: 2-line block ×3, first 2 shown]
	ds_read2_b32 v[62:63], v57 offset0:25 offset1:26
	ds_read2_b32 v[64:65], v57 offset0:27 offset1:28
	ds_read2_b32 v[66:67], v57 offset0:29 offset1:30
	s_waitcnt lgkmcnt(3)
	v_pk_fma_f32 v[22:23], v[56:57], v[68:69], v[22:23] op_sel_hi:[0,1,1] neg_lo:[1,0,0] neg_hi:[1,0,0]
	ds_read2_b32 v[68:69], v57 offset0:31 offset1:32
	s_waitcnt lgkmcnt(3)
	v_pk_fma_f32 v[36:37], v[56:57], v[62:63], v[36:37] op_sel_hi:[0,1,1] neg_lo:[1,0,0] neg_hi:[1,0,0]
	s_waitcnt lgkmcnt(2)
	v_pk_fma_f32 v[30:31], v[56:57], v[64:65], v[30:31] op_sel_hi:[0,1,1] neg_lo:[1,0,0] neg_hi:[1,0,0]
	;; [unrolled: 2-line block ×3, first 2 shown]
	ds_read2_b32 v[62:63], v57 offset0:33 offset1:34
	ds_read2_b32 v[64:65], v57 offset0:35 offset1:36
	;; [unrolled: 1-line block ×4, first 2 shown]
	s_waitcnt lgkmcnt(4)
	v_pk_fma_f32 v[16:17], v[56:57], v[68:69], v[16:17] op_sel_hi:[0,1,1] neg_lo:[1,0,0] neg_hi:[1,0,0]
	s_waitcnt lgkmcnt(3)
	v_pk_fma_f32 v[32:33], v[56:57], v[62:63], v[32:33] op_sel_hi:[0,1,1] neg_lo:[1,0,0] neg_hi:[1,0,0]
	;; [unrolled: 2-line block ×5, first 2 shown]
	ds_read2_b32 v[62:63], v57 offset0:41 offset1:42
	ds_read2_b32 v[64:65], v57 offset0:43 offset1:44
	;; [unrolled: 1-line block ×5, first 2 shown]
	s_waitcnt lgkmcnt(4)
	v_pk_fma_f32 v[20:21], v[56:57], v[62:63], v[20:21] op_sel_hi:[0,1,1] neg_lo:[1,0,0] neg_hi:[1,0,0]
	s_waitcnt lgkmcnt(3)
	v_pk_fma_f32 v[10:11], v[56:57], v[64:65], v[10:11] op_sel_hi:[0,1,1] neg_lo:[1,0,0] neg_hi:[1,0,0]
	;; [unrolled: 2-line block ×5, first 2 shown]
.LBB100_16:
	s_or_b64 exec, exec, s[2:3]
	v_lshl_add_u32 v58, v61, 2, v57
	s_barrier
	ds_write_b32 v58, v46
	s_waitcnt lgkmcnt(0)
	s_barrier
	ds_read_b32 v62, v57 offset:4
	s_mov_b32 s2, 2
	s_cmp_lt_i32 s22, 3
	v_mov_b32_e32 v58, 1
	s_cbranch_scc1 .LBB100_19
; %bb.17:
	v_add3_u32 v63, v60, 0, 8
	v_mov_b32_e32 v58, 1
.LBB100_18:                             ; =>This Inner Loop Header: Depth=1
	ds_read_b32 v64, v63
	v_mov_b32_e32 v65, s2
	s_add_i32 s2, s2, 1
	v_add_u32_e32 v63, 4, v63
	s_cmp_lg_u32 s22, s2
	s_waitcnt lgkmcnt(0)
	v_cmp_lt_f32_e64 vcc, |v62|, |v64|
	s_nop 1
	v_cndmask_b32_e32 v62, v62, v64, vcc
	v_cndmask_b32_e32 v58, v58, v65, vcc
	s_cbranch_scc1 .LBB100_18
.LBB100_19:
	v_cmp_ne_u32_e32 vcc, v61, v58
	s_and_saveexec_b64 s[2:3], vcc
	s_xor_b64 s[2:3], exec, s[2:3]
	s_cbranch_execz .LBB100_25
; %bb.20:
	v_cmp_eq_u32_e32 vcc, 1, v61
	s_and_saveexec_b64 s[12:13], vcc
	s_cbranch_execz .LBB100_24
; %bb.21:
	v_cmp_ne_u32_e32 vcc, 1, v58
	s_xor_b64 s[14:15], s[20:21], -1
	s_and_b64 s[24:25], s[14:15], vcc
	s_and_saveexec_b64 s[14:15], s[24:25]
	s_cbranch_execz .LBB100_23
; %bb.22:
	v_ashrrev_i32_e32 v59, 31, v58
	v_lshl_add_u64 v[64:65], v[58:59], 2, v[4:5]
	global_load_dword v59, v[64:65], off
	global_load_dword v61, v[4:5], off offset:4
	s_waitcnt vmcnt(1)
	global_store_dword v[4:5], v59, off offset:4
	s_waitcnt vmcnt(1)
	global_store_dword v[64:65], v61, off
.LBB100_23:
	s_or_b64 exec, exec, s[14:15]
	v_mov_b32_e32 v59, v58
	v_mov_b32_e32 v61, v58
.LBB100_24:
	s_or_b64 exec, exec, s[12:13]
.LBB100_25:
	s_andn2_saveexec_b64 s[2:3], s[2:3]
	s_cbranch_execz .LBB100_27
; %bb.26:
	v_pk_mov_b32 v[64:65], v[46:47], v[44:45] op_sel:[1,0]
	ds_write2_b32 v57, v64, v65 offset0:2 offset1:3
	v_pk_mov_b32 v[64:65], v[44:45], v[42:43] op_sel:[1,0]
	ds_write2_b32 v57, v64, v65 offset0:4 offset1:5
	s_waitcnt vmcnt(0)
	v_pk_mov_b32 v[64:65], v[42:43], v[54:55] op_sel:[1,0]
	ds_write2_b32 v57, v64, v65 offset0:6 offset1:7
	v_pk_mov_b32 v[64:65], v[54:55], v[40:41] op_sel:[1,0]
	ds_write2_b32 v57, v64, v65 offset0:8 offset1:9
	;; [unrolled: 2-line block ×21, first 2 shown]
	v_pk_mov_b32 v[64:65], v[0:1], v[12:13] op_sel:[1,0]
	v_mov_b32_e32 v61, 1
	ds_write2_b32 v57, v64, v65 offset0:48 offset1:49
	ds_write_b32 v57, v13 offset:200
.LBB100_27:
	s_or_b64 exec, exec, s[2:3]
	s_waitcnt lgkmcnt(0)
	v_cmp_neq_f32_e64 s[2:3], 0, v62
	v_cmp_lt_i32_e32 vcc, 1, v61
	s_barrier
	s_and_saveexec_b64 s[12:13], vcc
	s_cbranch_execz .LBB100_29
; %bb.28:
	v_div_scale_f32 v58, s[14:15], v62, v62, 1.0
	v_rcp_f32_e32 v63, v58
	v_div_scale_f32 v64, vcc, 1.0, v62, 1.0
	v_fma_f32 v65, -v58, v63, 1.0
	v_fmac_f32_e32 v63, v65, v63
	v_mul_f32_e32 v65, v64, v63
	v_fma_f32 v66, -v58, v65, v64
	v_fmac_f32_e32 v65, v66, v63
	v_fma_f32 v58, -v58, v65, v64
	v_div_fmas_f32 v58, v58, v63, v65
	v_div_fixup_f32 v58, v58, v62, 1.0
	v_cndmask_b32_e64 v58, v62, v58, s[2:3]
	ds_read_b32 v68, v57 offset:8
	ds_read2_b32 v[62:63], v57 offset0:3 offset1:4
	ds_read2_b32 v[64:65], v57 offset0:5 offset1:6
	v_mul_f32_e32 v46, v58, v46
	ds_read2_b32 v[66:67], v57 offset0:7 offset1:8
	s_waitcnt lgkmcnt(3)
	v_fma_f32 v47, -v46, v68, v47
	s_waitcnt lgkmcnt(2)
	v_pk_fma_f32 v[44:45], v[46:47], v[62:63], v[44:45] op_sel_hi:[0,1,1] neg_lo:[1,0,0] neg_hi:[1,0,0]
	s_waitcnt lgkmcnt(1)
	v_pk_fma_f32 v[42:43], v[46:47], v[64:65], v[42:43] op_sel_hi:[0,1,1] neg_lo:[1,0,0] neg_hi:[1,0,0]
	ds_read2_b32 v[62:63], v57 offset0:9 offset1:10
	ds_read2_b32 v[64:65], v57 offset0:11 offset1:12
	;; [unrolled: 1-line block ×3, first 2 shown]
	s_waitcnt vmcnt(0) lgkmcnt(3)
	v_pk_fma_f32 v[54:55], v[46:47], v[66:67], v[54:55] op_sel_hi:[0,1,1] neg_lo:[1,0,0] neg_hi:[1,0,0]
	ds_read2_b32 v[66:67], v57 offset0:15 offset1:16
	s_waitcnt lgkmcnt(3)
	v_pk_fma_f32 v[40:41], v[46:47], v[62:63], v[40:41] op_sel_hi:[0,1,1] neg_lo:[1,0,0] neg_hi:[1,0,0]
	s_waitcnt lgkmcnt(2)
	v_pk_fma_f32 v[52:53], v[46:47], v[64:65], v[52:53] op_sel_hi:[0,1,1] neg_lo:[1,0,0] neg_hi:[1,0,0]
	;; [unrolled: 2-line block ×3, first 2 shown]
	ds_read2_b32 v[62:63], v57 offset0:17 offset1:18
	ds_read2_b32 v[64:65], v57 offset0:19 offset1:20
	;; [unrolled: 1-line block ×3, first 2 shown]
	s_waitcnt lgkmcnt(3)
	v_pk_fma_f32 v[48:49], v[46:47], v[66:67], v[48:49] op_sel_hi:[0,1,1] neg_lo:[1,0,0] neg_hi:[1,0,0]
	ds_read2_b32 v[66:67], v57 offset0:23 offset1:24
	s_waitcnt lgkmcnt(3)
	v_pk_fma_f32 v[38:39], v[46:47], v[62:63], v[38:39] op_sel_hi:[0,1,1] neg_lo:[1,0,0] neg_hi:[1,0,0]
	s_waitcnt lgkmcnt(2)
	v_pk_fma_f32 v[34:35], v[46:47], v[64:65], v[34:35] op_sel_hi:[0,1,1] neg_lo:[1,0,0] neg_hi:[1,0,0]
	;; [unrolled: 2-line block ×3, first 2 shown]
	ds_read2_b32 v[62:63], v57 offset0:25 offset1:26
	ds_read2_b32 v[64:65], v57 offset0:27 offset1:28
	;; [unrolled: 1-line block ×3, first 2 shown]
	s_waitcnt lgkmcnt(3)
	v_pk_fma_f32 v[22:23], v[46:47], v[66:67], v[22:23] op_sel_hi:[0,1,1] neg_lo:[1,0,0] neg_hi:[1,0,0]
	ds_read2_b32 v[66:67], v57 offset0:31 offset1:32
	s_waitcnt lgkmcnt(3)
	v_pk_fma_f32 v[36:37], v[46:47], v[62:63], v[36:37] op_sel_hi:[0,1,1] neg_lo:[1,0,0] neg_hi:[1,0,0]
	s_waitcnt lgkmcnt(2)
	v_pk_fma_f32 v[30:31], v[46:47], v[64:65], v[30:31] op_sel_hi:[0,1,1] neg_lo:[1,0,0] neg_hi:[1,0,0]
	;; [unrolled: 2-line block ×3, first 2 shown]
	ds_read2_b32 v[62:63], v57 offset0:33 offset1:34
	ds_read2_b32 v[64:65], v57 offset0:35 offset1:36
	;; [unrolled: 1-line block ×4, first 2 shown]
	s_waitcnt lgkmcnt(4)
	v_pk_fma_f32 v[16:17], v[46:47], v[66:67], v[16:17] op_sel_hi:[0,1,1] neg_lo:[1,0,0] neg_hi:[1,0,0]
	s_waitcnt lgkmcnt(3)
	v_pk_fma_f32 v[32:33], v[46:47], v[62:63], v[32:33] op_sel_hi:[0,1,1] neg_lo:[1,0,0] neg_hi:[1,0,0]
	s_waitcnt lgkmcnt(2)
	v_pk_fma_f32 v[26:27], v[46:47], v[64:65], v[26:27] op_sel_hi:[0,1,1] neg_lo:[1,0,0] neg_hi:[1,0,0]
	s_waitcnt lgkmcnt(1)
	v_pk_fma_f32 v[18:19], v[46:47], v[68:69], v[18:19] op_sel_hi:[0,1,1] neg_lo:[1,0,0] neg_hi:[1,0,0]
	s_waitcnt lgkmcnt(0)
	v_pk_fma_f32 v[8:9], v[46:47], v[70:71], v[8:9] op_sel_hi:[0,1,1] neg_lo:[1,0,0] neg_hi:[1,0,0]
	ds_read2_b32 v[62:63], v57 offset0:41 offset1:42
	ds_read2_b32 v[64:65], v57 offset0:43 offset1:44
	;; [unrolled: 1-line block ×5, first 2 shown]
	s_waitcnt lgkmcnt(4)
	v_pk_fma_f32 v[20:21], v[46:47], v[62:63], v[20:21] op_sel_hi:[0,1,1] neg_lo:[1,0,0] neg_hi:[1,0,0]
	s_waitcnt lgkmcnt(3)
	v_pk_fma_f32 v[10:11], v[46:47], v[64:65], v[10:11] op_sel_hi:[0,1,1] neg_lo:[1,0,0] neg_hi:[1,0,0]
	;; [unrolled: 2-line block ×5, first 2 shown]
.LBB100_29:
	s_or_b64 exec, exec, s[12:13]
	v_lshl_add_u32 v58, v61, 2, v57
	s_barrier
	ds_write_b32 v58, v47
	s_waitcnt lgkmcnt(0)
	s_barrier
	ds_read_b32 v63, v57 offset:8
	s_cmp_lt_i32 s22, 4
	v_mov_b32_e32 v58, 2
	s_cbranch_scc1 .LBB100_32
; %bb.30:
	v_mov_b32_e32 v58, 2
	v_add3_u32 v62, v60, 0, 12
	s_mov_b32 s12, 3
.LBB100_31:                             ; =>This Inner Loop Header: Depth=1
	ds_read_b32 v64, v62
	v_mov_b32_e32 v65, s12
	s_add_i32 s12, s12, 1
	v_add_u32_e32 v62, 4, v62
	s_cmp_lg_u32 s22, s12
	s_waitcnt lgkmcnt(0)
	v_cmp_lt_f32_e64 vcc, |v63|, |v64|
	s_nop 1
	v_cndmask_b32_e32 v63, v63, v64, vcc
	v_cndmask_b32_e32 v58, v58, v65, vcc
	s_cbranch_scc1 .LBB100_31
.LBB100_32:
	v_cndmask_b32_e64 v62, 2, 1, s[0:1]
	v_cndmask_b32_e64 v64, 0, 1, s[0:1]
	;; [unrolled: 1-line block ×3, first 2 shown]
	s_waitcnt lgkmcnt(0)
	v_cmp_eq_f32_e32 vcc, 0, v63
	s_and_saveexec_b64 s[0:1], vcc
	s_xor_b64 s[0:1], exec, s[0:1]
; %bb.33:
	v_cmp_ne_u32_e32 vcc, 0, v62
	s_nop 1
	v_cndmask_b32_e32 v62, 3, v62, vcc
; %bb.34:
	s_andn2_saveexec_b64 s[0:1], s[0:1]
	s_cbranch_execz .LBB100_36
; %bb.35:
	v_div_scale_f32 v64, s[2:3], v63, v63, 1.0
	v_rcp_f32_e32 v65, v64
	v_div_scale_f32 v66, vcc, 1.0, v63, 1.0
	v_fma_f32 v67, -v64, v65, 1.0
	v_fmac_f32_e32 v65, v67, v65
	v_mul_f32_e32 v67, v66, v65
	v_fma_f32 v68, -v64, v67, v66
	v_fmac_f32_e32 v67, v68, v65
	v_fma_f32 v64, -v64, v67, v66
	v_div_fmas_f32 v64, v64, v65, v67
	v_div_fixup_f32 v63, v64, v63, 1.0
.LBB100_36:
	s_or_b64 exec, exec, s[0:1]
	v_cmp_ne_u32_e32 vcc, v61, v58
	s_and_saveexec_b64 s[0:1], vcc
	s_xor_b64 s[0:1], exec, s[0:1]
	s_cbranch_execz .LBB100_42
; %bb.37:
	v_cmp_eq_u32_e32 vcc, 2, v61
	s_and_saveexec_b64 s[2:3], vcc
	s_cbranch_execz .LBB100_41
; %bb.38:
	v_cmp_ne_u32_e32 vcc, 2, v58
	s_xor_b64 s[12:13], s[20:21], -1
	s_and_b64 s[14:15], s[12:13], vcc
	s_and_saveexec_b64 s[12:13], s[14:15]
	s_cbranch_execz .LBB100_40
; %bb.39:
	v_ashrrev_i32_e32 v59, 31, v58
	v_lshl_add_u64 v[64:65], v[58:59], 2, v[4:5]
	global_load_dword v59, v[64:65], off
	global_load_dword v61, v[4:5], off offset:8
	s_waitcnt vmcnt(1)
	global_store_dword v[4:5], v59, off offset:8
	s_waitcnt vmcnt(1)
	global_store_dword v[64:65], v61, off
.LBB100_40:
	s_or_b64 exec, exec, s[12:13]
	v_mov_b32_e32 v59, v58
	v_mov_b32_e32 v61, v58
.LBB100_41:
	s_or_b64 exec, exec, s[2:3]
.LBB100_42:
	s_andn2_saveexec_b64 s[0:1], s[0:1]
	s_cbranch_execz .LBB100_44
; %bb.43:
	v_mov_b32_e32 v61, 2
	ds_write2_b32 v57, v44, v45 offset0:3 offset1:4
	ds_write2_b32 v57, v42, v43 offset0:5 offset1:6
	s_waitcnt vmcnt(0)
	ds_write2_b32 v57, v54, v55 offset0:7 offset1:8
	ds_write2_b32 v57, v40, v41 offset0:9 offset1:10
	;; [unrolled: 1-line block ×22, first 2 shown]
.LBB100_44:
	s_or_b64 exec, exec, s[0:1]
	v_cmp_lt_i32_e32 vcc, 2, v61
	s_waitcnt lgkmcnt(0)
	s_barrier
	s_and_saveexec_b64 s[0:1], vcc
	s_cbranch_execz .LBB100_46
; %bb.45:
	ds_read2_b32 v[64:65], v57 offset0:3 offset1:4
	ds_read2_b32 v[66:67], v57 offset0:5 offset1:6
	;; [unrolled: 1-line block ×3, first 2 shown]
	v_mul_f32_e32 v58, v63, v47
	ds_read2_b32 v[70:71], v57 offset0:9 offset1:10
	s_waitcnt lgkmcnt(3)
	v_pk_fma_f32 v[44:45], v[58:59], v[64:65], v[44:45] op_sel_hi:[0,1,1] neg_lo:[1,0,0] neg_hi:[1,0,0]
	s_waitcnt lgkmcnt(2)
	v_pk_fma_f32 v[42:43], v[58:59], v[66:67], v[42:43] op_sel_hi:[0,1,1] neg_lo:[1,0,0] neg_hi:[1,0,0]
	s_waitcnt vmcnt(0) lgkmcnt(1)
	v_pk_fma_f32 v[54:55], v[58:59], v[68:69], v[54:55] op_sel_hi:[0,1,1] neg_lo:[1,0,0] neg_hi:[1,0,0]
	ds_read2_b32 v[64:65], v57 offset0:11 offset1:12
	ds_read2_b32 v[66:67], v57 offset0:13 offset1:14
	ds_read2_b32 v[68:69], v57 offset0:15 offset1:16
	s_waitcnt lgkmcnt(3)
	v_pk_fma_f32 v[40:41], v[58:59], v[70:71], v[40:41] op_sel_hi:[0,1,1] neg_lo:[1,0,0] neg_hi:[1,0,0]
	ds_read2_b32 v[70:71], v57 offset0:17 offset1:18
	s_waitcnt lgkmcnt(3)
	v_pk_fma_f32 v[52:53], v[58:59], v[64:65], v[52:53] op_sel_hi:[0,1,1] neg_lo:[1,0,0] neg_hi:[1,0,0]
	s_waitcnt lgkmcnt(2)
	v_pk_fma_f32 v[50:51], v[58:59], v[66:67], v[50:51] op_sel_hi:[0,1,1] neg_lo:[1,0,0] neg_hi:[1,0,0]
	s_waitcnt lgkmcnt(1)
	v_pk_fma_f32 v[48:49], v[58:59], v[68:69], v[48:49] op_sel_hi:[0,1,1] neg_lo:[1,0,0] neg_hi:[1,0,0]
	ds_read2_b32 v[64:65], v57 offset0:19 offset1:20
	ds_read2_b32 v[66:67], v57 offset0:21 offset1:22
	ds_read2_b32 v[68:69], v57 offset0:23 offset1:24
	s_waitcnt lgkmcnt(3)
	v_pk_fma_f32 v[38:39], v[58:59], v[70:71], v[38:39] op_sel_hi:[0,1,1] neg_lo:[1,0,0] neg_hi:[1,0,0]
	ds_read2_b32 v[70:71], v57 offset0:25 offset1:26
	s_waitcnt lgkmcnt(3)
	v_pk_fma_f32 v[34:35], v[58:59], v[64:65], v[34:35] op_sel_hi:[0,1,1] neg_lo:[1,0,0] neg_hi:[1,0,0]
	s_waitcnt lgkmcnt(2)
	v_pk_fma_f32 v[28:29], v[58:59], v[66:67], v[28:29] op_sel_hi:[0,1,1] neg_lo:[1,0,0] neg_hi:[1,0,0]
	s_waitcnt lgkmcnt(1)
	;; [unrolled: 12-line block ×4, first 2 shown]
	v_pk_fma_f32 v[8:9], v[58:59], v[68:69], v[8:9] op_sel_hi:[0,1,1] neg_lo:[1,0,0] neg_hi:[1,0,0]
	ds_read2_b32 v[64:65], v57 offset0:43 offset1:44
	ds_read2_b32 v[66:67], v57 offset0:45 offset1:46
	ds_read2_b32 v[68:69], v57 offset0:47 offset1:48
	ds_read2_b32 v[72:73], v57 offset0:49 offset1:50
	s_waitcnt lgkmcnt(4)
	v_pk_fma_f32 v[20:21], v[58:59], v[70:71], v[20:21] op_sel_hi:[0,1,1] neg_lo:[1,0,0] neg_hi:[1,0,0]
	s_waitcnt lgkmcnt(3)
	v_pk_fma_f32 v[10:11], v[58:59], v[64:65], v[10:11] op_sel_hi:[0,1,1] neg_lo:[1,0,0] neg_hi:[1,0,0]
	s_waitcnt lgkmcnt(2)
	v_pk_fma_f32 v[14:15], v[58:59], v[66:67], v[14:15] op_sel_hi:[0,1,1] neg_lo:[1,0,0] neg_hi:[1,0,0]
	s_waitcnt lgkmcnt(1)
	v_pk_fma_f32 v[0:1], v[58:59], v[68:69], v[0:1] op_sel_hi:[0,1,1] neg_lo:[1,0,0] neg_hi:[1,0,0]
	s_waitcnt lgkmcnt(0)
	v_pk_fma_f32 v[12:13], v[58:59], v[72:73], v[12:13] op_sel_hi:[0,1,1] neg_lo:[1,0,0] neg_hi:[1,0,0]
	v_mov_b32_e32 v47, v58
.LBB100_46:
	s_or_b64 exec, exec, s[0:1]
	v_lshl_add_u32 v58, v61, 2, v57
	s_barrier
	ds_write_b32 v58, v44
	s_waitcnt lgkmcnt(0)
	s_barrier
	ds_read_b32 v63, v57 offset:12
	s_cmp_lt_i32 s22, 5
	v_mov_b32_e32 v58, 3
	s_cbranch_scc1 .LBB100_49
; %bb.47:
	v_add3_u32 v64, v60, 0, 16
	v_mov_b32_e32 v58, 3
	s_mov_b32 s0, 4
.LBB100_48:                             ; =>This Inner Loop Header: Depth=1
	ds_read_b32 v65, v64
	v_mov_b32_e32 v66, s0
	s_add_i32 s0, s0, 1
	v_add_u32_e32 v64, 4, v64
	s_cmp_lg_u32 s22, s0
	s_waitcnt lgkmcnt(0)
	v_cmp_lt_f32_e64 vcc, |v63|, |v65|
	s_nop 1
	v_cndmask_b32_e32 v63, v63, v65, vcc
	v_cndmask_b32_e32 v58, v58, v66, vcc
	s_cbranch_scc1 .LBB100_48
.LBB100_49:
	s_waitcnt lgkmcnt(0)
	v_cmp_eq_f32_e32 vcc, 0, v63
	s_and_saveexec_b64 s[0:1], vcc
	s_xor_b64 s[0:1], exec, s[0:1]
; %bb.50:
	v_cmp_ne_u32_e32 vcc, 0, v62
	s_nop 1
	v_cndmask_b32_e32 v62, 4, v62, vcc
; %bb.51:
	s_andn2_saveexec_b64 s[0:1], s[0:1]
	s_cbranch_execz .LBB100_53
; %bb.52:
	v_div_scale_f32 v64, s[2:3], v63, v63, 1.0
	v_rcp_f32_e32 v65, v64
	v_div_scale_f32 v66, vcc, 1.0, v63, 1.0
	v_fma_f32 v67, -v64, v65, 1.0
	v_fmac_f32_e32 v65, v67, v65
	v_mul_f32_e32 v67, v66, v65
	v_fma_f32 v68, -v64, v67, v66
	v_fmac_f32_e32 v67, v68, v65
	v_fma_f32 v64, -v64, v67, v66
	v_div_fmas_f32 v64, v64, v65, v67
	v_div_fixup_f32 v63, v64, v63, 1.0
.LBB100_53:
	s_or_b64 exec, exec, s[0:1]
	v_cmp_ne_u32_e32 vcc, v61, v58
	s_and_saveexec_b64 s[0:1], vcc
	s_xor_b64 s[0:1], exec, s[0:1]
	s_cbranch_execz .LBB100_59
; %bb.54:
	v_cmp_eq_u32_e32 vcc, 3, v61
	s_and_saveexec_b64 s[2:3], vcc
	s_cbranch_execz .LBB100_58
; %bb.55:
	v_cmp_ne_u32_e32 vcc, 3, v58
	s_xor_b64 s[12:13], s[20:21], -1
	s_and_b64 s[14:15], s[12:13], vcc
	s_and_saveexec_b64 s[12:13], s[14:15]
	s_cbranch_execz .LBB100_57
; %bb.56:
	v_ashrrev_i32_e32 v59, 31, v58
	v_lshl_add_u64 v[64:65], v[58:59], 2, v[4:5]
	global_load_dword v59, v[64:65], off
	global_load_dword v61, v[4:5], off offset:12
	s_waitcnt vmcnt(1)
	global_store_dword v[4:5], v59, off offset:12
	s_waitcnt vmcnt(1)
	global_store_dword v[64:65], v61, off
.LBB100_57:
	s_or_b64 exec, exec, s[12:13]
	v_mov_b32_e32 v59, v58
	v_mov_b32_e32 v61, v58
.LBB100_58:
	s_or_b64 exec, exec, s[2:3]
.LBB100_59:
	s_andn2_saveexec_b64 s[0:1], s[0:1]
	s_cbranch_execz .LBB100_61
; %bb.60:
	v_pk_mov_b32 v[64:65], v[44:45], v[42:43] op_sel:[1,0]
	ds_write2_b32 v57, v64, v65 offset0:4 offset1:5
	s_waitcnt vmcnt(0)
	v_pk_mov_b32 v[64:65], v[42:43], v[54:55] op_sel:[1,0]
	ds_write2_b32 v57, v64, v65 offset0:6 offset1:7
	v_pk_mov_b32 v[64:65], v[54:55], v[40:41] op_sel:[1,0]
	ds_write2_b32 v57, v64, v65 offset0:8 offset1:9
	;; [unrolled: 2-line block ×21, first 2 shown]
	v_pk_mov_b32 v[64:65], v[0:1], v[12:13] op_sel:[1,0]
	v_mov_b32_e32 v61, 3
	ds_write2_b32 v57, v64, v65 offset0:48 offset1:49
	ds_write_b32 v57, v13 offset:200
.LBB100_61:
	s_or_b64 exec, exec, s[0:1]
	v_cmp_lt_i32_e32 vcc, 3, v61
	s_waitcnt lgkmcnt(0)
	s_barrier
	s_and_saveexec_b64 s[0:1], vcc
	s_cbranch_execz .LBB100_63
; %bb.62:
	ds_read_b32 v58, v57 offset:16
	ds_read2_b32 v[64:65], v57 offset0:5 offset1:6
	ds_read2_b32 v[66:67], v57 offset0:7 offset1:8
	v_mul_f32_e32 v44, v63, v44
	ds_read2_b32 v[68:69], v57 offset0:9 offset1:10
	s_waitcnt lgkmcnt(3)
	v_fma_f32 v45, -v44, v58, v45
	s_waitcnt lgkmcnt(2)
	v_pk_fma_f32 v[42:43], v[44:45], v[64:65], v[42:43] op_sel_hi:[0,1,1] neg_lo:[1,0,0] neg_hi:[1,0,0]
	s_waitcnt vmcnt(0) lgkmcnt(1)
	v_pk_fma_f32 v[54:55], v[44:45], v[66:67], v[54:55] op_sel_hi:[0,1,1] neg_lo:[1,0,0] neg_hi:[1,0,0]
	ds_read2_b32 v[64:65], v57 offset0:11 offset1:12
	ds_read2_b32 v[66:67], v57 offset0:13 offset1:14
	ds_read2_b32 v[70:71], v57 offset0:15 offset1:16
	s_waitcnt lgkmcnt(3)
	v_pk_fma_f32 v[40:41], v[44:45], v[68:69], v[40:41] op_sel_hi:[0,1,1] neg_lo:[1,0,0] neg_hi:[1,0,0]
	ds_read2_b32 v[68:69], v57 offset0:17 offset1:18
	s_waitcnt lgkmcnt(3)
	v_pk_fma_f32 v[52:53], v[44:45], v[64:65], v[52:53] op_sel_hi:[0,1,1] neg_lo:[1,0,0] neg_hi:[1,0,0]
	s_waitcnt lgkmcnt(2)
	v_pk_fma_f32 v[50:51], v[44:45], v[66:67], v[50:51] op_sel_hi:[0,1,1] neg_lo:[1,0,0] neg_hi:[1,0,0]
	s_waitcnt lgkmcnt(1)
	v_pk_fma_f32 v[48:49], v[44:45], v[70:71], v[48:49] op_sel_hi:[0,1,1] neg_lo:[1,0,0] neg_hi:[1,0,0]
	ds_read2_b32 v[64:65], v57 offset0:19 offset1:20
	ds_read2_b32 v[66:67], v57 offset0:21 offset1:22
	ds_read2_b32 v[70:71], v57 offset0:23 offset1:24
	s_waitcnt lgkmcnt(3)
	v_pk_fma_f32 v[38:39], v[44:45], v[68:69], v[38:39] op_sel_hi:[0,1,1] neg_lo:[1,0,0] neg_hi:[1,0,0]
	ds_read2_b32 v[68:69], v57 offset0:25 offset1:26
	s_waitcnt lgkmcnt(3)
	v_pk_fma_f32 v[34:35], v[44:45], v[64:65], v[34:35] op_sel_hi:[0,1,1] neg_lo:[1,0,0] neg_hi:[1,0,0]
	s_waitcnt lgkmcnt(2)
	v_pk_fma_f32 v[28:29], v[44:45], v[66:67], v[28:29] op_sel_hi:[0,1,1] neg_lo:[1,0,0] neg_hi:[1,0,0]
	s_waitcnt lgkmcnt(1)
	;; [unrolled: 12-line block ×4, first 2 shown]
	v_pk_fma_f32 v[8:9], v[44:45], v[70:71], v[8:9] op_sel_hi:[0,1,1] neg_lo:[1,0,0] neg_hi:[1,0,0]
	ds_read2_b32 v[64:65], v57 offset0:43 offset1:44
	ds_read2_b32 v[66:67], v57 offset0:45 offset1:46
	;; [unrolled: 1-line block ×4, first 2 shown]
	s_waitcnt lgkmcnt(4)
	v_pk_fma_f32 v[20:21], v[44:45], v[68:69], v[20:21] op_sel_hi:[0,1,1] neg_lo:[1,0,0] neg_hi:[1,0,0]
	s_waitcnt lgkmcnt(3)
	v_pk_fma_f32 v[10:11], v[44:45], v[64:65], v[10:11] op_sel_hi:[0,1,1] neg_lo:[1,0,0] neg_hi:[1,0,0]
	;; [unrolled: 2-line block ×5, first 2 shown]
.LBB100_63:
	s_or_b64 exec, exec, s[0:1]
	v_lshl_add_u32 v58, v61, 2, v57
	s_barrier
	ds_write_b32 v58, v45
	s_waitcnt lgkmcnt(0)
	s_barrier
	ds_read_b32 v63, v57 offset:16
	s_cmp_lt_i32 s22, 6
	v_mov_b32_e32 v58, 4
	s_cbranch_scc1 .LBB100_66
; %bb.64:
	v_add3_u32 v64, v60, 0, 20
	v_mov_b32_e32 v58, 4
	s_mov_b32 s0, 5
.LBB100_65:                             ; =>This Inner Loop Header: Depth=1
	ds_read_b32 v65, v64
	v_mov_b32_e32 v66, s0
	s_add_i32 s0, s0, 1
	v_add_u32_e32 v64, 4, v64
	s_cmp_lg_u32 s22, s0
	s_waitcnt lgkmcnt(0)
	v_cmp_lt_f32_e64 vcc, |v63|, |v65|
	s_nop 1
	v_cndmask_b32_e32 v63, v63, v65, vcc
	v_cndmask_b32_e32 v58, v58, v66, vcc
	s_cbranch_scc1 .LBB100_65
.LBB100_66:
	s_waitcnt lgkmcnt(0)
	v_cmp_eq_f32_e32 vcc, 0, v63
	s_and_saveexec_b64 s[0:1], vcc
	s_xor_b64 s[0:1], exec, s[0:1]
; %bb.67:
	v_cmp_ne_u32_e32 vcc, 0, v62
	s_nop 1
	v_cndmask_b32_e32 v62, 5, v62, vcc
; %bb.68:
	s_andn2_saveexec_b64 s[0:1], s[0:1]
	s_cbranch_execz .LBB100_70
; %bb.69:
	v_div_scale_f32 v64, s[2:3], v63, v63, 1.0
	v_rcp_f32_e32 v65, v64
	v_div_scale_f32 v66, vcc, 1.0, v63, 1.0
	v_fma_f32 v67, -v64, v65, 1.0
	v_fmac_f32_e32 v65, v67, v65
	v_mul_f32_e32 v67, v66, v65
	v_fma_f32 v68, -v64, v67, v66
	v_fmac_f32_e32 v67, v68, v65
	v_fma_f32 v64, -v64, v67, v66
	v_div_fmas_f32 v64, v64, v65, v67
	v_div_fixup_f32 v63, v64, v63, 1.0
.LBB100_70:
	s_or_b64 exec, exec, s[0:1]
	v_cmp_ne_u32_e32 vcc, v61, v58
	s_and_saveexec_b64 s[0:1], vcc
	s_xor_b64 s[0:1], exec, s[0:1]
	s_cbranch_execz .LBB100_76
; %bb.71:
	v_cmp_eq_u32_e32 vcc, 4, v61
	s_and_saveexec_b64 s[2:3], vcc
	s_cbranch_execz .LBB100_75
; %bb.72:
	v_cmp_ne_u32_e32 vcc, 4, v58
	s_xor_b64 s[12:13], s[20:21], -1
	s_and_b64 s[14:15], s[12:13], vcc
	s_and_saveexec_b64 s[12:13], s[14:15]
	s_cbranch_execz .LBB100_74
; %bb.73:
	v_ashrrev_i32_e32 v59, 31, v58
	v_lshl_add_u64 v[64:65], v[58:59], 2, v[4:5]
	global_load_dword v59, v[64:65], off
	global_load_dword v61, v[4:5], off offset:16
	s_waitcnt vmcnt(1)
	global_store_dword v[4:5], v59, off offset:16
	s_waitcnt vmcnt(1)
	global_store_dword v[64:65], v61, off
.LBB100_74:
	s_or_b64 exec, exec, s[12:13]
	v_mov_b32_e32 v59, v58
	v_mov_b32_e32 v61, v58
.LBB100_75:
	s_or_b64 exec, exec, s[2:3]
.LBB100_76:
	s_andn2_saveexec_b64 s[0:1], s[0:1]
	s_cbranch_execz .LBB100_78
; %bb.77:
	v_mov_b32_e32 v61, 4
	ds_write2_b32 v57, v42, v43 offset0:5 offset1:6
	s_waitcnt vmcnt(0)
	ds_write2_b32 v57, v54, v55 offset0:7 offset1:8
	ds_write2_b32 v57, v40, v41 offset0:9 offset1:10
	;; [unrolled: 1-line block ×22, first 2 shown]
.LBB100_78:
	s_or_b64 exec, exec, s[0:1]
	v_cmp_lt_i32_e32 vcc, 4, v61
	s_waitcnt lgkmcnt(0)
	s_barrier
	s_and_saveexec_b64 s[0:1], vcc
	s_cbranch_execz .LBB100_80
; %bb.79:
	ds_read2_b32 v[64:65], v57 offset0:5 offset1:6
	ds_read2_b32 v[66:67], v57 offset0:7 offset1:8
	;; [unrolled: 1-line block ×3, first 2 shown]
	v_mul_f32_e32 v58, v63, v45
	ds_read2_b32 v[70:71], v57 offset0:11 offset1:12
	s_waitcnt lgkmcnt(3)
	v_pk_fma_f32 v[42:43], v[58:59], v[64:65], v[42:43] op_sel_hi:[0,1,1] neg_lo:[1,0,0] neg_hi:[1,0,0]
	s_waitcnt vmcnt(0) lgkmcnt(2)
	v_pk_fma_f32 v[54:55], v[58:59], v[66:67], v[54:55] op_sel_hi:[0,1,1] neg_lo:[1,0,0] neg_hi:[1,0,0]
	s_waitcnt lgkmcnt(1)
	v_pk_fma_f32 v[40:41], v[58:59], v[68:69], v[40:41] op_sel_hi:[0,1,1] neg_lo:[1,0,0] neg_hi:[1,0,0]
	ds_read2_b32 v[64:65], v57 offset0:13 offset1:14
	ds_read2_b32 v[66:67], v57 offset0:15 offset1:16
	ds_read2_b32 v[68:69], v57 offset0:17 offset1:18
	s_waitcnt lgkmcnt(3)
	v_pk_fma_f32 v[52:53], v[58:59], v[70:71], v[52:53] op_sel_hi:[0,1,1] neg_lo:[1,0,0] neg_hi:[1,0,0]
	ds_read2_b32 v[70:71], v57 offset0:19 offset1:20
	s_waitcnt lgkmcnt(3)
	v_pk_fma_f32 v[50:51], v[58:59], v[64:65], v[50:51] op_sel_hi:[0,1,1] neg_lo:[1,0,0] neg_hi:[1,0,0]
	s_waitcnt lgkmcnt(2)
	v_pk_fma_f32 v[48:49], v[58:59], v[66:67], v[48:49] op_sel_hi:[0,1,1] neg_lo:[1,0,0] neg_hi:[1,0,0]
	s_waitcnt lgkmcnt(1)
	v_pk_fma_f32 v[38:39], v[58:59], v[68:69], v[38:39] op_sel_hi:[0,1,1] neg_lo:[1,0,0] neg_hi:[1,0,0]
	ds_read2_b32 v[64:65], v57 offset0:21 offset1:22
	ds_read2_b32 v[66:67], v57 offset0:23 offset1:24
	ds_read2_b32 v[68:69], v57 offset0:25 offset1:26
	s_waitcnt lgkmcnt(3)
	v_pk_fma_f32 v[34:35], v[58:59], v[70:71], v[34:35] op_sel_hi:[0,1,1] neg_lo:[1,0,0] neg_hi:[1,0,0]
	ds_read2_b32 v[70:71], v57 offset0:27 offset1:28
	s_waitcnt lgkmcnt(3)
	v_pk_fma_f32 v[28:29], v[58:59], v[64:65], v[28:29] op_sel_hi:[0,1,1] neg_lo:[1,0,0] neg_hi:[1,0,0]
	s_waitcnt lgkmcnt(2)
	;; [unrolled: 12-line block ×3, first 2 shown]
	v_pk_fma_f32 v[16:17], v[58:59], v[66:67], v[16:17] op_sel_hi:[0,1,1] neg_lo:[1,0,0] neg_hi:[1,0,0]
	ds_read2_b32 v[64:65], v57 offset0:37 offset1:38
	ds_read2_b32 v[66:67], v57 offset0:39 offset1:40
	s_waitcnt lgkmcnt(3)
	v_pk_fma_f32 v[32:33], v[58:59], v[68:69], v[32:33] op_sel_hi:[0,1,1] neg_lo:[1,0,0] neg_hi:[1,0,0]
	s_waitcnt lgkmcnt(2)
	v_pk_fma_f32 v[26:27], v[58:59], v[70:71], v[26:27] op_sel_hi:[0,1,1] neg_lo:[1,0,0] neg_hi:[1,0,0]
	ds_read2_b32 v[68:69], v57 offset0:41 offset1:42
	ds_read2_b32 v[70:71], v57 offset0:43 offset1:44
	s_waitcnt lgkmcnt(3)
	v_pk_fma_f32 v[18:19], v[58:59], v[64:65], v[18:19] op_sel_hi:[0,1,1] neg_lo:[1,0,0] neg_hi:[1,0,0]
	s_waitcnt lgkmcnt(2)
	v_pk_fma_f32 v[8:9], v[58:59], v[66:67], v[8:9] op_sel_hi:[0,1,1] neg_lo:[1,0,0] neg_hi:[1,0,0]
	ds_read2_b32 v[64:65], v57 offset0:45 offset1:46
	ds_read2_b32 v[66:67], v57 offset0:47 offset1:48
	;; [unrolled: 1-line block ×3, first 2 shown]
	s_waitcnt lgkmcnt(4)
	v_pk_fma_f32 v[20:21], v[58:59], v[68:69], v[20:21] op_sel_hi:[0,1,1] neg_lo:[1,0,0] neg_hi:[1,0,0]
	s_waitcnt lgkmcnt(3)
	v_pk_fma_f32 v[10:11], v[58:59], v[70:71], v[10:11] op_sel_hi:[0,1,1] neg_lo:[1,0,0] neg_hi:[1,0,0]
	;; [unrolled: 2-line block ×5, first 2 shown]
	v_mov_b32_e32 v45, v58
.LBB100_80:
	s_or_b64 exec, exec, s[0:1]
	v_lshl_add_u32 v58, v61, 2, v57
	s_barrier
	ds_write_b32 v58, v42
	s_waitcnt lgkmcnt(0)
	s_barrier
	ds_read_b32 v63, v57 offset:20
	s_cmp_lt_i32 s22, 7
	v_mov_b32_e32 v58, 5
	s_cbranch_scc1 .LBB100_83
; %bb.81:
	v_add3_u32 v64, v60, 0, 24
	v_mov_b32_e32 v58, 5
	s_mov_b32 s0, 6
.LBB100_82:                             ; =>This Inner Loop Header: Depth=1
	ds_read_b32 v65, v64
	v_mov_b32_e32 v66, s0
	s_add_i32 s0, s0, 1
	v_add_u32_e32 v64, 4, v64
	s_cmp_lg_u32 s22, s0
	s_waitcnt lgkmcnt(0)
	v_cmp_lt_f32_e64 vcc, |v63|, |v65|
	s_nop 1
	v_cndmask_b32_e32 v63, v63, v65, vcc
	v_cndmask_b32_e32 v58, v58, v66, vcc
	s_cbranch_scc1 .LBB100_82
.LBB100_83:
	s_waitcnt lgkmcnt(0)
	v_cmp_eq_f32_e32 vcc, 0, v63
	s_and_saveexec_b64 s[0:1], vcc
	s_xor_b64 s[0:1], exec, s[0:1]
; %bb.84:
	v_cmp_ne_u32_e32 vcc, 0, v62
	s_nop 1
	v_cndmask_b32_e32 v62, 6, v62, vcc
; %bb.85:
	s_andn2_saveexec_b64 s[0:1], s[0:1]
	s_cbranch_execz .LBB100_87
; %bb.86:
	v_div_scale_f32 v64, s[2:3], v63, v63, 1.0
	v_rcp_f32_e32 v65, v64
	v_div_scale_f32 v66, vcc, 1.0, v63, 1.0
	v_fma_f32 v67, -v64, v65, 1.0
	v_fmac_f32_e32 v65, v67, v65
	v_mul_f32_e32 v67, v66, v65
	v_fma_f32 v68, -v64, v67, v66
	v_fmac_f32_e32 v67, v68, v65
	v_fma_f32 v64, -v64, v67, v66
	v_div_fmas_f32 v64, v64, v65, v67
	v_div_fixup_f32 v63, v64, v63, 1.0
.LBB100_87:
	s_or_b64 exec, exec, s[0:1]
	v_cmp_ne_u32_e32 vcc, v61, v58
	s_and_saveexec_b64 s[0:1], vcc
	s_xor_b64 s[0:1], exec, s[0:1]
	s_cbranch_execz .LBB100_93
; %bb.88:
	v_cmp_eq_u32_e32 vcc, 5, v61
	s_and_saveexec_b64 s[2:3], vcc
	s_cbranch_execz .LBB100_92
; %bb.89:
	v_cmp_ne_u32_e32 vcc, 5, v58
	s_xor_b64 s[12:13], s[20:21], -1
	s_and_b64 s[14:15], s[12:13], vcc
	s_and_saveexec_b64 s[12:13], s[14:15]
	s_cbranch_execz .LBB100_91
; %bb.90:
	v_ashrrev_i32_e32 v59, 31, v58
	v_lshl_add_u64 v[64:65], v[58:59], 2, v[4:5]
	global_load_dword v59, v[64:65], off
	global_load_dword v61, v[4:5], off offset:20
	s_waitcnt vmcnt(1)
	global_store_dword v[4:5], v59, off offset:20
	s_waitcnt vmcnt(1)
	global_store_dword v[64:65], v61, off
.LBB100_91:
	s_or_b64 exec, exec, s[12:13]
	v_mov_b32_e32 v59, v58
	v_mov_b32_e32 v61, v58
.LBB100_92:
	s_or_b64 exec, exec, s[2:3]
.LBB100_93:
	s_andn2_saveexec_b64 s[0:1], s[0:1]
	s_cbranch_execz .LBB100_95
; %bb.94:
	s_waitcnt vmcnt(0)
	v_pk_mov_b32 v[64:65], v[42:43], v[54:55] op_sel:[1,0]
	ds_write2_b32 v57, v64, v65 offset0:6 offset1:7
	v_pk_mov_b32 v[64:65], v[54:55], v[40:41] op_sel:[1,0]
	ds_write2_b32 v57, v64, v65 offset0:8 offset1:9
	;; [unrolled: 2-line block ×21, first 2 shown]
	v_pk_mov_b32 v[64:65], v[0:1], v[12:13] op_sel:[1,0]
	v_mov_b32_e32 v61, 5
	ds_write2_b32 v57, v64, v65 offset0:48 offset1:49
	ds_write_b32 v57, v13 offset:200
.LBB100_95:
	s_or_b64 exec, exec, s[0:1]
	v_cmp_lt_i32_e32 vcc, 5, v61
	s_waitcnt lgkmcnt(0)
	s_barrier
	s_and_saveexec_b64 s[0:1], vcc
	s_cbranch_execz .LBB100_97
; %bb.96:
	ds_read_b32 v58, v57 offset:24
	ds_read2_b32 v[64:65], v57 offset0:7 offset1:8
	ds_read2_b32 v[66:67], v57 offset0:9 offset1:10
	v_mul_f32_e32 v42, v63, v42
	ds_read2_b32 v[68:69], v57 offset0:11 offset1:12
	s_waitcnt lgkmcnt(3)
	v_fma_f32 v43, -v42, v58, v43
	s_waitcnt vmcnt(0) lgkmcnt(2)
	v_pk_fma_f32 v[54:55], v[42:43], v[64:65], v[54:55] op_sel_hi:[0,1,1] neg_lo:[1,0,0] neg_hi:[1,0,0]
	s_waitcnt lgkmcnt(1)
	v_pk_fma_f32 v[40:41], v[42:43], v[66:67], v[40:41] op_sel_hi:[0,1,1] neg_lo:[1,0,0] neg_hi:[1,0,0]
	ds_read2_b32 v[64:65], v57 offset0:13 offset1:14
	ds_read2_b32 v[66:67], v57 offset0:15 offset1:16
	ds_read2_b32 v[70:71], v57 offset0:17 offset1:18
	s_waitcnt lgkmcnt(3)
	v_pk_fma_f32 v[52:53], v[42:43], v[68:69], v[52:53] op_sel_hi:[0,1,1] neg_lo:[1,0,0] neg_hi:[1,0,0]
	ds_read2_b32 v[68:69], v57 offset0:19 offset1:20
	s_waitcnt lgkmcnt(3)
	v_pk_fma_f32 v[50:51], v[42:43], v[64:65], v[50:51] op_sel_hi:[0,1,1] neg_lo:[1,0,0] neg_hi:[1,0,0]
	s_waitcnt lgkmcnt(2)
	v_pk_fma_f32 v[48:49], v[42:43], v[66:67], v[48:49] op_sel_hi:[0,1,1] neg_lo:[1,0,0] neg_hi:[1,0,0]
	s_waitcnt lgkmcnt(1)
	v_pk_fma_f32 v[38:39], v[42:43], v[70:71], v[38:39] op_sel_hi:[0,1,1] neg_lo:[1,0,0] neg_hi:[1,0,0]
	ds_read2_b32 v[64:65], v57 offset0:21 offset1:22
	ds_read2_b32 v[66:67], v57 offset0:23 offset1:24
	ds_read2_b32 v[70:71], v57 offset0:25 offset1:26
	s_waitcnt lgkmcnt(3)
	v_pk_fma_f32 v[34:35], v[42:43], v[68:69], v[34:35] op_sel_hi:[0,1,1] neg_lo:[1,0,0] neg_hi:[1,0,0]
	ds_read2_b32 v[68:69], v57 offset0:27 offset1:28
	s_waitcnt lgkmcnt(3)
	v_pk_fma_f32 v[28:29], v[42:43], v[64:65], v[28:29] op_sel_hi:[0,1,1] neg_lo:[1,0,0] neg_hi:[1,0,0]
	s_waitcnt lgkmcnt(2)
	;; [unrolled: 12-line block ×3, first 2 shown]
	v_pk_fma_f32 v[16:17], v[42:43], v[66:67], v[16:17] op_sel_hi:[0,1,1] neg_lo:[1,0,0] neg_hi:[1,0,0]
	ds_read2_b32 v[64:65], v57 offset0:37 offset1:38
	ds_read2_b32 v[66:67], v57 offset0:39 offset1:40
	s_waitcnt lgkmcnt(3)
	v_pk_fma_f32 v[32:33], v[42:43], v[70:71], v[32:33] op_sel_hi:[0,1,1] neg_lo:[1,0,0] neg_hi:[1,0,0]
	s_waitcnt lgkmcnt(2)
	v_pk_fma_f32 v[26:27], v[42:43], v[68:69], v[26:27] op_sel_hi:[0,1,1] neg_lo:[1,0,0] neg_hi:[1,0,0]
	ds_read2_b32 v[68:69], v57 offset0:41 offset1:42
	ds_read2_b32 v[70:71], v57 offset0:43 offset1:44
	s_waitcnt lgkmcnt(3)
	v_pk_fma_f32 v[18:19], v[42:43], v[64:65], v[18:19] op_sel_hi:[0,1,1] neg_lo:[1,0,0] neg_hi:[1,0,0]
	s_waitcnt lgkmcnt(2)
	v_pk_fma_f32 v[8:9], v[42:43], v[66:67], v[8:9] op_sel_hi:[0,1,1] neg_lo:[1,0,0] neg_hi:[1,0,0]
	ds_read2_b32 v[64:65], v57 offset0:45 offset1:46
	ds_read2_b32 v[66:67], v57 offset0:47 offset1:48
	;; [unrolled: 1-line block ×3, first 2 shown]
	s_waitcnt lgkmcnt(4)
	v_pk_fma_f32 v[20:21], v[42:43], v[68:69], v[20:21] op_sel_hi:[0,1,1] neg_lo:[1,0,0] neg_hi:[1,0,0]
	s_waitcnt lgkmcnt(3)
	v_pk_fma_f32 v[10:11], v[42:43], v[70:71], v[10:11] op_sel_hi:[0,1,1] neg_lo:[1,0,0] neg_hi:[1,0,0]
	;; [unrolled: 2-line block ×5, first 2 shown]
.LBB100_97:
	s_or_b64 exec, exec, s[0:1]
	v_lshl_add_u32 v58, v61, 2, v57
	s_barrier
	ds_write_b32 v58, v43
	s_waitcnt lgkmcnt(0)
	s_barrier
	ds_read_b32 v63, v57 offset:24
	s_cmp_lt_i32 s22, 8
	v_mov_b32_e32 v58, 6
	s_cbranch_scc1 .LBB100_100
; %bb.98:
	v_add3_u32 v64, v60, 0, 28
	v_mov_b32_e32 v58, 6
	s_mov_b32 s0, 7
.LBB100_99:                             ; =>This Inner Loop Header: Depth=1
	ds_read_b32 v65, v64
	v_mov_b32_e32 v66, s0
	s_add_i32 s0, s0, 1
	v_add_u32_e32 v64, 4, v64
	s_cmp_lg_u32 s22, s0
	s_waitcnt lgkmcnt(0)
	v_cmp_lt_f32_e64 vcc, |v63|, |v65|
	s_nop 1
	v_cndmask_b32_e32 v63, v63, v65, vcc
	v_cndmask_b32_e32 v58, v58, v66, vcc
	s_cbranch_scc1 .LBB100_99
.LBB100_100:
	s_waitcnt lgkmcnt(0)
	v_cmp_eq_f32_e32 vcc, 0, v63
	s_and_saveexec_b64 s[0:1], vcc
	s_xor_b64 s[0:1], exec, s[0:1]
; %bb.101:
	v_cmp_ne_u32_e32 vcc, 0, v62
	s_nop 1
	v_cndmask_b32_e32 v62, 7, v62, vcc
; %bb.102:
	s_andn2_saveexec_b64 s[0:1], s[0:1]
	s_cbranch_execz .LBB100_104
; %bb.103:
	v_div_scale_f32 v64, s[2:3], v63, v63, 1.0
	v_rcp_f32_e32 v65, v64
	v_div_scale_f32 v66, vcc, 1.0, v63, 1.0
	v_fma_f32 v67, -v64, v65, 1.0
	v_fmac_f32_e32 v65, v67, v65
	v_mul_f32_e32 v67, v66, v65
	v_fma_f32 v68, -v64, v67, v66
	v_fmac_f32_e32 v67, v68, v65
	v_fma_f32 v64, -v64, v67, v66
	v_div_fmas_f32 v64, v64, v65, v67
	v_div_fixup_f32 v63, v64, v63, 1.0
.LBB100_104:
	s_or_b64 exec, exec, s[0:1]
	v_cmp_ne_u32_e32 vcc, v61, v58
	s_and_saveexec_b64 s[0:1], vcc
	s_xor_b64 s[0:1], exec, s[0:1]
	s_cbranch_execz .LBB100_110
; %bb.105:
	v_cmp_eq_u32_e32 vcc, 6, v61
	s_and_saveexec_b64 s[2:3], vcc
	s_cbranch_execz .LBB100_109
; %bb.106:
	v_cmp_ne_u32_e32 vcc, 6, v58
	s_xor_b64 s[12:13], s[20:21], -1
	s_and_b64 s[14:15], s[12:13], vcc
	s_and_saveexec_b64 s[12:13], s[14:15]
	s_cbranch_execz .LBB100_108
; %bb.107:
	v_ashrrev_i32_e32 v59, 31, v58
	v_lshl_add_u64 v[64:65], v[58:59], 2, v[4:5]
	global_load_dword v59, v[64:65], off
	global_load_dword v61, v[4:5], off offset:24
	s_waitcnt vmcnt(1)
	global_store_dword v[4:5], v59, off offset:24
	s_waitcnt vmcnt(1)
	global_store_dword v[64:65], v61, off
.LBB100_108:
	s_or_b64 exec, exec, s[12:13]
	v_mov_b32_e32 v59, v58
	v_mov_b32_e32 v61, v58
.LBB100_109:
	s_or_b64 exec, exec, s[2:3]
.LBB100_110:
	s_andn2_saveexec_b64 s[0:1], s[0:1]
	s_cbranch_execz .LBB100_112
; %bb.111:
	v_mov_b32_e32 v61, 6
	s_waitcnt vmcnt(0)
	ds_write2_b32 v57, v54, v55 offset0:7 offset1:8
	ds_write2_b32 v57, v40, v41 offset0:9 offset1:10
	;; [unrolled: 1-line block ×22, first 2 shown]
.LBB100_112:
	s_or_b64 exec, exec, s[0:1]
	v_cmp_lt_i32_e32 vcc, 6, v61
	s_waitcnt lgkmcnt(0)
	s_barrier
	s_and_saveexec_b64 s[0:1], vcc
	s_cbranch_execz .LBB100_114
; %bb.113:
	ds_read2_b32 v[64:65], v57 offset0:7 offset1:8
	ds_read2_b32 v[66:67], v57 offset0:9 offset1:10
	;; [unrolled: 1-line block ×4, first 2 shown]
	v_mul_f32_e32 v58, v63, v43
	s_waitcnt vmcnt(0) lgkmcnt(3)
	v_pk_fma_f32 v[54:55], v[58:59], v[64:65], v[54:55] op_sel_hi:[0,1,1] neg_lo:[1,0,0] neg_hi:[1,0,0]
	s_waitcnt lgkmcnt(2)
	v_pk_fma_f32 v[40:41], v[58:59], v[66:67], v[40:41] op_sel_hi:[0,1,1] neg_lo:[1,0,0] neg_hi:[1,0,0]
	s_waitcnt lgkmcnt(1)
	v_pk_fma_f32 v[52:53], v[58:59], v[68:69], v[52:53] op_sel_hi:[0,1,1] neg_lo:[1,0,0] neg_hi:[1,0,0]
	ds_read2_b32 v[64:65], v57 offset0:15 offset1:16
	ds_read2_b32 v[66:67], v57 offset0:17 offset1:18
	ds_read2_b32 v[68:69], v57 offset0:19 offset1:20
	s_waitcnt lgkmcnt(3)
	v_pk_fma_f32 v[50:51], v[58:59], v[70:71], v[50:51] op_sel_hi:[0,1,1] neg_lo:[1,0,0] neg_hi:[1,0,0]
	ds_read2_b32 v[70:71], v57 offset0:21 offset1:22
	s_waitcnt lgkmcnt(3)
	v_pk_fma_f32 v[48:49], v[58:59], v[64:65], v[48:49] op_sel_hi:[0,1,1] neg_lo:[1,0,0] neg_hi:[1,0,0]
	s_waitcnt lgkmcnt(2)
	v_pk_fma_f32 v[38:39], v[58:59], v[66:67], v[38:39] op_sel_hi:[0,1,1] neg_lo:[1,0,0] neg_hi:[1,0,0]
	s_waitcnt lgkmcnt(1)
	v_pk_fma_f32 v[34:35], v[58:59], v[68:69], v[34:35] op_sel_hi:[0,1,1] neg_lo:[1,0,0] neg_hi:[1,0,0]
	ds_read2_b32 v[64:65], v57 offset0:23 offset1:24
	ds_read2_b32 v[66:67], v57 offset0:25 offset1:26
	ds_read2_b32 v[68:69], v57 offset0:27 offset1:28
	s_waitcnt lgkmcnt(3)
	v_pk_fma_f32 v[28:29], v[58:59], v[70:71], v[28:29] op_sel_hi:[0,1,1] neg_lo:[1,0,0] neg_hi:[1,0,0]
	ds_read2_b32 v[70:71], v57 offset0:29 offset1:30
	s_waitcnt lgkmcnt(3)
	;; [unrolled: 12-line block ×3, first 2 shown]
	v_pk_fma_f32 v[16:17], v[58:59], v[64:65], v[16:17] op_sel_hi:[0,1,1] neg_lo:[1,0,0] neg_hi:[1,0,0]
	ds_read2_b32 v[64:65], v57 offset0:39 offset1:40
	s_waitcnt lgkmcnt(3)
	v_pk_fma_f32 v[32:33], v[58:59], v[66:67], v[32:33] op_sel_hi:[0,1,1] neg_lo:[1,0,0] neg_hi:[1,0,0]
	s_waitcnt lgkmcnt(2)
	v_pk_fma_f32 v[26:27], v[58:59], v[68:69], v[26:27] op_sel_hi:[0,1,1] neg_lo:[1,0,0] neg_hi:[1,0,0]
	;; [unrolled: 2-line block ×3, first 2 shown]
	ds_read2_b32 v[66:67], v57 offset0:41 offset1:42
	ds_read2_b32 v[68:69], v57 offset0:43 offset1:44
	;; [unrolled: 1-line block ×3, first 2 shown]
	s_waitcnt lgkmcnt(3)
	v_pk_fma_f32 v[8:9], v[58:59], v[64:65], v[8:9] op_sel_hi:[0,1,1] neg_lo:[1,0,0] neg_hi:[1,0,0]
	ds_read2_b32 v[64:65], v57 offset0:47 offset1:48
	ds_read2_b32 v[72:73], v57 offset0:49 offset1:50
	s_waitcnt lgkmcnt(4)
	v_pk_fma_f32 v[20:21], v[58:59], v[66:67], v[20:21] op_sel_hi:[0,1,1] neg_lo:[1,0,0] neg_hi:[1,0,0]
	s_waitcnt lgkmcnt(3)
	v_pk_fma_f32 v[10:11], v[58:59], v[68:69], v[10:11] op_sel_hi:[0,1,1] neg_lo:[1,0,0] neg_hi:[1,0,0]
	;; [unrolled: 2-line block ×5, first 2 shown]
	v_mov_b32_e32 v43, v58
.LBB100_114:
	s_or_b64 exec, exec, s[0:1]
	v_lshl_add_u32 v58, v61, 2, v57
	s_barrier
	ds_write_b32 v58, v54
	s_waitcnt lgkmcnt(0)
	s_barrier
	ds_read_b32 v63, v57 offset:28
	s_cmp_lt_i32 s22, 9
	v_mov_b32_e32 v58, 7
	s_cbranch_scc1 .LBB100_117
; %bb.115:
	v_add3_u32 v64, v60, 0, 32
	v_mov_b32_e32 v58, 7
	s_mov_b32 s0, 8
.LBB100_116:                            ; =>This Inner Loop Header: Depth=1
	ds_read_b32 v65, v64
	v_mov_b32_e32 v66, s0
	s_add_i32 s0, s0, 1
	v_add_u32_e32 v64, 4, v64
	s_cmp_lg_u32 s22, s0
	s_waitcnt lgkmcnt(0)
	v_cmp_lt_f32_e64 vcc, |v63|, |v65|
	s_nop 1
	v_cndmask_b32_e32 v63, v63, v65, vcc
	v_cndmask_b32_e32 v58, v58, v66, vcc
	s_cbranch_scc1 .LBB100_116
.LBB100_117:
	s_waitcnt lgkmcnt(0)
	v_cmp_eq_f32_e32 vcc, 0, v63
	s_and_saveexec_b64 s[0:1], vcc
	s_xor_b64 s[0:1], exec, s[0:1]
; %bb.118:
	v_cmp_ne_u32_e32 vcc, 0, v62
	s_nop 1
	v_cndmask_b32_e32 v62, 8, v62, vcc
; %bb.119:
	s_andn2_saveexec_b64 s[0:1], s[0:1]
	s_cbranch_execz .LBB100_121
; %bb.120:
	v_div_scale_f32 v64, s[2:3], v63, v63, 1.0
	v_rcp_f32_e32 v65, v64
	v_div_scale_f32 v66, vcc, 1.0, v63, 1.0
	v_fma_f32 v67, -v64, v65, 1.0
	v_fmac_f32_e32 v65, v67, v65
	v_mul_f32_e32 v67, v66, v65
	v_fma_f32 v68, -v64, v67, v66
	v_fmac_f32_e32 v67, v68, v65
	v_fma_f32 v64, -v64, v67, v66
	v_div_fmas_f32 v64, v64, v65, v67
	v_div_fixup_f32 v63, v64, v63, 1.0
.LBB100_121:
	s_or_b64 exec, exec, s[0:1]
	v_cmp_ne_u32_e32 vcc, v61, v58
	s_and_saveexec_b64 s[0:1], vcc
	s_xor_b64 s[0:1], exec, s[0:1]
	s_cbranch_execz .LBB100_127
; %bb.122:
	v_cmp_eq_u32_e32 vcc, 7, v61
	s_and_saveexec_b64 s[2:3], vcc
	s_cbranch_execz .LBB100_126
; %bb.123:
	v_cmp_ne_u32_e32 vcc, 7, v58
	s_xor_b64 s[12:13], s[20:21], -1
	s_and_b64 s[14:15], s[12:13], vcc
	s_and_saveexec_b64 s[12:13], s[14:15]
	s_cbranch_execz .LBB100_125
; %bb.124:
	v_ashrrev_i32_e32 v59, 31, v58
	v_lshl_add_u64 v[64:65], v[58:59], 2, v[4:5]
	global_load_dword v59, v[64:65], off
	global_load_dword v61, v[4:5], off offset:28
	s_waitcnt vmcnt(1)
	global_store_dword v[4:5], v59, off offset:28
	s_waitcnt vmcnt(1)
	global_store_dword v[64:65], v61, off
.LBB100_125:
	s_or_b64 exec, exec, s[12:13]
	v_mov_b32_e32 v59, v58
	v_mov_b32_e32 v61, v58
.LBB100_126:
	s_or_b64 exec, exec, s[2:3]
.LBB100_127:
	s_andn2_saveexec_b64 s[0:1], s[0:1]
	s_cbranch_execz .LBB100_129
; %bb.128:
	s_waitcnt vmcnt(0)
	v_pk_mov_b32 v[64:65], v[54:55], v[40:41] op_sel:[1,0]
	ds_write2_b32 v57, v64, v65 offset0:8 offset1:9
	v_pk_mov_b32 v[64:65], v[40:41], v[52:53] op_sel:[1,0]
	ds_write2_b32 v57, v64, v65 offset0:10 offset1:11
	;; [unrolled: 2-line block ×20, first 2 shown]
	v_pk_mov_b32 v[64:65], v[0:1], v[12:13] op_sel:[1,0]
	v_mov_b32_e32 v61, 7
	ds_write2_b32 v57, v64, v65 offset0:48 offset1:49
	ds_write_b32 v57, v13 offset:200
.LBB100_129:
	s_or_b64 exec, exec, s[0:1]
	v_cmp_lt_i32_e32 vcc, 7, v61
	s_waitcnt lgkmcnt(0)
	s_barrier
	s_and_saveexec_b64 s[0:1], vcc
	s_cbranch_execz .LBB100_131
; %bb.130:
	ds_read_b32 v58, v57 offset:32
	ds_read2_b32 v[64:65], v57 offset0:9 offset1:10
	ds_read2_b32 v[66:67], v57 offset0:11 offset1:12
	v_mul_f32_e32 v54, v63, v54
	ds_read2_b32 v[68:69], v57 offset0:13 offset1:14
	s_waitcnt vmcnt(0) lgkmcnt(3)
	v_fma_f32 v55, -v54, v58, v55
	s_waitcnt lgkmcnt(2)
	v_pk_fma_f32 v[40:41], v[54:55], v[64:65], v[40:41] op_sel_hi:[0,1,1] neg_lo:[1,0,0] neg_hi:[1,0,0]
	s_waitcnt lgkmcnt(1)
	v_pk_fma_f32 v[52:53], v[54:55], v[66:67], v[52:53] op_sel_hi:[0,1,1] neg_lo:[1,0,0] neg_hi:[1,0,0]
	ds_read2_b32 v[64:65], v57 offset0:15 offset1:16
	ds_read2_b32 v[66:67], v57 offset0:17 offset1:18
	ds_read2_b32 v[70:71], v57 offset0:19 offset1:20
	s_waitcnt lgkmcnt(3)
	v_pk_fma_f32 v[50:51], v[54:55], v[68:69], v[50:51] op_sel_hi:[0,1,1] neg_lo:[1,0,0] neg_hi:[1,0,0]
	ds_read2_b32 v[68:69], v57 offset0:21 offset1:22
	s_waitcnt lgkmcnt(3)
	v_pk_fma_f32 v[48:49], v[54:55], v[64:65], v[48:49] op_sel_hi:[0,1,1] neg_lo:[1,0,0] neg_hi:[1,0,0]
	s_waitcnt lgkmcnt(2)
	v_pk_fma_f32 v[38:39], v[54:55], v[66:67], v[38:39] op_sel_hi:[0,1,1] neg_lo:[1,0,0] neg_hi:[1,0,0]
	s_waitcnt lgkmcnt(1)
	v_pk_fma_f32 v[34:35], v[54:55], v[70:71], v[34:35] op_sel_hi:[0,1,1] neg_lo:[1,0,0] neg_hi:[1,0,0]
	ds_read2_b32 v[64:65], v57 offset0:23 offset1:24
	ds_read2_b32 v[66:67], v57 offset0:25 offset1:26
	ds_read2_b32 v[70:71], v57 offset0:27 offset1:28
	s_waitcnt lgkmcnt(3)
	v_pk_fma_f32 v[28:29], v[54:55], v[68:69], v[28:29] op_sel_hi:[0,1,1] neg_lo:[1,0,0] neg_hi:[1,0,0]
	ds_read2_b32 v[68:69], v57 offset0:29 offset1:30
	s_waitcnt lgkmcnt(3)
	v_pk_fma_f32 v[22:23], v[54:55], v[64:65], v[22:23] op_sel_hi:[0,1,1] neg_lo:[1,0,0] neg_hi:[1,0,0]
	;; [unrolled: 12-line block ×3, first 2 shown]
	ds_read2_b32 v[64:65], v57 offset0:39 offset1:40
	s_waitcnt lgkmcnt(3)
	v_pk_fma_f32 v[32:33], v[54:55], v[66:67], v[32:33] op_sel_hi:[0,1,1] neg_lo:[1,0,0] neg_hi:[1,0,0]
	s_waitcnt lgkmcnt(2)
	v_pk_fma_f32 v[26:27], v[54:55], v[70:71], v[26:27] op_sel_hi:[0,1,1] neg_lo:[1,0,0] neg_hi:[1,0,0]
	;; [unrolled: 2-line block ×3, first 2 shown]
	ds_read2_b32 v[66:67], v57 offset0:41 offset1:42
	ds_read2_b32 v[68:69], v57 offset0:43 offset1:44
	;; [unrolled: 1-line block ×3, first 2 shown]
	s_waitcnt lgkmcnt(3)
	v_pk_fma_f32 v[8:9], v[54:55], v[64:65], v[8:9] op_sel_hi:[0,1,1] neg_lo:[1,0,0] neg_hi:[1,0,0]
	ds_read2_b32 v[64:65], v57 offset0:47 offset1:48
	ds_read2_b32 v[72:73], v57 offset0:49 offset1:50
	s_waitcnt lgkmcnt(4)
	v_pk_fma_f32 v[20:21], v[54:55], v[66:67], v[20:21] op_sel_hi:[0,1,1] neg_lo:[1,0,0] neg_hi:[1,0,0]
	s_waitcnt lgkmcnt(3)
	v_pk_fma_f32 v[10:11], v[54:55], v[68:69], v[10:11] op_sel_hi:[0,1,1] neg_lo:[1,0,0] neg_hi:[1,0,0]
	;; [unrolled: 2-line block ×5, first 2 shown]
.LBB100_131:
	s_or_b64 exec, exec, s[0:1]
	v_lshl_add_u32 v58, v61, 2, v57
	s_barrier
	s_waitcnt vmcnt(0)
	ds_write_b32 v58, v55
	s_waitcnt lgkmcnt(0)
	s_barrier
	ds_read_b32 v63, v57 offset:32
	s_cmp_lt_i32 s22, 10
	v_mov_b32_e32 v58, 8
	s_cbranch_scc1 .LBB100_134
; %bb.132:
	v_add3_u32 v64, v60, 0, 36
	v_mov_b32_e32 v58, 8
	s_mov_b32 s0, 9
.LBB100_133:                            ; =>This Inner Loop Header: Depth=1
	ds_read_b32 v65, v64
	v_mov_b32_e32 v66, s0
	s_add_i32 s0, s0, 1
	v_add_u32_e32 v64, 4, v64
	s_cmp_lg_u32 s22, s0
	s_waitcnt lgkmcnt(0)
	v_cmp_lt_f32_e64 vcc, |v63|, |v65|
	s_nop 1
	v_cndmask_b32_e32 v63, v63, v65, vcc
	v_cndmask_b32_e32 v58, v58, v66, vcc
	s_cbranch_scc1 .LBB100_133
.LBB100_134:
	s_waitcnt lgkmcnt(0)
	v_cmp_eq_f32_e32 vcc, 0, v63
	s_and_saveexec_b64 s[0:1], vcc
	s_xor_b64 s[0:1], exec, s[0:1]
; %bb.135:
	v_cmp_ne_u32_e32 vcc, 0, v62
	s_nop 1
	v_cndmask_b32_e32 v62, 9, v62, vcc
; %bb.136:
	s_andn2_saveexec_b64 s[0:1], s[0:1]
	s_cbranch_execz .LBB100_138
; %bb.137:
	v_div_scale_f32 v64, s[2:3], v63, v63, 1.0
	v_rcp_f32_e32 v65, v64
	v_div_scale_f32 v66, vcc, 1.0, v63, 1.0
	v_fma_f32 v67, -v64, v65, 1.0
	v_fmac_f32_e32 v65, v67, v65
	v_mul_f32_e32 v67, v66, v65
	v_fma_f32 v68, -v64, v67, v66
	v_fmac_f32_e32 v67, v68, v65
	v_fma_f32 v64, -v64, v67, v66
	v_div_fmas_f32 v64, v64, v65, v67
	v_div_fixup_f32 v63, v64, v63, 1.0
.LBB100_138:
	s_or_b64 exec, exec, s[0:1]
	v_cmp_ne_u32_e32 vcc, v61, v58
	s_and_saveexec_b64 s[0:1], vcc
	s_xor_b64 s[0:1], exec, s[0:1]
	s_cbranch_execz .LBB100_144
; %bb.139:
	v_cmp_eq_u32_e32 vcc, 8, v61
	s_and_saveexec_b64 s[2:3], vcc
	s_cbranch_execz .LBB100_143
; %bb.140:
	v_cmp_ne_u32_e32 vcc, 8, v58
	s_xor_b64 s[12:13], s[20:21], -1
	s_and_b64 s[14:15], s[12:13], vcc
	s_and_saveexec_b64 s[12:13], s[14:15]
	s_cbranch_execz .LBB100_142
; %bb.141:
	v_ashrrev_i32_e32 v59, 31, v58
	v_lshl_add_u64 v[64:65], v[58:59], 2, v[4:5]
	global_load_dword v59, v[64:65], off
	global_load_dword v61, v[4:5], off offset:32
	s_waitcnt vmcnt(1)
	global_store_dword v[4:5], v59, off offset:32
	s_waitcnt vmcnt(1)
	global_store_dword v[64:65], v61, off
.LBB100_142:
	s_or_b64 exec, exec, s[12:13]
	v_mov_b32_e32 v59, v58
	v_mov_b32_e32 v61, v58
.LBB100_143:
	s_or_b64 exec, exec, s[2:3]
.LBB100_144:
	s_andn2_saveexec_b64 s[0:1], s[0:1]
	s_cbranch_execz .LBB100_146
; %bb.145:
	v_mov_b32_e32 v61, 8
	ds_write2_b32 v57, v40, v41 offset0:9 offset1:10
	ds_write2_b32 v57, v52, v53 offset0:11 offset1:12
	;; [unrolled: 1-line block ×21, first 2 shown]
.LBB100_146:
	s_or_b64 exec, exec, s[0:1]
	v_cmp_lt_i32_e32 vcc, 8, v61
	s_waitcnt lgkmcnt(0)
	s_barrier
	s_and_saveexec_b64 s[0:1], vcc
	s_cbranch_execz .LBB100_148
; %bb.147:
	ds_read2_b32 v[64:65], v57 offset0:9 offset1:10
	ds_read2_b32 v[66:67], v57 offset0:11 offset1:12
	;; [unrolled: 1-line block ×3, first 2 shown]
	v_mul_f32_e32 v58, v63, v55
	ds_read2_b32 v[70:71], v57 offset0:15 offset1:16
	s_waitcnt lgkmcnt(3)
	v_pk_fma_f32 v[40:41], v[58:59], v[64:65], v[40:41] op_sel_hi:[0,1,1] neg_lo:[1,0,0] neg_hi:[1,0,0]
	s_waitcnt lgkmcnt(2)
	v_pk_fma_f32 v[52:53], v[58:59], v[66:67], v[52:53] op_sel_hi:[0,1,1] neg_lo:[1,0,0] neg_hi:[1,0,0]
	;; [unrolled: 2-line block ×3, first 2 shown]
	ds_read2_b32 v[64:65], v57 offset0:17 offset1:18
	ds_read2_b32 v[66:67], v57 offset0:19 offset1:20
	;; [unrolled: 1-line block ×3, first 2 shown]
	s_waitcnt lgkmcnt(3)
	v_pk_fma_f32 v[48:49], v[58:59], v[70:71], v[48:49] op_sel_hi:[0,1,1] neg_lo:[1,0,0] neg_hi:[1,0,0]
	ds_read2_b32 v[70:71], v57 offset0:23 offset1:24
	s_waitcnt lgkmcnt(3)
	v_pk_fma_f32 v[38:39], v[58:59], v[64:65], v[38:39] op_sel_hi:[0,1,1] neg_lo:[1,0,0] neg_hi:[1,0,0]
	s_waitcnt lgkmcnt(2)
	v_pk_fma_f32 v[34:35], v[58:59], v[66:67], v[34:35] op_sel_hi:[0,1,1] neg_lo:[1,0,0] neg_hi:[1,0,0]
	;; [unrolled: 2-line block ×3, first 2 shown]
	ds_read2_b32 v[64:65], v57 offset0:25 offset1:26
	ds_read2_b32 v[66:67], v57 offset0:27 offset1:28
	;; [unrolled: 1-line block ×3, first 2 shown]
	s_waitcnt lgkmcnt(3)
	v_pk_fma_f32 v[22:23], v[58:59], v[70:71], v[22:23] op_sel_hi:[0,1,1] neg_lo:[1,0,0] neg_hi:[1,0,0]
	ds_read2_b32 v[70:71], v57 offset0:31 offset1:32
	s_waitcnt lgkmcnt(3)
	v_pk_fma_f32 v[36:37], v[58:59], v[64:65], v[36:37] op_sel_hi:[0,1,1] neg_lo:[1,0,0] neg_hi:[1,0,0]
	s_waitcnt lgkmcnt(2)
	v_pk_fma_f32 v[30:31], v[58:59], v[66:67], v[30:31] op_sel_hi:[0,1,1] neg_lo:[1,0,0] neg_hi:[1,0,0]
	;; [unrolled: 2-line block ×3, first 2 shown]
	ds_read2_b32 v[64:65], v57 offset0:33 offset1:34
	ds_read2_b32 v[66:67], v57 offset0:35 offset1:36
	;; [unrolled: 1-line block ×4, first 2 shown]
	s_waitcnt lgkmcnt(4)
	v_pk_fma_f32 v[16:17], v[58:59], v[70:71], v[16:17] op_sel_hi:[0,1,1] neg_lo:[1,0,0] neg_hi:[1,0,0]
	s_waitcnt lgkmcnt(3)
	v_pk_fma_f32 v[32:33], v[58:59], v[64:65], v[32:33] op_sel_hi:[0,1,1] neg_lo:[1,0,0] neg_hi:[1,0,0]
	;; [unrolled: 2-line block ×5, first 2 shown]
	ds_read2_b32 v[64:65], v57 offset0:41 offset1:42
	ds_read2_b32 v[66:67], v57 offset0:43 offset1:44
	;; [unrolled: 1-line block ×5, first 2 shown]
	s_waitcnt lgkmcnt(4)
	v_pk_fma_f32 v[20:21], v[58:59], v[64:65], v[20:21] op_sel_hi:[0,1,1] neg_lo:[1,0,0] neg_hi:[1,0,0]
	s_waitcnt lgkmcnt(3)
	v_pk_fma_f32 v[10:11], v[58:59], v[66:67], v[10:11] op_sel_hi:[0,1,1] neg_lo:[1,0,0] neg_hi:[1,0,0]
	;; [unrolled: 2-line block ×5, first 2 shown]
	v_mov_b32_e32 v55, v58
.LBB100_148:
	s_or_b64 exec, exec, s[0:1]
	v_lshl_add_u32 v58, v61, 2, v57
	s_barrier
	ds_write_b32 v58, v40
	s_waitcnt lgkmcnt(0)
	s_barrier
	ds_read_b32 v63, v57 offset:36
	s_cmp_lt_i32 s22, 11
	v_mov_b32_e32 v58, 9
	s_cbranch_scc1 .LBB100_151
; %bb.149:
	v_add3_u32 v64, v60, 0, 40
	v_mov_b32_e32 v58, 9
	s_mov_b32 s0, 10
.LBB100_150:                            ; =>This Inner Loop Header: Depth=1
	ds_read_b32 v65, v64
	v_mov_b32_e32 v66, s0
	s_add_i32 s0, s0, 1
	v_add_u32_e32 v64, 4, v64
	s_cmp_lg_u32 s22, s0
	s_waitcnt lgkmcnt(0)
	v_cmp_lt_f32_e64 vcc, |v63|, |v65|
	s_nop 1
	v_cndmask_b32_e32 v63, v63, v65, vcc
	v_cndmask_b32_e32 v58, v58, v66, vcc
	s_cbranch_scc1 .LBB100_150
.LBB100_151:
	s_waitcnt lgkmcnt(0)
	v_cmp_eq_f32_e32 vcc, 0, v63
	s_and_saveexec_b64 s[0:1], vcc
	s_xor_b64 s[0:1], exec, s[0:1]
; %bb.152:
	v_cmp_ne_u32_e32 vcc, 0, v62
	s_nop 1
	v_cndmask_b32_e32 v62, 10, v62, vcc
; %bb.153:
	s_andn2_saveexec_b64 s[0:1], s[0:1]
	s_cbranch_execz .LBB100_155
; %bb.154:
	v_div_scale_f32 v64, s[2:3], v63, v63, 1.0
	v_rcp_f32_e32 v65, v64
	v_div_scale_f32 v66, vcc, 1.0, v63, 1.0
	v_fma_f32 v67, -v64, v65, 1.0
	v_fmac_f32_e32 v65, v67, v65
	v_mul_f32_e32 v67, v66, v65
	v_fma_f32 v68, -v64, v67, v66
	v_fmac_f32_e32 v67, v68, v65
	v_fma_f32 v64, -v64, v67, v66
	v_div_fmas_f32 v64, v64, v65, v67
	v_div_fixup_f32 v63, v64, v63, 1.0
.LBB100_155:
	s_or_b64 exec, exec, s[0:1]
	v_cmp_ne_u32_e32 vcc, v61, v58
	s_and_saveexec_b64 s[0:1], vcc
	s_xor_b64 s[0:1], exec, s[0:1]
	s_cbranch_execz .LBB100_161
; %bb.156:
	v_cmp_eq_u32_e32 vcc, 9, v61
	s_and_saveexec_b64 s[2:3], vcc
	s_cbranch_execz .LBB100_160
; %bb.157:
	v_cmp_ne_u32_e32 vcc, 9, v58
	s_xor_b64 s[12:13], s[20:21], -1
	s_and_b64 s[14:15], s[12:13], vcc
	s_and_saveexec_b64 s[12:13], s[14:15]
	s_cbranch_execz .LBB100_159
; %bb.158:
	v_ashrrev_i32_e32 v59, 31, v58
	v_lshl_add_u64 v[64:65], v[58:59], 2, v[4:5]
	global_load_dword v59, v[64:65], off
	global_load_dword v61, v[4:5], off offset:36
	s_waitcnt vmcnt(1)
	global_store_dword v[4:5], v59, off offset:36
	s_waitcnt vmcnt(1)
	global_store_dword v[64:65], v61, off
.LBB100_159:
	s_or_b64 exec, exec, s[12:13]
	v_mov_b32_e32 v59, v58
	v_mov_b32_e32 v61, v58
.LBB100_160:
	s_or_b64 exec, exec, s[2:3]
.LBB100_161:
	s_andn2_saveexec_b64 s[0:1], s[0:1]
	s_cbranch_execz .LBB100_163
; %bb.162:
	v_pk_mov_b32 v[64:65], v[40:41], v[52:53] op_sel:[1,0]
	ds_write2_b32 v57, v64, v65 offset0:10 offset1:11
	v_pk_mov_b32 v[64:65], v[52:53], v[50:51] op_sel:[1,0]
	ds_write2_b32 v57, v64, v65 offset0:12 offset1:13
	;; [unrolled: 2-line block ×19, first 2 shown]
	v_pk_mov_b32 v[64:65], v[0:1], v[12:13] op_sel:[1,0]
	v_mov_b32_e32 v61, 9
	ds_write2_b32 v57, v64, v65 offset0:48 offset1:49
	ds_write_b32 v57, v13 offset:200
.LBB100_163:
	s_or_b64 exec, exec, s[0:1]
	v_cmp_lt_i32_e32 vcc, 9, v61
	s_waitcnt lgkmcnt(0)
	s_barrier
	s_and_saveexec_b64 s[0:1], vcc
	s_cbranch_execz .LBB100_165
; %bb.164:
	ds_read_b32 v58, v57 offset:40
	ds_read2_b32 v[64:65], v57 offset0:11 offset1:12
	ds_read2_b32 v[66:67], v57 offset0:13 offset1:14
	v_mul_f32_e32 v40, v63, v40
	ds_read2_b32 v[68:69], v57 offset0:15 offset1:16
	s_waitcnt lgkmcnt(3)
	v_fma_f32 v41, -v40, v58, v41
	s_waitcnt lgkmcnt(2)
	v_pk_fma_f32 v[52:53], v[40:41], v[64:65], v[52:53] op_sel_hi:[0,1,1] neg_lo:[1,0,0] neg_hi:[1,0,0]
	s_waitcnt lgkmcnt(1)
	v_pk_fma_f32 v[50:51], v[40:41], v[66:67], v[50:51] op_sel_hi:[0,1,1] neg_lo:[1,0,0] neg_hi:[1,0,0]
	ds_read2_b32 v[64:65], v57 offset0:17 offset1:18
	ds_read2_b32 v[66:67], v57 offset0:19 offset1:20
	;; [unrolled: 1-line block ×3, first 2 shown]
	s_waitcnt lgkmcnt(3)
	v_pk_fma_f32 v[48:49], v[40:41], v[68:69], v[48:49] op_sel_hi:[0,1,1] neg_lo:[1,0,0] neg_hi:[1,0,0]
	ds_read2_b32 v[68:69], v57 offset0:23 offset1:24
	s_waitcnt lgkmcnt(3)
	v_pk_fma_f32 v[38:39], v[40:41], v[64:65], v[38:39] op_sel_hi:[0,1,1] neg_lo:[1,0,0] neg_hi:[1,0,0]
	s_waitcnt lgkmcnt(2)
	v_pk_fma_f32 v[34:35], v[40:41], v[66:67], v[34:35] op_sel_hi:[0,1,1] neg_lo:[1,0,0] neg_hi:[1,0,0]
	;; [unrolled: 2-line block ×3, first 2 shown]
	ds_read2_b32 v[64:65], v57 offset0:25 offset1:26
	ds_read2_b32 v[66:67], v57 offset0:27 offset1:28
	;; [unrolled: 1-line block ×3, first 2 shown]
	s_waitcnt lgkmcnt(3)
	v_pk_fma_f32 v[22:23], v[40:41], v[68:69], v[22:23] op_sel_hi:[0,1,1] neg_lo:[1,0,0] neg_hi:[1,0,0]
	ds_read2_b32 v[68:69], v57 offset0:31 offset1:32
	s_waitcnt lgkmcnt(3)
	v_pk_fma_f32 v[36:37], v[40:41], v[64:65], v[36:37] op_sel_hi:[0,1,1] neg_lo:[1,0,0] neg_hi:[1,0,0]
	s_waitcnt lgkmcnt(2)
	v_pk_fma_f32 v[30:31], v[40:41], v[66:67], v[30:31] op_sel_hi:[0,1,1] neg_lo:[1,0,0] neg_hi:[1,0,0]
	;; [unrolled: 2-line block ×3, first 2 shown]
	ds_read2_b32 v[64:65], v57 offset0:33 offset1:34
	ds_read2_b32 v[66:67], v57 offset0:35 offset1:36
	;; [unrolled: 1-line block ×4, first 2 shown]
	s_waitcnt lgkmcnt(4)
	v_pk_fma_f32 v[16:17], v[40:41], v[68:69], v[16:17] op_sel_hi:[0,1,1] neg_lo:[1,0,0] neg_hi:[1,0,0]
	s_waitcnt lgkmcnt(3)
	v_pk_fma_f32 v[32:33], v[40:41], v[64:65], v[32:33] op_sel_hi:[0,1,1] neg_lo:[1,0,0] neg_hi:[1,0,0]
	;; [unrolled: 2-line block ×5, first 2 shown]
	ds_read2_b32 v[64:65], v57 offset0:41 offset1:42
	ds_read2_b32 v[66:67], v57 offset0:43 offset1:44
	;; [unrolled: 1-line block ×5, first 2 shown]
	s_waitcnt lgkmcnt(4)
	v_pk_fma_f32 v[20:21], v[40:41], v[64:65], v[20:21] op_sel_hi:[0,1,1] neg_lo:[1,0,0] neg_hi:[1,0,0]
	s_waitcnt lgkmcnt(3)
	v_pk_fma_f32 v[10:11], v[40:41], v[66:67], v[10:11] op_sel_hi:[0,1,1] neg_lo:[1,0,0] neg_hi:[1,0,0]
	s_waitcnt lgkmcnt(2)
	v_pk_fma_f32 v[14:15], v[40:41], v[68:69], v[14:15] op_sel_hi:[0,1,1] neg_lo:[1,0,0] neg_hi:[1,0,0]
	s_waitcnt lgkmcnt(1)
	v_pk_fma_f32 v[0:1], v[40:41], v[70:71], v[0:1] op_sel_hi:[0,1,1] neg_lo:[1,0,0] neg_hi:[1,0,0]
	s_waitcnt lgkmcnt(0)
	v_pk_fma_f32 v[12:13], v[40:41], v[72:73], v[12:13] op_sel_hi:[0,1,1] neg_lo:[1,0,0] neg_hi:[1,0,0]
.LBB100_165:
	s_or_b64 exec, exec, s[0:1]
	v_lshl_add_u32 v58, v61, 2, v57
	s_barrier
	ds_write_b32 v58, v41
	s_waitcnt lgkmcnt(0)
	s_barrier
	ds_read_b32 v63, v57 offset:40
	s_cmp_lt_i32 s22, 12
	v_mov_b32_e32 v58, 10
	s_cbranch_scc1 .LBB100_168
; %bb.166:
	v_add3_u32 v64, v60, 0, 44
	v_mov_b32_e32 v58, 10
	s_mov_b32 s0, 11
.LBB100_167:                            ; =>This Inner Loop Header: Depth=1
	ds_read_b32 v65, v64
	v_mov_b32_e32 v66, s0
	s_add_i32 s0, s0, 1
	v_add_u32_e32 v64, 4, v64
	s_cmp_lg_u32 s22, s0
	s_waitcnt lgkmcnt(0)
	v_cmp_lt_f32_e64 vcc, |v63|, |v65|
	s_nop 1
	v_cndmask_b32_e32 v63, v63, v65, vcc
	v_cndmask_b32_e32 v58, v58, v66, vcc
	s_cbranch_scc1 .LBB100_167
.LBB100_168:
	s_waitcnt lgkmcnt(0)
	v_cmp_eq_f32_e32 vcc, 0, v63
	s_and_saveexec_b64 s[0:1], vcc
	s_xor_b64 s[0:1], exec, s[0:1]
; %bb.169:
	v_cmp_ne_u32_e32 vcc, 0, v62
	s_nop 1
	v_cndmask_b32_e32 v62, 11, v62, vcc
; %bb.170:
	s_andn2_saveexec_b64 s[0:1], s[0:1]
	s_cbranch_execz .LBB100_172
; %bb.171:
	v_div_scale_f32 v64, s[2:3], v63, v63, 1.0
	v_rcp_f32_e32 v65, v64
	v_div_scale_f32 v66, vcc, 1.0, v63, 1.0
	v_fma_f32 v67, -v64, v65, 1.0
	v_fmac_f32_e32 v65, v67, v65
	v_mul_f32_e32 v67, v66, v65
	v_fma_f32 v68, -v64, v67, v66
	v_fmac_f32_e32 v67, v68, v65
	v_fma_f32 v64, -v64, v67, v66
	v_div_fmas_f32 v64, v64, v65, v67
	v_div_fixup_f32 v63, v64, v63, 1.0
.LBB100_172:
	s_or_b64 exec, exec, s[0:1]
	v_cmp_ne_u32_e32 vcc, v61, v58
	s_and_saveexec_b64 s[0:1], vcc
	s_xor_b64 s[0:1], exec, s[0:1]
	s_cbranch_execz .LBB100_178
; %bb.173:
	v_cmp_eq_u32_e32 vcc, 10, v61
	s_and_saveexec_b64 s[2:3], vcc
	s_cbranch_execz .LBB100_177
; %bb.174:
	v_cmp_ne_u32_e32 vcc, 10, v58
	s_xor_b64 s[12:13], s[20:21], -1
	s_and_b64 s[14:15], s[12:13], vcc
	s_and_saveexec_b64 s[12:13], s[14:15]
	s_cbranch_execz .LBB100_176
; %bb.175:
	v_ashrrev_i32_e32 v59, 31, v58
	v_lshl_add_u64 v[64:65], v[58:59], 2, v[4:5]
	global_load_dword v59, v[64:65], off
	global_load_dword v61, v[4:5], off offset:40
	s_waitcnt vmcnt(1)
	global_store_dword v[4:5], v59, off offset:40
	s_waitcnt vmcnt(1)
	global_store_dword v[64:65], v61, off
.LBB100_176:
	s_or_b64 exec, exec, s[12:13]
	v_mov_b32_e32 v59, v58
	v_mov_b32_e32 v61, v58
.LBB100_177:
	s_or_b64 exec, exec, s[2:3]
.LBB100_178:
	s_andn2_saveexec_b64 s[0:1], s[0:1]
	s_cbranch_execz .LBB100_180
; %bb.179:
	v_mov_b32_e32 v61, 10
	ds_write2_b32 v57, v52, v53 offset0:11 offset1:12
	ds_write2_b32 v57, v50, v51 offset0:13 offset1:14
	;; [unrolled: 1-line block ×20, first 2 shown]
.LBB100_180:
	s_or_b64 exec, exec, s[0:1]
	v_cmp_lt_i32_e32 vcc, 10, v61
	s_waitcnt lgkmcnt(0)
	s_barrier
	s_and_saveexec_b64 s[0:1], vcc
	s_cbranch_execz .LBB100_182
; %bb.181:
	ds_read2_b32 v[64:65], v57 offset0:11 offset1:12
	ds_read2_b32 v[66:67], v57 offset0:13 offset1:14
	;; [unrolled: 1-line block ×3, first 2 shown]
	v_mul_f32_e32 v58, v63, v41
	ds_read2_b32 v[70:71], v57 offset0:17 offset1:18
	s_waitcnt lgkmcnt(3)
	v_pk_fma_f32 v[52:53], v[58:59], v[64:65], v[52:53] op_sel_hi:[0,1,1] neg_lo:[1,0,0] neg_hi:[1,0,0]
	s_waitcnt lgkmcnt(2)
	v_pk_fma_f32 v[50:51], v[58:59], v[66:67], v[50:51] op_sel_hi:[0,1,1] neg_lo:[1,0,0] neg_hi:[1,0,0]
	s_waitcnt lgkmcnt(1)
	v_pk_fma_f32 v[48:49], v[58:59], v[68:69], v[48:49] op_sel_hi:[0,1,1] neg_lo:[1,0,0] neg_hi:[1,0,0]
	ds_read2_b32 v[64:65], v57 offset0:19 offset1:20
	ds_read2_b32 v[66:67], v57 offset0:21 offset1:22
	ds_read2_b32 v[68:69], v57 offset0:23 offset1:24
	s_waitcnt lgkmcnt(3)
	v_pk_fma_f32 v[38:39], v[58:59], v[70:71], v[38:39] op_sel_hi:[0,1,1] neg_lo:[1,0,0] neg_hi:[1,0,0]
	ds_read2_b32 v[70:71], v57 offset0:25 offset1:26
	s_waitcnt lgkmcnt(3)
	v_pk_fma_f32 v[34:35], v[58:59], v[64:65], v[34:35] op_sel_hi:[0,1,1] neg_lo:[1,0,0] neg_hi:[1,0,0]
	s_waitcnt lgkmcnt(2)
	v_pk_fma_f32 v[28:29], v[58:59], v[66:67], v[28:29] op_sel_hi:[0,1,1] neg_lo:[1,0,0] neg_hi:[1,0,0]
	s_waitcnt lgkmcnt(1)
	v_pk_fma_f32 v[22:23], v[58:59], v[68:69], v[22:23] op_sel_hi:[0,1,1] neg_lo:[1,0,0] neg_hi:[1,0,0]
	ds_read2_b32 v[64:65], v57 offset0:27 offset1:28
	ds_read2_b32 v[66:67], v57 offset0:29 offset1:30
	ds_read2_b32 v[68:69], v57 offset0:31 offset1:32
	s_waitcnt lgkmcnt(3)
	v_pk_fma_f32 v[36:37], v[58:59], v[70:71], v[36:37] op_sel_hi:[0,1,1] neg_lo:[1,0,0] neg_hi:[1,0,0]
	;; [unrolled: 12-line block ×3, first 2 shown]
	ds_read2_b32 v[70:71], v57 offset0:41 offset1:42
	s_waitcnt lgkmcnt(3)
	v_pk_fma_f32 v[26:27], v[58:59], v[64:65], v[26:27] op_sel_hi:[0,1,1] neg_lo:[1,0,0] neg_hi:[1,0,0]
	s_waitcnt lgkmcnt(2)
	v_pk_fma_f32 v[18:19], v[58:59], v[66:67], v[18:19] op_sel_hi:[0,1,1] neg_lo:[1,0,0] neg_hi:[1,0,0]
	;; [unrolled: 2-line block ×3, first 2 shown]
	ds_read2_b32 v[64:65], v57 offset0:43 offset1:44
	ds_read2_b32 v[66:67], v57 offset0:45 offset1:46
	;; [unrolled: 1-line block ×4, first 2 shown]
	s_waitcnt lgkmcnt(4)
	v_pk_fma_f32 v[20:21], v[58:59], v[70:71], v[20:21] op_sel_hi:[0,1,1] neg_lo:[1,0,0] neg_hi:[1,0,0]
	s_waitcnt lgkmcnt(3)
	v_pk_fma_f32 v[10:11], v[58:59], v[64:65], v[10:11] op_sel_hi:[0,1,1] neg_lo:[1,0,0] neg_hi:[1,0,0]
	;; [unrolled: 2-line block ×5, first 2 shown]
	v_mov_b32_e32 v41, v58
.LBB100_182:
	s_or_b64 exec, exec, s[0:1]
	v_lshl_add_u32 v58, v61, 2, v57
	s_barrier
	ds_write_b32 v58, v52
	s_waitcnt lgkmcnt(0)
	s_barrier
	ds_read_b32 v63, v57 offset:44
	s_cmp_lt_i32 s22, 13
	v_mov_b32_e32 v58, 11
	s_cbranch_scc1 .LBB100_185
; %bb.183:
	v_add3_u32 v64, v60, 0, 48
	v_mov_b32_e32 v58, 11
	s_mov_b32 s0, 12
.LBB100_184:                            ; =>This Inner Loop Header: Depth=1
	ds_read_b32 v65, v64
	v_mov_b32_e32 v66, s0
	s_add_i32 s0, s0, 1
	v_add_u32_e32 v64, 4, v64
	s_cmp_lg_u32 s22, s0
	s_waitcnt lgkmcnt(0)
	v_cmp_lt_f32_e64 vcc, |v63|, |v65|
	s_nop 1
	v_cndmask_b32_e32 v63, v63, v65, vcc
	v_cndmask_b32_e32 v58, v58, v66, vcc
	s_cbranch_scc1 .LBB100_184
.LBB100_185:
	s_waitcnt lgkmcnt(0)
	v_cmp_eq_f32_e32 vcc, 0, v63
	s_and_saveexec_b64 s[0:1], vcc
	s_xor_b64 s[0:1], exec, s[0:1]
; %bb.186:
	v_cmp_ne_u32_e32 vcc, 0, v62
	s_nop 1
	v_cndmask_b32_e32 v62, 12, v62, vcc
; %bb.187:
	s_andn2_saveexec_b64 s[0:1], s[0:1]
	s_cbranch_execz .LBB100_189
; %bb.188:
	v_div_scale_f32 v64, s[2:3], v63, v63, 1.0
	v_rcp_f32_e32 v65, v64
	v_div_scale_f32 v66, vcc, 1.0, v63, 1.0
	v_fma_f32 v67, -v64, v65, 1.0
	v_fmac_f32_e32 v65, v67, v65
	v_mul_f32_e32 v67, v66, v65
	v_fma_f32 v68, -v64, v67, v66
	v_fmac_f32_e32 v67, v68, v65
	v_fma_f32 v64, -v64, v67, v66
	v_div_fmas_f32 v64, v64, v65, v67
	v_div_fixup_f32 v63, v64, v63, 1.0
.LBB100_189:
	s_or_b64 exec, exec, s[0:1]
	v_cmp_ne_u32_e32 vcc, v61, v58
	s_and_saveexec_b64 s[0:1], vcc
	s_xor_b64 s[0:1], exec, s[0:1]
	s_cbranch_execz .LBB100_195
; %bb.190:
	v_cmp_eq_u32_e32 vcc, 11, v61
	s_and_saveexec_b64 s[2:3], vcc
	s_cbranch_execz .LBB100_194
; %bb.191:
	v_cmp_ne_u32_e32 vcc, 11, v58
	s_xor_b64 s[12:13], s[20:21], -1
	s_and_b64 s[14:15], s[12:13], vcc
	s_and_saveexec_b64 s[12:13], s[14:15]
	s_cbranch_execz .LBB100_193
; %bb.192:
	v_ashrrev_i32_e32 v59, 31, v58
	v_lshl_add_u64 v[64:65], v[58:59], 2, v[4:5]
	global_load_dword v59, v[64:65], off
	global_load_dword v61, v[4:5], off offset:44
	s_waitcnt vmcnt(1)
	global_store_dword v[4:5], v59, off offset:44
	s_waitcnt vmcnt(1)
	global_store_dword v[64:65], v61, off
.LBB100_193:
	s_or_b64 exec, exec, s[12:13]
	v_mov_b32_e32 v59, v58
	v_mov_b32_e32 v61, v58
.LBB100_194:
	s_or_b64 exec, exec, s[2:3]
.LBB100_195:
	s_andn2_saveexec_b64 s[0:1], s[0:1]
	s_cbranch_execz .LBB100_197
; %bb.196:
	v_pk_mov_b32 v[64:65], v[52:53], v[50:51] op_sel:[1,0]
	ds_write2_b32 v57, v64, v65 offset0:12 offset1:13
	v_pk_mov_b32 v[64:65], v[50:51], v[48:49] op_sel:[1,0]
	ds_write2_b32 v57, v64, v65 offset0:14 offset1:15
	;; [unrolled: 2-line block ×18, first 2 shown]
	v_pk_mov_b32 v[64:65], v[0:1], v[12:13] op_sel:[1,0]
	v_mov_b32_e32 v61, 11
	ds_write2_b32 v57, v64, v65 offset0:48 offset1:49
	ds_write_b32 v57, v13 offset:200
.LBB100_197:
	s_or_b64 exec, exec, s[0:1]
	v_cmp_lt_i32_e32 vcc, 11, v61
	s_waitcnt lgkmcnt(0)
	s_barrier
	s_and_saveexec_b64 s[0:1], vcc
	s_cbranch_execz .LBB100_199
; %bb.198:
	ds_read_b32 v58, v57 offset:48
	ds_read2_b32 v[64:65], v57 offset0:13 offset1:14
	ds_read2_b32 v[66:67], v57 offset0:15 offset1:16
	v_mul_f32_e32 v52, v63, v52
	ds_read2_b32 v[68:69], v57 offset0:17 offset1:18
	s_waitcnt lgkmcnt(3)
	v_fma_f32 v53, -v52, v58, v53
	s_waitcnt lgkmcnt(2)
	v_pk_fma_f32 v[50:51], v[52:53], v[64:65], v[50:51] op_sel_hi:[0,1,1] neg_lo:[1,0,0] neg_hi:[1,0,0]
	s_waitcnt lgkmcnt(1)
	v_pk_fma_f32 v[48:49], v[52:53], v[66:67], v[48:49] op_sel_hi:[0,1,1] neg_lo:[1,0,0] neg_hi:[1,0,0]
	ds_read2_b32 v[64:65], v57 offset0:19 offset1:20
	ds_read2_b32 v[66:67], v57 offset0:21 offset1:22
	ds_read2_b32 v[70:71], v57 offset0:23 offset1:24
	s_waitcnt lgkmcnt(3)
	v_pk_fma_f32 v[38:39], v[52:53], v[68:69], v[38:39] op_sel_hi:[0,1,1] neg_lo:[1,0,0] neg_hi:[1,0,0]
	ds_read2_b32 v[68:69], v57 offset0:25 offset1:26
	s_waitcnt lgkmcnt(3)
	v_pk_fma_f32 v[34:35], v[52:53], v[64:65], v[34:35] op_sel_hi:[0,1,1] neg_lo:[1,0,0] neg_hi:[1,0,0]
	s_waitcnt lgkmcnt(2)
	v_pk_fma_f32 v[28:29], v[52:53], v[66:67], v[28:29] op_sel_hi:[0,1,1] neg_lo:[1,0,0] neg_hi:[1,0,0]
	s_waitcnt lgkmcnt(1)
	v_pk_fma_f32 v[22:23], v[52:53], v[70:71], v[22:23] op_sel_hi:[0,1,1] neg_lo:[1,0,0] neg_hi:[1,0,0]
	ds_read2_b32 v[64:65], v57 offset0:27 offset1:28
	ds_read2_b32 v[66:67], v57 offset0:29 offset1:30
	ds_read2_b32 v[70:71], v57 offset0:31 offset1:32
	s_waitcnt lgkmcnt(3)
	v_pk_fma_f32 v[36:37], v[52:53], v[68:69], v[36:37] op_sel_hi:[0,1,1] neg_lo:[1,0,0] neg_hi:[1,0,0]
	ds_read2_b32 v[68:69], v57 offset0:33 offset1:34
	s_waitcnt lgkmcnt(3)
	v_pk_fma_f32 v[30:31], v[52:53], v[64:65], v[30:31] op_sel_hi:[0,1,1] neg_lo:[1,0,0] neg_hi:[1,0,0]
	;; [unrolled: 12-line block ×3, first 2 shown]
	s_waitcnt lgkmcnt(2)
	v_pk_fma_f32 v[18:19], v[52:53], v[66:67], v[18:19] op_sel_hi:[0,1,1] neg_lo:[1,0,0] neg_hi:[1,0,0]
	s_waitcnt lgkmcnt(1)
	v_pk_fma_f32 v[8:9], v[52:53], v[70:71], v[8:9] op_sel_hi:[0,1,1] neg_lo:[1,0,0] neg_hi:[1,0,0]
	ds_read2_b32 v[64:65], v57 offset0:43 offset1:44
	ds_read2_b32 v[66:67], v57 offset0:45 offset1:46
	;; [unrolled: 1-line block ×4, first 2 shown]
	s_waitcnt lgkmcnt(4)
	v_pk_fma_f32 v[20:21], v[52:53], v[68:69], v[20:21] op_sel_hi:[0,1,1] neg_lo:[1,0,0] neg_hi:[1,0,0]
	s_waitcnt lgkmcnt(3)
	v_pk_fma_f32 v[10:11], v[52:53], v[64:65], v[10:11] op_sel_hi:[0,1,1] neg_lo:[1,0,0] neg_hi:[1,0,0]
	;; [unrolled: 2-line block ×5, first 2 shown]
.LBB100_199:
	s_or_b64 exec, exec, s[0:1]
	v_lshl_add_u32 v58, v61, 2, v57
	s_barrier
	ds_write_b32 v58, v53
	s_waitcnt lgkmcnt(0)
	s_barrier
	ds_read_b32 v63, v57 offset:48
	s_cmp_lt_i32 s22, 14
	v_mov_b32_e32 v58, 12
	s_cbranch_scc1 .LBB100_202
; %bb.200:
	v_add3_u32 v64, v60, 0, 52
	v_mov_b32_e32 v58, 12
	s_mov_b32 s0, 13
.LBB100_201:                            ; =>This Inner Loop Header: Depth=1
	ds_read_b32 v65, v64
	v_mov_b32_e32 v66, s0
	s_add_i32 s0, s0, 1
	v_add_u32_e32 v64, 4, v64
	s_cmp_lg_u32 s22, s0
	s_waitcnt lgkmcnt(0)
	v_cmp_lt_f32_e64 vcc, |v63|, |v65|
	s_nop 1
	v_cndmask_b32_e32 v63, v63, v65, vcc
	v_cndmask_b32_e32 v58, v58, v66, vcc
	s_cbranch_scc1 .LBB100_201
.LBB100_202:
	s_waitcnt lgkmcnt(0)
	v_cmp_eq_f32_e32 vcc, 0, v63
	s_and_saveexec_b64 s[0:1], vcc
	s_xor_b64 s[0:1], exec, s[0:1]
; %bb.203:
	v_cmp_ne_u32_e32 vcc, 0, v62
	s_nop 1
	v_cndmask_b32_e32 v62, 13, v62, vcc
; %bb.204:
	s_andn2_saveexec_b64 s[0:1], s[0:1]
	s_cbranch_execz .LBB100_206
; %bb.205:
	v_div_scale_f32 v64, s[2:3], v63, v63, 1.0
	v_rcp_f32_e32 v65, v64
	v_div_scale_f32 v66, vcc, 1.0, v63, 1.0
	v_fma_f32 v67, -v64, v65, 1.0
	v_fmac_f32_e32 v65, v67, v65
	v_mul_f32_e32 v67, v66, v65
	v_fma_f32 v68, -v64, v67, v66
	v_fmac_f32_e32 v67, v68, v65
	v_fma_f32 v64, -v64, v67, v66
	v_div_fmas_f32 v64, v64, v65, v67
	v_div_fixup_f32 v63, v64, v63, 1.0
.LBB100_206:
	s_or_b64 exec, exec, s[0:1]
	v_cmp_ne_u32_e32 vcc, v61, v58
	s_and_saveexec_b64 s[0:1], vcc
	s_xor_b64 s[0:1], exec, s[0:1]
	s_cbranch_execz .LBB100_212
; %bb.207:
	v_cmp_eq_u32_e32 vcc, 12, v61
	s_and_saveexec_b64 s[2:3], vcc
	s_cbranch_execz .LBB100_211
; %bb.208:
	v_cmp_ne_u32_e32 vcc, 12, v58
	s_xor_b64 s[12:13], s[20:21], -1
	s_and_b64 s[14:15], s[12:13], vcc
	s_and_saveexec_b64 s[12:13], s[14:15]
	s_cbranch_execz .LBB100_210
; %bb.209:
	v_ashrrev_i32_e32 v59, 31, v58
	v_lshl_add_u64 v[64:65], v[58:59], 2, v[4:5]
	global_load_dword v59, v[64:65], off
	global_load_dword v61, v[4:5], off offset:48
	s_waitcnt vmcnt(1)
	global_store_dword v[4:5], v59, off offset:48
	s_waitcnt vmcnt(1)
	global_store_dword v[64:65], v61, off
.LBB100_210:
	s_or_b64 exec, exec, s[12:13]
	v_mov_b32_e32 v59, v58
	v_mov_b32_e32 v61, v58
.LBB100_211:
	s_or_b64 exec, exec, s[2:3]
.LBB100_212:
	s_andn2_saveexec_b64 s[0:1], s[0:1]
	s_cbranch_execz .LBB100_214
; %bb.213:
	v_mov_b32_e32 v61, 12
	ds_write2_b32 v57, v50, v51 offset0:13 offset1:14
	ds_write2_b32 v57, v48, v49 offset0:15 offset1:16
	;; [unrolled: 1-line block ×19, first 2 shown]
.LBB100_214:
	s_or_b64 exec, exec, s[0:1]
	v_cmp_lt_i32_e32 vcc, 12, v61
	s_waitcnt lgkmcnt(0)
	s_barrier
	s_and_saveexec_b64 s[0:1], vcc
	s_cbranch_execz .LBB100_216
; %bb.215:
	ds_read2_b32 v[64:65], v57 offset0:13 offset1:14
	ds_read2_b32 v[66:67], v57 offset0:15 offset1:16
	;; [unrolled: 1-line block ×3, first 2 shown]
	v_mul_f32_e32 v58, v63, v53
	ds_read2_b32 v[70:71], v57 offset0:19 offset1:20
	s_waitcnt lgkmcnt(3)
	v_pk_fma_f32 v[50:51], v[58:59], v[64:65], v[50:51] op_sel_hi:[0,1,1] neg_lo:[1,0,0] neg_hi:[1,0,0]
	s_waitcnt lgkmcnt(2)
	v_pk_fma_f32 v[48:49], v[58:59], v[66:67], v[48:49] op_sel_hi:[0,1,1] neg_lo:[1,0,0] neg_hi:[1,0,0]
	;; [unrolled: 2-line block ×3, first 2 shown]
	ds_read2_b32 v[64:65], v57 offset0:21 offset1:22
	ds_read2_b32 v[66:67], v57 offset0:23 offset1:24
	ds_read2_b32 v[68:69], v57 offset0:25 offset1:26
	s_waitcnt lgkmcnt(3)
	v_pk_fma_f32 v[34:35], v[58:59], v[70:71], v[34:35] op_sel_hi:[0,1,1] neg_lo:[1,0,0] neg_hi:[1,0,0]
	ds_read2_b32 v[70:71], v57 offset0:27 offset1:28
	s_waitcnt lgkmcnt(3)
	v_pk_fma_f32 v[28:29], v[58:59], v[64:65], v[28:29] op_sel_hi:[0,1,1] neg_lo:[1,0,0] neg_hi:[1,0,0]
	s_waitcnt lgkmcnt(2)
	v_pk_fma_f32 v[22:23], v[58:59], v[66:67], v[22:23] op_sel_hi:[0,1,1] neg_lo:[1,0,0] neg_hi:[1,0,0]
	;; [unrolled: 2-line block ×3, first 2 shown]
	ds_read2_b32 v[64:65], v57 offset0:29 offset1:30
	ds_read2_b32 v[66:67], v57 offset0:31 offset1:32
	ds_read2_b32 v[68:69], v57 offset0:33 offset1:34
	s_waitcnt lgkmcnt(3)
	v_pk_fma_f32 v[30:31], v[58:59], v[70:71], v[30:31] op_sel_hi:[0,1,1] neg_lo:[1,0,0] neg_hi:[1,0,0]
	ds_read2_b32 v[70:71], v57 offset0:35 offset1:36
	s_waitcnt lgkmcnt(3)
	v_pk_fma_f32 v[24:25], v[58:59], v[64:65], v[24:25] op_sel_hi:[0,1,1] neg_lo:[1,0,0] neg_hi:[1,0,0]
	s_waitcnt lgkmcnt(2)
	v_pk_fma_f32 v[16:17], v[58:59], v[66:67], v[16:17] op_sel_hi:[0,1,1] neg_lo:[1,0,0] neg_hi:[1,0,0]
	ds_read2_b32 v[64:65], v57 offset0:37 offset1:38
	ds_read2_b32 v[66:67], v57 offset0:39 offset1:40
	s_waitcnt lgkmcnt(3)
	v_pk_fma_f32 v[32:33], v[58:59], v[68:69], v[32:33] op_sel_hi:[0,1,1] neg_lo:[1,0,0] neg_hi:[1,0,0]
	s_waitcnt lgkmcnt(2)
	v_pk_fma_f32 v[26:27], v[58:59], v[70:71], v[26:27] op_sel_hi:[0,1,1] neg_lo:[1,0,0] neg_hi:[1,0,0]
	ds_read2_b32 v[68:69], v57 offset0:41 offset1:42
	;; [unrolled: 6-line block ×3, first 2 shown]
	ds_read2_b32 v[66:67], v57 offset0:47 offset1:48
	ds_read2_b32 v[72:73], v57 offset0:49 offset1:50
	s_waitcnt lgkmcnt(4)
	v_pk_fma_f32 v[20:21], v[58:59], v[68:69], v[20:21] op_sel_hi:[0,1,1] neg_lo:[1,0,0] neg_hi:[1,0,0]
	s_waitcnt lgkmcnt(3)
	v_pk_fma_f32 v[10:11], v[58:59], v[70:71], v[10:11] op_sel_hi:[0,1,1] neg_lo:[1,0,0] neg_hi:[1,0,0]
	;; [unrolled: 2-line block ×5, first 2 shown]
	v_mov_b32_e32 v53, v58
.LBB100_216:
	s_or_b64 exec, exec, s[0:1]
	v_lshl_add_u32 v58, v61, 2, v57
	s_barrier
	ds_write_b32 v58, v50
	s_waitcnt lgkmcnt(0)
	s_barrier
	ds_read_b32 v63, v57 offset:52
	s_cmp_lt_i32 s22, 15
	v_mov_b32_e32 v58, 13
	s_cbranch_scc1 .LBB100_219
; %bb.217:
	v_add3_u32 v64, v60, 0, 56
	v_mov_b32_e32 v58, 13
	s_mov_b32 s0, 14
.LBB100_218:                            ; =>This Inner Loop Header: Depth=1
	ds_read_b32 v65, v64
	v_mov_b32_e32 v66, s0
	s_add_i32 s0, s0, 1
	v_add_u32_e32 v64, 4, v64
	s_cmp_lg_u32 s22, s0
	s_waitcnt lgkmcnt(0)
	v_cmp_lt_f32_e64 vcc, |v63|, |v65|
	s_nop 1
	v_cndmask_b32_e32 v63, v63, v65, vcc
	v_cndmask_b32_e32 v58, v58, v66, vcc
	s_cbranch_scc1 .LBB100_218
.LBB100_219:
	s_waitcnt lgkmcnt(0)
	v_cmp_eq_f32_e32 vcc, 0, v63
	s_and_saveexec_b64 s[0:1], vcc
	s_xor_b64 s[0:1], exec, s[0:1]
; %bb.220:
	v_cmp_ne_u32_e32 vcc, 0, v62
	s_nop 1
	v_cndmask_b32_e32 v62, 14, v62, vcc
; %bb.221:
	s_andn2_saveexec_b64 s[0:1], s[0:1]
	s_cbranch_execz .LBB100_223
; %bb.222:
	v_div_scale_f32 v64, s[2:3], v63, v63, 1.0
	v_rcp_f32_e32 v65, v64
	v_div_scale_f32 v66, vcc, 1.0, v63, 1.0
	v_fma_f32 v67, -v64, v65, 1.0
	v_fmac_f32_e32 v65, v67, v65
	v_mul_f32_e32 v67, v66, v65
	v_fma_f32 v68, -v64, v67, v66
	v_fmac_f32_e32 v67, v68, v65
	v_fma_f32 v64, -v64, v67, v66
	v_div_fmas_f32 v64, v64, v65, v67
	v_div_fixup_f32 v63, v64, v63, 1.0
.LBB100_223:
	s_or_b64 exec, exec, s[0:1]
	v_cmp_ne_u32_e32 vcc, v61, v58
	s_and_saveexec_b64 s[0:1], vcc
	s_xor_b64 s[0:1], exec, s[0:1]
	s_cbranch_execz .LBB100_229
; %bb.224:
	v_cmp_eq_u32_e32 vcc, 13, v61
	s_and_saveexec_b64 s[2:3], vcc
	s_cbranch_execz .LBB100_228
; %bb.225:
	v_cmp_ne_u32_e32 vcc, 13, v58
	s_xor_b64 s[12:13], s[20:21], -1
	s_and_b64 s[14:15], s[12:13], vcc
	s_and_saveexec_b64 s[12:13], s[14:15]
	s_cbranch_execz .LBB100_227
; %bb.226:
	v_ashrrev_i32_e32 v59, 31, v58
	v_lshl_add_u64 v[64:65], v[58:59], 2, v[4:5]
	global_load_dword v59, v[64:65], off
	global_load_dword v61, v[4:5], off offset:52
	s_waitcnt vmcnt(1)
	global_store_dword v[4:5], v59, off offset:52
	s_waitcnt vmcnt(1)
	global_store_dword v[64:65], v61, off
.LBB100_227:
	s_or_b64 exec, exec, s[12:13]
	v_mov_b32_e32 v59, v58
	v_mov_b32_e32 v61, v58
.LBB100_228:
	s_or_b64 exec, exec, s[2:3]
.LBB100_229:
	s_andn2_saveexec_b64 s[0:1], s[0:1]
	s_cbranch_execz .LBB100_231
; %bb.230:
	v_pk_mov_b32 v[64:65], v[50:51], v[48:49] op_sel:[1,0]
	ds_write2_b32 v57, v64, v65 offset0:14 offset1:15
	v_pk_mov_b32 v[64:65], v[48:49], v[38:39] op_sel:[1,0]
	ds_write2_b32 v57, v64, v65 offset0:16 offset1:17
	;; [unrolled: 2-line block ×17, first 2 shown]
	v_pk_mov_b32 v[64:65], v[0:1], v[12:13] op_sel:[1,0]
	v_mov_b32_e32 v61, 13
	ds_write2_b32 v57, v64, v65 offset0:48 offset1:49
	ds_write_b32 v57, v13 offset:200
.LBB100_231:
	s_or_b64 exec, exec, s[0:1]
	v_cmp_lt_i32_e32 vcc, 13, v61
	s_waitcnt lgkmcnt(0)
	s_barrier
	s_and_saveexec_b64 s[0:1], vcc
	s_cbranch_execz .LBB100_233
; %bb.232:
	ds_read_b32 v58, v57 offset:56
	ds_read2_b32 v[64:65], v57 offset0:15 offset1:16
	ds_read2_b32 v[66:67], v57 offset0:17 offset1:18
	v_mul_f32_e32 v50, v63, v50
	ds_read2_b32 v[68:69], v57 offset0:19 offset1:20
	s_waitcnt lgkmcnt(3)
	v_fma_f32 v51, -v50, v58, v51
	s_waitcnt lgkmcnt(2)
	v_pk_fma_f32 v[48:49], v[50:51], v[64:65], v[48:49] op_sel_hi:[0,1,1] neg_lo:[1,0,0] neg_hi:[1,0,0]
	s_waitcnt lgkmcnt(1)
	v_pk_fma_f32 v[38:39], v[50:51], v[66:67], v[38:39] op_sel_hi:[0,1,1] neg_lo:[1,0,0] neg_hi:[1,0,0]
	ds_read2_b32 v[64:65], v57 offset0:21 offset1:22
	ds_read2_b32 v[66:67], v57 offset0:23 offset1:24
	;; [unrolled: 1-line block ×3, first 2 shown]
	s_waitcnt lgkmcnt(3)
	v_pk_fma_f32 v[34:35], v[50:51], v[68:69], v[34:35] op_sel_hi:[0,1,1] neg_lo:[1,0,0] neg_hi:[1,0,0]
	ds_read2_b32 v[68:69], v57 offset0:27 offset1:28
	s_waitcnt lgkmcnt(3)
	v_pk_fma_f32 v[28:29], v[50:51], v[64:65], v[28:29] op_sel_hi:[0,1,1] neg_lo:[1,0,0] neg_hi:[1,0,0]
	s_waitcnt lgkmcnt(2)
	v_pk_fma_f32 v[22:23], v[50:51], v[66:67], v[22:23] op_sel_hi:[0,1,1] neg_lo:[1,0,0] neg_hi:[1,0,0]
	;; [unrolled: 2-line block ×3, first 2 shown]
	ds_read2_b32 v[64:65], v57 offset0:29 offset1:30
	ds_read2_b32 v[66:67], v57 offset0:31 offset1:32
	;; [unrolled: 1-line block ×3, first 2 shown]
	s_waitcnt lgkmcnt(3)
	v_pk_fma_f32 v[30:31], v[50:51], v[68:69], v[30:31] op_sel_hi:[0,1,1] neg_lo:[1,0,0] neg_hi:[1,0,0]
	ds_read2_b32 v[68:69], v57 offset0:35 offset1:36
	s_waitcnt lgkmcnt(3)
	v_pk_fma_f32 v[24:25], v[50:51], v[64:65], v[24:25] op_sel_hi:[0,1,1] neg_lo:[1,0,0] neg_hi:[1,0,0]
	s_waitcnt lgkmcnt(2)
	v_pk_fma_f32 v[16:17], v[50:51], v[66:67], v[16:17] op_sel_hi:[0,1,1] neg_lo:[1,0,0] neg_hi:[1,0,0]
	ds_read2_b32 v[64:65], v57 offset0:37 offset1:38
	ds_read2_b32 v[66:67], v57 offset0:39 offset1:40
	s_waitcnt lgkmcnt(3)
	v_pk_fma_f32 v[32:33], v[50:51], v[70:71], v[32:33] op_sel_hi:[0,1,1] neg_lo:[1,0,0] neg_hi:[1,0,0]
	s_waitcnt lgkmcnt(2)
	v_pk_fma_f32 v[26:27], v[50:51], v[68:69], v[26:27] op_sel_hi:[0,1,1] neg_lo:[1,0,0] neg_hi:[1,0,0]
	ds_read2_b32 v[68:69], v57 offset0:41 offset1:42
	;; [unrolled: 6-line block ×3, first 2 shown]
	ds_read2_b32 v[66:67], v57 offset0:47 offset1:48
	ds_read2_b32 v[72:73], v57 offset0:49 offset1:50
	s_waitcnt lgkmcnt(4)
	v_pk_fma_f32 v[20:21], v[50:51], v[68:69], v[20:21] op_sel_hi:[0,1,1] neg_lo:[1,0,0] neg_hi:[1,0,0]
	s_waitcnt lgkmcnt(3)
	v_pk_fma_f32 v[10:11], v[50:51], v[70:71], v[10:11] op_sel_hi:[0,1,1] neg_lo:[1,0,0] neg_hi:[1,0,0]
	;; [unrolled: 2-line block ×5, first 2 shown]
.LBB100_233:
	s_or_b64 exec, exec, s[0:1]
	v_lshl_add_u32 v58, v61, 2, v57
	s_barrier
	ds_write_b32 v58, v51
	s_waitcnt lgkmcnt(0)
	s_barrier
	ds_read_b32 v63, v57 offset:56
	s_cmp_lt_i32 s22, 16
	v_mov_b32_e32 v58, 14
	s_cbranch_scc1 .LBB100_236
; %bb.234:
	v_add3_u32 v64, v60, 0, 60
	v_mov_b32_e32 v58, 14
	s_mov_b32 s0, 15
.LBB100_235:                            ; =>This Inner Loop Header: Depth=1
	ds_read_b32 v65, v64
	v_mov_b32_e32 v66, s0
	s_add_i32 s0, s0, 1
	v_add_u32_e32 v64, 4, v64
	s_cmp_lg_u32 s22, s0
	s_waitcnt lgkmcnt(0)
	v_cmp_lt_f32_e64 vcc, |v63|, |v65|
	s_nop 1
	v_cndmask_b32_e32 v63, v63, v65, vcc
	v_cndmask_b32_e32 v58, v58, v66, vcc
	s_cbranch_scc1 .LBB100_235
.LBB100_236:
	s_waitcnt lgkmcnt(0)
	v_cmp_eq_f32_e32 vcc, 0, v63
	s_and_saveexec_b64 s[0:1], vcc
	s_xor_b64 s[0:1], exec, s[0:1]
; %bb.237:
	v_cmp_ne_u32_e32 vcc, 0, v62
	s_nop 1
	v_cndmask_b32_e32 v62, 15, v62, vcc
; %bb.238:
	s_andn2_saveexec_b64 s[0:1], s[0:1]
	s_cbranch_execz .LBB100_240
; %bb.239:
	v_div_scale_f32 v64, s[2:3], v63, v63, 1.0
	v_rcp_f32_e32 v65, v64
	v_div_scale_f32 v66, vcc, 1.0, v63, 1.0
	v_fma_f32 v67, -v64, v65, 1.0
	v_fmac_f32_e32 v65, v67, v65
	v_mul_f32_e32 v67, v66, v65
	v_fma_f32 v68, -v64, v67, v66
	v_fmac_f32_e32 v67, v68, v65
	v_fma_f32 v64, -v64, v67, v66
	v_div_fmas_f32 v64, v64, v65, v67
	v_div_fixup_f32 v63, v64, v63, 1.0
.LBB100_240:
	s_or_b64 exec, exec, s[0:1]
	v_cmp_ne_u32_e32 vcc, v61, v58
	s_and_saveexec_b64 s[0:1], vcc
	s_xor_b64 s[0:1], exec, s[0:1]
	s_cbranch_execz .LBB100_246
; %bb.241:
	v_cmp_eq_u32_e32 vcc, 14, v61
	s_and_saveexec_b64 s[2:3], vcc
	s_cbranch_execz .LBB100_245
; %bb.242:
	v_cmp_ne_u32_e32 vcc, 14, v58
	s_xor_b64 s[12:13], s[20:21], -1
	s_and_b64 s[14:15], s[12:13], vcc
	s_and_saveexec_b64 s[12:13], s[14:15]
	s_cbranch_execz .LBB100_244
; %bb.243:
	v_ashrrev_i32_e32 v59, 31, v58
	v_lshl_add_u64 v[64:65], v[58:59], 2, v[4:5]
	global_load_dword v59, v[64:65], off
	global_load_dword v61, v[4:5], off offset:56
	s_waitcnt vmcnt(1)
	global_store_dword v[4:5], v59, off offset:56
	s_waitcnt vmcnt(1)
	global_store_dword v[64:65], v61, off
.LBB100_244:
	s_or_b64 exec, exec, s[12:13]
	v_mov_b32_e32 v59, v58
	v_mov_b32_e32 v61, v58
.LBB100_245:
	s_or_b64 exec, exec, s[2:3]
.LBB100_246:
	s_andn2_saveexec_b64 s[0:1], s[0:1]
	s_cbranch_execz .LBB100_248
; %bb.247:
	v_mov_b32_e32 v61, 14
	ds_write2_b32 v57, v48, v49 offset0:15 offset1:16
	ds_write2_b32 v57, v38, v39 offset0:17 offset1:18
	;; [unrolled: 1-line block ×18, first 2 shown]
.LBB100_248:
	s_or_b64 exec, exec, s[0:1]
	v_cmp_lt_i32_e32 vcc, 14, v61
	s_waitcnt lgkmcnt(0)
	s_barrier
	s_and_saveexec_b64 s[0:1], vcc
	s_cbranch_execz .LBB100_250
; %bb.249:
	ds_read2_b32 v[64:65], v57 offset0:15 offset1:16
	ds_read2_b32 v[66:67], v57 offset0:17 offset1:18
	ds_read2_b32 v[68:69], v57 offset0:19 offset1:20
	ds_read2_b32 v[70:71], v57 offset0:21 offset1:22
	v_mul_f32_e32 v58, v63, v51
	s_waitcnt lgkmcnt(3)
	v_pk_fma_f32 v[48:49], v[58:59], v[64:65], v[48:49] op_sel_hi:[0,1,1] neg_lo:[1,0,0] neg_hi:[1,0,0]
	s_waitcnt lgkmcnt(2)
	v_pk_fma_f32 v[38:39], v[58:59], v[66:67], v[38:39] op_sel_hi:[0,1,1] neg_lo:[1,0,0] neg_hi:[1,0,0]
	;; [unrolled: 2-line block ×3, first 2 shown]
	ds_read2_b32 v[64:65], v57 offset0:23 offset1:24
	ds_read2_b32 v[66:67], v57 offset0:25 offset1:26
	;; [unrolled: 1-line block ×3, first 2 shown]
	s_waitcnt lgkmcnt(3)
	v_pk_fma_f32 v[28:29], v[58:59], v[70:71], v[28:29] op_sel_hi:[0,1,1] neg_lo:[1,0,0] neg_hi:[1,0,0]
	ds_read2_b32 v[70:71], v57 offset0:29 offset1:30
	s_waitcnt lgkmcnt(3)
	v_pk_fma_f32 v[22:23], v[58:59], v[64:65], v[22:23] op_sel_hi:[0,1,1] neg_lo:[1,0,0] neg_hi:[1,0,0]
	s_waitcnt lgkmcnt(2)
	v_pk_fma_f32 v[36:37], v[58:59], v[66:67], v[36:37] op_sel_hi:[0,1,1] neg_lo:[1,0,0] neg_hi:[1,0,0]
	;; [unrolled: 2-line block ×3, first 2 shown]
	ds_read2_b32 v[64:65], v57 offset0:31 offset1:32
	ds_read2_b32 v[66:67], v57 offset0:33 offset1:34
	;; [unrolled: 1-line block ×3, first 2 shown]
	s_waitcnt lgkmcnt(3)
	v_pk_fma_f32 v[24:25], v[58:59], v[70:71], v[24:25] op_sel_hi:[0,1,1] neg_lo:[1,0,0] neg_hi:[1,0,0]
	ds_read2_b32 v[70:71], v57 offset0:37 offset1:38
	s_waitcnt lgkmcnt(3)
	v_pk_fma_f32 v[16:17], v[58:59], v[64:65], v[16:17] op_sel_hi:[0,1,1] neg_lo:[1,0,0] neg_hi:[1,0,0]
	ds_read2_b32 v[64:65], v57 offset0:39 offset1:40
	s_waitcnt lgkmcnt(3)
	v_pk_fma_f32 v[32:33], v[58:59], v[66:67], v[32:33] op_sel_hi:[0,1,1] neg_lo:[1,0,0] neg_hi:[1,0,0]
	s_waitcnt lgkmcnt(2)
	v_pk_fma_f32 v[26:27], v[58:59], v[68:69], v[26:27] op_sel_hi:[0,1,1] neg_lo:[1,0,0] neg_hi:[1,0,0]
	;; [unrolled: 2-line block ×3, first 2 shown]
	ds_read2_b32 v[66:67], v57 offset0:41 offset1:42
	ds_read2_b32 v[68:69], v57 offset0:43 offset1:44
	ds_read2_b32 v[70:71], v57 offset0:45 offset1:46
	s_waitcnt lgkmcnt(3)
	v_pk_fma_f32 v[8:9], v[58:59], v[64:65], v[8:9] op_sel_hi:[0,1,1] neg_lo:[1,0,0] neg_hi:[1,0,0]
	ds_read2_b32 v[64:65], v57 offset0:47 offset1:48
	ds_read2_b32 v[72:73], v57 offset0:49 offset1:50
	s_waitcnt lgkmcnt(4)
	v_pk_fma_f32 v[20:21], v[58:59], v[66:67], v[20:21] op_sel_hi:[0,1,1] neg_lo:[1,0,0] neg_hi:[1,0,0]
	s_waitcnt lgkmcnt(3)
	v_pk_fma_f32 v[10:11], v[58:59], v[68:69], v[10:11] op_sel_hi:[0,1,1] neg_lo:[1,0,0] neg_hi:[1,0,0]
	;; [unrolled: 2-line block ×5, first 2 shown]
	v_mov_b32_e32 v51, v58
.LBB100_250:
	s_or_b64 exec, exec, s[0:1]
	v_lshl_add_u32 v58, v61, 2, v57
	s_barrier
	ds_write_b32 v58, v48
	s_waitcnt lgkmcnt(0)
	s_barrier
	ds_read_b32 v63, v57 offset:60
	s_cmp_lt_i32 s22, 17
	v_mov_b32_e32 v58, 15
	s_cbranch_scc1 .LBB100_253
; %bb.251:
	v_add3_u32 v60, v60, 0, 64
	v_mov_b32_e32 v58, 15
	s_mov_b32 s0, 16
.LBB100_252:                            ; =>This Inner Loop Header: Depth=1
	ds_read_b32 v64, v60
	v_mov_b32_e32 v65, s0
	s_add_i32 s0, s0, 1
	v_add_u32_e32 v60, 4, v60
	s_cmp_lg_u32 s22, s0
	s_waitcnt lgkmcnt(0)
	v_cmp_lt_f32_e64 vcc, |v63|, |v64|
	s_nop 1
	v_cndmask_b32_e32 v63, v63, v64, vcc
	v_cndmask_b32_e32 v58, v58, v65, vcc
	s_cbranch_scc1 .LBB100_252
.LBB100_253:
	s_waitcnt lgkmcnt(0)
	v_cmp_eq_f32_e32 vcc, 0, v63
	s_and_saveexec_b64 s[0:1], vcc
	s_xor_b64 s[0:1], exec, s[0:1]
; %bb.254:
	v_cmp_ne_u32_e32 vcc, 0, v62
	s_nop 1
	v_cndmask_b32_e32 v62, 16, v62, vcc
; %bb.255:
	s_andn2_saveexec_b64 s[0:1], s[0:1]
	s_cbranch_execz .LBB100_257
; %bb.256:
	v_div_scale_f32 v60, s[2:3], v63, v63, 1.0
	v_rcp_f32_e32 v64, v60
	v_div_scale_f32 v65, vcc, 1.0, v63, 1.0
	v_fma_f32 v66, -v60, v64, 1.0
	v_fmac_f32_e32 v64, v66, v64
	v_mul_f32_e32 v66, v65, v64
	v_fma_f32 v67, -v60, v66, v65
	v_fmac_f32_e32 v66, v67, v64
	v_fma_f32 v60, -v60, v66, v65
	v_div_fmas_f32 v60, v60, v64, v66
	v_div_fixup_f32 v63, v60, v63, 1.0
.LBB100_257:
	s_or_b64 exec, exec, s[0:1]
	v_cmp_ne_u32_e32 vcc, v61, v58
	s_and_saveexec_b64 s[0:1], vcc
	s_xor_b64 s[0:1], exec, s[0:1]
	s_cbranch_execz .LBB100_263
; %bb.258:
	v_cmp_eq_u32_e32 vcc, 15, v61
	s_and_saveexec_b64 s[2:3], vcc
	s_cbranch_execz .LBB100_262
; %bb.259:
	v_cmp_ne_u32_e32 vcc, 15, v58
	s_xor_b64 s[12:13], s[20:21], -1
	s_and_b64 s[14:15], s[12:13], vcc
	s_and_saveexec_b64 s[12:13], s[14:15]
	s_cbranch_execz .LBB100_261
; %bb.260:
	v_ashrrev_i32_e32 v59, 31, v58
	v_lshl_add_u64 v[60:61], v[58:59], 2, v[4:5]
	global_load_dword v59, v[60:61], off
	global_load_dword v64, v[4:5], off offset:60
	s_waitcnt vmcnt(1)
	global_store_dword v[4:5], v59, off offset:60
	s_waitcnt vmcnt(1)
	global_store_dword v[60:61], v64, off
.LBB100_261:
	s_or_b64 exec, exec, s[12:13]
	v_mov_b32_e32 v59, v58
	v_mov_b32_e32 v61, v58
.LBB100_262:
	s_or_b64 exec, exec, s[2:3]
.LBB100_263:
	s_andn2_saveexec_b64 s[0:1], s[0:1]
	s_cbranch_execz .LBB100_265
; %bb.264:
	v_pk_mov_b32 v[60:61], v[48:49], v[38:39] op_sel:[1,0]
	ds_write2_b32 v57, v60, v61 offset0:16 offset1:17
	v_pk_mov_b32 v[60:61], v[38:39], v[34:35] op_sel:[1,0]
	ds_write2_b32 v57, v60, v61 offset0:18 offset1:19
	;; [unrolled: 2-line block ×17, first 2 shown]
	ds_write_b32 v57, v13 offset:200
	v_mov_b32_e32 v61, 15
.LBB100_265:
	s_or_b64 exec, exec, s[0:1]
	v_cmp_lt_i32_e32 vcc, 15, v61
	s_waitcnt lgkmcnt(0)
	s_barrier
	s_and_saveexec_b64 s[0:1], vcc
	s_cbranch_execz .LBB100_267
; %bb.266:
	ds_read_b32 v58, v57 offset:64
	ds_read2_b32 v[64:65], v57 offset0:17 offset1:18
	ds_read2_b32 v[66:67], v57 offset0:19 offset1:20
	v_mul_f32_e32 v48, v63, v48
	ds_read2_b32 v[68:69], v57 offset0:21 offset1:22
	s_waitcnt lgkmcnt(3)
	v_fma_f32 v49, -v48, v58, v49
	s_waitcnt lgkmcnt(2)
	v_pk_fma_f32 v[38:39], v[48:49], v[64:65], v[38:39] op_sel_hi:[0,1,1] neg_lo:[1,0,0] neg_hi:[1,0,0]
	s_waitcnt lgkmcnt(1)
	v_pk_fma_f32 v[34:35], v[48:49], v[66:67], v[34:35] op_sel_hi:[0,1,1] neg_lo:[1,0,0] neg_hi:[1,0,0]
	ds_read2_b32 v[64:65], v57 offset0:23 offset1:24
	ds_read2_b32 v[66:67], v57 offset0:25 offset1:26
	;; [unrolled: 1-line block ×3, first 2 shown]
	s_waitcnt lgkmcnt(3)
	v_pk_fma_f32 v[28:29], v[48:49], v[68:69], v[28:29] op_sel_hi:[0,1,1] neg_lo:[1,0,0] neg_hi:[1,0,0]
	ds_read2_b32 v[68:69], v57 offset0:29 offset1:30
	s_waitcnt lgkmcnt(3)
	v_pk_fma_f32 v[22:23], v[48:49], v[64:65], v[22:23] op_sel_hi:[0,1,1] neg_lo:[1,0,0] neg_hi:[1,0,0]
	s_waitcnt lgkmcnt(2)
	v_pk_fma_f32 v[36:37], v[48:49], v[66:67], v[36:37] op_sel_hi:[0,1,1] neg_lo:[1,0,0] neg_hi:[1,0,0]
	;; [unrolled: 2-line block ×3, first 2 shown]
	ds_read2_b32 v[64:65], v57 offset0:31 offset1:32
	ds_read2_b32 v[66:67], v57 offset0:33 offset1:34
	;; [unrolled: 1-line block ×3, first 2 shown]
	s_waitcnt lgkmcnt(3)
	v_pk_fma_f32 v[24:25], v[48:49], v[68:69], v[24:25] op_sel_hi:[0,1,1] neg_lo:[1,0,0] neg_hi:[1,0,0]
	ds_read2_b32 v[68:69], v57 offset0:37 offset1:38
	s_waitcnt lgkmcnt(3)
	v_pk_fma_f32 v[16:17], v[48:49], v[64:65], v[16:17] op_sel_hi:[0,1,1] neg_lo:[1,0,0] neg_hi:[1,0,0]
	ds_read2_b32 v[64:65], v57 offset0:39 offset1:40
	s_waitcnt lgkmcnt(3)
	v_pk_fma_f32 v[32:33], v[48:49], v[66:67], v[32:33] op_sel_hi:[0,1,1] neg_lo:[1,0,0] neg_hi:[1,0,0]
	s_waitcnt lgkmcnt(2)
	v_pk_fma_f32 v[26:27], v[48:49], v[70:71], v[26:27] op_sel_hi:[0,1,1] neg_lo:[1,0,0] neg_hi:[1,0,0]
	;; [unrolled: 2-line block ×3, first 2 shown]
	ds_read2_b32 v[66:67], v57 offset0:41 offset1:42
	ds_read2_b32 v[68:69], v57 offset0:43 offset1:44
	ds_read2_b32 v[70:71], v57 offset0:45 offset1:46
	s_waitcnt lgkmcnt(3)
	v_pk_fma_f32 v[8:9], v[48:49], v[64:65], v[8:9] op_sel_hi:[0,1,1] neg_lo:[1,0,0] neg_hi:[1,0,0]
	ds_read2_b32 v[64:65], v57 offset0:47 offset1:48
	ds_read2_b32 v[72:73], v57 offset0:49 offset1:50
	s_waitcnt lgkmcnt(4)
	v_pk_fma_f32 v[20:21], v[48:49], v[66:67], v[20:21] op_sel_hi:[0,1,1] neg_lo:[1,0,0] neg_hi:[1,0,0]
	s_waitcnt lgkmcnt(3)
	v_pk_fma_f32 v[10:11], v[48:49], v[68:69], v[10:11] op_sel_hi:[0,1,1] neg_lo:[1,0,0] neg_hi:[1,0,0]
	;; [unrolled: 2-line block ×5, first 2 shown]
.LBB100_267:
	s_or_b64 exec, exec, s[0:1]
	v_lshl_add_u32 v58, v61, 2, v57
	s_barrier
	ds_write_b32 v58, v49
	s_waitcnt lgkmcnt(0)
	s_barrier
	ds_read_b32 v60, v57 offset:64
	s_cmp_lt_i32 s22, 18
	v_mov_b32_e32 v58, 16
	s_cbranch_scc1 .LBB100_270
; %bb.268:
	v_add_u32_e32 v63, 0x44, v57
	v_mov_b32_e32 v58, 16
	s_mov_b32 s0, 17
.LBB100_269:                            ; =>This Inner Loop Header: Depth=1
	ds_read_b32 v64, v63
	v_mov_b32_e32 v65, s0
	s_add_i32 s0, s0, 1
	v_add_u32_e32 v63, 4, v63
	s_cmp_lg_u32 s22, s0
	s_waitcnt lgkmcnt(0)
	v_cmp_lt_f32_e64 vcc, |v60|, |v64|
	s_nop 1
	v_cndmask_b32_e32 v60, v60, v64, vcc
	v_cndmask_b32_e32 v58, v58, v65, vcc
	s_cbranch_scc1 .LBB100_269
.LBB100_270:
	s_waitcnt lgkmcnt(0)
	v_cmp_eq_f32_e32 vcc, 0, v60
	s_and_saveexec_b64 s[0:1], vcc
	s_xor_b64 s[0:1], exec, s[0:1]
; %bb.271:
	v_cmp_ne_u32_e32 vcc, 0, v62
	s_nop 1
	v_cndmask_b32_e32 v62, 17, v62, vcc
; %bb.272:
	s_andn2_saveexec_b64 s[0:1], s[0:1]
	s_cbranch_execz .LBB100_274
; %bb.273:
	v_div_scale_f32 v63, s[2:3], v60, v60, 1.0
	v_rcp_f32_e32 v64, v63
	v_div_scale_f32 v65, vcc, 1.0, v60, 1.0
	v_fma_f32 v66, -v63, v64, 1.0
	v_fmac_f32_e32 v64, v66, v64
	v_mul_f32_e32 v66, v65, v64
	v_fma_f32 v67, -v63, v66, v65
	v_fmac_f32_e32 v66, v67, v64
	v_fma_f32 v63, -v63, v66, v65
	v_div_fmas_f32 v63, v63, v64, v66
	v_div_fixup_f32 v60, v63, v60, 1.0
.LBB100_274:
	s_or_b64 exec, exec, s[0:1]
	v_cmp_ne_u32_e32 vcc, v61, v58
	s_and_saveexec_b64 s[0:1], vcc
	s_xor_b64 s[0:1], exec, s[0:1]
	s_cbranch_execz .LBB100_280
; %bb.275:
	v_cmp_eq_u32_e32 vcc, 16, v61
	s_and_saveexec_b64 s[2:3], vcc
	s_cbranch_execz .LBB100_279
; %bb.276:
	v_cmp_ne_u32_e32 vcc, 16, v58
	s_xor_b64 s[12:13], s[20:21], -1
	s_and_b64 s[14:15], s[12:13], vcc
	s_and_saveexec_b64 s[12:13], s[14:15]
	s_cbranch_execz .LBB100_278
; %bb.277:
	v_ashrrev_i32_e32 v59, 31, v58
	v_lshl_add_u64 v[64:65], v[58:59], 2, v[4:5]
	global_load_dword v59, v[64:65], off
	global_load_dword v61, v[4:5], off offset:64
	s_waitcnt vmcnt(1)
	global_store_dword v[4:5], v59, off offset:64
	s_waitcnt vmcnt(1)
	global_store_dword v[64:65], v61, off
.LBB100_278:
	s_or_b64 exec, exec, s[12:13]
	v_mov_b32_e32 v59, v58
	v_mov_b32_e32 v61, v58
.LBB100_279:
	s_or_b64 exec, exec, s[2:3]
.LBB100_280:
	s_andn2_saveexec_b64 s[0:1], s[0:1]
	s_cbranch_execz .LBB100_282
; %bb.281:
	v_mov_b32_e32 v61, 16
	ds_write2_b32 v57, v38, v39 offset0:17 offset1:18
	ds_write2_b32 v57, v34, v35 offset0:19 offset1:20
	;; [unrolled: 1-line block ×17, first 2 shown]
.LBB100_282:
	s_or_b64 exec, exec, s[0:1]
	v_cmp_lt_i32_e32 vcc, 16, v61
	s_waitcnt lgkmcnt(0)
	s_barrier
	s_and_saveexec_b64 s[0:1], vcc
	s_cbranch_execz .LBB100_284
; %bb.283:
	ds_read2_b32 v[64:65], v57 offset0:17 offset1:18
	ds_read2_b32 v[66:67], v57 offset0:19 offset1:20
	;; [unrolled: 1-line block ×3, first 2 shown]
	v_mul_f32_e32 v58, v60, v49
	ds_read2_b32 v[70:71], v57 offset0:23 offset1:24
	s_waitcnt lgkmcnt(3)
	v_pk_fma_f32 v[38:39], v[58:59], v[64:65], v[38:39] op_sel_hi:[0,1,1] neg_lo:[1,0,0] neg_hi:[1,0,0]
	s_waitcnt lgkmcnt(2)
	v_pk_fma_f32 v[34:35], v[58:59], v[66:67], v[34:35] op_sel_hi:[0,1,1] neg_lo:[1,0,0] neg_hi:[1,0,0]
	;; [unrolled: 2-line block ×3, first 2 shown]
	ds_read2_b32 v[64:65], v57 offset0:25 offset1:26
	ds_read2_b32 v[66:67], v57 offset0:27 offset1:28
	;; [unrolled: 1-line block ×3, first 2 shown]
	s_waitcnt lgkmcnt(3)
	v_pk_fma_f32 v[22:23], v[58:59], v[70:71], v[22:23] op_sel_hi:[0,1,1] neg_lo:[1,0,0] neg_hi:[1,0,0]
	ds_read2_b32 v[70:71], v57 offset0:31 offset1:32
	s_waitcnt lgkmcnt(3)
	v_pk_fma_f32 v[36:37], v[58:59], v[64:65], v[36:37] op_sel_hi:[0,1,1] neg_lo:[1,0,0] neg_hi:[1,0,0]
	s_waitcnt lgkmcnt(2)
	v_pk_fma_f32 v[30:31], v[58:59], v[66:67], v[30:31] op_sel_hi:[0,1,1] neg_lo:[1,0,0] neg_hi:[1,0,0]
	;; [unrolled: 2-line block ×3, first 2 shown]
	ds_read2_b32 v[64:65], v57 offset0:33 offset1:34
	ds_read2_b32 v[66:67], v57 offset0:35 offset1:36
	;; [unrolled: 1-line block ×4, first 2 shown]
	s_waitcnt lgkmcnt(4)
	v_pk_fma_f32 v[16:17], v[58:59], v[70:71], v[16:17] op_sel_hi:[0,1,1] neg_lo:[1,0,0] neg_hi:[1,0,0]
	s_waitcnt lgkmcnt(3)
	v_pk_fma_f32 v[32:33], v[58:59], v[64:65], v[32:33] op_sel_hi:[0,1,1] neg_lo:[1,0,0] neg_hi:[1,0,0]
	;; [unrolled: 2-line block ×5, first 2 shown]
	ds_read2_b32 v[64:65], v57 offset0:41 offset1:42
	ds_read2_b32 v[66:67], v57 offset0:43 offset1:44
	;; [unrolled: 1-line block ×5, first 2 shown]
	s_waitcnt lgkmcnt(4)
	v_pk_fma_f32 v[20:21], v[58:59], v[64:65], v[20:21] op_sel_hi:[0,1,1] neg_lo:[1,0,0] neg_hi:[1,0,0]
	s_waitcnt lgkmcnt(3)
	v_pk_fma_f32 v[10:11], v[58:59], v[66:67], v[10:11] op_sel_hi:[0,1,1] neg_lo:[1,0,0] neg_hi:[1,0,0]
	;; [unrolled: 2-line block ×5, first 2 shown]
	v_mov_b32_e32 v49, v58
.LBB100_284:
	s_or_b64 exec, exec, s[0:1]
	v_lshl_add_u32 v58, v61, 2, v57
	s_barrier
	ds_write_b32 v58, v38
	s_waitcnt lgkmcnt(0)
	s_barrier
	ds_read_b32 v60, v57 offset:68
	s_cmp_lt_i32 s22, 19
	v_mov_b32_e32 v58, 17
	s_cbranch_scc1 .LBB100_287
; %bb.285:
	v_add_u32_e32 v63, 0x48, v57
	v_mov_b32_e32 v58, 17
	s_mov_b32 s0, 18
.LBB100_286:                            ; =>This Inner Loop Header: Depth=1
	ds_read_b32 v64, v63
	v_mov_b32_e32 v65, s0
	s_add_i32 s0, s0, 1
	v_add_u32_e32 v63, 4, v63
	s_cmp_lg_u32 s22, s0
	s_waitcnt lgkmcnt(0)
	v_cmp_lt_f32_e64 vcc, |v60|, |v64|
	s_nop 1
	v_cndmask_b32_e32 v60, v60, v64, vcc
	v_cndmask_b32_e32 v58, v58, v65, vcc
	s_cbranch_scc1 .LBB100_286
.LBB100_287:
	s_waitcnt lgkmcnt(0)
	v_cmp_eq_f32_e32 vcc, 0, v60
	s_and_saveexec_b64 s[0:1], vcc
	s_xor_b64 s[0:1], exec, s[0:1]
; %bb.288:
	v_cmp_ne_u32_e32 vcc, 0, v62
	s_nop 1
	v_cndmask_b32_e32 v62, 18, v62, vcc
; %bb.289:
	s_andn2_saveexec_b64 s[0:1], s[0:1]
	s_cbranch_execz .LBB100_291
; %bb.290:
	v_div_scale_f32 v63, s[2:3], v60, v60, 1.0
	v_rcp_f32_e32 v64, v63
	v_div_scale_f32 v65, vcc, 1.0, v60, 1.0
	v_fma_f32 v66, -v63, v64, 1.0
	v_fmac_f32_e32 v64, v66, v64
	v_mul_f32_e32 v66, v65, v64
	v_fma_f32 v67, -v63, v66, v65
	v_fmac_f32_e32 v66, v67, v64
	v_fma_f32 v63, -v63, v66, v65
	v_div_fmas_f32 v63, v63, v64, v66
	v_div_fixup_f32 v60, v63, v60, 1.0
.LBB100_291:
	s_or_b64 exec, exec, s[0:1]
	v_cmp_ne_u32_e32 vcc, v61, v58
	s_and_saveexec_b64 s[0:1], vcc
	s_xor_b64 s[0:1], exec, s[0:1]
	s_cbranch_execz .LBB100_297
; %bb.292:
	v_cmp_eq_u32_e32 vcc, 17, v61
	s_and_saveexec_b64 s[2:3], vcc
	s_cbranch_execz .LBB100_296
; %bb.293:
	v_cmp_ne_u32_e32 vcc, 17, v58
	s_xor_b64 s[12:13], s[20:21], -1
	s_and_b64 s[14:15], s[12:13], vcc
	s_and_saveexec_b64 s[12:13], s[14:15]
	s_cbranch_execz .LBB100_295
; %bb.294:
	v_ashrrev_i32_e32 v59, 31, v58
	v_lshl_add_u64 v[64:65], v[58:59], 2, v[4:5]
	global_load_dword v59, v[64:65], off
	global_load_dword v61, v[4:5], off offset:68
	s_waitcnt vmcnt(1)
	global_store_dword v[4:5], v59, off offset:68
	s_waitcnt vmcnt(1)
	global_store_dword v[64:65], v61, off
.LBB100_295:
	s_or_b64 exec, exec, s[12:13]
	v_mov_b32_e32 v59, v58
	v_mov_b32_e32 v61, v58
.LBB100_296:
	s_or_b64 exec, exec, s[2:3]
.LBB100_297:
	s_andn2_saveexec_b64 s[0:1], s[0:1]
	s_cbranch_execz .LBB100_299
; %bb.298:
	v_pk_mov_b32 v[64:65], v[38:39], v[34:35] op_sel:[1,0]
	ds_write2_b32 v57, v64, v65 offset0:18 offset1:19
	v_pk_mov_b32 v[64:65], v[34:35], v[28:29] op_sel:[1,0]
	ds_write2_b32 v57, v64, v65 offset0:20 offset1:21
	;; [unrolled: 2-line block ×15, first 2 shown]
	v_pk_mov_b32 v[64:65], v[0:1], v[12:13] op_sel:[1,0]
	v_mov_b32_e32 v61, 17
	ds_write2_b32 v57, v64, v65 offset0:48 offset1:49
	ds_write_b32 v57, v13 offset:200
.LBB100_299:
	s_or_b64 exec, exec, s[0:1]
	v_cmp_lt_i32_e32 vcc, 17, v61
	s_waitcnt lgkmcnt(0)
	s_barrier
	s_and_saveexec_b64 s[0:1], vcc
	s_cbranch_execz .LBB100_301
; %bb.300:
	ds_read_b32 v58, v57 offset:72
	ds_read2_b32 v[64:65], v57 offset0:19 offset1:20
	ds_read2_b32 v[66:67], v57 offset0:21 offset1:22
	v_mul_f32_e32 v38, v60, v38
	ds_read2_b32 v[68:69], v57 offset0:23 offset1:24
	s_waitcnt lgkmcnt(3)
	v_fma_f32 v39, -v38, v58, v39
	s_waitcnt lgkmcnt(2)
	v_pk_fma_f32 v[34:35], v[38:39], v[64:65], v[34:35] op_sel_hi:[0,1,1] neg_lo:[1,0,0] neg_hi:[1,0,0]
	s_waitcnt lgkmcnt(1)
	v_pk_fma_f32 v[28:29], v[38:39], v[66:67], v[28:29] op_sel_hi:[0,1,1] neg_lo:[1,0,0] neg_hi:[1,0,0]
	ds_read2_b32 v[64:65], v57 offset0:25 offset1:26
	ds_read2_b32 v[66:67], v57 offset0:27 offset1:28
	;; [unrolled: 1-line block ×3, first 2 shown]
	s_waitcnt lgkmcnt(3)
	v_pk_fma_f32 v[22:23], v[38:39], v[68:69], v[22:23] op_sel_hi:[0,1,1] neg_lo:[1,0,0] neg_hi:[1,0,0]
	ds_read2_b32 v[68:69], v57 offset0:31 offset1:32
	s_waitcnt lgkmcnt(3)
	v_pk_fma_f32 v[36:37], v[38:39], v[64:65], v[36:37] op_sel_hi:[0,1,1] neg_lo:[1,0,0] neg_hi:[1,0,0]
	s_waitcnt lgkmcnt(2)
	v_pk_fma_f32 v[30:31], v[38:39], v[66:67], v[30:31] op_sel_hi:[0,1,1] neg_lo:[1,0,0] neg_hi:[1,0,0]
	;; [unrolled: 2-line block ×3, first 2 shown]
	ds_read2_b32 v[64:65], v57 offset0:33 offset1:34
	ds_read2_b32 v[66:67], v57 offset0:35 offset1:36
	;; [unrolled: 1-line block ×4, first 2 shown]
	s_waitcnt lgkmcnt(4)
	v_pk_fma_f32 v[16:17], v[38:39], v[68:69], v[16:17] op_sel_hi:[0,1,1] neg_lo:[1,0,0] neg_hi:[1,0,0]
	s_waitcnt lgkmcnt(3)
	v_pk_fma_f32 v[32:33], v[38:39], v[64:65], v[32:33] op_sel_hi:[0,1,1] neg_lo:[1,0,0] neg_hi:[1,0,0]
	;; [unrolled: 2-line block ×5, first 2 shown]
	ds_read2_b32 v[64:65], v57 offset0:41 offset1:42
	ds_read2_b32 v[66:67], v57 offset0:43 offset1:44
	;; [unrolled: 1-line block ×5, first 2 shown]
	s_waitcnt lgkmcnt(4)
	v_pk_fma_f32 v[20:21], v[38:39], v[64:65], v[20:21] op_sel_hi:[0,1,1] neg_lo:[1,0,0] neg_hi:[1,0,0]
	s_waitcnt lgkmcnt(3)
	v_pk_fma_f32 v[10:11], v[38:39], v[66:67], v[10:11] op_sel_hi:[0,1,1] neg_lo:[1,0,0] neg_hi:[1,0,0]
	;; [unrolled: 2-line block ×5, first 2 shown]
.LBB100_301:
	s_or_b64 exec, exec, s[0:1]
	v_lshl_add_u32 v58, v61, 2, v57
	s_barrier
	ds_write_b32 v58, v39
	s_waitcnt lgkmcnt(0)
	s_barrier
	ds_read_b32 v60, v57 offset:72
	s_cmp_lt_i32 s22, 20
	v_mov_b32_e32 v58, 18
	s_cbranch_scc1 .LBB100_304
; %bb.302:
	v_add_u32_e32 v63, 0x4c, v57
	v_mov_b32_e32 v58, 18
	s_mov_b32 s0, 19
.LBB100_303:                            ; =>This Inner Loop Header: Depth=1
	ds_read_b32 v64, v63
	v_mov_b32_e32 v65, s0
	s_add_i32 s0, s0, 1
	v_add_u32_e32 v63, 4, v63
	s_cmp_lg_u32 s22, s0
	s_waitcnt lgkmcnt(0)
	v_cmp_lt_f32_e64 vcc, |v60|, |v64|
	s_nop 1
	v_cndmask_b32_e32 v60, v60, v64, vcc
	v_cndmask_b32_e32 v58, v58, v65, vcc
	s_cbranch_scc1 .LBB100_303
.LBB100_304:
	s_waitcnt lgkmcnt(0)
	v_cmp_eq_f32_e32 vcc, 0, v60
	s_and_saveexec_b64 s[0:1], vcc
	s_xor_b64 s[0:1], exec, s[0:1]
; %bb.305:
	v_cmp_ne_u32_e32 vcc, 0, v62
	s_nop 1
	v_cndmask_b32_e32 v62, 19, v62, vcc
; %bb.306:
	s_andn2_saveexec_b64 s[0:1], s[0:1]
	s_cbranch_execz .LBB100_308
; %bb.307:
	v_div_scale_f32 v63, s[2:3], v60, v60, 1.0
	v_rcp_f32_e32 v64, v63
	v_div_scale_f32 v65, vcc, 1.0, v60, 1.0
	v_fma_f32 v66, -v63, v64, 1.0
	v_fmac_f32_e32 v64, v66, v64
	v_mul_f32_e32 v66, v65, v64
	v_fma_f32 v67, -v63, v66, v65
	v_fmac_f32_e32 v66, v67, v64
	v_fma_f32 v63, -v63, v66, v65
	v_div_fmas_f32 v63, v63, v64, v66
	v_div_fixup_f32 v60, v63, v60, 1.0
.LBB100_308:
	s_or_b64 exec, exec, s[0:1]
	v_cmp_ne_u32_e32 vcc, v61, v58
	s_and_saveexec_b64 s[0:1], vcc
	s_xor_b64 s[0:1], exec, s[0:1]
	s_cbranch_execz .LBB100_314
; %bb.309:
	v_cmp_eq_u32_e32 vcc, 18, v61
	s_and_saveexec_b64 s[2:3], vcc
	s_cbranch_execz .LBB100_313
; %bb.310:
	v_cmp_ne_u32_e32 vcc, 18, v58
	s_xor_b64 s[12:13], s[20:21], -1
	s_and_b64 s[14:15], s[12:13], vcc
	s_and_saveexec_b64 s[12:13], s[14:15]
	s_cbranch_execz .LBB100_312
; %bb.311:
	v_ashrrev_i32_e32 v59, 31, v58
	v_lshl_add_u64 v[64:65], v[58:59], 2, v[4:5]
	global_load_dword v59, v[64:65], off
	global_load_dword v61, v[4:5], off offset:72
	s_waitcnt vmcnt(1)
	global_store_dword v[4:5], v59, off offset:72
	s_waitcnt vmcnt(1)
	global_store_dword v[64:65], v61, off
.LBB100_312:
	s_or_b64 exec, exec, s[12:13]
	v_mov_b32_e32 v59, v58
	v_mov_b32_e32 v61, v58
.LBB100_313:
	s_or_b64 exec, exec, s[2:3]
.LBB100_314:
	s_andn2_saveexec_b64 s[0:1], s[0:1]
	s_cbranch_execz .LBB100_316
; %bb.315:
	v_mov_b32_e32 v61, 18
	ds_write2_b32 v57, v34, v35 offset0:19 offset1:20
	ds_write2_b32 v57, v28, v29 offset0:21 offset1:22
	;; [unrolled: 1-line block ×16, first 2 shown]
.LBB100_316:
	s_or_b64 exec, exec, s[0:1]
	v_cmp_lt_i32_e32 vcc, 18, v61
	s_waitcnt lgkmcnt(0)
	s_barrier
	s_and_saveexec_b64 s[0:1], vcc
	s_cbranch_execz .LBB100_318
; %bb.317:
	ds_read2_b32 v[64:65], v57 offset0:19 offset1:20
	ds_read2_b32 v[66:67], v57 offset0:21 offset1:22
	;; [unrolled: 1-line block ×3, first 2 shown]
	v_mul_f32_e32 v58, v60, v39
	ds_read2_b32 v[70:71], v57 offset0:25 offset1:26
	s_waitcnt lgkmcnt(3)
	v_pk_fma_f32 v[34:35], v[58:59], v[64:65], v[34:35] op_sel_hi:[0,1,1] neg_lo:[1,0,0] neg_hi:[1,0,0]
	s_waitcnt lgkmcnt(2)
	v_pk_fma_f32 v[28:29], v[58:59], v[66:67], v[28:29] op_sel_hi:[0,1,1] neg_lo:[1,0,0] neg_hi:[1,0,0]
	;; [unrolled: 2-line block ×3, first 2 shown]
	ds_read2_b32 v[64:65], v57 offset0:27 offset1:28
	ds_read2_b32 v[66:67], v57 offset0:29 offset1:30
	ds_read2_b32 v[68:69], v57 offset0:31 offset1:32
	s_waitcnt lgkmcnt(3)
	v_pk_fma_f32 v[36:37], v[58:59], v[70:71], v[36:37] op_sel_hi:[0,1,1] neg_lo:[1,0,0] neg_hi:[1,0,0]
	ds_read2_b32 v[70:71], v57 offset0:33 offset1:34
	s_waitcnt lgkmcnt(3)
	v_pk_fma_f32 v[30:31], v[58:59], v[64:65], v[30:31] op_sel_hi:[0,1,1] neg_lo:[1,0,0] neg_hi:[1,0,0]
	s_waitcnt lgkmcnt(2)
	v_pk_fma_f32 v[24:25], v[58:59], v[66:67], v[24:25] op_sel_hi:[0,1,1] neg_lo:[1,0,0] neg_hi:[1,0,0]
	;; [unrolled: 2-line block ×3, first 2 shown]
	ds_read2_b32 v[64:65], v57 offset0:35 offset1:36
	ds_read2_b32 v[66:67], v57 offset0:37 offset1:38
	;; [unrolled: 1-line block ×3, first 2 shown]
	s_waitcnt lgkmcnt(3)
	v_pk_fma_f32 v[32:33], v[58:59], v[70:71], v[32:33] op_sel_hi:[0,1,1] neg_lo:[1,0,0] neg_hi:[1,0,0]
	ds_read2_b32 v[70:71], v57 offset0:41 offset1:42
	s_waitcnt lgkmcnt(3)
	v_pk_fma_f32 v[26:27], v[58:59], v[64:65], v[26:27] op_sel_hi:[0,1,1] neg_lo:[1,0,0] neg_hi:[1,0,0]
	s_waitcnt lgkmcnt(2)
	v_pk_fma_f32 v[18:19], v[58:59], v[66:67], v[18:19] op_sel_hi:[0,1,1] neg_lo:[1,0,0] neg_hi:[1,0,0]
	;; [unrolled: 2-line block ×3, first 2 shown]
	ds_read2_b32 v[64:65], v57 offset0:43 offset1:44
	ds_read2_b32 v[66:67], v57 offset0:45 offset1:46
	;; [unrolled: 1-line block ×4, first 2 shown]
	s_waitcnt lgkmcnt(4)
	v_pk_fma_f32 v[20:21], v[58:59], v[70:71], v[20:21] op_sel_hi:[0,1,1] neg_lo:[1,0,0] neg_hi:[1,0,0]
	s_waitcnt lgkmcnt(3)
	v_pk_fma_f32 v[10:11], v[58:59], v[64:65], v[10:11] op_sel_hi:[0,1,1] neg_lo:[1,0,0] neg_hi:[1,0,0]
	s_waitcnt lgkmcnt(2)
	v_pk_fma_f32 v[14:15], v[58:59], v[66:67], v[14:15] op_sel_hi:[0,1,1] neg_lo:[1,0,0] neg_hi:[1,0,0]
	s_waitcnt lgkmcnt(1)
	v_pk_fma_f32 v[0:1], v[58:59], v[68:69], v[0:1] op_sel_hi:[0,1,1] neg_lo:[1,0,0] neg_hi:[1,0,0]
	s_waitcnt lgkmcnt(0)
	v_pk_fma_f32 v[12:13], v[58:59], v[72:73], v[12:13] op_sel_hi:[0,1,1] neg_lo:[1,0,0] neg_hi:[1,0,0]
	v_mov_b32_e32 v39, v58
.LBB100_318:
	s_or_b64 exec, exec, s[0:1]
	v_lshl_add_u32 v58, v61, 2, v57
	s_barrier
	ds_write_b32 v58, v34
	s_waitcnt lgkmcnt(0)
	s_barrier
	ds_read_b32 v60, v57 offset:76
	s_cmp_lt_i32 s22, 21
	v_mov_b32_e32 v58, 19
	s_cbranch_scc1 .LBB100_321
; %bb.319:
	v_add_u32_e32 v63, 0x50, v57
	v_mov_b32_e32 v58, 19
	s_mov_b32 s0, 20
.LBB100_320:                            ; =>This Inner Loop Header: Depth=1
	ds_read_b32 v64, v63
	v_mov_b32_e32 v65, s0
	s_add_i32 s0, s0, 1
	v_add_u32_e32 v63, 4, v63
	s_cmp_lg_u32 s22, s0
	s_waitcnt lgkmcnt(0)
	v_cmp_lt_f32_e64 vcc, |v60|, |v64|
	s_nop 1
	v_cndmask_b32_e32 v60, v60, v64, vcc
	v_cndmask_b32_e32 v58, v58, v65, vcc
	s_cbranch_scc1 .LBB100_320
.LBB100_321:
	s_waitcnt lgkmcnt(0)
	v_cmp_eq_f32_e32 vcc, 0, v60
	s_and_saveexec_b64 s[0:1], vcc
	s_xor_b64 s[0:1], exec, s[0:1]
; %bb.322:
	v_cmp_ne_u32_e32 vcc, 0, v62
	s_nop 1
	v_cndmask_b32_e32 v62, 20, v62, vcc
; %bb.323:
	s_andn2_saveexec_b64 s[0:1], s[0:1]
	s_cbranch_execz .LBB100_325
; %bb.324:
	v_div_scale_f32 v63, s[2:3], v60, v60, 1.0
	v_rcp_f32_e32 v64, v63
	v_div_scale_f32 v65, vcc, 1.0, v60, 1.0
	v_fma_f32 v66, -v63, v64, 1.0
	v_fmac_f32_e32 v64, v66, v64
	v_mul_f32_e32 v66, v65, v64
	v_fma_f32 v67, -v63, v66, v65
	v_fmac_f32_e32 v66, v67, v64
	v_fma_f32 v63, -v63, v66, v65
	v_div_fmas_f32 v63, v63, v64, v66
	v_div_fixup_f32 v60, v63, v60, 1.0
.LBB100_325:
	s_or_b64 exec, exec, s[0:1]
	v_cmp_ne_u32_e32 vcc, v61, v58
	s_and_saveexec_b64 s[0:1], vcc
	s_xor_b64 s[0:1], exec, s[0:1]
	s_cbranch_execz .LBB100_331
; %bb.326:
	v_cmp_eq_u32_e32 vcc, 19, v61
	s_and_saveexec_b64 s[2:3], vcc
	s_cbranch_execz .LBB100_330
; %bb.327:
	v_cmp_ne_u32_e32 vcc, 19, v58
	s_xor_b64 s[12:13], s[20:21], -1
	s_and_b64 s[14:15], s[12:13], vcc
	s_and_saveexec_b64 s[12:13], s[14:15]
	s_cbranch_execz .LBB100_329
; %bb.328:
	v_ashrrev_i32_e32 v59, 31, v58
	v_lshl_add_u64 v[64:65], v[58:59], 2, v[4:5]
	global_load_dword v59, v[64:65], off
	global_load_dword v61, v[4:5], off offset:76
	s_waitcnt vmcnt(1)
	global_store_dword v[4:5], v59, off offset:76
	s_waitcnt vmcnt(1)
	global_store_dword v[64:65], v61, off
.LBB100_329:
	s_or_b64 exec, exec, s[12:13]
	v_mov_b32_e32 v59, v58
	v_mov_b32_e32 v61, v58
.LBB100_330:
	s_or_b64 exec, exec, s[2:3]
.LBB100_331:
	s_andn2_saveexec_b64 s[0:1], s[0:1]
	s_cbranch_execz .LBB100_333
; %bb.332:
	v_pk_mov_b32 v[64:65], v[34:35], v[28:29] op_sel:[1,0]
	ds_write2_b32 v57, v64, v65 offset0:20 offset1:21
	v_pk_mov_b32 v[64:65], v[28:29], v[22:23] op_sel:[1,0]
	ds_write2_b32 v57, v64, v65 offset0:22 offset1:23
	;; [unrolled: 2-line block ×14, first 2 shown]
	v_pk_mov_b32 v[64:65], v[0:1], v[12:13] op_sel:[1,0]
	v_mov_b32_e32 v61, 19
	ds_write2_b32 v57, v64, v65 offset0:48 offset1:49
	ds_write_b32 v57, v13 offset:200
.LBB100_333:
	s_or_b64 exec, exec, s[0:1]
	v_cmp_lt_i32_e32 vcc, 19, v61
	s_waitcnt lgkmcnt(0)
	s_barrier
	s_and_saveexec_b64 s[0:1], vcc
	s_cbranch_execz .LBB100_335
; %bb.334:
	ds_read_b32 v58, v57 offset:80
	ds_read2_b32 v[64:65], v57 offset0:21 offset1:22
	ds_read2_b32 v[66:67], v57 offset0:23 offset1:24
	v_mul_f32_e32 v34, v60, v34
	ds_read2_b32 v[68:69], v57 offset0:25 offset1:26
	s_waitcnt lgkmcnt(3)
	v_fma_f32 v35, -v34, v58, v35
	s_waitcnt lgkmcnt(2)
	v_pk_fma_f32 v[28:29], v[34:35], v[64:65], v[28:29] op_sel_hi:[0,1,1] neg_lo:[1,0,0] neg_hi:[1,0,0]
	s_waitcnt lgkmcnt(1)
	v_pk_fma_f32 v[22:23], v[34:35], v[66:67], v[22:23] op_sel_hi:[0,1,1] neg_lo:[1,0,0] neg_hi:[1,0,0]
	ds_read2_b32 v[64:65], v57 offset0:27 offset1:28
	ds_read2_b32 v[66:67], v57 offset0:29 offset1:30
	;; [unrolled: 1-line block ×3, first 2 shown]
	s_waitcnt lgkmcnt(3)
	v_pk_fma_f32 v[36:37], v[34:35], v[68:69], v[36:37] op_sel_hi:[0,1,1] neg_lo:[1,0,0] neg_hi:[1,0,0]
	ds_read2_b32 v[68:69], v57 offset0:33 offset1:34
	s_waitcnt lgkmcnt(3)
	v_pk_fma_f32 v[30:31], v[34:35], v[64:65], v[30:31] op_sel_hi:[0,1,1] neg_lo:[1,0,0] neg_hi:[1,0,0]
	s_waitcnt lgkmcnt(2)
	v_pk_fma_f32 v[24:25], v[34:35], v[66:67], v[24:25] op_sel_hi:[0,1,1] neg_lo:[1,0,0] neg_hi:[1,0,0]
	;; [unrolled: 2-line block ×3, first 2 shown]
	ds_read2_b32 v[64:65], v57 offset0:35 offset1:36
	ds_read2_b32 v[66:67], v57 offset0:37 offset1:38
	;; [unrolled: 1-line block ×3, first 2 shown]
	s_waitcnt lgkmcnt(3)
	v_pk_fma_f32 v[32:33], v[34:35], v[68:69], v[32:33] op_sel_hi:[0,1,1] neg_lo:[1,0,0] neg_hi:[1,0,0]
	ds_read2_b32 v[68:69], v57 offset0:41 offset1:42
	s_waitcnt lgkmcnt(3)
	v_pk_fma_f32 v[26:27], v[34:35], v[64:65], v[26:27] op_sel_hi:[0,1,1] neg_lo:[1,0,0] neg_hi:[1,0,0]
	s_waitcnt lgkmcnt(2)
	v_pk_fma_f32 v[18:19], v[34:35], v[66:67], v[18:19] op_sel_hi:[0,1,1] neg_lo:[1,0,0] neg_hi:[1,0,0]
	;; [unrolled: 2-line block ×3, first 2 shown]
	ds_read2_b32 v[64:65], v57 offset0:43 offset1:44
	ds_read2_b32 v[66:67], v57 offset0:45 offset1:46
	;; [unrolled: 1-line block ×4, first 2 shown]
	s_waitcnt lgkmcnt(4)
	v_pk_fma_f32 v[20:21], v[34:35], v[68:69], v[20:21] op_sel_hi:[0,1,1] neg_lo:[1,0,0] neg_hi:[1,0,0]
	s_waitcnt lgkmcnt(3)
	v_pk_fma_f32 v[10:11], v[34:35], v[64:65], v[10:11] op_sel_hi:[0,1,1] neg_lo:[1,0,0] neg_hi:[1,0,0]
	;; [unrolled: 2-line block ×5, first 2 shown]
.LBB100_335:
	s_or_b64 exec, exec, s[0:1]
	v_lshl_add_u32 v58, v61, 2, v57
	s_barrier
	ds_write_b32 v58, v35
	s_waitcnt lgkmcnt(0)
	s_barrier
	ds_read_b32 v60, v57 offset:80
	s_cmp_lt_i32 s22, 22
	v_mov_b32_e32 v58, 20
	s_cbranch_scc1 .LBB100_338
; %bb.336:
	v_add_u32_e32 v63, 0x54, v57
	v_mov_b32_e32 v58, 20
	s_mov_b32 s0, 21
.LBB100_337:                            ; =>This Inner Loop Header: Depth=1
	ds_read_b32 v64, v63
	v_mov_b32_e32 v65, s0
	s_add_i32 s0, s0, 1
	v_add_u32_e32 v63, 4, v63
	s_cmp_lg_u32 s22, s0
	s_waitcnt lgkmcnt(0)
	v_cmp_lt_f32_e64 vcc, |v60|, |v64|
	s_nop 1
	v_cndmask_b32_e32 v60, v60, v64, vcc
	v_cndmask_b32_e32 v58, v58, v65, vcc
	s_cbranch_scc1 .LBB100_337
.LBB100_338:
	s_waitcnt lgkmcnt(0)
	v_cmp_eq_f32_e32 vcc, 0, v60
	s_and_saveexec_b64 s[0:1], vcc
	s_xor_b64 s[0:1], exec, s[0:1]
; %bb.339:
	v_cmp_ne_u32_e32 vcc, 0, v62
	s_nop 1
	v_cndmask_b32_e32 v62, 21, v62, vcc
; %bb.340:
	s_andn2_saveexec_b64 s[0:1], s[0:1]
	s_cbranch_execz .LBB100_342
; %bb.341:
	v_div_scale_f32 v63, s[2:3], v60, v60, 1.0
	v_rcp_f32_e32 v64, v63
	v_div_scale_f32 v65, vcc, 1.0, v60, 1.0
	v_fma_f32 v66, -v63, v64, 1.0
	v_fmac_f32_e32 v64, v66, v64
	v_mul_f32_e32 v66, v65, v64
	v_fma_f32 v67, -v63, v66, v65
	v_fmac_f32_e32 v66, v67, v64
	v_fma_f32 v63, -v63, v66, v65
	v_div_fmas_f32 v63, v63, v64, v66
	v_div_fixup_f32 v60, v63, v60, 1.0
.LBB100_342:
	s_or_b64 exec, exec, s[0:1]
	v_cmp_ne_u32_e32 vcc, v61, v58
	s_and_saveexec_b64 s[0:1], vcc
	s_xor_b64 s[0:1], exec, s[0:1]
	s_cbranch_execz .LBB100_348
; %bb.343:
	v_cmp_eq_u32_e32 vcc, 20, v61
	s_and_saveexec_b64 s[2:3], vcc
	s_cbranch_execz .LBB100_347
; %bb.344:
	v_cmp_ne_u32_e32 vcc, 20, v58
	s_xor_b64 s[12:13], s[20:21], -1
	s_and_b64 s[14:15], s[12:13], vcc
	s_and_saveexec_b64 s[12:13], s[14:15]
	s_cbranch_execz .LBB100_346
; %bb.345:
	v_ashrrev_i32_e32 v59, 31, v58
	v_lshl_add_u64 v[64:65], v[58:59], 2, v[4:5]
	global_load_dword v59, v[64:65], off
	global_load_dword v61, v[4:5], off offset:80
	s_waitcnt vmcnt(1)
	global_store_dword v[4:5], v59, off offset:80
	s_waitcnt vmcnt(1)
	global_store_dword v[64:65], v61, off
.LBB100_346:
	s_or_b64 exec, exec, s[12:13]
	v_mov_b32_e32 v59, v58
	v_mov_b32_e32 v61, v58
.LBB100_347:
	s_or_b64 exec, exec, s[2:3]
.LBB100_348:
	s_andn2_saveexec_b64 s[0:1], s[0:1]
	s_cbranch_execz .LBB100_350
; %bb.349:
	v_mov_b32_e32 v61, 20
	ds_write2_b32 v57, v28, v29 offset0:21 offset1:22
	ds_write2_b32 v57, v22, v23 offset0:23 offset1:24
	;; [unrolled: 1-line block ×15, first 2 shown]
.LBB100_350:
	s_or_b64 exec, exec, s[0:1]
	v_cmp_lt_i32_e32 vcc, 20, v61
	s_waitcnt lgkmcnt(0)
	s_barrier
	s_and_saveexec_b64 s[0:1], vcc
	s_cbranch_execz .LBB100_352
; %bb.351:
	ds_read2_b32 v[64:65], v57 offset0:21 offset1:22
	ds_read2_b32 v[66:67], v57 offset0:23 offset1:24
	;; [unrolled: 1-line block ×3, first 2 shown]
	v_mul_f32_e32 v58, v60, v35
	ds_read2_b32 v[70:71], v57 offset0:27 offset1:28
	s_waitcnt lgkmcnt(3)
	v_pk_fma_f32 v[28:29], v[58:59], v[64:65], v[28:29] op_sel_hi:[0,1,1] neg_lo:[1,0,0] neg_hi:[1,0,0]
	s_waitcnt lgkmcnt(2)
	v_pk_fma_f32 v[22:23], v[58:59], v[66:67], v[22:23] op_sel_hi:[0,1,1] neg_lo:[1,0,0] neg_hi:[1,0,0]
	;; [unrolled: 2-line block ×3, first 2 shown]
	ds_read2_b32 v[64:65], v57 offset0:29 offset1:30
	ds_read2_b32 v[66:67], v57 offset0:31 offset1:32
	;; [unrolled: 1-line block ×3, first 2 shown]
	s_waitcnt lgkmcnt(3)
	v_pk_fma_f32 v[30:31], v[58:59], v[70:71], v[30:31] op_sel_hi:[0,1,1] neg_lo:[1,0,0] neg_hi:[1,0,0]
	ds_read2_b32 v[70:71], v57 offset0:35 offset1:36
	s_waitcnt lgkmcnt(3)
	v_pk_fma_f32 v[24:25], v[58:59], v[64:65], v[24:25] op_sel_hi:[0,1,1] neg_lo:[1,0,0] neg_hi:[1,0,0]
	s_waitcnt lgkmcnt(2)
	v_pk_fma_f32 v[16:17], v[58:59], v[66:67], v[16:17] op_sel_hi:[0,1,1] neg_lo:[1,0,0] neg_hi:[1,0,0]
	ds_read2_b32 v[64:65], v57 offset0:37 offset1:38
	ds_read2_b32 v[66:67], v57 offset0:39 offset1:40
	s_waitcnt lgkmcnt(3)
	v_pk_fma_f32 v[32:33], v[58:59], v[68:69], v[32:33] op_sel_hi:[0,1,1] neg_lo:[1,0,0] neg_hi:[1,0,0]
	s_waitcnt lgkmcnt(2)
	v_pk_fma_f32 v[26:27], v[58:59], v[70:71], v[26:27] op_sel_hi:[0,1,1] neg_lo:[1,0,0] neg_hi:[1,0,0]
	ds_read2_b32 v[68:69], v57 offset0:41 offset1:42
	;; [unrolled: 6-line block ×3, first 2 shown]
	ds_read2_b32 v[66:67], v57 offset0:47 offset1:48
	ds_read2_b32 v[72:73], v57 offset0:49 offset1:50
	s_waitcnt lgkmcnt(4)
	v_pk_fma_f32 v[20:21], v[58:59], v[68:69], v[20:21] op_sel_hi:[0,1,1] neg_lo:[1,0,0] neg_hi:[1,0,0]
	s_waitcnt lgkmcnt(3)
	v_pk_fma_f32 v[10:11], v[58:59], v[70:71], v[10:11] op_sel_hi:[0,1,1] neg_lo:[1,0,0] neg_hi:[1,0,0]
	s_waitcnt lgkmcnt(2)
	v_pk_fma_f32 v[14:15], v[58:59], v[64:65], v[14:15] op_sel_hi:[0,1,1] neg_lo:[1,0,0] neg_hi:[1,0,0]
	s_waitcnt lgkmcnt(1)
	v_pk_fma_f32 v[0:1], v[58:59], v[66:67], v[0:1] op_sel_hi:[0,1,1] neg_lo:[1,0,0] neg_hi:[1,0,0]
	s_waitcnt lgkmcnt(0)
	v_pk_fma_f32 v[12:13], v[58:59], v[72:73], v[12:13] op_sel_hi:[0,1,1] neg_lo:[1,0,0] neg_hi:[1,0,0]
	v_mov_b32_e32 v35, v58
.LBB100_352:
	s_or_b64 exec, exec, s[0:1]
	v_lshl_add_u32 v58, v61, 2, v57
	s_barrier
	ds_write_b32 v58, v28
	s_waitcnt lgkmcnt(0)
	s_barrier
	ds_read_b32 v60, v57 offset:84
	s_cmp_lt_i32 s22, 23
	v_mov_b32_e32 v58, 21
	s_cbranch_scc1 .LBB100_355
; %bb.353:
	v_add_u32_e32 v63, 0x58, v57
	v_mov_b32_e32 v58, 21
	s_mov_b32 s0, 22
.LBB100_354:                            ; =>This Inner Loop Header: Depth=1
	ds_read_b32 v64, v63
	v_mov_b32_e32 v65, s0
	s_add_i32 s0, s0, 1
	v_add_u32_e32 v63, 4, v63
	s_cmp_lg_u32 s22, s0
	s_waitcnt lgkmcnt(0)
	v_cmp_lt_f32_e64 vcc, |v60|, |v64|
	s_nop 1
	v_cndmask_b32_e32 v60, v60, v64, vcc
	v_cndmask_b32_e32 v58, v58, v65, vcc
	s_cbranch_scc1 .LBB100_354
.LBB100_355:
	s_waitcnt lgkmcnt(0)
	v_cmp_eq_f32_e32 vcc, 0, v60
	s_and_saveexec_b64 s[0:1], vcc
	s_xor_b64 s[0:1], exec, s[0:1]
; %bb.356:
	v_cmp_ne_u32_e32 vcc, 0, v62
	s_nop 1
	v_cndmask_b32_e32 v62, 22, v62, vcc
; %bb.357:
	s_andn2_saveexec_b64 s[0:1], s[0:1]
	s_cbranch_execz .LBB100_359
; %bb.358:
	v_div_scale_f32 v63, s[2:3], v60, v60, 1.0
	v_rcp_f32_e32 v64, v63
	v_div_scale_f32 v65, vcc, 1.0, v60, 1.0
	v_fma_f32 v66, -v63, v64, 1.0
	v_fmac_f32_e32 v64, v66, v64
	v_mul_f32_e32 v66, v65, v64
	v_fma_f32 v67, -v63, v66, v65
	v_fmac_f32_e32 v66, v67, v64
	v_fma_f32 v63, -v63, v66, v65
	v_div_fmas_f32 v63, v63, v64, v66
	v_div_fixup_f32 v60, v63, v60, 1.0
.LBB100_359:
	s_or_b64 exec, exec, s[0:1]
	v_cmp_ne_u32_e32 vcc, v61, v58
	s_and_saveexec_b64 s[0:1], vcc
	s_xor_b64 s[0:1], exec, s[0:1]
	s_cbranch_execz .LBB100_365
; %bb.360:
	v_cmp_eq_u32_e32 vcc, 21, v61
	s_and_saveexec_b64 s[2:3], vcc
	s_cbranch_execz .LBB100_364
; %bb.361:
	v_cmp_ne_u32_e32 vcc, 21, v58
	s_xor_b64 s[12:13], s[20:21], -1
	s_and_b64 s[14:15], s[12:13], vcc
	s_and_saveexec_b64 s[12:13], s[14:15]
	s_cbranch_execz .LBB100_363
; %bb.362:
	v_ashrrev_i32_e32 v59, 31, v58
	v_lshl_add_u64 v[64:65], v[58:59], 2, v[4:5]
	global_load_dword v59, v[64:65], off
	global_load_dword v61, v[4:5], off offset:84
	s_waitcnt vmcnt(1)
	global_store_dword v[4:5], v59, off offset:84
	s_waitcnt vmcnt(1)
	global_store_dword v[64:65], v61, off
.LBB100_363:
	s_or_b64 exec, exec, s[12:13]
	v_mov_b32_e32 v59, v58
	v_mov_b32_e32 v61, v58
.LBB100_364:
	s_or_b64 exec, exec, s[2:3]
.LBB100_365:
	s_andn2_saveexec_b64 s[0:1], s[0:1]
	s_cbranch_execz .LBB100_367
; %bb.366:
	v_pk_mov_b32 v[64:65], v[28:29], v[22:23] op_sel:[1,0]
	ds_write2_b32 v57, v64, v65 offset0:22 offset1:23
	v_pk_mov_b32 v[64:65], v[22:23], v[36:37] op_sel:[1,0]
	ds_write2_b32 v57, v64, v65 offset0:24 offset1:25
	;; [unrolled: 2-line block ×13, first 2 shown]
	v_pk_mov_b32 v[64:65], v[0:1], v[12:13] op_sel:[1,0]
	v_mov_b32_e32 v61, 21
	ds_write2_b32 v57, v64, v65 offset0:48 offset1:49
	ds_write_b32 v57, v13 offset:200
.LBB100_367:
	s_or_b64 exec, exec, s[0:1]
	v_cmp_lt_i32_e32 vcc, 21, v61
	s_waitcnt lgkmcnt(0)
	s_barrier
	s_and_saveexec_b64 s[0:1], vcc
	s_cbranch_execz .LBB100_369
; %bb.368:
	ds_read_b32 v58, v57 offset:88
	ds_read2_b32 v[64:65], v57 offset0:23 offset1:24
	ds_read2_b32 v[66:67], v57 offset0:25 offset1:26
	v_mul_f32_e32 v28, v60, v28
	ds_read2_b32 v[68:69], v57 offset0:27 offset1:28
	s_waitcnt lgkmcnt(3)
	v_fma_f32 v29, -v28, v58, v29
	s_waitcnt lgkmcnt(2)
	v_pk_fma_f32 v[22:23], v[28:29], v[64:65], v[22:23] op_sel_hi:[0,1,1] neg_lo:[1,0,0] neg_hi:[1,0,0]
	s_waitcnt lgkmcnt(1)
	v_pk_fma_f32 v[36:37], v[28:29], v[66:67], v[36:37] op_sel_hi:[0,1,1] neg_lo:[1,0,0] neg_hi:[1,0,0]
	ds_read2_b32 v[64:65], v57 offset0:29 offset1:30
	ds_read2_b32 v[66:67], v57 offset0:31 offset1:32
	;; [unrolled: 1-line block ×3, first 2 shown]
	s_waitcnt lgkmcnt(3)
	v_pk_fma_f32 v[30:31], v[28:29], v[68:69], v[30:31] op_sel_hi:[0,1,1] neg_lo:[1,0,0] neg_hi:[1,0,0]
	ds_read2_b32 v[68:69], v57 offset0:35 offset1:36
	s_waitcnt lgkmcnt(3)
	v_pk_fma_f32 v[24:25], v[28:29], v[64:65], v[24:25] op_sel_hi:[0,1,1] neg_lo:[1,0,0] neg_hi:[1,0,0]
	s_waitcnt lgkmcnt(2)
	v_pk_fma_f32 v[16:17], v[28:29], v[66:67], v[16:17] op_sel_hi:[0,1,1] neg_lo:[1,0,0] neg_hi:[1,0,0]
	ds_read2_b32 v[64:65], v57 offset0:37 offset1:38
	ds_read2_b32 v[66:67], v57 offset0:39 offset1:40
	s_waitcnt lgkmcnt(3)
	v_pk_fma_f32 v[32:33], v[28:29], v[70:71], v[32:33] op_sel_hi:[0,1,1] neg_lo:[1,0,0] neg_hi:[1,0,0]
	s_waitcnt lgkmcnt(2)
	v_pk_fma_f32 v[26:27], v[28:29], v[68:69], v[26:27] op_sel_hi:[0,1,1] neg_lo:[1,0,0] neg_hi:[1,0,0]
	ds_read2_b32 v[68:69], v57 offset0:41 offset1:42
	;; [unrolled: 6-line block ×3, first 2 shown]
	ds_read2_b32 v[66:67], v57 offset0:47 offset1:48
	ds_read2_b32 v[72:73], v57 offset0:49 offset1:50
	s_waitcnt lgkmcnt(4)
	v_pk_fma_f32 v[20:21], v[28:29], v[68:69], v[20:21] op_sel_hi:[0,1,1] neg_lo:[1,0,0] neg_hi:[1,0,0]
	s_waitcnt lgkmcnt(3)
	v_pk_fma_f32 v[10:11], v[28:29], v[70:71], v[10:11] op_sel_hi:[0,1,1] neg_lo:[1,0,0] neg_hi:[1,0,0]
	;; [unrolled: 2-line block ×5, first 2 shown]
.LBB100_369:
	s_or_b64 exec, exec, s[0:1]
	v_lshl_add_u32 v58, v61, 2, v57
	s_barrier
	ds_write_b32 v58, v29
	s_waitcnt lgkmcnt(0)
	s_barrier
	ds_read_b32 v60, v57 offset:88
	s_cmp_lt_i32 s22, 24
	v_mov_b32_e32 v58, 22
	s_cbranch_scc1 .LBB100_372
; %bb.370:
	v_add_u32_e32 v63, 0x5c, v57
	v_mov_b32_e32 v58, 22
	s_mov_b32 s0, 23
.LBB100_371:                            ; =>This Inner Loop Header: Depth=1
	ds_read_b32 v64, v63
	v_mov_b32_e32 v65, s0
	s_add_i32 s0, s0, 1
	v_add_u32_e32 v63, 4, v63
	s_cmp_lg_u32 s22, s0
	s_waitcnt lgkmcnt(0)
	v_cmp_lt_f32_e64 vcc, |v60|, |v64|
	s_nop 1
	v_cndmask_b32_e32 v60, v60, v64, vcc
	v_cndmask_b32_e32 v58, v58, v65, vcc
	s_cbranch_scc1 .LBB100_371
.LBB100_372:
	s_waitcnt lgkmcnt(0)
	v_cmp_eq_f32_e32 vcc, 0, v60
	s_and_saveexec_b64 s[0:1], vcc
	s_xor_b64 s[0:1], exec, s[0:1]
; %bb.373:
	v_cmp_ne_u32_e32 vcc, 0, v62
	s_nop 1
	v_cndmask_b32_e32 v62, 23, v62, vcc
; %bb.374:
	s_andn2_saveexec_b64 s[0:1], s[0:1]
	s_cbranch_execz .LBB100_376
; %bb.375:
	v_div_scale_f32 v63, s[2:3], v60, v60, 1.0
	v_rcp_f32_e32 v64, v63
	v_div_scale_f32 v65, vcc, 1.0, v60, 1.0
	v_fma_f32 v66, -v63, v64, 1.0
	v_fmac_f32_e32 v64, v66, v64
	v_mul_f32_e32 v66, v65, v64
	v_fma_f32 v67, -v63, v66, v65
	v_fmac_f32_e32 v66, v67, v64
	v_fma_f32 v63, -v63, v66, v65
	v_div_fmas_f32 v63, v63, v64, v66
	v_div_fixup_f32 v60, v63, v60, 1.0
.LBB100_376:
	s_or_b64 exec, exec, s[0:1]
	v_cmp_ne_u32_e32 vcc, v61, v58
	s_and_saveexec_b64 s[0:1], vcc
	s_xor_b64 s[0:1], exec, s[0:1]
	s_cbranch_execz .LBB100_382
; %bb.377:
	v_cmp_eq_u32_e32 vcc, 22, v61
	s_and_saveexec_b64 s[2:3], vcc
	s_cbranch_execz .LBB100_381
; %bb.378:
	v_cmp_ne_u32_e32 vcc, 22, v58
	s_xor_b64 s[12:13], s[20:21], -1
	s_and_b64 s[14:15], s[12:13], vcc
	s_and_saveexec_b64 s[12:13], s[14:15]
	s_cbranch_execz .LBB100_380
; %bb.379:
	v_ashrrev_i32_e32 v59, 31, v58
	v_lshl_add_u64 v[64:65], v[58:59], 2, v[4:5]
	global_load_dword v59, v[64:65], off
	global_load_dword v61, v[4:5], off offset:88
	s_waitcnt vmcnt(1)
	global_store_dword v[4:5], v59, off offset:88
	s_waitcnt vmcnt(1)
	global_store_dword v[64:65], v61, off
.LBB100_380:
	s_or_b64 exec, exec, s[12:13]
	v_mov_b32_e32 v59, v58
	v_mov_b32_e32 v61, v58
.LBB100_381:
	s_or_b64 exec, exec, s[2:3]
.LBB100_382:
	s_andn2_saveexec_b64 s[0:1], s[0:1]
	s_cbranch_execz .LBB100_384
; %bb.383:
	v_mov_b32_e32 v61, 22
	ds_write2_b32 v57, v22, v23 offset0:23 offset1:24
	ds_write2_b32 v57, v36, v37 offset0:25 offset1:26
	;; [unrolled: 1-line block ×14, first 2 shown]
.LBB100_384:
	s_or_b64 exec, exec, s[0:1]
	v_cmp_lt_i32_e32 vcc, 22, v61
	s_waitcnt lgkmcnt(0)
	s_barrier
	s_and_saveexec_b64 s[0:1], vcc
	s_cbranch_execz .LBB100_386
; %bb.385:
	ds_read2_b32 v[64:65], v57 offset0:23 offset1:24
	ds_read2_b32 v[66:67], v57 offset0:25 offset1:26
	;; [unrolled: 1-line block ×4, first 2 shown]
	v_mul_f32_e32 v58, v60, v29
	s_waitcnt lgkmcnt(3)
	v_pk_fma_f32 v[22:23], v[58:59], v[64:65], v[22:23] op_sel_hi:[0,1,1] neg_lo:[1,0,0] neg_hi:[1,0,0]
	s_waitcnt lgkmcnt(2)
	v_pk_fma_f32 v[36:37], v[58:59], v[66:67], v[36:37] op_sel_hi:[0,1,1] neg_lo:[1,0,0] neg_hi:[1,0,0]
	;; [unrolled: 2-line block ×3, first 2 shown]
	ds_read2_b32 v[64:65], v57 offset0:31 offset1:32
	ds_read2_b32 v[66:67], v57 offset0:33 offset1:34
	;; [unrolled: 1-line block ×3, first 2 shown]
	s_waitcnt lgkmcnt(3)
	v_pk_fma_f32 v[24:25], v[58:59], v[70:71], v[24:25] op_sel_hi:[0,1,1] neg_lo:[1,0,0] neg_hi:[1,0,0]
	ds_read2_b32 v[70:71], v57 offset0:37 offset1:38
	s_waitcnt lgkmcnt(3)
	v_pk_fma_f32 v[16:17], v[58:59], v[64:65], v[16:17] op_sel_hi:[0,1,1] neg_lo:[1,0,0] neg_hi:[1,0,0]
	ds_read2_b32 v[64:65], v57 offset0:39 offset1:40
	s_waitcnt lgkmcnt(3)
	v_pk_fma_f32 v[32:33], v[58:59], v[66:67], v[32:33] op_sel_hi:[0,1,1] neg_lo:[1,0,0] neg_hi:[1,0,0]
	s_waitcnt lgkmcnt(2)
	v_pk_fma_f32 v[26:27], v[58:59], v[68:69], v[26:27] op_sel_hi:[0,1,1] neg_lo:[1,0,0] neg_hi:[1,0,0]
	;; [unrolled: 2-line block ×3, first 2 shown]
	ds_read2_b32 v[66:67], v57 offset0:41 offset1:42
	ds_read2_b32 v[68:69], v57 offset0:43 offset1:44
	;; [unrolled: 1-line block ×3, first 2 shown]
	s_waitcnt lgkmcnt(3)
	v_pk_fma_f32 v[8:9], v[58:59], v[64:65], v[8:9] op_sel_hi:[0,1,1] neg_lo:[1,0,0] neg_hi:[1,0,0]
	ds_read2_b32 v[64:65], v57 offset0:47 offset1:48
	ds_read2_b32 v[72:73], v57 offset0:49 offset1:50
	s_waitcnt lgkmcnt(4)
	v_pk_fma_f32 v[20:21], v[58:59], v[66:67], v[20:21] op_sel_hi:[0,1,1] neg_lo:[1,0,0] neg_hi:[1,0,0]
	s_waitcnt lgkmcnt(3)
	v_pk_fma_f32 v[10:11], v[58:59], v[68:69], v[10:11] op_sel_hi:[0,1,1] neg_lo:[1,0,0] neg_hi:[1,0,0]
	;; [unrolled: 2-line block ×5, first 2 shown]
	v_mov_b32_e32 v29, v58
.LBB100_386:
	s_or_b64 exec, exec, s[0:1]
	v_lshl_add_u32 v58, v61, 2, v57
	s_barrier
	ds_write_b32 v58, v22
	s_waitcnt lgkmcnt(0)
	s_barrier
	ds_read_b32 v60, v57 offset:92
	s_cmp_lt_i32 s22, 25
	v_mov_b32_e32 v58, 23
	s_cbranch_scc1 .LBB100_389
; %bb.387:
	v_add_u32_e32 v63, 0x60, v57
	v_mov_b32_e32 v58, 23
	s_mov_b32 s0, 24
.LBB100_388:                            ; =>This Inner Loop Header: Depth=1
	ds_read_b32 v64, v63
	v_mov_b32_e32 v65, s0
	s_add_i32 s0, s0, 1
	v_add_u32_e32 v63, 4, v63
	s_cmp_lg_u32 s22, s0
	s_waitcnt lgkmcnt(0)
	v_cmp_lt_f32_e64 vcc, |v60|, |v64|
	s_nop 1
	v_cndmask_b32_e32 v60, v60, v64, vcc
	v_cndmask_b32_e32 v58, v58, v65, vcc
	s_cbranch_scc1 .LBB100_388
.LBB100_389:
	s_waitcnt lgkmcnt(0)
	v_cmp_eq_f32_e32 vcc, 0, v60
	s_and_saveexec_b64 s[0:1], vcc
	s_xor_b64 s[0:1], exec, s[0:1]
; %bb.390:
	v_cmp_ne_u32_e32 vcc, 0, v62
	s_nop 1
	v_cndmask_b32_e32 v62, 24, v62, vcc
; %bb.391:
	s_andn2_saveexec_b64 s[0:1], s[0:1]
	s_cbranch_execz .LBB100_393
; %bb.392:
	v_div_scale_f32 v63, s[2:3], v60, v60, 1.0
	v_rcp_f32_e32 v64, v63
	v_div_scale_f32 v65, vcc, 1.0, v60, 1.0
	v_fma_f32 v66, -v63, v64, 1.0
	v_fmac_f32_e32 v64, v66, v64
	v_mul_f32_e32 v66, v65, v64
	v_fma_f32 v67, -v63, v66, v65
	v_fmac_f32_e32 v66, v67, v64
	v_fma_f32 v63, -v63, v66, v65
	v_div_fmas_f32 v63, v63, v64, v66
	v_div_fixup_f32 v60, v63, v60, 1.0
.LBB100_393:
	s_or_b64 exec, exec, s[0:1]
	v_cmp_ne_u32_e32 vcc, v61, v58
	s_and_saveexec_b64 s[0:1], vcc
	s_xor_b64 s[0:1], exec, s[0:1]
	s_cbranch_execz .LBB100_399
; %bb.394:
	v_cmp_eq_u32_e32 vcc, 23, v61
	s_and_saveexec_b64 s[2:3], vcc
	s_cbranch_execz .LBB100_398
; %bb.395:
	v_cmp_ne_u32_e32 vcc, 23, v58
	s_xor_b64 s[12:13], s[20:21], -1
	s_and_b64 s[14:15], s[12:13], vcc
	s_and_saveexec_b64 s[12:13], s[14:15]
	s_cbranch_execz .LBB100_397
; %bb.396:
	v_ashrrev_i32_e32 v59, 31, v58
	v_lshl_add_u64 v[64:65], v[58:59], 2, v[4:5]
	global_load_dword v59, v[64:65], off
	global_load_dword v61, v[4:5], off offset:92
	s_waitcnt vmcnt(1)
	global_store_dword v[4:5], v59, off offset:92
	s_waitcnt vmcnt(1)
	global_store_dword v[64:65], v61, off
.LBB100_397:
	s_or_b64 exec, exec, s[12:13]
	v_mov_b32_e32 v59, v58
	v_mov_b32_e32 v61, v58
.LBB100_398:
	s_or_b64 exec, exec, s[2:3]
.LBB100_399:
	s_andn2_saveexec_b64 s[0:1], s[0:1]
	s_cbranch_execz .LBB100_401
; %bb.400:
	v_pk_mov_b32 v[64:65], v[22:23], v[36:37] op_sel:[1,0]
	ds_write2_b32 v57, v64, v65 offset0:24 offset1:25
	v_pk_mov_b32 v[64:65], v[36:37], v[30:31] op_sel:[1,0]
	ds_write2_b32 v57, v64, v65 offset0:26 offset1:27
	;; [unrolled: 2-line block ×12, first 2 shown]
	v_pk_mov_b32 v[64:65], v[0:1], v[12:13] op_sel:[1,0]
	v_mov_b32_e32 v61, 23
	ds_write2_b32 v57, v64, v65 offset0:48 offset1:49
	ds_write_b32 v57, v13 offset:200
.LBB100_401:
	s_or_b64 exec, exec, s[0:1]
	v_cmp_lt_i32_e32 vcc, 23, v61
	s_waitcnt lgkmcnt(0)
	s_barrier
	s_and_saveexec_b64 s[0:1], vcc
	s_cbranch_execz .LBB100_403
; %bb.402:
	ds_read_b32 v58, v57 offset:96
	ds_read2_b32 v[64:65], v57 offset0:25 offset1:26
	ds_read2_b32 v[66:67], v57 offset0:27 offset1:28
	v_mul_f32_e32 v22, v60, v22
	ds_read2_b32 v[68:69], v57 offset0:29 offset1:30
	s_waitcnt lgkmcnt(3)
	v_fma_f32 v23, -v22, v58, v23
	s_waitcnt lgkmcnt(2)
	v_pk_fma_f32 v[36:37], v[22:23], v[64:65], v[36:37] op_sel_hi:[0,1,1] neg_lo:[1,0,0] neg_hi:[1,0,0]
	s_waitcnt lgkmcnt(1)
	v_pk_fma_f32 v[30:31], v[22:23], v[66:67], v[30:31] op_sel_hi:[0,1,1] neg_lo:[1,0,0] neg_hi:[1,0,0]
	ds_read2_b32 v[64:65], v57 offset0:31 offset1:32
	ds_read2_b32 v[66:67], v57 offset0:33 offset1:34
	;; [unrolled: 1-line block ×3, first 2 shown]
	s_waitcnt lgkmcnt(3)
	v_pk_fma_f32 v[24:25], v[22:23], v[68:69], v[24:25] op_sel_hi:[0,1,1] neg_lo:[1,0,0] neg_hi:[1,0,0]
	ds_read2_b32 v[68:69], v57 offset0:37 offset1:38
	s_waitcnt lgkmcnt(3)
	v_pk_fma_f32 v[16:17], v[22:23], v[64:65], v[16:17] op_sel_hi:[0,1,1] neg_lo:[1,0,0] neg_hi:[1,0,0]
	ds_read2_b32 v[64:65], v57 offset0:39 offset1:40
	s_waitcnt lgkmcnt(3)
	v_pk_fma_f32 v[32:33], v[22:23], v[66:67], v[32:33] op_sel_hi:[0,1,1] neg_lo:[1,0,0] neg_hi:[1,0,0]
	s_waitcnt lgkmcnt(2)
	v_pk_fma_f32 v[26:27], v[22:23], v[70:71], v[26:27] op_sel_hi:[0,1,1] neg_lo:[1,0,0] neg_hi:[1,0,0]
	;; [unrolled: 2-line block ×3, first 2 shown]
	ds_read2_b32 v[66:67], v57 offset0:41 offset1:42
	ds_read2_b32 v[68:69], v57 offset0:43 offset1:44
	;; [unrolled: 1-line block ×3, first 2 shown]
	s_waitcnt lgkmcnt(3)
	v_pk_fma_f32 v[8:9], v[22:23], v[64:65], v[8:9] op_sel_hi:[0,1,1] neg_lo:[1,0,0] neg_hi:[1,0,0]
	ds_read2_b32 v[64:65], v57 offset0:47 offset1:48
	ds_read2_b32 v[72:73], v57 offset0:49 offset1:50
	s_waitcnt lgkmcnt(4)
	v_pk_fma_f32 v[20:21], v[22:23], v[66:67], v[20:21] op_sel_hi:[0,1,1] neg_lo:[1,0,0] neg_hi:[1,0,0]
	s_waitcnt lgkmcnt(3)
	v_pk_fma_f32 v[10:11], v[22:23], v[68:69], v[10:11] op_sel_hi:[0,1,1] neg_lo:[1,0,0] neg_hi:[1,0,0]
	;; [unrolled: 2-line block ×5, first 2 shown]
.LBB100_403:
	s_or_b64 exec, exec, s[0:1]
	v_lshl_add_u32 v58, v61, 2, v57
	s_barrier
	ds_write_b32 v58, v23
	s_waitcnt lgkmcnt(0)
	s_barrier
	ds_read_b32 v60, v57 offset:96
	s_cmp_lt_i32 s22, 26
	v_mov_b32_e32 v58, 24
	s_cbranch_scc1 .LBB100_406
; %bb.404:
	v_add_u32_e32 v63, 0x64, v57
	v_mov_b32_e32 v58, 24
	s_mov_b32 s0, 25
.LBB100_405:                            ; =>This Inner Loop Header: Depth=1
	ds_read_b32 v64, v63
	v_mov_b32_e32 v65, s0
	s_add_i32 s0, s0, 1
	v_add_u32_e32 v63, 4, v63
	s_cmp_lg_u32 s22, s0
	s_waitcnt lgkmcnt(0)
	v_cmp_lt_f32_e64 vcc, |v60|, |v64|
	s_nop 1
	v_cndmask_b32_e32 v60, v60, v64, vcc
	v_cndmask_b32_e32 v58, v58, v65, vcc
	s_cbranch_scc1 .LBB100_405
.LBB100_406:
	s_waitcnt lgkmcnt(0)
	v_cmp_eq_f32_e32 vcc, 0, v60
	s_and_saveexec_b64 s[0:1], vcc
	s_xor_b64 s[0:1], exec, s[0:1]
; %bb.407:
	v_cmp_ne_u32_e32 vcc, 0, v62
	s_nop 1
	v_cndmask_b32_e32 v62, 25, v62, vcc
; %bb.408:
	s_andn2_saveexec_b64 s[0:1], s[0:1]
	s_cbranch_execz .LBB100_410
; %bb.409:
	v_div_scale_f32 v63, s[2:3], v60, v60, 1.0
	v_rcp_f32_e32 v64, v63
	v_div_scale_f32 v65, vcc, 1.0, v60, 1.0
	v_fma_f32 v66, -v63, v64, 1.0
	v_fmac_f32_e32 v64, v66, v64
	v_mul_f32_e32 v66, v65, v64
	v_fma_f32 v67, -v63, v66, v65
	v_fmac_f32_e32 v66, v67, v64
	v_fma_f32 v63, -v63, v66, v65
	v_div_fmas_f32 v63, v63, v64, v66
	v_div_fixup_f32 v60, v63, v60, 1.0
.LBB100_410:
	s_or_b64 exec, exec, s[0:1]
	v_cmp_ne_u32_e32 vcc, v61, v58
	s_and_saveexec_b64 s[0:1], vcc
	s_xor_b64 s[0:1], exec, s[0:1]
	s_cbranch_execz .LBB100_416
; %bb.411:
	v_cmp_eq_u32_e32 vcc, 24, v61
	s_and_saveexec_b64 s[2:3], vcc
	s_cbranch_execz .LBB100_415
; %bb.412:
	v_cmp_ne_u32_e32 vcc, 24, v58
	s_xor_b64 s[12:13], s[20:21], -1
	s_and_b64 s[14:15], s[12:13], vcc
	s_and_saveexec_b64 s[12:13], s[14:15]
	s_cbranch_execz .LBB100_414
; %bb.413:
	v_ashrrev_i32_e32 v59, 31, v58
	v_lshl_add_u64 v[64:65], v[58:59], 2, v[4:5]
	global_load_dword v59, v[64:65], off
	global_load_dword v61, v[4:5], off offset:96
	s_waitcnt vmcnt(1)
	global_store_dword v[4:5], v59, off offset:96
	s_waitcnt vmcnt(1)
	global_store_dword v[64:65], v61, off
.LBB100_414:
	s_or_b64 exec, exec, s[12:13]
	v_mov_b32_e32 v59, v58
	v_mov_b32_e32 v61, v58
.LBB100_415:
	s_or_b64 exec, exec, s[2:3]
.LBB100_416:
	s_andn2_saveexec_b64 s[0:1], s[0:1]
	s_cbranch_execz .LBB100_418
; %bb.417:
	v_mov_b32_e32 v61, 24
	ds_write2_b32 v57, v36, v37 offset0:25 offset1:26
	ds_write2_b32 v57, v30, v31 offset0:27 offset1:28
	;; [unrolled: 1-line block ×13, first 2 shown]
.LBB100_418:
	s_or_b64 exec, exec, s[0:1]
	v_cmp_lt_i32_e32 vcc, 24, v61
	s_waitcnt lgkmcnt(0)
	s_barrier
	s_and_saveexec_b64 s[0:1], vcc
	s_cbranch_execz .LBB100_420
; %bb.419:
	ds_read2_b32 v[64:65], v57 offset0:25 offset1:26
	ds_read2_b32 v[66:67], v57 offset0:27 offset1:28
	;; [unrolled: 1-line block ×3, first 2 shown]
	v_mul_f32_e32 v58, v60, v23
	ds_read2_b32 v[70:71], v57 offset0:31 offset1:32
	s_waitcnt lgkmcnt(3)
	v_pk_fma_f32 v[36:37], v[58:59], v[64:65], v[36:37] op_sel_hi:[0,1,1] neg_lo:[1,0,0] neg_hi:[1,0,0]
	s_waitcnt lgkmcnt(2)
	v_pk_fma_f32 v[30:31], v[58:59], v[66:67], v[30:31] op_sel_hi:[0,1,1] neg_lo:[1,0,0] neg_hi:[1,0,0]
	;; [unrolled: 2-line block ×3, first 2 shown]
	ds_read2_b32 v[64:65], v57 offset0:33 offset1:34
	ds_read2_b32 v[66:67], v57 offset0:35 offset1:36
	;; [unrolled: 1-line block ×4, first 2 shown]
	s_waitcnt lgkmcnt(4)
	v_pk_fma_f32 v[16:17], v[58:59], v[70:71], v[16:17] op_sel_hi:[0,1,1] neg_lo:[1,0,0] neg_hi:[1,0,0]
	s_waitcnt lgkmcnt(3)
	v_pk_fma_f32 v[32:33], v[58:59], v[64:65], v[32:33] op_sel_hi:[0,1,1] neg_lo:[1,0,0] neg_hi:[1,0,0]
	;; [unrolled: 2-line block ×5, first 2 shown]
	ds_read2_b32 v[64:65], v57 offset0:41 offset1:42
	ds_read2_b32 v[66:67], v57 offset0:43 offset1:44
	;; [unrolled: 1-line block ×5, first 2 shown]
	s_waitcnt lgkmcnt(4)
	v_pk_fma_f32 v[20:21], v[58:59], v[64:65], v[20:21] op_sel_hi:[0,1,1] neg_lo:[1,0,0] neg_hi:[1,0,0]
	s_waitcnt lgkmcnt(3)
	v_pk_fma_f32 v[10:11], v[58:59], v[66:67], v[10:11] op_sel_hi:[0,1,1] neg_lo:[1,0,0] neg_hi:[1,0,0]
	;; [unrolled: 2-line block ×5, first 2 shown]
	v_mov_b32_e32 v23, v58
.LBB100_420:
	s_or_b64 exec, exec, s[0:1]
	v_lshl_add_u32 v58, v61, 2, v57
	s_barrier
	ds_write_b32 v58, v36
	s_waitcnt lgkmcnt(0)
	s_barrier
	ds_read_b32 v60, v57 offset:100
	s_cmp_lt_i32 s22, 27
	v_mov_b32_e32 v58, 25
	s_cbranch_scc1 .LBB100_423
; %bb.421:
	v_add_u32_e32 v63, 0x68, v57
	v_mov_b32_e32 v58, 25
	s_mov_b32 s0, 26
.LBB100_422:                            ; =>This Inner Loop Header: Depth=1
	ds_read_b32 v64, v63
	v_mov_b32_e32 v65, s0
	s_add_i32 s0, s0, 1
	v_add_u32_e32 v63, 4, v63
	s_cmp_lg_u32 s22, s0
	s_waitcnt lgkmcnt(0)
	v_cmp_lt_f32_e64 vcc, |v60|, |v64|
	s_nop 1
	v_cndmask_b32_e32 v60, v60, v64, vcc
	v_cndmask_b32_e32 v58, v58, v65, vcc
	s_cbranch_scc1 .LBB100_422
.LBB100_423:
	s_waitcnt lgkmcnt(0)
	v_cmp_eq_f32_e32 vcc, 0, v60
	s_and_saveexec_b64 s[0:1], vcc
	s_xor_b64 s[0:1], exec, s[0:1]
; %bb.424:
	v_cmp_ne_u32_e32 vcc, 0, v62
	s_nop 1
	v_cndmask_b32_e32 v62, 26, v62, vcc
; %bb.425:
	s_andn2_saveexec_b64 s[0:1], s[0:1]
	s_cbranch_execz .LBB100_427
; %bb.426:
	v_div_scale_f32 v63, s[2:3], v60, v60, 1.0
	v_rcp_f32_e32 v64, v63
	v_div_scale_f32 v65, vcc, 1.0, v60, 1.0
	v_fma_f32 v66, -v63, v64, 1.0
	v_fmac_f32_e32 v64, v66, v64
	v_mul_f32_e32 v66, v65, v64
	v_fma_f32 v67, -v63, v66, v65
	v_fmac_f32_e32 v66, v67, v64
	v_fma_f32 v63, -v63, v66, v65
	v_div_fmas_f32 v63, v63, v64, v66
	v_div_fixup_f32 v60, v63, v60, 1.0
.LBB100_427:
	s_or_b64 exec, exec, s[0:1]
	v_cmp_ne_u32_e32 vcc, v61, v58
	s_and_saveexec_b64 s[0:1], vcc
	s_xor_b64 s[0:1], exec, s[0:1]
	s_cbranch_execz .LBB100_433
; %bb.428:
	v_cmp_eq_u32_e32 vcc, 25, v61
	s_and_saveexec_b64 s[2:3], vcc
	s_cbranch_execz .LBB100_432
; %bb.429:
	v_cmp_ne_u32_e32 vcc, 25, v58
	s_xor_b64 s[12:13], s[20:21], -1
	s_and_b64 s[14:15], s[12:13], vcc
	s_and_saveexec_b64 s[12:13], s[14:15]
	s_cbranch_execz .LBB100_431
; %bb.430:
	v_ashrrev_i32_e32 v59, 31, v58
	v_lshl_add_u64 v[64:65], v[58:59], 2, v[4:5]
	global_load_dword v59, v[64:65], off
	global_load_dword v61, v[4:5], off offset:100
	s_waitcnt vmcnt(1)
	global_store_dword v[4:5], v59, off offset:100
	s_waitcnt vmcnt(1)
	global_store_dword v[64:65], v61, off
.LBB100_431:
	s_or_b64 exec, exec, s[12:13]
	v_mov_b32_e32 v59, v58
	v_mov_b32_e32 v61, v58
.LBB100_432:
	s_or_b64 exec, exec, s[2:3]
.LBB100_433:
	s_andn2_saveexec_b64 s[0:1], s[0:1]
	s_cbranch_execz .LBB100_435
; %bb.434:
	v_pk_mov_b32 v[64:65], v[36:37], v[30:31] op_sel:[1,0]
	ds_write2_b32 v57, v64, v65 offset0:26 offset1:27
	v_pk_mov_b32 v[64:65], v[30:31], v[24:25] op_sel:[1,0]
	ds_write2_b32 v57, v64, v65 offset0:28 offset1:29
	;; [unrolled: 2-line block ×11, first 2 shown]
	v_pk_mov_b32 v[64:65], v[0:1], v[12:13] op_sel:[1,0]
	v_mov_b32_e32 v61, 25
	ds_write2_b32 v57, v64, v65 offset0:48 offset1:49
	ds_write_b32 v57, v13 offset:200
.LBB100_435:
	s_or_b64 exec, exec, s[0:1]
	v_cmp_lt_i32_e32 vcc, 25, v61
	s_waitcnt lgkmcnt(0)
	s_barrier
	s_and_saveexec_b64 s[0:1], vcc
	s_cbranch_execz .LBB100_437
; %bb.436:
	ds_read_b32 v58, v57 offset:104
	ds_read2_b32 v[64:65], v57 offset0:27 offset1:28
	ds_read2_b32 v[66:67], v57 offset0:29 offset1:30
	v_mul_f32_e32 v36, v60, v36
	ds_read2_b32 v[68:69], v57 offset0:31 offset1:32
	s_waitcnt lgkmcnt(3)
	v_fma_f32 v37, -v36, v58, v37
	s_waitcnt lgkmcnt(2)
	v_pk_fma_f32 v[30:31], v[36:37], v[64:65], v[30:31] op_sel_hi:[0,1,1] neg_lo:[1,0,0] neg_hi:[1,0,0]
	s_waitcnt lgkmcnt(1)
	v_pk_fma_f32 v[24:25], v[36:37], v[66:67], v[24:25] op_sel_hi:[0,1,1] neg_lo:[1,0,0] neg_hi:[1,0,0]
	ds_read2_b32 v[64:65], v57 offset0:33 offset1:34
	ds_read2_b32 v[66:67], v57 offset0:35 offset1:36
	;; [unrolled: 1-line block ×4, first 2 shown]
	s_waitcnt lgkmcnt(4)
	v_pk_fma_f32 v[16:17], v[36:37], v[68:69], v[16:17] op_sel_hi:[0,1,1] neg_lo:[1,0,0] neg_hi:[1,0,0]
	s_waitcnt lgkmcnt(3)
	v_pk_fma_f32 v[32:33], v[36:37], v[64:65], v[32:33] op_sel_hi:[0,1,1] neg_lo:[1,0,0] neg_hi:[1,0,0]
	;; [unrolled: 2-line block ×5, first 2 shown]
	ds_read2_b32 v[64:65], v57 offset0:41 offset1:42
	ds_read2_b32 v[66:67], v57 offset0:43 offset1:44
	;; [unrolled: 1-line block ×5, first 2 shown]
	s_waitcnt lgkmcnt(4)
	v_pk_fma_f32 v[20:21], v[36:37], v[64:65], v[20:21] op_sel_hi:[0,1,1] neg_lo:[1,0,0] neg_hi:[1,0,0]
	s_waitcnt lgkmcnt(3)
	v_pk_fma_f32 v[10:11], v[36:37], v[66:67], v[10:11] op_sel_hi:[0,1,1] neg_lo:[1,0,0] neg_hi:[1,0,0]
	;; [unrolled: 2-line block ×5, first 2 shown]
.LBB100_437:
	s_or_b64 exec, exec, s[0:1]
	v_lshl_add_u32 v58, v61, 2, v57
	s_barrier
	ds_write_b32 v58, v37
	s_waitcnt lgkmcnt(0)
	s_barrier
	ds_read_b32 v60, v57 offset:104
	s_cmp_lt_i32 s22, 28
	v_mov_b32_e32 v58, 26
	s_cbranch_scc1 .LBB100_440
; %bb.438:
	v_add_u32_e32 v63, 0x6c, v57
	v_mov_b32_e32 v58, 26
	s_mov_b32 s0, 27
.LBB100_439:                            ; =>This Inner Loop Header: Depth=1
	ds_read_b32 v64, v63
	v_mov_b32_e32 v65, s0
	s_add_i32 s0, s0, 1
	v_add_u32_e32 v63, 4, v63
	s_cmp_lg_u32 s22, s0
	s_waitcnt lgkmcnt(0)
	v_cmp_lt_f32_e64 vcc, |v60|, |v64|
	s_nop 1
	v_cndmask_b32_e32 v60, v60, v64, vcc
	v_cndmask_b32_e32 v58, v58, v65, vcc
	s_cbranch_scc1 .LBB100_439
.LBB100_440:
	s_waitcnt lgkmcnt(0)
	v_cmp_eq_f32_e32 vcc, 0, v60
	s_and_saveexec_b64 s[0:1], vcc
	s_xor_b64 s[0:1], exec, s[0:1]
; %bb.441:
	v_cmp_ne_u32_e32 vcc, 0, v62
	s_nop 1
	v_cndmask_b32_e32 v62, 27, v62, vcc
; %bb.442:
	s_andn2_saveexec_b64 s[0:1], s[0:1]
	s_cbranch_execz .LBB100_444
; %bb.443:
	v_div_scale_f32 v63, s[2:3], v60, v60, 1.0
	v_rcp_f32_e32 v64, v63
	v_div_scale_f32 v65, vcc, 1.0, v60, 1.0
	v_fma_f32 v66, -v63, v64, 1.0
	v_fmac_f32_e32 v64, v66, v64
	v_mul_f32_e32 v66, v65, v64
	v_fma_f32 v67, -v63, v66, v65
	v_fmac_f32_e32 v66, v67, v64
	v_fma_f32 v63, -v63, v66, v65
	v_div_fmas_f32 v63, v63, v64, v66
	v_div_fixup_f32 v60, v63, v60, 1.0
.LBB100_444:
	s_or_b64 exec, exec, s[0:1]
	v_cmp_ne_u32_e32 vcc, v61, v58
	s_and_saveexec_b64 s[0:1], vcc
	s_xor_b64 s[0:1], exec, s[0:1]
	s_cbranch_execz .LBB100_450
; %bb.445:
	v_cmp_eq_u32_e32 vcc, 26, v61
	s_and_saveexec_b64 s[2:3], vcc
	s_cbranch_execz .LBB100_449
; %bb.446:
	v_cmp_ne_u32_e32 vcc, 26, v58
	s_xor_b64 s[12:13], s[20:21], -1
	s_and_b64 s[14:15], s[12:13], vcc
	s_and_saveexec_b64 s[12:13], s[14:15]
	s_cbranch_execz .LBB100_448
; %bb.447:
	v_ashrrev_i32_e32 v59, 31, v58
	v_lshl_add_u64 v[64:65], v[58:59], 2, v[4:5]
	global_load_dword v59, v[64:65], off
	global_load_dword v61, v[4:5], off offset:104
	s_waitcnt vmcnt(1)
	global_store_dword v[4:5], v59, off offset:104
	s_waitcnt vmcnt(1)
	global_store_dword v[64:65], v61, off
.LBB100_448:
	s_or_b64 exec, exec, s[12:13]
	v_mov_b32_e32 v59, v58
	v_mov_b32_e32 v61, v58
.LBB100_449:
	s_or_b64 exec, exec, s[2:3]
.LBB100_450:
	s_andn2_saveexec_b64 s[0:1], s[0:1]
	s_cbranch_execz .LBB100_452
; %bb.451:
	v_mov_b32_e32 v61, 26
	ds_write2_b32 v57, v30, v31 offset0:27 offset1:28
	ds_write2_b32 v57, v24, v25 offset0:29 offset1:30
	;; [unrolled: 1-line block ×12, first 2 shown]
.LBB100_452:
	s_or_b64 exec, exec, s[0:1]
	v_cmp_lt_i32_e32 vcc, 26, v61
	s_waitcnt lgkmcnt(0)
	s_barrier
	s_and_saveexec_b64 s[0:1], vcc
	s_cbranch_execz .LBB100_454
; %bb.453:
	ds_read2_b32 v[64:65], v57 offset0:27 offset1:28
	ds_read2_b32 v[66:67], v57 offset0:29 offset1:30
	;; [unrolled: 1-line block ×3, first 2 shown]
	v_mul_f32_e32 v58, v60, v37
	ds_read2_b32 v[70:71], v57 offset0:33 offset1:34
	s_waitcnt lgkmcnt(3)
	v_pk_fma_f32 v[30:31], v[58:59], v[64:65], v[30:31] op_sel_hi:[0,1,1] neg_lo:[1,0,0] neg_hi:[1,0,0]
	s_waitcnt lgkmcnt(2)
	v_pk_fma_f32 v[24:25], v[58:59], v[66:67], v[24:25] op_sel_hi:[0,1,1] neg_lo:[1,0,0] neg_hi:[1,0,0]
	;; [unrolled: 2-line block ×3, first 2 shown]
	ds_read2_b32 v[64:65], v57 offset0:35 offset1:36
	ds_read2_b32 v[66:67], v57 offset0:37 offset1:38
	;; [unrolled: 1-line block ×3, first 2 shown]
	s_waitcnt lgkmcnt(3)
	v_pk_fma_f32 v[32:33], v[58:59], v[70:71], v[32:33] op_sel_hi:[0,1,1] neg_lo:[1,0,0] neg_hi:[1,0,0]
	ds_read2_b32 v[70:71], v57 offset0:41 offset1:42
	s_waitcnt lgkmcnt(3)
	v_pk_fma_f32 v[26:27], v[58:59], v[64:65], v[26:27] op_sel_hi:[0,1,1] neg_lo:[1,0,0] neg_hi:[1,0,0]
	s_waitcnt lgkmcnt(2)
	v_pk_fma_f32 v[18:19], v[58:59], v[66:67], v[18:19] op_sel_hi:[0,1,1] neg_lo:[1,0,0] neg_hi:[1,0,0]
	;; [unrolled: 2-line block ×3, first 2 shown]
	ds_read2_b32 v[64:65], v57 offset0:43 offset1:44
	ds_read2_b32 v[66:67], v57 offset0:45 offset1:46
	;; [unrolled: 1-line block ×4, first 2 shown]
	s_waitcnt lgkmcnt(4)
	v_pk_fma_f32 v[20:21], v[58:59], v[70:71], v[20:21] op_sel_hi:[0,1,1] neg_lo:[1,0,0] neg_hi:[1,0,0]
	s_waitcnt lgkmcnt(3)
	v_pk_fma_f32 v[10:11], v[58:59], v[64:65], v[10:11] op_sel_hi:[0,1,1] neg_lo:[1,0,0] neg_hi:[1,0,0]
	;; [unrolled: 2-line block ×5, first 2 shown]
	v_mov_b32_e32 v37, v58
.LBB100_454:
	s_or_b64 exec, exec, s[0:1]
	v_lshl_add_u32 v58, v61, 2, v57
	s_barrier
	ds_write_b32 v58, v30
	s_waitcnt lgkmcnt(0)
	s_barrier
	ds_read_b32 v60, v57 offset:108
	s_cmp_lt_i32 s22, 29
	v_mov_b32_e32 v58, 27
	s_cbranch_scc1 .LBB100_457
; %bb.455:
	v_add_u32_e32 v63, 0x70, v57
	v_mov_b32_e32 v58, 27
	s_mov_b32 s0, 28
.LBB100_456:                            ; =>This Inner Loop Header: Depth=1
	ds_read_b32 v64, v63
	v_mov_b32_e32 v65, s0
	s_add_i32 s0, s0, 1
	v_add_u32_e32 v63, 4, v63
	s_cmp_lg_u32 s22, s0
	s_waitcnt lgkmcnt(0)
	v_cmp_lt_f32_e64 vcc, |v60|, |v64|
	s_nop 1
	v_cndmask_b32_e32 v60, v60, v64, vcc
	v_cndmask_b32_e32 v58, v58, v65, vcc
	s_cbranch_scc1 .LBB100_456
.LBB100_457:
	s_waitcnt lgkmcnt(0)
	v_cmp_eq_f32_e32 vcc, 0, v60
	s_and_saveexec_b64 s[0:1], vcc
	s_xor_b64 s[0:1], exec, s[0:1]
; %bb.458:
	v_cmp_ne_u32_e32 vcc, 0, v62
	s_nop 1
	v_cndmask_b32_e32 v62, 28, v62, vcc
; %bb.459:
	s_andn2_saveexec_b64 s[0:1], s[0:1]
	s_cbranch_execz .LBB100_461
; %bb.460:
	v_div_scale_f32 v63, s[2:3], v60, v60, 1.0
	v_rcp_f32_e32 v64, v63
	v_div_scale_f32 v65, vcc, 1.0, v60, 1.0
	v_fma_f32 v66, -v63, v64, 1.0
	v_fmac_f32_e32 v64, v66, v64
	v_mul_f32_e32 v66, v65, v64
	v_fma_f32 v67, -v63, v66, v65
	v_fmac_f32_e32 v66, v67, v64
	v_fma_f32 v63, -v63, v66, v65
	v_div_fmas_f32 v63, v63, v64, v66
	v_div_fixup_f32 v60, v63, v60, 1.0
.LBB100_461:
	s_or_b64 exec, exec, s[0:1]
	v_cmp_ne_u32_e32 vcc, v61, v58
	s_and_saveexec_b64 s[0:1], vcc
	s_xor_b64 s[0:1], exec, s[0:1]
	s_cbranch_execz .LBB100_467
; %bb.462:
	v_cmp_eq_u32_e32 vcc, 27, v61
	s_and_saveexec_b64 s[2:3], vcc
	s_cbranch_execz .LBB100_466
; %bb.463:
	v_cmp_ne_u32_e32 vcc, 27, v58
	s_xor_b64 s[12:13], s[20:21], -1
	s_and_b64 s[14:15], s[12:13], vcc
	s_and_saveexec_b64 s[12:13], s[14:15]
	s_cbranch_execz .LBB100_465
; %bb.464:
	v_ashrrev_i32_e32 v59, 31, v58
	v_lshl_add_u64 v[64:65], v[58:59], 2, v[4:5]
	global_load_dword v59, v[64:65], off
	global_load_dword v61, v[4:5], off offset:108
	s_waitcnt vmcnt(1)
	global_store_dword v[4:5], v59, off offset:108
	s_waitcnt vmcnt(1)
	global_store_dword v[64:65], v61, off
.LBB100_465:
	s_or_b64 exec, exec, s[12:13]
	v_mov_b32_e32 v59, v58
	v_mov_b32_e32 v61, v58
.LBB100_466:
	s_or_b64 exec, exec, s[2:3]
.LBB100_467:
	s_andn2_saveexec_b64 s[0:1], s[0:1]
	s_cbranch_execz .LBB100_469
; %bb.468:
	v_pk_mov_b32 v[64:65], v[30:31], v[24:25] op_sel:[1,0]
	ds_write2_b32 v57, v64, v65 offset0:28 offset1:29
	v_pk_mov_b32 v[64:65], v[24:25], v[16:17] op_sel:[1,0]
	ds_write2_b32 v57, v64, v65 offset0:30 offset1:31
	;; [unrolled: 2-line block ×10, first 2 shown]
	v_pk_mov_b32 v[64:65], v[0:1], v[12:13] op_sel:[1,0]
	v_mov_b32_e32 v61, 27
	ds_write2_b32 v57, v64, v65 offset0:48 offset1:49
	ds_write_b32 v57, v13 offset:200
.LBB100_469:
	s_or_b64 exec, exec, s[0:1]
	v_cmp_lt_i32_e32 vcc, 27, v61
	s_waitcnt lgkmcnt(0)
	s_barrier
	s_and_saveexec_b64 s[0:1], vcc
	s_cbranch_execz .LBB100_471
; %bb.470:
	ds_read_b32 v58, v57 offset:112
	ds_read2_b32 v[64:65], v57 offset0:29 offset1:30
	ds_read2_b32 v[66:67], v57 offset0:31 offset1:32
	v_mul_f32_e32 v30, v60, v30
	ds_read2_b32 v[68:69], v57 offset0:33 offset1:34
	s_waitcnt lgkmcnt(3)
	v_fma_f32 v31, -v30, v58, v31
	s_waitcnt lgkmcnt(2)
	v_pk_fma_f32 v[24:25], v[30:31], v[64:65], v[24:25] op_sel_hi:[0,1,1] neg_lo:[1,0,0] neg_hi:[1,0,0]
	s_waitcnt lgkmcnt(1)
	v_pk_fma_f32 v[16:17], v[30:31], v[66:67], v[16:17] op_sel_hi:[0,1,1] neg_lo:[1,0,0] neg_hi:[1,0,0]
	ds_read2_b32 v[64:65], v57 offset0:35 offset1:36
	ds_read2_b32 v[66:67], v57 offset0:37 offset1:38
	;; [unrolled: 1-line block ×3, first 2 shown]
	s_waitcnt lgkmcnt(3)
	v_pk_fma_f32 v[32:33], v[30:31], v[68:69], v[32:33] op_sel_hi:[0,1,1] neg_lo:[1,0,0] neg_hi:[1,0,0]
	ds_read2_b32 v[68:69], v57 offset0:41 offset1:42
	s_waitcnt lgkmcnt(3)
	v_pk_fma_f32 v[26:27], v[30:31], v[64:65], v[26:27] op_sel_hi:[0,1,1] neg_lo:[1,0,0] neg_hi:[1,0,0]
	s_waitcnt lgkmcnt(2)
	v_pk_fma_f32 v[18:19], v[30:31], v[66:67], v[18:19] op_sel_hi:[0,1,1] neg_lo:[1,0,0] neg_hi:[1,0,0]
	;; [unrolled: 2-line block ×3, first 2 shown]
	ds_read2_b32 v[64:65], v57 offset0:43 offset1:44
	ds_read2_b32 v[66:67], v57 offset0:45 offset1:46
	;; [unrolled: 1-line block ×4, first 2 shown]
	s_waitcnt lgkmcnt(4)
	v_pk_fma_f32 v[20:21], v[30:31], v[68:69], v[20:21] op_sel_hi:[0,1,1] neg_lo:[1,0,0] neg_hi:[1,0,0]
	s_waitcnt lgkmcnt(3)
	v_pk_fma_f32 v[10:11], v[30:31], v[64:65], v[10:11] op_sel_hi:[0,1,1] neg_lo:[1,0,0] neg_hi:[1,0,0]
	s_waitcnt lgkmcnt(2)
	v_pk_fma_f32 v[14:15], v[30:31], v[66:67], v[14:15] op_sel_hi:[0,1,1] neg_lo:[1,0,0] neg_hi:[1,0,0]
	s_waitcnt lgkmcnt(1)
	v_pk_fma_f32 v[0:1], v[30:31], v[70:71], v[0:1] op_sel_hi:[0,1,1] neg_lo:[1,0,0] neg_hi:[1,0,0]
	s_waitcnt lgkmcnt(0)
	v_pk_fma_f32 v[12:13], v[30:31], v[72:73], v[12:13] op_sel_hi:[0,1,1] neg_lo:[1,0,0] neg_hi:[1,0,0]
.LBB100_471:
	s_or_b64 exec, exec, s[0:1]
	v_lshl_add_u32 v58, v61, 2, v57
	s_barrier
	ds_write_b32 v58, v31
	s_waitcnt lgkmcnt(0)
	s_barrier
	ds_read_b32 v60, v57 offset:112
	s_cmp_lt_i32 s22, 30
	v_mov_b32_e32 v58, 28
	s_cbranch_scc1 .LBB100_474
; %bb.472:
	v_add_u32_e32 v63, 0x74, v57
	v_mov_b32_e32 v58, 28
	s_mov_b32 s0, 29
.LBB100_473:                            ; =>This Inner Loop Header: Depth=1
	ds_read_b32 v64, v63
	v_mov_b32_e32 v65, s0
	s_add_i32 s0, s0, 1
	v_add_u32_e32 v63, 4, v63
	s_cmp_lg_u32 s22, s0
	s_waitcnt lgkmcnt(0)
	v_cmp_lt_f32_e64 vcc, |v60|, |v64|
	s_nop 1
	v_cndmask_b32_e32 v60, v60, v64, vcc
	v_cndmask_b32_e32 v58, v58, v65, vcc
	s_cbranch_scc1 .LBB100_473
.LBB100_474:
	s_waitcnt lgkmcnt(0)
	v_cmp_eq_f32_e32 vcc, 0, v60
	s_and_saveexec_b64 s[0:1], vcc
	s_xor_b64 s[0:1], exec, s[0:1]
; %bb.475:
	v_cmp_ne_u32_e32 vcc, 0, v62
	s_nop 1
	v_cndmask_b32_e32 v62, 29, v62, vcc
; %bb.476:
	s_andn2_saveexec_b64 s[0:1], s[0:1]
	s_cbranch_execz .LBB100_478
; %bb.477:
	v_div_scale_f32 v63, s[2:3], v60, v60, 1.0
	v_rcp_f32_e32 v64, v63
	v_div_scale_f32 v65, vcc, 1.0, v60, 1.0
	v_fma_f32 v66, -v63, v64, 1.0
	v_fmac_f32_e32 v64, v66, v64
	v_mul_f32_e32 v66, v65, v64
	v_fma_f32 v67, -v63, v66, v65
	v_fmac_f32_e32 v66, v67, v64
	v_fma_f32 v63, -v63, v66, v65
	v_div_fmas_f32 v63, v63, v64, v66
	v_div_fixup_f32 v60, v63, v60, 1.0
.LBB100_478:
	s_or_b64 exec, exec, s[0:1]
	v_cmp_ne_u32_e32 vcc, v61, v58
	s_and_saveexec_b64 s[0:1], vcc
	s_xor_b64 s[0:1], exec, s[0:1]
	s_cbranch_execz .LBB100_484
; %bb.479:
	v_cmp_eq_u32_e32 vcc, 28, v61
	s_and_saveexec_b64 s[2:3], vcc
	s_cbranch_execz .LBB100_483
; %bb.480:
	v_cmp_ne_u32_e32 vcc, 28, v58
	s_xor_b64 s[12:13], s[20:21], -1
	s_and_b64 s[14:15], s[12:13], vcc
	s_and_saveexec_b64 s[12:13], s[14:15]
	s_cbranch_execz .LBB100_482
; %bb.481:
	v_ashrrev_i32_e32 v59, 31, v58
	v_lshl_add_u64 v[64:65], v[58:59], 2, v[4:5]
	global_load_dword v59, v[64:65], off
	global_load_dword v61, v[4:5], off offset:112
	s_waitcnt vmcnt(1)
	global_store_dword v[4:5], v59, off offset:112
	s_waitcnt vmcnt(1)
	global_store_dword v[64:65], v61, off
.LBB100_482:
	s_or_b64 exec, exec, s[12:13]
	v_mov_b32_e32 v59, v58
	v_mov_b32_e32 v61, v58
.LBB100_483:
	s_or_b64 exec, exec, s[2:3]
.LBB100_484:
	s_andn2_saveexec_b64 s[0:1], s[0:1]
	s_cbranch_execz .LBB100_486
; %bb.485:
	v_mov_b32_e32 v61, 28
	ds_write2_b32 v57, v24, v25 offset0:29 offset1:30
	ds_write2_b32 v57, v16, v17 offset0:31 offset1:32
	;; [unrolled: 1-line block ×11, first 2 shown]
.LBB100_486:
	s_or_b64 exec, exec, s[0:1]
	v_cmp_lt_i32_e32 vcc, 28, v61
	s_waitcnt lgkmcnt(0)
	s_barrier
	s_and_saveexec_b64 s[0:1], vcc
	s_cbranch_execz .LBB100_488
; %bb.487:
	ds_read2_b32 v[64:65], v57 offset0:29 offset1:30
	ds_read2_b32 v[66:67], v57 offset0:31 offset1:32
	;; [unrolled: 1-line block ×3, first 2 shown]
	v_mul_f32_e32 v58, v60, v31
	ds_read2_b32 v[70:71], v57 offset0:35 offset1:36
	s_waitcnt lgkmcnt(3)
	v_pk_fma_f32 v[24:25], v[58:59], v[64:65], v[24:25] op_sel_hi:[0,1,1] neg_lo:[1,0,0] neg_hi:[1,0,0]
	s_waitcnt lgkmcnt(2)
	v_pk_fma_f32 v[16:17], v[58:59], v[66:67], v[16:17] op_sel_hi:[0,1,1] neg_lo:[1,0,0] neg_hi:[1,0,0]
	ds_read2_b32 v[64:65], v57 offset0:37 offset1:38
	ds_read2_b32 v[66:67], v57 offset0:39 offset1:40
	s_waitcnt lgkmcnt(3)
	v_pk_fma_f32 v[32:33], v[58:59], v[68:69], v[32:33] op_sel_hi:[0,1,1] neg_lo:[1,0,0] neg_hi:[1,0,0]
	s_waitcnt lgkmcnt(2)
	v_pk_fma_f32 v[26:27], v[58:59], v[70:71], v[26:27] op_sel_hi:[0,1,1] neg_lo:[1,0,0] neg_hi:[1,0,0]
	ds_read2_b32 v[68:69], v57 offset0:41 offset1:42
	ds_read2_b32 v[70:71], v57 offset0:43 offset1:44
	s_waitcnt lgkmcnt(3)
	v_pk_fma_f32 v[18:19], v[58:59], v[64:65], v[18:19] op_sel_hi:[0,1,1] neg_lo:[1,0,0] neg_hi:[1,0,0]
	s_waitcnt lgkmcnt(2)
	v_pk_fma_f32 v[8:9], v[58:59], v[66:67], v[8:9] op_sel_hi:[0,1,1] neg_lo:[1,0,0] neg_hi:[1,0,0]
	ds_read2_b32 v[64:65], v57 offset0:45 offset1:46
	ds_read2_b32 v[66:67], v57 offset0:47 offset1:48
	ds_read2_b32 v[72:73], v57 offset0:49 offset1:50
	s_waitcnt lgkmcnt(4)
	v_pk_fma_f32 v[20:21], v[58:59], v[68:69], v[20:21] op_sel_hi:[0,1,1] neg_lo:[1,0,0] neg_hi:[1,0,0]
	s_waitcnt lgkmcnt(3)
	v_pk_fma_f32 v[10:11], v[58:59], v[70:71], v[10:11] op_sel_hi:[0,1,1] neg_lo:[1,0,0] neg_hi:[1,0,0]
	;; [unrolled: 2-line block ×5, first 2 shown]
	v_mov_b32_e32 v31, v58
.LBB100_488:
	s_or_b64 exec, exec, s[0:1]
	v_lshl_add_u32 v58, v61, 2, v57
	s_barrier
	ds_write_b32 v58, v24
	s_waitcnt lgkmcnt(0)
	s_barrier
	ds_read_b32 v60, v57 offset:116
	s_cmp_lt_i32 s22, 31
	v_mov_b32_e32 v58, 29
	s_cbranch_scc1 .LBB100_491
; %bb.489:
	v_add_u32_e32 v63, 0x78, v57
	v_mov_b32_e32 v58, 29
	s_mov_b32 s0, 30
.LBB100_490:                            ; =>This Inner Loop Header: Depth=1
	ds_read_b32 v64, v63
	v_mov_b32_e32 v65, s0
	s_add_i32 s0, s0, 1
	v_add_u32_e32 v63, 4, v63
	s_cmp_lg_u32 s22, s0
	s_waitcnt lgkmcnt(0)
	v_cmp_lt_f32_e64 vcc, |v60|, |v64|
	s_nop 1
	v_cndmask_b32_e32 v60, v60, v64, vcc
	v_cndmask_b32_e32 v58, v58, v65, vcc
	s_cbranch_scc1 .LBB100_490
.LBB100_491:
	s_waitcnt lgkmcnt(0)
	v_cmp_eq_f32_e32 vcc, 0, v60
	s_and_saveexec_b64 s[0:1], vcc
	s_xor_b64 s[0:1], exec, s[0:1]
; %bb.492:
	v_cmp_ne_u32_e32 vcc, 0, v62
	s_nop 1
	v_cndmask_b32_e32 v62, 30, v62, vcc
; %bb.493:
	s_andn2_saveexec_b64 s[0:1], s[0:1]
	s_cbranch_execz .LBB100_495
; %bb.494:
	v_div_scale_f32 v63, s[2:3], v60, v60, 1.0
	v_rcp_f32_e32 v64, v63
	v_div_scale_f32 v65, vcc, 1.0, v60, 1.0
	v_fma_f32 v66, -v63, v64, 1.0
	v_fmac_f32_e32 v64, v66, v64
	v_mul_f32_e32 v66, v65, v64
	v_fma_f32 v67, -v63, v66, v65
	v_fmac_f32_e32 v66, v67, v64
	v_fma_f32 v63, -v63, v66, v65
	v_div_fmas_f32 v63, v63, v64, v66
	v_div_fixup_f32 v60, v63, v60, 1.0
.LBB100_495:
	s_or_b64 exec, exec, s[0:1]
	v_cmp_ne_u32_e32 vcc, v61, v58
	s_and_saveexec_b64 s[0:1], vcc
	s_xor_b64 s[0:1], exec, s[0:1]
	s_cbranch_execz .LBB100_501
; %bb.496:
	v_cmp_eq_u32_e32 vcc, 29, v61
	s_and_saveexec_b64 s[2:3], vcc
	s_cbranch_execz .LBB100_500
; %bb.497:
	v_cmp_ne_u32_e32 vcc, 29, v58
	s_xor_b64 s[12:13], s[20:21], -1
	s_and_b64 s[14:15], s[12:13], vcc
	s_and_saveexec_b64 s[12:13], s[14:15]
	s_cbranch_execz .LBB100_499
; %bb.498:
	v_ashrrev_i32_e32 v59, 31, v58
	v_lshl_add_u64 v[64:65], v[58:59], 2, v[4:5]
	global_load_dword v59, v[64:65], off
	global_load_dword v61, v[4:5], off offset:116
	s_waitcnt vmcnt(1)
	global_store_dword v[4:5], v59, off offset:116
	s_waitcnt vmcnt(1)
	global_store_dword v[64:65], v61, off
.LBB100_499:
	s_or_b64 exec, exec, s[12:13]
	v_mov_b32_e32 v59, v58
	v_mov_b32_e32 v61, v58
.LBB100_500:
	s_or_b64 exec, exec, s[2:3]
.LBB100_501:
	s_andn2_saveexec_b64 s[0:1], s[0:1]
	s_cbranch_execz .LBB100_503
; %bb.502:
	v_pk_mov_b32 v[64:65], v[24:25], v[16:17] op_sel:[1,0]
	ds_write2_b32 v57, v64, v65 offset0:30 offset1:31
	v_pk_mov_b32 v[64:65], v[16:17], v[32:33] op_sel:[1,0]
	ds_write2_b32 v57, v64, v65 offset0:32 offset1:33
	;; [unrolled: 2-line block ×9, first 2 shown]
	v_pk_mov_b32 v[64:65], v[0:1], v[12:13] op_sel:[1,0]
	v_mov_b32_e32 v61, 29
	ds_write2_b32 v57, v64, v65 offset0:48 offset1:49
	ds_write_b32 v57, v13 offset:200
.LBB100_503:
	s_or_b64 exec, exec, s[0:1]
	v_cmp_lt_i32_e32 vcc, 29, v61
	s_waitcnt lgkmcnt(0)
	s_barrier
	s_and_saveexec_b64 s[0:1], vcc
	s_cbranch_execz .LBB100_505
; %bb.504:
	ds_read_b32 v58, v57 offset:120
	ds_read2_b32 v[64:65], v57 offset0:31 offset1:32
	ds_read2_b32 v[66:67], v57 offset0:33 offset1:34
	v_mul_f32_e32 v24, v60, v24
	ds_read2_b32 v[68:69], v57 offset0:35 offset1:36
	s_waitcnt lgkmcnt(3)
	v_fma_f32 v25, -v24, v58, v25
	s_waitcnt lgkmcnt(2)
	v_pk_fma_f32 v[16:17], v[24:25], v[64:65], v[16:17] op_sel_hi:[0,1,1] neg_lo:[1,0,0] neg_hi:[1,0,0]
	s_waitcnt lgkmcnt(1)
	v_pk_fma_f32 v[32:33], v[24:25], v[66:67], v[32:33] op_sel_hi:[0,1,1] neg_lo:[1,0,0] neg_hi:[1,0,0]
	ds_read2_b32 v[64:65], v57 offset0:37 offset1:38
	ds_read2_b32 v[66:67], v57 offset0:39 offset1:40
	s_waitcnt lgkmcnt(2)
	v_pk_fma_f32 v[26:27], v[24:25], v[68:69], v[26:27] op_sel_hi:[0,1,1] neg_lo:[1,0,0] neg_hi:[1,0,0]
	ds_read2_b32 v[68:69], v57 offset0:41 offset1:42
	ds_read2_b32 v[70:71], v57 offset0:43 offset1:44
	s_waitcnt lgkmcnt(3)
	v_pk_fma_f32 v[18:19], v[24:25], v[64:65], v[18:19] op_sel_hi:[0,1,1] neg_lo:[1,0,0] neg_hi:[1,0,0]
	s_waitcnt lgkmcnt(2)
	v_pk_fma_f32 v[8:9], v[24:25], v[66:67], v[8:9] op_sel_hi:[0,1,1] neg_lo:[1,0,0] neg_hi:[1,0,0]
	ds_read2_b32 v[64:65], v57 offset0:45 offset1:46
	ds_read2_b32 v[66:67], v57 offset0:47 offset1:48
	;; [unrolled: 1-line block ×3, first 2 shown]
	s_waitcnt lgkmcnt(4)
	v_pk_fma_f32 v[20:21], v[24:25], v[68:69], v[20:21] op_sel_hi:[0,1,1] neg_lo:[1,0,0] neg_hi:[1,0,0]
	s_waitcnt lgkmcnt(3)
	v_pk_fma_f32 v[10:11], v[24:25], v[70:71], v[10:11] op_sel_hi:[0,1,1] neg_lo:[1,0,0] neg_hi:[1,0,0]
	;; [unrolled: 2-line block ×5, first 2 shown]
.LBB100_505:
	s_or_b64 exec, exec, s[0:1]
	v_lshl_add_u32 v58, v61, 2, v57
	s_barrier
	ds_write_b32 v58, v25
	s_waitcnt lgkmcnt(0)
	s_barrier
	ds_read_b32 v60, v57 offset:120
	s_cmp_lt_i32 s22, 32
	v_mov_b32_e32 v58, 30
	s_cbranch_scc1 .LBB100_508
; %bb.506:
	v_add_u32_e32 v63, 0x7c, v57
	v_mov_b32_e32 v58, 30
	s_mov_b32 s0, 31
.LBB100_507:                            ; =>This Inner Loop Header: Depth=1
	ds_read_b32 v64, v63
	v_mov_b32_e32 v65, s0
	s_add_i32 s0, s0, 1
	v_add_u32_e32 v63, 4, v63
	s_cmp_lg_u32 s22, s0
	s_waitcnt lgkmcnt(0)
	v_cmp_lt_f32_e64 vcc, |v60|, |v64|
	s_nop 1
	v_cndmask_b32_e32 v60, v60, v64, vcc
	v_cndmask_b32_e32 v58, v58, v65, vcc
	s_cbranch_scc1 .LBB100_507
.LBB100_508:
	s_waitcnt lgkmcnt(0)
	v_cmp_eq_f32_e32 vcc, 0, v60
	s_and_saveexec_b64 s[0:1], vcc
	s_xor_b64 s[0:1], exec, s[0:1]
; %bb.509:
	v_cmp_ne_u32_e32 vcc, 0, v62
	s_nop 1
	v_cndmask_b32_e32 v62, 31, v62, vcc
; %bb.510:
	s_andn2_saveexec_b64 s[0:1], s[0:1]
	s_cbranch_execz .LBB100_512
; %bb.511:
	v_div_scale_f32 v63, s[2:3], v60, v60, 1.0
	v_rcp_f32_e32 v64, v63
	v_div_scale_f32 v65, vcc, 1.0, v60, 1.0
	v_fma_f32 v66, -v63, v64, 1.0
	v_fmac_f32_e32 v64, v66, v64
	v_mul_f32_e32 v66, v65, v64
	v_fma_f32 v67, -v63, v66, v65
	v_fmac_f32_e32 v66, v67, v64
	v_fma_f32 v63, -v63, v66, v65
	v_div_fmas_f32 v63, v63, v64, v66
	v_div_fixup_f32 v60, v63, v60, 1.0
.LBB100_512:
	s_or_b64 exec, exec, s[0:1]
	v_cmp_ne_u32_e32 vcc, v61, v58
	s_and_saveexec_b64 s[0:1], vcc
	s_xor_b64 s[0:1], exec, s[0:1]
	s_cbranch_execz .LBB100_518
; %bb.513:
	v_cmp_eq_u32_e32 vcc, 30, v61
	s_and_saveexec_b64 s[2:3], vcc
	s_cbranch_execz .LBB100_517
; %bb.514:
	v_cmp_ne_u32_e32 vcc, 30, v58
	s_xor_b64 s[12:13], s[20:21], -1
	s_and_b64 s[14:15], s[12:13], vcc
	s_and_saveexec_b64 s[12:13], s[14:15]
	s_cbranch_execz .LBB100_516
; %bb.515:
	v_ashrrev_i32_e32 v59, 31, v58
	v_lshl_add_u64 v[64:65], v[58:59], 2, v[4:5]
	global_load_dword v59, v[64:65], off
	global_load_dword v61, v[4:5], off offset:120
	s_waitcnt vmcnt(1)
	global_store_dword v[4:5], v59, off offset:120
	s_waitcnt vmcnt(1)
	global_store_dword v[64:65], v61, off
.LBB100_516:
	s_or_b64 exec, exec, s[12:13]
	v_mov_b32_e32 v59, v58
	v_mov_b32_e32 v61, v58
.LBB100_517:
	s_or_b64 exec, exec, s[2:3]
.LBB100_518:
	s_andn2_saveexec_b64 s[0:1], s[0:1]
	s_cbranch_execz .LBB100_520
; %bb.519:
	v_mov_b32_e32 v61, 30
	ds_write2_b32 v57, v16, v17 offset0:31 offset1:32
	ds_write2_b32 v57, v32, v33 offset0:33 offset1:34
	ds_write2_b32 v57, v26, v27 offset0:35 offset1:36
	ds_write2_b32 v57, v18, v19 offset0:37 offset1:38
	ds_write2_b32 v57, v8, v9 offset0:39 offset1:40
	ds_write2_b32 v57, v20, v21 offset0:41 offset1:42
	ds_write2_b32 v57, v10, v11 offset0:43 offset1:44
	ds_write2_b32 v57, v14, v15 offset0:45 offset1:46
	ds_write2_b32 v57, v0, v1 offset0:47 offset1:48
	ds_write2_b32 v57, v12, v13 offset0:49 offset1:50
.LBB100_520:
	s_or_b64 exec, exec, s[0:1]
	v_cmp_lt_i32_e32 vcc, 30, v61
	s_waitcnt lgkmcnt(0)
	s_barrier
	s_and_saveexec_b64 s[0:1], vcc
	s_cbranch_execz .LBB100_522
; %bb.521:
	ds_read2_b32 v[64:65], v57 offset0:31 offset1:32
	ds_read2_b32 v[66:67], v57 offset0:33 offset1:34
	;; [unrolled: 1-line block ×3, first 2 shown]
	v_mul_f32_e32 v58, v60, v25
	ds_read2_b32 v[70:71], v57 offset0:37 offset1:38
	s_waitcnt lgkmcnt(3)
	v_pk_fma_f32 v[16:17], v[58:59], v[64:65], v[16:17] op_sel_hi:[0,1,1] neg_lo:[1,0,0] neg_hi:[1,0,0]
	ds_read2_b32 v[64:65], v57 offset0:39 offset1:40
	s_waitcnt lgkmcnt(3)
	v_pk_fma_f32 v[32:33], v[58:59], v[66:67], v[32:33] op_sel_hi:[0,1,1] neg_lo:[1,0,0] neg_hi:[1,0,0]
	s_waitcnt lgkmcnt(2)
	v_pk_fma_f32 v[26:27], v[58:59], v[68:69], v[26:27] op_sel_hi:[0,1,1] neg_lo:[1,0,0] neg_hi:[1,0,0]
	;; [unrolled: 2-line block ×3, first 2 shown]
	ds_read2_b32 v[66:67], v57 offset0:41 offset1:42
	ds_read2_b32 v[68:69], v57 offset0:43 offset1:44
	;; [unrolled: 1-line block ×3, first 2 shown]
	s_waitcnt lgkmcnt(3)
	v_pk_fma_f32 v[8:9], v[58:59], v[64:65], v[8:9] op_sel_hi:[0,1,1] neg_lo:[1,0,0] neg_hi:[1,0,0]
	ds_read2_b32 v[64:65], v57 offset0:47 offset1:48
	ds_read2_b32 v[72:73], v57 offset0:49 offset1:50
	s_waitcnt lgkmcnt(4)
	v_pk_fma_f32 v[20:21], v[58:59], v[66:67], v[20:21] op_sel_hi:[0,1,1] neg_lo:[1,0,0] neg_hi:[1,0,0]
	s_waitcnt lgkmcnt(3)
	v_pk_fma_f32 v[10:11], v[58:59], v[68:69], v[10:11] op_sel_hi:[0,1,1] neg_lo:[1,0,0] neg_hi:[1,0,0]
	;; [unrolled: 2-line block ×5, first 2 shown]
	v_mov_b32_e32 v25, v58
.LBB100_522:
	s_or_b64 exec, exec, s[0:1]
	v_lshl_add_u32 v58, v61, 2, v57
	s_barrier
	ds_write_b32 v58, v16
	s_waitcnt lgkmcnt(0)
	s_barrier
	ds_read_b32 v60, v57 offset:124
	s_cmp_lt_i32 s22, 33
	v_mov_b32_e32 v58, 31
	s_cbranch_scc1 .LBB100_525
; %bb.523:
	v_add_u32_e32 v63, 0x80, v57
	v_mov_b32_e32 v58, 31
	s_mov_b32 s0, 32
.LBB100_524:                            ; =>This Inner Loop Header: Depth=1
	ds_read_b32 v64, v63
	v_mov_b32_e32 v65, s0
	s_add_i32 s0, s0, 1
	v_add_u32_e32 v63, 4, v63
	s_cmp_lg_u32 s22, s0
	s_waitcnt lgkmcnt(0)
	v_cmp_lt_f32_e64 vcc, |v60|, |v64|
	s_nop 1
	v_cndmask_b32_e32 v60, v60, v64, vcc
	v_cndmask_b32_e32 v58, v58, v65, vcc
	s_cbranch_scc1 .LBB100_524
.LBB100_525:
	s_waitcnt lgkmcnt(0)
	v_cmp_eq_f32_e32 vcc, 0, v60
	s_and_saveexec_b64 s[0:1], vcc
	s_xor_b64 s[0:1], exec, s[0:1]
; %bb.526:
	v_cmp_ne_u32_e32 vcc, 0, v62
	s_nop 1
	v_cndmask_b32_e32 v62, 32, v62, vcc
; %bb.527:
	s_andn2_saveexec_b64 s[0:1], s[0:1]
	s_cbranch_execz .LBB100_529
; %bb.528:
	v_div_scale_f32 v63, s[2:3], v60, v60, 1.0
	v_rcp_f32_e32 v64, v63
	v_div_scale_f32 v65, vcc, 1.0, v60, 1.0
	v_fma_f32 v66, -v63, v64, 1.0
	v_fmac_f32_e32 v64, v66, v64
	v_mul_f32_e32 v66, v65, v64
	v_fma_f32 v67, -v63, v66, v65
	v_fmac_f32_e32 v66, v67, v64
	v_fma_f32 v63, -v63, v66, v65
	v_div_fmas_f32 v63, v63, v64, v66
	v_div_fixup_f32 v60, v63, v60, 1.0
.LBB100_529:
	s_or_b64 exec, exec, s[0:1]
	v_cmp_ne_u32_e32 vcc, v61, v58
	s_and_saveexec_b64 s[0:1], vcc
	s_xor_b64 s[0:1], exec, s[0:1]
	s_cbranch_execz .LBB100_535
; %bb.530:
	v_cmp_eq_u32_e32 vcc, 31, v61
	s_and_saveexec_b64 s[2:3], vcc
	s_cbranch_execz .LBB100_534
; %bb.531:
	v_cmp_ne_u32_e32 vcc, 31, v58
	s_xor_b64 s[12:13], s[20:21], -1
	s_and_b64 s[14:15], s[12:13], vcc
	s_and_saveexec_b64 s[12:13], s[14:15]
	s_cbranch_execz .LBB100_533
; %bb.532:
	v_ashrrev_i32_e32 v59, 31, v58
	v_lshl_add_u64 v[64:65], v[58:59], 2, v[4:5]
	global_load_dword v59, v[64:65], off
	global_load_dword v61, v[4:5], off offset:124
	s_waitcnt vmcnt(1)
	global_store_dword v[4:5], v59, off offset:124
	s_waitcnt vmcnt(1)
	global_store_dword v[64:65], v61, off
.LBB100_533:
	s_or_b64 exec, exec, s[12:13]
	v_mov_b32_e32 v59, v58
	v_mov_b32_e32 v61, v58
.LBB100_534:
	s_or_b64 exec, exec, s[2:3]
.LBB100_535:
	s_andn2_saveexec_b64 s[0:1], s[0:1]
	s_cbranch_execz .LBB100_537
; %bb.536:
	v_pk_mov_b32 v[64:65], v[16:17], v[32:33] op_sel:[1,0]
	ds_write2_b32 v57, v64, v65 offset0:32 offset1:33
	v_pk_mov_b32 v[64:65], v[32:33], v[26:27] op_sel:[1,0]
	ds_write2_b32 v57, v64, v65 offset0:34 offset1:35
	;; [unrolled: 2-line block ×8, first 2 shown]
	v_pk_mov_b32 v[64:65], v[0:1], v[12:13] op_sel:[1,0]
	v_mov_b32_e32 v61, 31
	ds_write2_b32 v57, v64, v65 offset0:48 offset1:49
	ds_write_b32 v57, v13 offset:200
.LBB100_537:
	s_or_b64 exec, exec, s[0:1]
	v_cmp_lt_i32_e32 vcc, 31, v61
	s_waitcnt lgkmcnt(0)
	s_barrier
	s_and_saveexec_b64 s[0:1], vcc
	s_cbranch_execz .LBB100_539
; %bb.538:
	ds_read_b32 v58, v57 offset:128
	ds_read2_b32 v[64:65], v57 offset0:33 offset1:34
	ds_read2_b32 v[66:67], v57 offset0:35 offset1:36
	v_mul_f32_e32 v16, v60, v16
	ds_read2_b32 v[68:69], v57 offset0:37 offset1:38
	s_waitcnt lgkmcnt(3)
	v_fma_f32 v17, -v16, v58, v17
	s_waitcnt lgkmcnt(2)
	v_pk_fma_f32 v[32:33], v[16:17], v[64:65], v[32:33] op_sel_hi:[0,1,1] neg_lo:[1,0,0] neg_hi:[1,0,0]
	ds_read2_b32 v[64:65], v57 offset0:39 offset1:40
	s_waitcnt lgkmcnt(2)
	v_pk_fma_f32 v[26:27], v[16:17], v[66:67], v[26:27] op_sel_hi:[0,1,1] neg_lo:[1,0,0] neg_hi:[1,0,0]
	s_waitcnt lgkmcnt(1)
	v_pk_fma_f32 v[18:19], v[16:17], v[68:69], v[18:19] op_sel_hi:[0,1,1] neg_lo:[1,0,0] neg_hi:[1,0,0]
	ds_read2_b32 v[66:67], v57 offset0:41 offset1:42
	ds_read2_b32 v[68:69], v57 offset0:43 offset1:44
	;; [unrolled: 1-line block ×3, first 2 shown]
	s_waitcnt lgkmcnt(3)
	v_pk_fma_f32 v[8:9], v[16:17], v[64:65], v[8:9] op_sel_hi:[0,1,1] neg_lo:[1,0,0] neg_hi:[1,0,0]
	ds_read2_b32 v[64:65], v57 offset0:47 offset1:48
	ds_read2_b32 v[72:73], v57 offset0:49 offset1:50
	s_waitcnt lgkmcnt(4)
	v_pk_fma_f32 v[20:21], v[16:17], v[66:67], v[20:21] op_sel_hi:[0,1,1] neg_lo:[1,0,0] neg_hi:[1,0,0]
	s_waitcnt lgkmcnt(3)
	v_pk_fma_f32 v[10:11], v[16:17], v[68:69], v[10:11] op_sel_hi:[0,1,1] neg_lo:[1,0,0] neg_hi:[1,0,0]
	;; [unrolled: 2-line block ×5, first 2 shown]
.LBB100_539:
	s_or_b64 exec, exec, s[0:1]
	v_lshl_add_u32 v58, v61, 2, v57
	s_barrier
	ds_write_b32 v58, v17
	s_waitcnt lgkmcnt(0)
	s_barrier
	ds_read_b32 v60, v57 offset:128
	s_cmp_lt_i32 s22, 34
	v_mov_b32_e32 v58, 32
	s_cbranch_scc1 .LBB100_542
; %bb.540:
	v_add_u32_e32 v63, 0x84, v57
	v_mov_b32_e32 v58, 32
	s_mov_b32 s0, 33
.LBB100_541:                            ; =>This Inner Loop Header: Depth=1
	ds_read_b32 v64, v63
	v_mov_b32_e32 v65, s0
	s_add_i32 s0, s0, 1
	v_add_u32_e32 v63, 4, v63
	s_cmp_lg_u32 s22, s0
	s_waitcnt lgkmcnt(0)
	v_cmp_lt_f32_e64 vcc, |v60|, |v64|
	s_nop 1
	v_cndmask_b32_e32 v60, v60, v64, vcc
	v_cndmask_b32_e32 v58, v58, v65, vcc
	s_cbranch_scc1 .LBB100_541
.LBB100_542:
	s_waitcnt lgkmcnt(0)
	v_cmp_eq_f32_e32 vcc, 0, v60
	s_and_saveexec_b64 s[0:1], vcc
	s_xor_b64 s[0:1], exec, s[0:1]
; %bb.543:
	v_cmp_ne_u32_e32 vcc, 0, v62
	s_nop 1
	v_cndmask_b32_e32 v62, 33, v62, vcc
; %bb.544:
	s_andn2_saveexec_b64 s[0:1], s[0:1]
	s_cbranch_execz .LBB100_546
; %bb.545:
	v_div_scale_f32 v63, s[2:3], v60, v60, 1.0
	v_rcp_f32_e32 v64, v63
	v_div_scale_f32 v65, vcc, 1.0, v60, 1.0
	v_fma_f32 v66, -v63, v64, 1.0
	v_fmac_f32_e32 v64, v66, v64
	v_mul_f32_e32 v66, v65, v64
	v_fma_f32 v67, -v63, v66, v65
	v_fmac_f32_e32 v66, v67, v64
	v_fma_f32 v63, -v63, v66, v65
	v_div_fmas_f32 v63, v63, v64, v66
	v_div_fixup_f32 v60, v63, v60, 1.0
.LBB100_546:
	s_or_b64 exec, exec, s[0:1]
	v_cmp_ne_u32_e32 vcc, v61, v58
	s_and_saveexec_b64 s[0:1], vcc
	s_xor_b64 s[0:1], exec, s[0:1]
	s_cbranch_execz .LBB100_552
; %bb.547:
	v_cmp_eq_u32_e32 vcc, 32, v61
	s_and_saveexec_b64 s[2:3], vcc
	s_cbranch_execz .LBB100_551
; %bb.548:
	v_cmp_ne_u32_e32 vcc, 32, v58
	s_xor_b64 s[12:13], s[20:21], -1
	s_and_b64 s[14:15], s[12:13], vcc
	s_and_saveexec_b64 s[12:13], s[14:15]
	s_cbranch_execz .LBB100_550
; %bb.549:
	v_ashrrev_i32_e32 v59, 31, v58
	v_lshl_add_u64 v[64:65], v[58:59], 2, v[4:5]
	global_load_dword v59, v[64:65], off
	global_load_dword v61, v[4:5], off offset:128
	s_waitcnt vmcnt(1)
	global_store_dword v[4:5], v59, off offset:128
	s_waitcnt vmcnt(1)
	global_store_dword v[64:65], v61, off
.LBB100_550:
	s_or_b64 exec, exec, s[12:13]
	v_mov_b32_e32 v59, v58
	v_mov_b32_e32 v61, v58
.LBB100_551:
	s_or_b64 exec, exec, s[2:3]
.LBB100_552:
	s_andn2_saveexec_b64 s[0:1], s[0:1]
	s_cbranch_execz .LBB100_554
; %bb.553:
	v_mov_b32_e32 v61, 32
	ds_write2_b32 v57, v32, v33 offset0:33 offset1:34
	ds_write2_b32 v57, v26, v27 offset0:35 offset1:36
	;; [unrolled: 1-line block ×9, first 2 shown]
.LBB100_554:
	s_or_b64 exec, exec, s[0:1]
	v_cmp_lt_i32_e32 vcc, 32, v61
	s_waitcnt lgkmcnt(0)
	s_barrier
	s_and_saveexec_b64 s[0:1], vcc
	s_cbranch_execz .LBB100_556
; %bb.555:
	ds_read2_b32 v[64:65], v57 offset0:33 offset1:34
	ds_read2_b32 v[66:67], v57 offset0:35 offset1:36
	;; [unrolled: 1-line block ×4, first 2 shown]
	v_mul_f32_e32 v58, v60, v17
	s_waitcnt lgkmcnt(3)
	v_pk_fma_f32 v[32:33], v[58:59], v[64:65], v[32:33] op_sel_hi:[0,1,1] neg_lo:[1,0,0] neg_hi:[1,0,0]
	s_waitcnt lgkmcnt(2)
	v_pk_fma_f32 v[26:27], v[58:59], v[66:67], v[26:27] op_sel_hi:[0,1,1] neg_lo:[1,0,0] neg_hi:[1,0,0]
	;; [unrolled: 2-line block ×4, first 2 shown]
	ds_read2_b32 v[64:65], v57 offset0:41 offset1:42
	ds_read2_b32 v[66:67], v57 offset0:43 offset1:44
	;; [unrolled: 1-line block ×5, first 2 shown]
	s_waitcnt lgkmcnt(4)
	v_pk_fma_f32 v[20:21], v[58:59], v[64:65], v[20:21] op_sel_hi:[0,1,1] neg_lo:[1,0,0] neg_hi:[1,0,0]
	s_waitcnt lgkmcnt(3)
	v_pk_fma_f32 v[10:11], v[58:59], v[66:67], v[10:11] op_sel_hi:[0,1,1] neg_lo:[1,0,0] neg_hi:[1,0,0]
	;; [unrolled: 2-line block ×5, first 2 shown]
	v_mov_b32_e32 v17, v58
.LBB100_556:
	s_or_b64 exec, exec, s[0:1]
	v_lshl_add_u32 v58, v61, 2, v57
	s_barrier
	ds_write_b32 v58, v32
	s_waitcnt lgkmcnt(0)
	s_barrier
	ds_read_b32 v60, v57 offset:132
	s_cmp_lt_i32 s22, 35
	v_mov_b32_e32 v58, 33
	s_cbranch_scc1 .LBB100_559
; %bb.557:
	v_add_u32_e32 v63, 0x88, v57
	v_mov_b32_e32 v58, 33
	s_mov_b32 s0, 34
.LBB100_558:                            ; =>This Inner Loop Header: Depth=1
	ds_read_b32 v64, v63
	v_mov_b32_e32 v65, s0
	s_add_i32 s0, s0, 1
	v_add_u32_e32 v63, 4, v63
	s_cmp_lg_u32 s22, s0
	s_waitcnt lgkmcnt(0)
	v_cmp_lt_f32_e64 vcc, |v60|, |v64|
	s_nop 1
	v_cndmask_b32_e32 v60, v60, v64, vcc
	v_cndmask_b32_e32 v58, v58, v65, vcc
	s_cbranch_scc1 .LBB100_558
.LBB100_559:
	s_waitcnt lgkmcnt(0)
	v_cmp_eq_f32_e32 vcc, 0, v60
	s_and_saveexec_b64 s[0:1], vcc
	s_xor_b64 s[0:1], exec, s[0:1]
; %bb.560:
	v_cmp_ne_u32_e32 vcc, 0, v62
	s_nop 1
	v_cndmask_b32_e32 v62, 34, v62, vcc
; %bb.561:
	s_andn2_saveexec_b64 s[0:1], s[0:1]
	s_cbranch_execz .LBB100_563
; %bb.562:
	v_div_scale_f32 v63, s[2:3], v60, v60, 1.0
	v_rcp_f32_e32 v64, v63
	v_div_scale_f32 v65, vcc, 1.0, v60, 1.0
	v_fma_f32 v66, -v63, v64, 1.0
	v_fmac_f32_e32 v64, v66, v64
	v_mul_f32_e32 v66, v65, v64
	v_fma_f32 v67, -v63, v66, v65
	v_fmac_f32_e32 v66, v67, v64
	v_fma_f32 v63, -v63, v66, v65
	v_div_fmas_f32 v63, v63, v64, v66
	v_div_fixup_f32 v60, v63, v60, 1.0
.LBB100_563:
	s_or_b64 exec, exec, s[0:1]
	v_cmp_ne_u32_e32 vcc, v61, v58
	s_and_saveexec_b64 s[0:1], vcc
	s_xor_b64 s[0:1], exec, s[0:1]
	s_cbranch_execz .LBB100_569
; %bb.564:
	v_cmp_eq_u32_e32 vcc, 33, v61
	s_and_saveexec_b64 s[2:3], vcc
	s_cbranch_execz .LBB100_568
; %bb.565:
	v_cmp_ne_u32_e32 vcc, 33, v58
	s_xor_b64 s[12:13], s[20:21], -1
	s_and_b64 s[14:15], s[12:13], vcc
	s_and_saveexec_b64 s[12:13], s[14:15]
	s_cbranch_execz .LBB100_567
; %bb.566:
	v_ashrrev_i32_e32 v59, 31, v58
	v_lshl_add_u64 v[64:65], v[58:59], 2, v[4:5]
	global_load_dword v59, v[64:65], off
	global_load_dword v61, v[4:5], off offset:132
	s_waitcnt vmcnt(1)
	global_store_dword v[4:5], v59, off offset:132
	s_waitcnt vmcnt(1)
	global_store_dword v[64:65], v61, off
.LBB100_567:
	s_or_b64 exec, exec, s[12:13]
	v_mov_b32_e32 v59, v58
	v_mov_b32_e32 v61, v58
.LBB100_568:
	s_or_b64 exec, exec, s[2:3]
.LBB100_569:
	s_andn2_saveexec_b64 s[0:1], s[0:1]
	s_cbranch_execz .LBB100_571
; %bb.570:
	v_pk_mov_b32 v[64:65], v[32:33], v[26:27] op_sel:[1,0]
	ds_write2_b32 v57, v64, v65 offset0:34 offset1:35
	v_pk_mov_b32 v[64:65], v[26:27], v[18:19] op_sel:[1,0]
	ds_write2_b32 v57, v64, v65 offset0:36 offset1:37
	;; [unrolled: 2-line block ×7, first 2 shown]
	v_pk_mov_b32 v[64:65], v[0:1], v[12:13] op_sel:[1,0]
	v_mov_b32_e32 v61, 33
	ds_write2_b32 v57, v64, v65 offset0:48 offset1:49
	ds_write_b32 v57, v13 offset:200
.LBB100_571:
	s_or_b64 exec, exec, s[0:1]
	v_cmp_lt_i32_e32 vcc, 33, v61
	s_waitcnt lgkmcnt(0)
	s_barrier
	s_and_saveexec_b64 s[0:1], vcc
	s_cbranch_execz .LBB100_573
; %bb.572:
	ds_read_b32 v58, v57 offset:136
	ds_read2_b32 v[64:65], v57 offset0:35 offset1:36
	ds_read2_b32 v[66:67], v57 offset0:37 offset1:38
	;; [unrolled: 1-line block ×3, first 2 shown]
	v_mul_f32_e32 v32, v60, v32
	s_waitcnt lgkmcnt(3)
	v_fma_f32 v33, -v32, v58, v33
	s_waitcnt lgkmcnt(2)
	v_pk_fma_f32 v[26:27], v[32:33], v[64:65], v[26:27] op_sel_hi:[0,1,1] neg_lo:[1,0,0] neg_hi:[1,0,0]
	s_waitcnt lgkmcnt(1)
	v_pk_fma_f32 v[18:19], v[32:33], v[66:67], v[18:19] op_sel_hi:[0,1,1] neg_lo:[1,0,0] neg_hi:[1,0,0]
	;; [unrolled: 2-line block ×3, first 2 shown]
	ds_read2_b32 v[64:65], v57 offset0:41 offset1:42
	ds_read2_b32 v[66:67], v57 offset0:43 offset1:44
	;; [unrolled: 1-line block ×5, first 2 shown]
	s_waitcnt lgkmcnt(4)
	v_pk_fma_f32 v[20:21], v[32:33], v[64:65], v[20:21] op_sel_hi:[0,1,1] neg_lo:[1,0,0] neg_hi:[1,0,0]
	s_waitcnt lgkmcnt(3)
	v_pk_fma_f32 v[10:11], v[32:33], v[66:67], v[10:11] op_sel_hi:[0,1,1] neg_lo:[1,0,0] neg_hi:[1,0,0]
	;; [unrolled: 2-line block ×5, first 2 shown]
.LBB100_573:
	s_or_b64 exec, exec, s[0:1]
	v_lshl_add_u32 v58, v61, 2, v57
	s_barrier
	ds_write_b32 v58, v33
	s_waitcnt lgkmcnt(0)
	s_barrier
	ds_read_b32 v60, v57 offset:136
	s_cmp_lt_i32 s22, 36
	v_mov_b32_e32 v58, 34
	s_cbranch_scc1 .LBB100_576
; %bb.574:
	v_add_u32_e32 v63, 0x8c, v57
	v_mov_b32_e32 v58, 34
	s_mov_b32 s0, 35
.LBB100_575:                            ; =>This Inner Loop Header: Depth=1
	ds_read_b32 v64, v63
	v_mov_b32_e32 v65, s0
	s_add_i32 s0, s0, 1
	v_add_u32_e32 v63, 4, v63
	s_cmp_lg_u32 s22, s0
	s_waitcnt lgkmcnt(0)
	v_cmp_lt_f32_e64 vcc, |v60|, |v64|
	s_nop 1
	v_cndmask_b32_e32 v60, v60, v64, vcc
	v_cndmask_b32_e32 v58, v58, v65, vcc
	s_cbranch_scc1 .LBB100_575
.LBB100_576:
	s_waitcnt lgkmcnt(0)
	v_cmp_eq_f32_e32 vcc, 0, v60
	s_and_saveexec_b64 s[0:1], vcc
	s_xor_b64 s[0:1], exec, s[0:1]
; %bb.577:
	v_cmp_ne_u32_e32 vcc, 0, v62
	s_nop 1
	v_cndmask_b32_e32 v62, 35, v62, vcc
; %bb.578:
	s_andn2_saveexec_b64 s[0:1], s[0:1]
	s_cbranch_execz .LBB100_580
; %bb.579:
	v_div_scale_f32 v63, s[2:3], v60, v60, 1.0
	v_rcp_f32_e32 v64, v63
	v_div_scale_f32 v65, vcc, 1.0, v60, 1.0
	v_fma_f32 v66, -v63, v64, 1.0
	v_fmac_f32_e32 v64, v66, v64
	v_mul_f32_e32 v66, v65, v64
	v_fma_f32 v67, -v63, v66, v65
	v_fmac_f32_e32 v66, v67, v64
	v_fma_f32 v63, -v63, v66, v65
	v_div_fmas_f32 v63, v63, v64, v66
	v_div_fixup_f32 v60, v63, v60, 1.0
.LBB100_580:
	s_or_b64 exec, exec, s[0:1]
	v_cmp_ne_u32_e32 vcc, v61, v58
	s_and_saveexec_b64 s[0:1], vcc
	s_xor_b64 s[0:1], exec, s[0:1]
	s_cbranch_execz .LBB100_586
; %bb.581:
	v_cmp_eq_u32_e32 vcc, 34, v61
	s_and_saveexec_b64 s[2:3], vcc
	s_cbranch_execz .LBB100_585
; %bb.582:
	v_cmp_ne_u32_e32 vcc, 34, v58
	s_xor_b64 s[12:13], s[20:21], -1
	s_and_b64 s[14:15], s[12:13], vcc
	s_and_saveexec_b64 s[12:13], s[14:15]
	s_cbranch_execz .LBB100_584
; %bb.583:
	v_ashrrev_i32_e32 v59, 31, v58
	v_lshl_add_u64 v[64:65], v[58:59], 2, v[4:5]
	global_load_dword v59, v[64:65], off
	global_load_dword v61, v[4:5], off offset:136
	s_waitcnt vmcnt(1)
	global_store_dword v[4:5], v59, off offset:136
	s_waitcnt vmcnt(1)
	global_store_dword v[64:65], v61, off
.LBB100_584:
	s_or_b64 exec, exec, s[12:13]
	v_mov_b32_e32 v59, v58
	v_mov_b32_e32 v61, v58
.LBB100_585:
	s_or_b64 exec, exec, s[2:3]
.LBB100_586:
	s_andn2_saveexec_b64 s[0:1], s[0:1]
	s_cbranch_execz .LBB100_588
; %bb.587:
	v_mov_b32_e32 v61, 34
	ds_write2_b32 v57, v26, v27 offset0:35 offset1:36
	ds_write2_b32 v57, v18, v19 offset0:37 offset1:38
	;; [unrolled: 1-line block ×8, first 2 shown]
.LBB100_588:
	s_or_b64 exec, exec, s[0:1]
	v_cmp_lt_i32_e32 vcc, 34, v61
	s_waitcnt lgkmcnt(0)
	s_barrier
	s_and_saveexec_b64 s[0:1], vcc
	s_cbranch_execz .LBB100_590
; %bb.589:
	ds_read2_b32 v[64:65], v57 offset0:35 offset1:36
	ds_read2_b32 v[66:67], v57 offset0:37 offset1:38
	;; [unrolled: 1-line block ×3, first 2 shown]
	v_mul_f32_e32 v58, v60, v33
	ds_read2_b32 v[70:71], v57 offset0:41 offset1:42
	s_waitcnt lgkmcnt(3)
	v_pk_fma_f32 v[26:27], v[58:59], v[64:65], v[26:27] op_sel_hi:[0,1,1] neg_lo:[1,0,0] neg_hi:[1,0,0]
	s_waitcnt lgkmcnt(2)
	v_pk_fma_f32 v[18:19], v[58:59], v[66:67], v[18:19] op_sel_hi:[0,1,1] neg_lo:[1,0,0] neg_hi:[1,0,0]
	;; [unrolled: 2-line block ×3, first 2 shown]
	ds_read2_b32 v[64:65], v57 offset0:43 offset1:44
	ds_read2_b32 v[66:67], v57 offset0:45 offset1:46
	ds_read2_b32 v[68:69], v57 offset0:47 offset1:48
	ds_read2_b32 v[72:73], v57 offset0:49 offset1:50
	s_waitcnt lgkmcnt(4)
	v_pk_fma_f32 v[20:21], v[58:59], v[70:71], v[20:21] op_sel_hi:[0,1,1] neg_lo:[1,0,0] neg_hi:[1,0,0]
	s_waitcnt lgkmcnt(3)
	v_pk_fma_f32 v[10:11], v[58:59], v[64:65], v[10:11] op_sel_hi:[0,1,1] neg_lo:[1,0,0] neg_hi:[1,0,0]
	;; [unrolled: 2-line block ×5, first 2 shown]
	v_mov_b32_e32 v33, v58
.LBB100_590:
	s_or_b64 exec, exec, s[0:1]
	v_lshl_add_u32 v58, v61, 2, v57
	s_barrier
	ds_write_b32 v58, v26
	s_waitcnt lgkmcnt(0)
	s_barrier
	ds_read_b32 v60, v57 offset:140
	s_cmp_lt_i32 s22, 37
	v_mov_b32_e32 v58, 35
	s_cbranch_scc1 .LBB100_593
; %bb.591:
	v_add_u32_e32 v63, 0x90, v57
	v_mov_b32_e32 v58, 35
	s_mov_b32 s0, 36
.LBB100_592:                            ; =>This Inner Loop Header: Depth=1
	ds_read_b32 v64, v63
	v_mov_b32_e32 v65, s0
	s_add_i32 s0, s0, 1
	v_add_u32_e32 v63, 4, v63
	s_cmp_lg_u32 s22, s0
	s_waitcnt lgkmcnt(0)
	v_cmp_lt_f32_e64 vcc, |v60|, |v64|
	s_nop 1
	v_cndmask_b32_e32 v60, v60, v64, vcc
	v_cndmask_b32_e32 v58, v58, v65, vcc
	s_cbranch_scc1 .LBB100_592
.LBB100_593:
	s_waitcnt lgkmcnt(0)
	v_cmp_eq_f32_e32 vcc, 0, v60
	s_and_saveexec_b64 s[0:1], vcc
	s_xor_b64 s[0:1], exec, s[0:1]
; %bb.594:
	v_cmp_ne_u32_e32 vcc, 0, v62
	s_nop 1
	v_cndmask_b32_e32 v62, 36, v62, vcc
; %bb.595:
	s_andn2_saveexec_b64 s[0:1], s[0:1]
	s_cbranch_execz .LBB100_597
; %bb.596:
	v_div_scale_f32 v63, s[2:3], v60, v60, 1.0
	v_rcp_f32_e32 v64, v63
	v_div_scale_f32 v65, vcc, 1.0, v60, 1.0
	v_fma_f32 v66, -v63, v64, 1.0
	v_fmac_f32_e32 v64, v66, v64
	v_mul_f32_e32 v66, v65, v64
	v_fma_f32 v67, -v63, v66, v65
	v_fmac_f32_e32 v66, v67, v64
	v_fma_f32 v63, -v63, v66, v65
	v_div_fmas_f32 v63, v63, v64, v66
	v_div_fixup_f32 v60, v63, v60, 1.0
.LBB100_597:
	s_or_b64 exec, exec, s[0:1]
	v_cmp_ne_u32_e32 vcc, v61, v58
	s_and_saveexec_b64 s[0:1], vcc
	s_xor_b64 s[0:1], exec, s[0:1]
	s_cbranch_execz .LBB100_603
; %bb.598:
	v_cmp_eq_u32_e32 vcc, 35, v61
	s_and_saveexec_b64 s[2:3], vcc
	s_cbranch_execz .LBB100_602
; %bb.599:
	v_cmp_ne_u32_e32 vcc, 35, v58
	s_xor_b64 s[12:13], s[20:21], -1
	s_and_b64 s[14:15], s[12:13], vcc
	s_and_saveexec_b64 s[12:13], s[14:15]
	s_cbranch_execz .LBB100_601
; %bb.600:
	v_ashrrev_i32_e32 v59, 31, v58
	v_lshl_add_u64 v[64:65], v[58:59], 2, v[4:5]
	global_load_dword v59, v[64:65], off
	global_load_dword v61, v[4:5], off offset:140
	s_waitcnt vmcnt(1)
	global_store_dword v[4:5], v59, off offset:140
	s_waitcnt vmcnt(1)
	global_store_dword v[64:65], v61, off
.LBB100_601:
	s_or_b64 exec, exec, s[12:13]
	v_mov_b32_e32 v59, v58
	v_mov_b32_e32 v61, v58
.LBB100_602:
	s_or_b64 exec, exec, s[2:3]
.LBB100_603:
	s_andn2_saveexec_b64 s[0:1], s[0:1]
	s_cbranch_execz .LBB100_605
; %bb.604:
	v_pk_mov_b32 v[64:65], v[26:27], v[18:19] op_sel:[1,0]
	ds_write2_b32 v57, v64, v65 offset0:36 offset1:37
	v_pk_mov_b32 v[64:65], v[18:19], v[8:9] op_sel:[1,0]
	ds_write2_b32 v57, v64, v65 offset0:38 offset1:39
	;; [unrolled: 2-line block ×6, first 2 shown]
	v_pk_mov_b32 v[64:65], v[0:1], v[12:13] op_sel:[1,0]
	v_mov_b32_e32 v61, 35
	ds_write2_b32 v57, v64, v65 offset0:48 offset1:49
	ds_write_b32 v57, v13 offset:200
.LBB100_605:
	s_or_b64 exec, exec, s[0:1]
	v_cmp_lt_i32_e32 vcc, 35, v61
	s_waitcnt lgkmcnt(0)
	s_barrier
	s_and_saveexec_b64 s[0:1], vcc
	s_cbranch_execz .LBB100_607
; %bb.606:
	ds_read_b32 v58, v57 offset:144
	ds_read2_b32 v[64:65], v57 offset0:37 offset1:38
	ds_read2_b32 v[66:67], v57 offset0:39 offset1:40
	v_mul_f32_e32 v26, v60, v26
	ds_read2_b32 v[68:69], v57 offset0:41 offset1:42
	s_waitcnt lgkmcnt(3)
	v_fma_f32 v27, -v26, v58, v27
	s_waitcnt lgkmcnt(2)
	v_pk_fma_f32 v[18:19], v[26:27], v[64:65], v[18:19] op_sel_hi:[0,1,1] neg_lo:[1,0,0] neg_hi:[1,0,0]
	s_waitcnt lgkmcnt(1)
	v_pk_fma_f32 v[8:9], v[26:27], v[66:67], v[8:9] op_sel_hi:[0,1,1] neg_lo:[1,0,0] neg_hi:[1,0,0]
	ds_read2_b32 v[64:65], v57 offset0:43 offset1:44
	ds_read2_b32 v[66:67], v57 offset0:45 offset1:46
	;; [unrolled: 1-line block ×4, first 2 shown]
	s_waitcnt lgkmcnt(4)
	v_pk_fma_f32 v[20:21], v[26:27], v[68:69], v[20:21] op_sel_hi:[0,1,1] neg_lo:[1,0,0] neg_hi:[1,0,0]
	s_waitcnt lgkmcnt(3)
	v_pk_fma_f32 v[10:11], v[26:27], v[64:65], v[10:11] op_sel_hi:[0,1,1] neg_lo:[1,0,0] neg_hi:[1,0,0]
	s_waitcnt lgkmcnt(2)
	v_pk_fma_f32 v[14:15], v[26:27], v[66:67], v[14:15] op_sel_hi:[0,1,1] neg_lo:[1,0,0] neg_hi:[1,0,0]
	s_waitcnt lgkmcnt(1)
	v_pk_fma_f32 v[0:1], v[26:27], v[70:71], v[0:1] op_sel_hi:[0,1,1] neg_lo:[1,0,0] neg_hi:[1,0,0]
	s_waitcnt lgkmcnt(0)
	v_pk_fma_f32 v[12:13], v[26:27], v[72:73], v[12:13] op_sel_hi:[0,1,1] neg_lo:[1,0,0] neg_hi:[1,0,0]
.LBB100_607:
	s_or_b64 exec, exec, s[0:1]
	v_lshl_add_u32 v58, v61, 2, v57
	s_barrier
	ds_write_b32 v58, v27
	s_waitcnt lgkmcnt(0)
	s_barrier
	ds_read_b32 v60, v57 offset:144
	s_cmp_lt_i32 s22, 38
	v_mov_b32_e32 v58, 36
	s_cbranch_scc1 .LBB100_610
; %bb.608:
	v_add_u32_e32 v63, 0x94, v57
	v_mov_b32_e32 v58, 36
	s_mov_b32 s0, 37
.LBB100_609:                            ; =>This Inner Loop Header: Depth=1
	ds_read_b32 v64, v63
	v_mov_b32_e32 v65, s0
	s_add_i32 s0, s0, 1
	v_add_u32_e32 v63, 4, v63
	s_cmp_lg_u32 s22, s0
	s_waitcnt lgkmcnt(0)
	v_cmp_lt_f32_e64 vcc, |v60|, |v64|
	s_nop 1
	v_cndmask_b32_e32 v60, v60, v64, vcc
	v_cndmask_b32_e32 v58, v58, v65, vcc
	s_cbranch_scc1 .LBB100_609
.LBB100_610:
	s_waitcnt lgkmcnt(0)
	v_cmp_eq_f32_e32 vcc, 0, v60
	s_and_saveexec_b64 s[0:1], vcc
	s_xor_b64 s[0:1], exec, s[0:1]
; %bb.611:
	v_cmp_ne_u32_e32 vcc, 0, v62
	s_nop 1
	v_cndmask_b32_e32 v62, 37, v62, vcc
; %bb.612:
	s_andn2_saveexec_b64 s[0:1], s[0:1]
	s_cbranch_execz .LBB100_614
; %bb.613:
	v_div_scale_f32 v63, s[2:3], v60, v60, 1.0
	v_rcp_f32_e32 v64, v63
	v_div_scale_f32 v65, vcc, 1.0, v60, 1.0
	v_fma_f32 v66, -v63, v64, 1.0
	v_fmac_f32_e32 v64, v66, v64
	v_mul_f32_e32 v66, v65, v64
	v_fma_f32 v67, -v63, v66, v65
	v_fmac_f32_e32 v66, v67, v64
	v_fma_f32 v63, -v63, v66, v65
	v_div_fmas_f32 v63, v63, v64, v66
	v_div_fixup_f32 v60, v63, v60, 1.0
.LBB100_614:
	s_or_b64 exec, exec, s[0:1]
	v_cmp_ne_u32_e32 vcc, v61, v58
	s_and_saveexec_b64 s[0:1], vcc
	s_xor_b64 s[0:1], exec, s[0:1]
	s_cbranch_execz .LBB100_620
; %bb.615:
	v_cmp_eq_u32_e32 vcc, 36, v61
	s_and_saveexec_b64 s[2:3], vcc
	s_cbranch_execz .LBB100_619
; %bb.616:
	v_cmp_ne_u32_e32 vcc, 36, v58
	s_xor_b64 s[12:13], s[20:21], -1
	s_and_b64 s[14:15], s[12:13], vcc
	s_and_saveexec_b64 s[12:13], s[14:15]
	s_cbranch_execz .LBB100_618
; %bb.617:
	v_ashrrev_i32_e32 v59, 31, v58
	v_lshl_add_u64 v[64:65], v[58:59], 2, v[4:5]
	global_load_dword v59, v[64:65], off
	global_load_dword v61, v[4:5], off offset:144
	s_waitcnt vmcnt(1)
	global_store_dword v[4:5], v59, off offset:144
	s_waitcnt vmcnt(1)
	global_store_dword v[64:65], v61, off
.LBB100_618:
	s_or_b64 exec, exec, s[12:13]
	v_mov_b32_e32 v59, v58
	v_mov_b32_e32 v61, v58
.LBB100_619:
	s_or_b64 exec, exec, s[2:3]
.LBB100_620:
	s_andn2_saveexec_b64 s[0:1], s[0:1]
	s_cbranch_execz .LBB100_622
; %bb.621:
	v_mov_b32_e32 v61, 36
	ds_write2_b32 v57, v18, v19 offset0:37 offset1:38
	ds_write2_b32 v57, v8, v9 offset0:39 offset1:40
	;; [unrolled: 1-line block ×7, first 2 shown]
.LBB100_622:
	s_or_b64 exec, exec, s[0:1]
	v_cmp_lt_i32_e32 vcc, 36, v61
	s_waitcnt lgkmcnt(0)
	s_barrier
	s_and_saveexec_b64 s[0:1], vcc
	s_cbranch_execz .LBB100_624
; %bb.623:
	ds_read2_b32 v[64:65], v57 offset0:37 offset1:38
	ds_read2_b32 v[66:67], v57 offset0:39 offset1:40
	v_mul_f32_e32 v58, v60, v27
	ds_read2_b32 v[68:69], v57 offset0:41 offset1:42
	ds_read2_b32 v[70:71], v57 offset0:43 offset1:44
	v_mov_b32_e32 v27, v58
	s_waitcnt lgkmcnt(3)
	v_pk_fma_f32 v[18:19], v[58:59], v[64:65], v[18:19] op_sel_hi:[0,1,1] neg_lo:[1,0,0] neg_hi:[1,0,0]
	s_waitcnt lgkmcnt(2)
	v_pk_fma_f32 v[8:9], v[58:59], v[66:67], v[8:9] op_sel_hi:[0,1,1] neg_lo:[1,0,0] neg_hi:[1,0,0]
	ds_read2_b32 v[64:65], v57 offset0:45 offset1:46
	ds_read2_b32 v[66:67], v57 offset0:47 offset1:48
	;; [unrolled: 1-line block ×3, first 2 shown]
	s_waitcnt lgkmcnt(4)
	v_pk_fma_f32 v[20:21], v[58:59], v[68:69], v[20:21] op_sel_hi:[0,1,1] neg_lo:[1,0,0] neg_hi:[1,0,0]
	s_waitcnt lgkmcnt(3)
	v_pk_fma_f32 v[10:11], v[58:59], v[70:71], v[10:11] op_sel_hi:[0,1,1] neg_lo:[1,0,0] neg_hi:[1,0,0]
	;; [unrolled: 2-line block ×5, first 2 shown]
.LBB100_624:
	s_or_b64 exec, exec, s[0:1]
	v_lshl_add_u32 v58, v61, 2, v57
	s_barrier
	ds_write_b32 v58, v18
	s_waitcnt lgkmcnt(0)
	s_barrier
	ds_read_b32 v60, v57 offset:148
	s_cmp_lt_i32 s22, 39
	v_mov_b32_e32 v58, 37
	s_cbranch_scc1 .LBB100_627
; %bb.625:
	v_add_u32_e32 v63, 0x98, v57
	v_mov_b32_e32 v58, 37
	s_mov_b32 s0, 38
.LBB100_626:                            ; =>This Inner Loop Header: Depth=1
	ds_read_b32 v64, v63
	v_mov_b32_e32 v65, s0
	s_add_i32 s0, s0, 1
	v_add_u32_e32 v63, 4, v63
	s_cmp_lg_u32 s22, s0
	s_waitcnt lgkmcnt(0)
	v_cmp_lt_f32_e64 vcc, |v60|, |v64|
	s_nop 1
	v_cndmask_b32_e32 v60, v60, v64, vcc
	v_cndmask_b32_e32 v58, v58, v65, vcc
	s_cbranch_scc1 .LBB100_626
.LBB100_627:
	s_waitcnt lgkmcnt(0)
	v_cmp_eq_f32_e32 vcc, 0, v60
	s_and_saveexec_b64 s[0:1], vcc
	s_xor_b64 s[0:1], exec, s[0:1]
; %bb.628:
	v_cmp_ne_u32_e32 vcc, 0, v62
	s_nop 1
	v_cndmask_b32_e32 v62, 38, v62, vcc
; %bb.629:
	s_andn2_saveexec_b64 s[0:1], s[0:1]
	s_cbranch_execz .LBB100_631
; %bb.630:
	v_div_scale_f32 v63, s[2:3], v60, v60, 1.0
	v_rcp_f32_e32 v64, v63
	v_div_scale_f32 v65, vcc, 1.0, v60, 1.0
	v_fma_f32 v66, -v63, v64, 1.0
	v_fmac_f32_e32 v64, v66, v64
	v_mul_f32_e32 v66, v65, v64
	v_fma_f32 v67, -v63, v66, v65
	v_fmac_f32_e32 v66, v67, v64
	v_fma_f32 v63, -v63, v66, v65
	v_div_fmas_f32 v63, v63, v64, v66
	v_div_fixup_f32 v60, v63, v60, 1.0
.LBB100_631:
	s_or_b64 exec, exec, s[0:1]
	v_cmp_ne_u32_e32 vcc, v61, v58
	s_and_saveexec_b64 s[0:1], vcc
	s_xor_b64 s[0:1], exec, s[0:1]
	s_cbranch_execz .LBB100_637
; %bb.632:
	v_cmp_eq_u32_e32 vcc, 37, v61
	s_and_saveexec_b64 s[2:3], vcc
	s_cbranch_execz .LBB100_636
; %bb.633:
	v_cmp_ne_u32_e32 vcc, 37, v58
	s_xor_b64 s[12:13], s[20:21], -1
	s_and_b64 s[14:15], s[12:13], vcc
	s_and_saveexec_b64 s[12:13], s[14:15]
	s_cbranch_execz .LBB100_635
; %bb.634:
	v_ashrrev_i32_e32 v59, 31, v58
	v_lshl_add_u64 v[64:65], v[58:59], 2, v[4:5]
	global_load_dword v59, v[64:65], off
	global_load_dword v61, v[4:5], off offset:148
	s_waitcnt vmcnt(1)
	global_store_dword v[4:5], v59, off offset:148
	s_waitcnt vmcnt(1)
	global_store_dword v[64:65], v61, off
.LBB100_635:
	s_or_b64 exec, exec, s[12:13]
	v_mov_b32_e32 v59, v58
	v_mov_b32_e32 v61, v58
.LBB100_636:
	s_or_b64 exec, exec, s[2:3]
.LBB100_637:
	s_andn2_saveexec_b64 s[0:1], s[0:1]
	s_cbranch_execz .LBB100_639
; %bb.638:
	v_pk_mov_b32 v[64:65], v[18:19], v[8:9] op_sel:[1,0]
	ds_write2_b32 v57, v64, v65 offset0:38 offset1:39
	v_pk_mov_b32 v[64:65], v[8:9], v[20:21] op_sel:[1,0]
	ds_write2_b32 v57, v64, v65 offset0:40 offset1:41
	;; [unrolled: 2-line block ×5, first 2 shown]
	v_pk_mov_b32 v[64:65], v[0:1], v[12:13] op_sel:[1,0]
	v_mov_b32_e32 v61, 37
	ds_write2_b32 v57, v64, v65 offset0:48 offset1:49
	ds_write_b32 v57, v13 offset:200
.LBB100_639:
	s_or_b64 exec, exec, s[0:1]
	v_cmp_lt_i32_e32 vcc, 37, v61
	s_waitcnt lgkmcnt(0)
	s_barrier
	s_and_saveexec_b64 s[0:1], vcc
	s_cbranch_execz .LBB100_641
; %bb.640:
	ds_read_b32 v58, v57 offset:152
	ds_read2_b32 v[64:65], v57 offset0:39 offset1:40
	v_mul_f32_e32 v18, v60, v18
	ds_read2_b32 v[66:67], v57 offset0:41 offset1:42
	ds_read2_b32 v[68:69], v57 offset0:43 offset1:44
	s_waitcnt lgkmcnt(3)
	v_fma_f32 v19, -v18, v58, v19
	s_waitcnt lgkmcnt(2)
	v_pk_fma_f32 v[8:9], v[18:19], v[64:65], v[8:9] op_sel_hi:[0,1,1] neg_lo:[1,0,0] neg_hi:[1,0,0]
	ds_read2_b32 v[64:65], v57 offset0:45 offset1:46
	ds_read2_b32 v[70:71], v57 offset0:47 offset1:48
	;; [unrolled: 1-line block ×3, first 2 shown]
	s_waitcnt lgkmcnt(4)
	v_pk_fma_f32 v[20:21], v[18:19], v[66:67], v[20:21] op_sel_hi:[0,1,1] neg_lo:[1,0,0] neg_hi:[1,0,0]
	s_waitcnt lgkmcnt(3)
	v_pk_fma_f32 v[10:11], v[18:19], v[68:69], v[10:11] op_sel_hi:[0,1,1] neg_lo:[1,0,0] neg_hi:[1,0,0]
	;; [unrolled: 2-line block ×5, first 2 shown]
.LBB100_641:
	s_or_b64 exec, exec, s[0:1]
	v_lshl_add_u32 v58, v61, 2, v57
	s_barrier
	ds_write_b32 v58, v19
	s_waitcnt lgkmcnt(0)
	s_barrier
	ds_read_b32 v60, v57 offset:152
	s_cmp_lt_i32 s22, 40
	v_mov_b32_e32 v58, 38
	s_cbranch_scc1 .LBB100_644
; %bb.642:
	v_add_u32_e32 v63, 0x9c, v57
	v_mov_b32_e32 v58, 38
	s_mov_b32 s0, 39
.LBB100_643:                            ; =>This Inner Loop Header: Depth=1
	ds_read_b32 v64, v63
	v_mov_b32_e32 v65, s0
	s_add_i32 s0, s0, 1
	v_add_u32_e32 v63, 4, v63
	s_cmp_lg_u32 s22, s0
	s_waitcnt lgkmcnt(0)
	v_cmp_lt_f32_e64 vcc, |v60|, |v64|
	s_nop 1
	v_cndmask_b32_e32 v60, v60, v64, vcc
	v_cndmask_b32_e32 v58, v58, v65, vcc
	s_cbranch_scc1 .LBB100_643
.LBB100_644:
	s_waitcnt lgkmcnt(0)
	v_cmp_eq_f32_e32 vcc, 0, v60
	s_and_saveexec_b64 s[0:1], vcc
	s_xor_b64 s[0:1], exec, s[0:1]
; %bb.645:
	v_cmp_ne_u32_e32 vcc, 0, v62
	s_nop 1
	v_cndmask_b32_e32 v62, 39, v62, vcc
; %bb.646:
	s_andn2_saveexec_b64 s[0:1], s[0:1]
	s_cbranch_execz .LBB100_648
; %bb.647:
	v_div_scale_f32 v63, s[2:3], v60, v60, 1.0
	v_rcp_f32_e32 v64, v63
	v_div_scale_f32 v65, vcc, 1.0, v60, 1.0
	v_fma_f32 v66, -v63, v64, 1.0
	v_fmac_f32_e32 v64, v66, v64
	v_mul_f32_e32 v66, v65, v64
	v_fma_f32 v67, -v63, v66, v65
	v_fmac_f32_e32 v66, v67, v64
	v_fma_f32 v63, -v63, v66, v65
	v_div_fmas_f32 v63, v63, v64, v66
	v_div_fixup_f32 v60, v63, v60, 1.0
.LBB100_648:
	s_or_b64 exec, exec, s[0:1]
	v_cmp_ne_u32_e32 vcc, v61, v58
	s_and_saveexec_b64 s[0:1], vcc
	s_xor_b64 s[0:1], exec, s[0:1]
	s_cbranch_execz .LBB100_654
; %bb.649:
	v_cmp_eq_u32_e32 vcc, 38, v61
	s_and_saveexec_b64 s[2:3], vcc
	s_cbranch_execz .LBB100_653
; %bb.650:
	v_cmp_ne_u32_e32 vcc, 38, v58
	s_xor_b64 s[12:13], s[20:21], -1
	s_and_b64 s[14:15], s[12:13], vcc
	s_and_saveexec_b64 s[12:13], s[14:15]
	s_cbranch_execz .LBB100_652
; %bb.651:
	v_ashrrev_i32_e32 v59, 31, v58
	v_lshl_add_u64 v[64:65], v[58:59], 2, v[4:5]
	global_load_dword v59, v[64:65], off
	global_load_dword v61, v[4:5], off offset:152
	s_waitcnt vmcnt(1)
	global_store_dword v[4:5], v59, off offset:152
	s_waitcnt vmcnt(1)
	global_store_dword v[64:65], v61, off
.LBB100_652:
	s_or_b64 exec, exec, s[12:13]
	v_mov_b32_e32 v59, v58
	v_mov_b32_e32 v61, v58
.LBB100_653:
	s_or_b64 exec, exec, s[2:3]
.LBB100_654:
	s_andn2_saveexec_b64 s[0:1], s[0:1]
	s_cbranch_execz .LBB100_656
; %bb.655:
	v_mov_b32_e32 v61, 38
	ds_write2_b32 v57, v8, v9 offset0:39 offset1:40
	ds_write2_b32 v57, v20, v21 offset0:41 offset1:42
	;; [unrolled: 1-line block ×6, first 2 shown]
.LBB100_656:
	s_or_b64 exec, exec, s[0:1]
	v_cmp_lt_i32_e32 vcc, 38, v61
	s_waitcnt lgkmcnt(0)
	s_barrier
	s_and_saveexec_b64 s[0:1], vcc
	s_cbranch_execz .LBB100_658
; %bb.657:
	ds_read2_b32 v[64:65], v57 offset0:39 offset1:40
	v_mul_f32_e32 v58, v60, v19
	ds_read2_b32 v[66:67], v57 offset0:41 offset1:42
	ds_read2_b32 v[68:69], v57 offset0:43 offset1:44
	;; [unrolled: 1-line block ×3, first 2 shown]
	v_mov_b32_e32 v19, v58
	s_waitcnt lgkmcnt(2)
	v_pk_fma_f32 v[20:21], v[58:59], v[66:67], v[20:21] op_sel_hi:[0,1,1] neg_lo:[1,0,0] neg_hi:[1,0,0]
	v_pk_fma_f32 v[8:9], v[58:59], v[64:65], v[8:9] op_sel_hi:[0,1,1] neg_lo:[1,0,0] neg_hi:[1,0,0]
	ds_read2_b32 v[64:65], v57 offset0:47 offset1:48
	ds_read2_b32 v[72:73], v57 offset0:49 offset1:50
	s_waitcnt lgkmcnt(3)
	v_pk_fma_f32 v[10:11], v[58:59], v[68:69], v[10:11] op_sel_hi:[0,1,1] neg_lo:[1,0,0] neg_hi:[1,0,0]
	s_waitcnt lgkmcnt(2)
	v_pk_fma_f32 v[14:15], v[58:59], v[70:71], v[14:15] op_sel_hi:[0,1,1] neg_lo:[1,0,0] neg_hi:[1,0,0]
	;; [unrolled: 2-line block ×4, first 2 shown]
.LBB100_658:
	s_or_b64 exec, exec, s[0:1]
	v_lshl_add_u32 v58, v61, 2, v57
	s_barrier
	ds_write_b32 v58, v8
	s_waitcnt lgkmcnt(0)
	s_barrier
	ds_read_b32 v60, v57 offset:156
	s_cmp_lt_i32 s22, 41
	v_mov_b32_e32 v58, 39
	s_cbranch_scc1 .LBB100_661
; %bb.659:
	v_add_u32_e32 v63, 0xa0, v57
	v_mov_b32_e32 v58, 39
	s_mov_b32 s0, 40
.LBB100_660:                            ; =>This Inner Loop Header: Depth=1
	ds_read_b32 v64, v63
	v_mov_b32_e32 v65, s0
	s_add_i32 s0, s0, 1
	v_add_u32_e32 v63, 4, v63
	s_cmp_lg_u32 s22, s0
	s_waitcnt lgkmcnt(0)
	v_cmp_lt_f32_e64 vcc, |v60|, |v64|
	s_nop 1
	v_cndmask_b32_e32 v60, v60, v64, vcc
	v_cndmask_b32_e32 v58, v58, v65, vcc
	s_cbranch_scc1 .LBB100_660
.LBB100_661:
	s_waitcnt lgkmcnt(0)
	v_cmp_eq_f32_e32 vcc, 0, v60
	s_and_saveexec_b64 s[0:1], vcc
	s_xor_b64 s[0:1], exec, s[0:1]
; %bb.662:
	v_cmp_ne_u32_e32 vcc, 0, v62
	s_nop 1
	v_cndmask_b32_e32 v62, 40, v62, vcc
; %bb.663:
	s_andn2_saveexec_b64 s[0:1], s[0:1]
	s_cbranch_execz .LBB100_665
; %bb.664:
	v_div_scale_f32 v63, s[2:3], v60, v60, 1.0
	v_rcp_f32_e32 v64, v63
	v_div_scale_f32 v65, vcc, 1.0, v60, 1.0
	v_fma_f32 v66, -v63, v64, 1.0
	v_fmac_f32_e32 v64, v66, v64
	v_mul_f32_e32 v66, v65, v64
	v_fma_f32 v67, -v63, v66, v65
	v_fmac_f32_e32 v66, v67, v64
	v_fma_f32 v63, -v63, v66, v65
	v_div_fmas_f32 v63, v63, v64, v66
	v_div_fixup_f32 v60, v63, v60, 1.0
.LBB100_665:
	s_or_b64 exec, exec, s[0:1]
	v_cmp_ne_u32_e32 vcc, v61, v58
	s_and_saveexec_b64 s[0:1], vcc
	s_xor_b64 s[0:1], exec, s[0:1]
	s_cbranch_execz .LBB100_671
; %bb.666:
	v_cmp_eq_u32_e32 vcc, 39, v61
	s_and_saveexec_b64 s[2:3], vcc
	s_cbranch_execz .LBB100_670
; %bb.667:
	v_cmp_ne_u32_e32 vcc, 39, v58
	s_xor_b64 s[12:13], s[20:21], -1
	s_and_b64 s[14:15], s[12:13], vcc
	s_and_saveexec_b64 s[12:13], s[14:15]
	s_cbranch_execz .LBB100_669
; %bb.668:
	v_ashrrev_i32_e32 v59, 31, v58
	v_lshl_add_u64 v[64:65], v[58:59], 2, v[4:5]
	global_load_dword v59, v[64:65], off
	global_load_dword v61, v[4:5], off offset:156
	s_waitcnt vmcnt(1)
	global_store_dword v[4:5], v59, off offset:156
	s_waitcnt vmcnt(1)
	global_store_dword v[64:65], v61, off
.LBB100_669:
	s_or_b64 exec, exec, s[12:13]
	v_mov_b32_e32 v59, v58
	v_mov_b32_e32 v61, v58
.LBB100_670:
	s_or_b64 exec, exec, s[2:3]
.LBB100_671:
	s_andn2_saveexec_b64 s[0:1], s[0:1]
	s_cbranch_execz .LBB100_673
; %bb.672:
	v_pk_mov_b32 v[64:65], v[8:9], v[20:21] op_sel:[1,0]
	ds_write2_b32 v57, v64, v65 offset0:40 offset1:41
	v_pk_mov_b32 v[64:65], v[20:21], v[10:11] op_sel:[1,0]
	ds_write2_b32 v57, v64, v65 offset0:42 offset1:43
	;; [unrolled: 2-line block ×4, first 2 shown]
	v_pk_mov_b32 v[64:65], v[0:1], v[12:13] op_sel:[1,0]
	v_mov_b32_e32 v61, 39
	ds_write2_b32 v57, v64, v65 offset0:48 offset1:49
	ds_write_b32 v57, v13 offset:200
.LBB100_673:
	s_or_b64 exec, exec, s[0:1]
	v_cmp_lt_i32_e32 vcc, 39, v61
	s_waitcnt lgkmcnt(0)
	s_barrier
	s_and_saveexec_b64 s[0:1], vcc
	s_cbranch_execz .LBB100_675
; %bb.674:
	ds_read_b32 v58, v57 offset:160
	ds_read2_b32 v[64:65], v57 offset0:41 offset1:42
	ds_read2_b32 v[66:67], v57 offset0:43 offset1:44
	;; [unrolled: 1-line block ×5, first 2 shown]
	v_mul_f32_e32 v8, v60, v8
	s_waitcnt lgkmcnt(5)
	v_fma_f32 v9, -v8, v58, v9
	s_waitcnt lgkmcnt(4)
	v_pk_fma_f32 v[20:21], v[8:9], v[64:65], v[20:21] op_sel_hi:[0,1,1] neg_lo:[1,0,0] neg_hi:[1,0,0]
	s_waitcnt lgkmcnt(3)
	v_pk_fma_f32 v[10:11], v[8:9], v[66:67], v[10:11] op_sel_hi:[0,1,1] neg_lo:[1,0,0] neg_hi:[1,0,0]
	;; [unrolled: 2-line block ×5, first 2 shown]
.LBB100_675:
	s_or_b64 exec, exec, s[0:1]
	v_lshl_add_u32 v58, v61, 2, v57
	s_barrier
	ds_write_b32 v58, v9
	s_waitcnt lgkmcnt(0)
	s_barrier
	ds_read_b32 v60, v57 offset:160
	s_cmp_lt_i32 s22, 42
	v_mov_b32_e32 v58, 40
	s_cbranch_scc1 .LBB100_678
; %bb.676:
	v_add_u32_e32 v63, 0xa4, v57
	v_mov_b32_e32 v58, 40
	s_mov_b32 s0, 41
.LBB100_677:                            ; =>This Inner Loop Header: Depth=1
	ds_read_b32 v64, v63
	v_mov_b32_e32 v65, s0
	s_add_i32 s0, s0, 1
	v_add_u32_e32 v63, 4, v63
	s_cmp_lg_u32 s22, s0
	s_waitcnt lgkmcnt(0)
	v_cmp_lt_f32_e64 vcc, |v60|, |v64|
	s_nop 1
	v_cndmask_b32_e32 v60, v60, v64, vcc
	v_cndmask_b32_e32 v58, v58, v65, vcc
	s_cbranch_scc1 .LBB100_677
.LBB100_678:
	s_waitcnt lgkmcnt(0)
	v_cmp_eq_f32_e32 vcc, 0, v60
	s_and_saveexec_b64 s[0:1], vcc
	s_xor_b64 s[0:1], exec, s[0:1]
; %bb.679:
	v_cmp_ne_u32_e32 vcc, 0, v62
	s_nop 1
	v_cndmask_b32_e32 v62, 41, v62, vcc
; %bb.680:
	s_andn2_saveexec_b64 s[0:1], s[0:1]
	s_cbranch_execz .LBB100_682
; %bb.681:
	v_div_scale_f32 v63, s[2:3], v60, v60, 1.0
	v_rcp_f32_e32 v64, v63
	v_div_scale_f32 v65, vcc, 1.0, v60, 1.0
	v_fma_f32 v66, -v63, v64, 1.0
	v_fmac_f32_e32 v64, v66, v64
	v_mul_f32_e32 v66, v65, v64
	v_fma_f32 v67, -v63, v66, v65
	v_fmac_f32_e32 v66, v67, v64
	v_fma_f32 v63, -v63, v66, v65
	v_div_fmas_f32 v63, v63, v64, v66
	v_div_fixup_f32 v60, v63, v60, 1.0
.LBB100_682:
	s_or_b64 exec, exec, s[0:1]
	v_cmp_ne_u32_e32 vcc, v61, v58
	s_and_saveexec_b64 s[0:1], vcc
	s_xor_b64 s[0:1], exec, s[0:1]
	s_cbranch_execz .LBB100_688
; %bb.683:
	v_cmp_eq_u32_e32 vcc, 40, v61
	s_and_saveexec_b64 s[2:3], vcc
	s_cbranch_execz .LBB100_687
; %bb.684:
	v_cmp_ne_u32_e32 vcc, 40, v58
	s_xor_b64 s[12:13], s[20:21], -1
	s_and_b64 s[14:15], s[12:13], vcc
	s_and_saveexec_b64 s[12:13], s[14:15]
	s_cbranch_execz .LBB100_686
; %bb.685:
	v_ashrrev_i32_e32 v59, 31, v58
	v_lshl_add_u64 v[64:65], v[58:59], 2, v[4:5]
	global_load_dword v59, v[64:65], off
	global_load_dword v61, v[4:5], off offset:160
	s_waitcnt vmcnt(1)
	global_store_dword v[4:5], v59, off offset:160
	s_waitcnt vmcnt(1)
	global_store_dword v[64:65], v61, off
.LBB100_686:
	s_or_b64 exec, exec, s[12:13]
	v_mov_b32_e32 v59, v58
	v_mov_b32_e32 v61, v58
.LBB100_687:
	s_or_b64 exec, exec, s[2:3]
.LBB100_688:
	s_andn2_saveexec_b64 s[0:1], s[0:1]
	s_cbranch_execz .LBB100_690
; %bb.689:
	v_mov_b32_e32 v61, 40
	ds_write2_b32 v57, v20, v21 offset0:41 offset1:42
	ds_write2_b32 v57, v10, v11 offset0:43 offset1:44
	ds_write2_b32 v57, v14, v15 offset0:45 offset1:46
	ds_write2_b32 v57, v0, v1 offset0:47 offset1:48
	ds_write2_b32 v57, v12, v13 offset0:49 offset1:50
.LBB100_690:
	s_or_b64 exec, exec, s[0:1]
	v_cmp_lt_i32_e32 vcc, 40, v61
	s_waitcnt lgkmcnt(0)
	s_barrier
	s_and_saveexec_b64 s[0:1], vcc
	s_cbranch_execz .LBB100_692
; %bb.691:
	ds_read2_b32 v[64:65], v57 offset0:41 offset1:42
	ds_read2_b32 v[66:67], v57 offset0:43 offset1:44
	;; [unrolled: 1-line block ×5, first 2 shown]
	v_mul_f32_e32 v58, v60, v9
	s_waitcnt lgkmcnt(4)
	v_pk_fma_f32 v[20:21], v[58:59], v[64:65], v[20:21] op_sel_hi:[0,1,1] neg_lo:[1,0,0] neg_hi:[1,0,0]
	s_waitcnt lgkmcnt(3)
	v_pk_fma_f32 v[10:11], v[58:59], v[66:67], v[10:11] op_sel_hi:[0,1,1] neg_lo:[1,0,0] neg_hi:[1,0,0]
	;; [unrolled: 2-line block ×5, first 2 shown]
	v_mov_b32_e32 v9, v58
.LBB100_692:
	s_or_b64 exec, exec, s[0:1]
	v_lshl_add_u32 v58, v61, 2, v57
	s_barrier
	ds_write_b32 v58, v20
	s_waitcnt lgkmcnt(0)
	s_barrier
	ds_read_b32 v60, v57 offset:164
	s_cmp_lt_i32 s22, 43
	v_mov_b32_e32 v58, 41
	s_cbranch_scc1 .LBB100_695
; %bb.693:
	v_add_u32_e32 v63, 0xa8, v57
	v_mov_b32_e32 v58, 41
	s_mov_b32 s0, 42
.LBB100_694:                            ; =>This Inner Loop Header: Depth=1
	ds_read_b32 v64, v63
	v_mov_b32_e32 v65, s0
	s_add_i32 s0, s0, 1
	v_add_u32_e32 v63, 4, v63
	s_cmp_lg_u32 s22, s0
	s_waitcnt lgkmcnt(0)
	v_cmp_lt_f32_e64 vcc, |v60|, |v64|
	s_nop 1
	v_cndmask_b32_e32 v60, v60, v64, vcc
	v_cndmask_b32_e32 v58, v58, v65, vcc
	s_cbranch_scc1 .LBB100_694
.LBB100_695:
	s_waitcnt lgkmcnt(0)
	v_cmp_eq_f32_e32 vcc, 0, v60
	s_and_saveexec_b64 s[0:1], vcc
	s_xor_b64 s[0:1], exec, s[0:1]
; %bb.696:
	v_cmp_ne_u32_e32 vcc, 0, v62
	s_nop 1
	v_cndmask_b32_e32 v62, 42, v62, vcc
; %bb.697:
	s_andn2_saveexec_b64 s[0:1], s[0:1]
	s_cbranch_execz .LBB100_699
; %bb.698:
	v_div_scale_f32 v63, s[2:3], v60, v60, 1.0
	v_rcp_f32_e32 v64, v63
	v_div_scale_f32 v65, vcc, 1.0, v60, 1.0
	v_fma_f32 v66, -v63, v64, 1.0
	v_fmac_f32_e32 v64, v66, v64
	v_mul_f32_e32 v66, v65, v64
	v_fma_f32 v67, -v63, v66, v65
	v_fmac_f32_e32 v66, v67, v64
	v_fma_f32 v63, -v63, v66, v65
	v_div_fmas_f32 v63, v63, v64, v66
	v_div_fixup_f32 v60, v63, v60, 1.0
.LBB100_699:
	s_or_b64 exec, exec, s[0:1]
	v_cmp_ne_u32_e32 vcc, v61, v58
	s_and_saveexec_b64 s[0:1], vcc
	s_xor_b64 s[0:1], exec, s[0:1]
	s_cbranch_execz .LBB100_705
; %bb.700:
	v_cmp_eq_u32_e32 vcc, 41, v61
	s_and_saveexec_b64 s[2:3], vcc
	s_cbranch_execz .LBB100_704
; %bb.701:
	v_cmp_ne_u32_e32 vcc, 41, v58
	s_xor_b64 s[12:13], s[20:21], -1
	s_and_b64 s[14:15], s[12:13], vcc
	s_and_saveexec_b64 s[12:13], s[14:15]
	s_cbranch_execz .LBB100_703
; %bb.702:
	v_ashrrev_i32_e32 v59, 31, v58
	v_lshl_add_u64 v[64:65], v[58:59], 2, v[4:5]
	global_load_dword v59, v[64:65], off
	global_load_dword v61, v[4:5], off offset:164
	s_waitcnt vmcnt(1)
	global_store_dword v[4:5], v59, off offset:164
	s_waitcnt vmcnt(1)
	global_store_dword v[64:65], v61, off
.LBB100_703:
	s_or_b64 exec, exec, s[12:13]
	v_mov_b32_e32 v59, v58
	v_mov_b32_e32 v61, v58
.LBB100_704:
	s_or_b64 exec, exec, s[2:3]
.LBB100_705:
	s_andn2_saveexec_b64 s[0:1], s[0:1]
	s_cbranch_execz .LBB100_707
; %bb.706:
	v_pk_mov_b32 v[64:65], v[20:21], v[10:11] op_sel:[1,0]
	ds_write2_b32 v57, v64, v65 offset0:42 offset1:43
	v_pk_mov_b32 v[64:65], v[10:11], v[14:15] op_sel:[1,0]
	ds_write2_b32 v57, v64, v65 offset0:44 offset1:45
	;; [unrolled: 2-line block ×3, first 2 shown]
	v_pk_mov_b32 v[64:65], v[0:1], v[12:13] op_sel:[1,0]
	v_mov_b32_e32 v61, 41
	ds_write2_b32 v57, v64, v65 offset0:48 offset1:49
	ds_write_b32 v57, v13 offset:200
.LBB100_707:
	s_or_b64 exec, exec, s[0:1]
	v_cmp_lt_i32_e32 vcc, 41, v61
	s_waitcnt lgkmcnt(0)
	s_barrier
	s_and_saveexec_b64 s[0:1], vcc
	s_cbranch_execz .LBB100_709
; %bb.708:
	ds_read_b32 v58, v57 offset:168
	ds_read2_b32 v[64:65], v57 offset0:43 offset1:44
	ds_read2_b32 v[66:67], v57 offset0:45 offset1:46
	ds_read2_b32 v[68:69], v57 offset0:47 offset1:48
	ds_read2_b32 v[70:71], v57 offset0:49 offset1:50
	v_mul_f32_e32 v20, v60, v20
	s_waitcnt lgkmcnt(4)
	v_fma_f32 v21, -v20, v58, v21
	s_waitcnt lgkmcnt(3)
	v_pk_fma_f32 v[10:11], v[20:21], v[64:65], v[10:11] op_sel_hi:[0,1,1] neg_lo:[1,0,0] neg_hi:[1,0,0]
	s_waitcnt lgkmcnt(2)
	v_pk_fma_f32 v[14:15], v[20:21], v[66:67], v[14:15] op_sel_hi:[0,1,1] neg_lo:[1,0,0] neg_hi:[1,0,0]
	;; [unrolled: 2-line block ×4, first 2 shown]
.LBB100_709:
	s_or_b64 exec, exec, s[0:1]
	v_lshl_add_u32 v58, v61, 2, v57
	s_barrier
	ds_write_b32 v58, v21
	s_waitcnt lgkmcnt(0)
	s_barrier
	ds_read_b32 v60, v57 offset:168
	s_cmp_lt_i32 s22, 44
	v_mov_b32_e32 v58, 42
	s_cbranch_scc1 .LBB100_712
; %bb.710:
	v_add_u32_e32 v63, 0xac, v57
	v_mov_b32_e32 v58, 42
	s_mov_b32 s0, 43
.LBB100_711:                            ; =>This Inner Loop Header: Depth=1
	ds_read_b32 v64, v63
	v_mov_b32_e32 v65, s0
	s_add_i32 s0, s0, 1
	v_add_u32_e32 v63, 4, v63
	s_cmp_lg_u32 s22, s0
	s_waitcnt lgkmcnt(0)
	v_cmp_lt_f32_e64 vcc, |v60|, |v64|
	s_nop 1
	v_cndmask_b32_e32 v60, v60, v64, vcc
	v_cndmask_b32_e32 v58, v58, v65, vcc
	s_cbranch_scc1 .LBB100_711
.LBB100_712:
	s_waitcnt lgkmcnt(0)
	v_cmp_eq_f32_e32 vcc, 0, v60
	s_and_saveexec_b64 s[0:1], vcc
	s_xor_b64 s[0:1], exec, s[0:1]
; %bb.713:
	v_cmp_ne_u32_e32 vcc, 0, v62
	s_nop 1
	v_cndmask_b32_e32 v62, 43, v62, vcc
; %bb.714:
	s_andn2_saveexec_b64 s[0:1], s[0:1]
	s_cbranch_execz .LBB100_716
; %bb.715:
	v_div_scale_f32 v63, s[2:3], v60, v60, 1.0
	v_rcp_f32_e32 v64, v63
	v_div_scale_f32 v65, vcc, 1.0, v60, 1.0
	v_fma_f32 v66, -v63, v64, 1.0
	v_fmac_f32_e32 v64, v66, v64
	v_mul_f32_e32 v66, v65, v64
	v_fma_f32 v67, -v63, v66, v65
	v_fmac_f32_e32 v66, v67, v64
	v_fma_f32 v63, -v63, v66, v65
	v_div_fmas_f32 v63, v63, v64, v66
	v_div_fixup_f32 v60, v63, v60, 1.0
.LBB100_716:
	s_or_b64 exec, exec, s[0:1]
	v_cmp_ne_u32_e32 vcc, v61, v58
	s_and_saveexec_b64 s[0:1], vcc
	s_xor_b64 s[0:1], exec, s[0:1]
	s_cbranch_execz .LBB100_722
; %bb.717:
	v_cmp_eq_u32_e32 vcc, 42, v61
	s_and_saveexec_b64 s[2:3], vcc
	s_cbranch_execz .LBB100_721
; %bb.718:
	v_cmp_ne_u32_e32 vcc, 42, v58
	s_xor_b64 s[12:13], s[20:21], -1
	s_and_b64 s[14:15], s[12:13], vcc
	s_and_saveexec_b64 s[12:13], s[14:15]
	s_cbranch_execz .LBB100_720
; %bb.719:
	v_ashrrev_i32_e32 v59, 31, v58
	v_lshl_add_u64 v[64:65], v[58:59], 2, v[4:5]
	global_load_dword v59, v[64:65], off
	global_load_dword v61, v[4:5], off offset:168
	s_waitcnt vmcnt(1)
	global_store_dword v[4:5], v59, off offset:168
	s_waitcnt vmcnt(1)
	global_store_dword v[64:65], v61, off
.LBB100_720:
	s_or_b64 exec, exec, s[12:13]
	v_mov_b32_e32 v59, v58
	v_mov_b32_e32 v61, v58
.LBB100_721:
	s_or_b64 exec, exec, s[2:3]
.LBB100_722:
	s_andn2_saveexec_b64 s[0:1], s[0:1]
	s_cbranch_execz .LBB100_724
; %bb.723:
	v_mov_b32_e32 v61, 42
	ds_write2_b32 v57, v10, v11 offset0:43 offset1:44
	ds_write2_b32 v57, v14, v15 offset0:45 offset1:46
	;; [unrolled: 1-line block ×4, first 2 shown]
.LBB100_724:
	s_or_b64 exec, exec, s[0:1]
	v_cmp_lt_i32_e32 vcc, 42, v61
	s_waitcnt lgkmcnt(0)
	s_barrier
	s_and_saveexec_b64 s[0:1], vcc
	s_cbranch_execz .LBB100_726
; %bb.725:
	ds_read2_b32 v[64:65], v57 offset0:43 offset1:44
	ds_read2_b32 v[66:67], v57 offset0:45 offset1:46
	;; [unrolled: 1-line block ×4, first 2 shown]
	v_mul_f32_e32 v58, v60, v21
	s_waitcnt lgkmcnt(3)
	v_pk_fma_f32 v[10:11], v[58:59], v[64:65], v[10:11] op_sel_hi:[0,1,1] neg_lo:[1,0,0] neg_hi:[1,0,0]
	s_waitcnt lgkmcnt(2)
	v_pk_fma_f32 v[14:15], v[58:59], v[66:67], v[14:15] op_sel_hi:[0,1,1] neg_lo:[1,0,0] neg_hi:[1,0,0]
	;; [unrolled: 2-line block ×4, first 2 shown]
	v_mov_b32_e32 v21, v58
.LBB100_726:
	s_or_b64 exec, exec, s[0:1]
	v_lshl_add_u32 v58, v61, 2, v57
	s_barrier
	ds_write_b32 v58, v10
	s_waitcnt lgkmcnt(0)
	s_barrier
	ds_read_b32 v60, v57 offset:172
	s_cmp_lt_i32 s22, 45
	v_mov_b32_e32 v58, 43
	s_cbranch_scc1 .LBB100_729
; %bb.727:
	v_add_u32_e32 v63, 0xb0, v57
	v_mov_b32_e32 v58, 43
	s_mov_b32 s0, 44
.LBB100_728:                            ; =>This Inner Loop Header: Depth=1
	ds_read_b32 v64, v63
	v_mov_b32_e32 v65, s0
	s_add_i32 s0, s0, 1
	v_add_u32_e32 v63, 4, v63
	s_cmp_lg_u32 s22, s0
	s_waitcnt lgkmcnt(0)
	v_cmp_lt_f32_e64 vcc, |v60|, |v64|
	s_nop 1
	v_cndmask_b32_e32 v60, v60, v64, vcc
	v_cndmask_b32_e32 v58, v58, v65, vcc
	s_cbranch_scc1 .LBB100_728
.LBB100_729:
	s_waitcnt lgkmcnt(0)
	v_cmp_eq_f32_e32 vcc, 0, v60
	s_and_saveexec_b64 s[0:1], vcc
	s_xor_b64 s[0:1], exec, s[0:1]
; %bb.730:
	v_cmp_ne_u32_e32 vcc, 0, v62
	s_nop 1
	v_cndmask_b32_e32 v62, 44, v62, vcc
; %bb.731:
	s_andn2_saveexec_b64 s[0:1], s[0:1]
	s_cbranch_execz .LBB100_733
; %bb.732:
	v_div_scale_f32 v63, s[2:3], v60, v60, 1.0
	v_rcp_f32_e32 v64, v63
	v_div_scale_f32 v65, vcc, 1.0, v60, 1.0
	v_fma_f32 v66, -v63, v64, 1.0
	v_fmac_f32_e32 v64, v66, v64
	v_mul_f32_e32 v66, v65, v64
	v_fma_f32 v67, -v63, v66, v65
	v_fmac_f32_e32 v66, v67, v64
	v_fma_f32 v63, -v63, v66, v65
	v_div_fmas_f32 v63, v63, v64, v66
	v_div_fixup_f32 v60, v63, v60, 1.0
.LBB100_733:
	s_or_b64 exec, exec, s[0:1]
	v_cmp_ne_u32_e32 vcc, v61, v58
	s_and_saveexec_b64 s[0:1], vcc
	s_xor_b64 s[0:1], exec, s[0:1]
	s_cbranch_execz .LBB100_739
; %bb.734:
	v_cmp_eq_u32_e32 vcc, 43, v61
	s_and_saveexec_b64 s[2:3], vcc
	s_cbranch_execz .LBB100_738
; %bb.735:
	v_cmp_ne_u32_e32 vcc, 43, v58
	s_xor_b64 s[12:13], s[20:21], -1
	s_and_b64 s[14:15], s[12:13], vcc
	s_and_saveexec_b64 s[12:13], s[14:15]
	s_cbranch_execz .LBB100_737
; %bb.736:
	v_ashrrev_i32_e32 v59, 31, v58
	v_lshl_add_u64 v[64:65], v[58:59], 2, v[4:5]
	global_load_dword v59, v[64:65], off
	global_load_dword v61, v[4:5], off offset:172
	s_waitcnt vmcnt(1)
	global_store_dword v[4:5], v59, off offset:172
	s_waitcnt vmcnt(1)
	global_store_dword v[64:65], v61, off
.LBB100_737:
	s_or_b64 exec, exec, s[12:13]
	v_mov_b32_e32 v59, v58
	v_mov_b32_e32 v61, v58
.LBB100_738:
	s_or_b64 exec, exec, s[2:3]
.LBB100_739:
	s_andn2_saveexec_b64 s[0:1], s[0:1]
	s_cbranch_execz .LBB100_741
; %bb.740:
	v_pk_mov_b32 v[64:65], v[10:11], v[14:15] op_sel:[1,0]
	ds_write2_b32 v57, v64, v65 offset0:44 offset1:45
	v_pk_mov_b32 v[64:65], v[14:15], v[0:1] op_sel:[1,0]
	ds_write2_b32 v57, v64, v65 offset0:46 offset1:47
	v_pk_mov_b32 v[64:65], v[0:1], v[12:13] op_sel:[1,0]
	v_mov_b32_e32 v61, 43
	ds_write2_b32 v57, v64, v65 offset0:48 offset1:49
	ds_write_b32 v57, v13 offset:200
.LBB100_741:
	s_or_b64 exec, exec, s[0:1]
	v_cmp_lt_i32_e32 vcc, 43, v61
	s_waitcnt lgkmcnt(0)
	s_barrier
	s_and_saveexec_b64 s[0:1], vcc
	s_cbranch_execz .LBB100_743
; %bb.742:
	ds_read_b32 v58, v57 offset:176
	ds_read2_b32 v[64:65], v57 offset0:45 offset1:46
	ds_read2_b32 v[66:67], v57 offset0:47 offset1:48
	;; [unrolled: 1-line block ×3, first 2 shown]
	v_mul_f32_e32 v10, v60, v10
	s_waitcnt lgkmcnt(3)
	v_fma_f32 v11, -v10, v58, v11
	s_waitcnt lgkmcnt(2)
	v_pk_fma_f32 v[14:15], v[10:11], v[64:65], v[14:15] op_sel_hi:[0,1,1] neg_lo:[1,0,0] neg_hi:[1,0,0]
	s_waitcnt lgkmcnt(1)
	v_pk_fma_f32 v[0:1], v[10:11], v[66:67], v[0:1] op_sel_hi:[0,1,1] neg_lo:[1,0,0] neg_hi:[1,0,0]
	;; [unrolled: 2-line block ×3, first 2 shown]
.LBB100_743:
	s_or_b64 exec, exec, s[0:1]
	v_lshl_add_u32 v58, v61, 2, v57
	s_barrier
	ds_write_b32 v58, v11
	s_waitcnt lgkmcnt(0)
	s_barrier
	ds_read_b32 v60, v57 offset:176
	s_cmp_lt_i32 s22, 46
	v_mov_b32_e32 v58, 44
	s_cbranch_scc1 .LBB100_746
; %bb.744:
	v_add_u32_e32 v63, 0xb4, v57
	v_mov_b32_e32 v58, 44
	s_mov_b32 s0, 45
.LBB100_745:                            ; =>This Inner Loop Header: Depth=1
	ds_read_b32 v64, v63
	v_mov_b32_e32 v65, s0
	s_add_i32 s0, s0, 1
	v_add_u32_e32 v63, 4, v63
	s_cmp_lg_u32 s22, s0
	s_waitcnt lgkmcnt(0)
	v_cmp_lt_f32_e64 vcc, |v60|, |v64|
	s_nop 1
	v_cndmask_b32_e32 v60, v60, v64, vcc
	v_cndmask_b32_e32 v58, v58, v65, vcc
	s_cbranch_scc1 .LBB100_745
.LBB100_746:
	s_waitcnt lgkmcnt(0)
	v_cmp_eq_f32_e32 vcc, 0, v60
	s_and_saveexec_b64 s[0:1], vcc
	s_xor_b64 s[0:1], exec, s[0:1]
; %bb.747:
	v_cmp_ne_u32_e32 vcc, 0, v62
	s_nop 1
	v_cndmask_b32_e32 v62, 45, v62, vcc
; %bb.748:
	s_andn2_saveexec_b64 s[0:1], s[0:1]
	s_cbranch_execz .LBB100_750
; %bb.749:
	v_div_scale_f32 v63, s[2:3], v60, v60, 1.0
	v_rcp_f32_e32 v64, v63
	v_div_scale_f32 v65, vcc, 1.0, v60, 1.0
	v_fma_f32 v66, -v63, v64, 1.0
	v_fmac_f32_e32 v64, v66, v64
	v_mul_f32_e32 v66, v65, v64
	v_fma_f32 v67, -v63, v66, v65
	v_fmac_f32_e32 v66, v67, v64
	v_fma_f32 v63, -v63, v66, v65
	v_div_fmas_f32 v63, v63, v64, v66
	v_div_fixup_f32 v60, v63, v60, 1.0
.LBB100_750:
	s_or_b64 exec, exec, s[0:1]
	v_cmp_ne_u32_e32 vcc, v61, v58
	s_and_saveexec_b64 s[0:1], vcc
	s_xor_b64 s[0:1], exec, s[0:1]
	s_cbranch_execz .LBB100_756
; %bb.751:
	v_cmp_eq_u32_e32 vcc, 44, v61
	s_and_saveexec_b64 s[2:3], vcc
	s_cbranch_execz .LBB100_755
; %bb.752:
	v_cmp_ne_u32_e32 vcc, 44, v58
	s_xor_b64 s[12:13], s[20:21], -1
	s_and_b64 s[14:15], s[12:13], vcc
	s_and_saveexec_b64 s[12:13], s[14:15]
	s_cbranch_execz .LBB100_754
; %bb.753:
	v_ashrrev_i32_e32 v59, 31, v58
	v_lshl_add_u64 v[64:65], v[58:59], 2, v[4:5]
	global_load_dword v59, v[64:65], off
	global_load_dword v61, v[4:5], off offset:176
	s_waitcnt vmcnt(1)
	global_store_dword v[4:5], v59, off offset:176
	s_waitcnt vmcnt(1)
	global_store_dword v[64:65], v61, off
.LBB100_754:
	s_or_b64 exec, exec, s[12:13]
	v_mov_b32_e32 v59, v58
	v_mov_b32_e32 v61, v58
.LBB100_755:
	s_or_b64 exec, exec, s[2:3]
.LBB100_756:
	s_andn2_saveexec_b64 s[0:1], s[0:1]
	s_cbranch_execz .LBB100_758
; %bb.757:
	v_mov_b32_e32 v61, 44
	ds_write2_b32 v57, v14, v15 offset0:45 offset1:46
	ds_write2_b32 v57, v0, v1 offset0:47 offset1:48
	;; [unrolled: 1-line block ×3, first 2 shown]
.LBB100_758:
	s_or_b64 exec, exec, s[0:1]
	v_cmp_lt_i32_e32 vcc, 44, v61
	s_waitcnt lgkmcnt(0)
	s_barrier
	s_and_saveexec_b64 s[0:1], vcc
	s_cbranch_execz .LBB100_760
; %bb.759:
	ds_read2_b32 v[64:65], v57 offset0:45 offset1:46
	ds_read2_b32 v[66:67], v57 offset0:47 offset1:48
	;; [unrolled: 1-line block ×3, first 2 shown]
	v_mul_f32_e32 v58, v60, v11
	v_mov_b32_e32 v11, v58
	s_waitcnt lgkmcnt(2)
	v_pk_fma_f32 v[14:15], v[58:59], v[64:65], v[14:15] op_sel_hi:[0,1,1] neg_lo:[1,0,0] neg_hi:[1,0,0]
	s_waitcnt lgkmcnt(1)
	v_pk_fma_f32 v[0:1], v[58:59], v[66:67], v[0:1] op_sel_hi:[0,1,1] neg_lo:[1,0,0] neg_hi:[1,0,0]
	;; [unrolled: 2-line block ×3, first 2 shown]
.LBB100_760:
	s_or_b64 exec, exec, s[0:1]
	v_lshl_add_u32 v58, v61, 2, v57
	s_barrier
	ds_write_b32 v58, v14
	s_waitcnt lgkmcnt(0)
	s_barrier
	ds_read_b32 v60, v57 offset:180
	s_cmp_lt_i32 s22, 47
	v_mov_b32_e32 v58, 45
	s_cbranch_scc1 .LBB100_763
; %bb.761:
	v_add_u32_e32 v63, 0xb8, v57
	v_mov_b32_e32 v58, 45
	s_mov_b32 s0, 46
.LBB100_762:                            ; =>This Inner Loop Header: Depth=1
	ds_read_b32 v64, v63
	v_mov_b32_e32 v65, s0
	s_add_i32 s0, s0, 1
	v_add_u32_e32 v63, 4, v63
	s_cmp_lg_u32 s22, s0
	s_waitcnt lgkmcnt(0)
	v_cmp_lt_f32_e64 vcc, |v60|, |v64|
	s_nop 1
	v_cndmask_b32_e32 v60, v60, v64, vcc
	v_cndmask_b32_e32 v58, v58, v65, vcc
	s_cbranch_scc1 .LBB100_762
.LBB100_763:
	s_waitcnt lgkmcnt(0)
	v_cmp_eq_f32_e32 vcc, 0, v60
	s_and_saveexec_b64 s[0:1], vcc
	s_xor_b64 s[0:1], exec, s[0:1]
; %bb.764:
	v_cmp_ne_u32_e32 vcc, 0, v62
	s_nop 1
	v_cndmask_b32_e32 v62, 46, v62, vcc
; %bb.765:
	s_andn2_saveexec_b64 s[0:1], s[0:1]
	s_cbranch_execz .LBB100_767
; %bb.766:
	v_div_scale_f32 v63, s[2:3], v60, v60, 1.0
	v_rcp_f32_e32 v64, v63
	v_div_scale_f32 v65, vcc, 1.0, v60, 1.0
	v_fma_f32 v66, -v63, v64, 1.0
	v_fmac_f32_e32 v64, v66, v64
	v_mul_f32_e32 v66, v65, v64
	v_fma_f32 v67, -v63, v66, v65
	v_fmac_f32_e32 v66, v67, v64
	v_fma_f32 v63, -v63, v66, v65
	v_div_fmas_f32 v63, v63, v64, v66
	v_div_fixup_f32 v60, v63, v60, 1.0
.LBB100_767:
	s_or_b64 exec, exec, s[0:1]
	v_cmp_ne_u32_e32 vcc, v61, v58
	s_and_saveexec_b64 s[0:1], vcc
	s_xor_b64 s[0:1], exec, s[0:1]
	s_cbranch_execz .LBB100_773
; %bb.768:
	v_cmp_eq_u32_e32 vcc, 45, v61
	s_and_saveexec_b64 s[2:3], vcc
	s_cbranch_execz .LBB100_772
; %bb.769:
	v_cmp_ne_u32_e32 vcc, 45, v58
	s_xor_b64 s[12:13], s[20:21], -1
	s_and_b64 s[14:15], s[12:13], vcc
	s_and_saveexec_b64 s[12:13], s[14:15]
	s_cbranch_execz .LBB100_771
; %bb.770:
	v_ashrrev_i32_e32 v59, 31, v58
	v_lshl_add_u64 v[64:65], v[58:59], 2, v[4:5]
	global_load_dword v59, v[64:65], off
	global_load_dword v61, v[4:5], off offset:180
	s_waitcnt vmcnt(1)
	global_store_dword v[4:5], v59, off offset:180
	s_waitcnt vmcnt(1)
	global_store_dword v[64:65], v61, off
.LBB100_771:
	s_or_b64 exec, exec, s[12:13]
	v_mov_b32_e32 v59, v58
	v_mov_b32_e32 v61, v58
.LBB100_772:
	s_or_b64 exec, exec, s[2:3]
.LBB100_773:
	s_andn2_saveexec_b64 s[0:1], s[0:1]
	s_cbranch_execz .LBB100_775
; %bb.774:
	v_pk_mov_b32 v[64:65], v[14:15], v[0:1] op_sel:[1,0]
	ds_write2_b32 v57, v64, v65 offset0:46 offset1:47
	v_pk_mov_b32 v[64:65], v[0:1], v[12:13] op_sel:[1,0]
	v_mov_b32_e32 v61, 45
	ds_write2_b32 v57, v64, v65 offset0:48 offset1:49
	ds_write_b32 v57, v13 offset:200
.LBB100_775:
	s_or_b64 exec, exec, s[0:1]
	v_cmp_lt_i32_e32 vcc, 45, v61
	s_waitcnt lgkmcnt(0)
	s_barrier
	s_and_saveexec_b64 s[0:1], vcc
	s_cbranch_execz .LBB100_777
; %bb.776:
	ds_read_b32 v58, v57 offset:184
	ds_read2_b32 v[64:65], v57 offset0:47 offset1:48
	ds_read2_b32 v[66:67], v57 offset0:49 offset1:50
	v_mul_f32_e32 v14, v60, v14
	s_waitcnt lgkmcnt(2)
	v_fma_f32 v15, -v14, v58, v15
	s_waitcnt lgkmcnt(1)
	v_pk_fma_f32 v[0:1], v[14:15], v[64:65], v[0:1] op_sel_hi:[0,1,1] neg_lo:[1,0,0] neg_hi:[1,0,0]
	s_waitcnt lgkmcnt(0)
	v_pk_fma_f32 v[12:13], v[14:15], v[66:67], v[12:13] op_sel_hi:[0,1,1] neg_lo:[1,0,0] neg_hi:[1,0,0]
.LBB100_777:
	s_or_b64 exec, exec, s[0:1]
	v_lshl_add_u32 v58, v61, 2, v57
	s_barrier
	ds_write_b32 v58, v15
	s_waitcnt lgkmcnt(0)
	s_barrier
	ds_read_b32 v60, v57 offset:184
	s_cmp_lt_i32 s22, 48
	v_mov_b32_e32 v58, 46
	s_cbranch_scc1 .LBB100_780
; %bb.778:
	v_add_u32_e32 v63, 0xbc, v57
	v_mov_b32_e32 v58, 46
	s_mov_b32 s0, 47
.LBB100_779:                            ; =>This Inner Loop Header: Depth=1
	ds_read_b32 v64, v63
	v_mov_b32_e32 v65, s0
	s_add_i32 s0, s0, 1
	v_add_u32_e32 v63, 4, v63
	s_cmp_lg_u32 s22, s0
	s_waitcnt lgkmcnt(0)
	v_cmp_lt_f32_e64 vcc, |v60|, |v64|
	s_nop 1
	v_cndmask_b32_e32 v60, v60, v64, vcc
	v_cndmask_b32_e32 v58, v58, v65, vcc
	s_cbranch_scc1 .LBB100_779
.LBB100_780:
	s_waitcnt lgkmcnt(0)
	v_cmp_eq_f32_e32 vcc, 0, v60
	s_and_saveexec_b64 s[0:1], vcc
	s_xor_b64 s[0:1], exec, s[0:1]
; %bb.781:
	v_cmp_ne_u32_e32 vcc, 0, v62
	s_nop 1
	v_cndmask_b32_e32 v62, 47, v62, vcc
; %bb.782:
	s_andn2_saveexec_b64 s[0:1], s[0:1]
	s_cbranch_execz .LBB100_784
; %bb.783:
	v_div_scale_f32 v63, s[2:3], v60, v60, 1.0
	v_rcp_f32_e32 v64, v63
	v_div_scale_f32 v65, vcc, 1.0, v60, 1.0
	v_fma_f32 v66, -v63, v64, 1.0
	v_fmac_f32_e32 v64, v66, v64
	v_mul_f32_e32 v66, v65, v64
	v_fma_f32 v67, -v63, v66, v65
	v_fmac_f32_e32 v66, v67, v64
	v_fma_f32 v63, -v63, v66, v65
	v_div_fmas_f32 v63, v63, v64, v66
	v_div_fixup_f32 v60, v63, v60, 1.0
.LBB100_784:
	s_or_b64 exec, exec, s[0:1]
	v_cmp_ne_u32_e32 vcc, v61, v58
	s_and_saveexec_b64 s[0:1], vcc
	s_xor_b64 s[0:1], exec, s[0:1]
	s_cbranch_execz .LBB100_790
; %bb.785:
	v_cmp_eq_u32_e32 vcc, 46, v61
	s_and_saveexec_b64 s[2:3], vcc
	s_cbranch_execz .LBB100_789
; %bb.786:
	v_cmp_ne_u32_e32 vcc, 46, v58
	s_xor_b64 s[12:13], s[20:21], -1
	s_and_b64 s[14:15], s[12:13], vcc
	s_and_saveexec_b64 s[12:13], s[14:15]
	s_cbranch_execz .LBB100_788
; %bb.787:
	v_ashrrev_i32_e32 v59, 31, v58
	v_lshl_add_u64 v[64:65], v[58:59], 2, v[4:5]
	global_load_dword v59, v[64:65], off
	global_load_dword v61, v[4:5], off offset:184
	s_waitcnt vmcnt(1)
	global_store_dword v[4:5], v59, off offset:184
	s_waitcnt vmcnt(1)
	global_store_dword v[64:65], v61, off
.LBB100_788:
	s_or_b64 exec, exec, s[12:13]
	v_mov_b32_e32 v59, v58
	v_mov_b32_e32 v61, v58
.LBB100_789:
	s_or_b64 exec, exec, s[2:3]
.LBB100_790:
	s_andn2_saveexec_b64 s[0:1], s[0:1]
	s_cbranch_execz .LBB100_792
; %bb.791:
	v_mov_b32_e32 v61, 46
	ds_write2_b32 v57, v0, v1 offset0:47 offset1:48
	ds_write2_b32 v57, v12, v13 offset0:49 offset1:50
.LBB100_792:
	s_or_b64 exec, exec, s[0:1]
	v_cmp_lt_i32_e32 vcc, 46, v61
	s_waitcnt lgkmcnt(0)
	s_barrier
	s_and_saveexec_b64 s[0:1], vcc
	s_cbranch_execz .LBB100_794
; %bb.793:
	ds_read2_b32 v[64:65], v57 offset0:47 offset1:48
	ds_read2_b32 v[66:67], v57 offset0:49 offset1:50
	v_mul_f32_e32 v58, v60, v15
	v_mov_b32_e32 v15, v58
	s_waitcnt lgkmcnt(1)
	v_pk_fma_f32 v[0:1], v[58:59], v[64:65], v[0:1] op_sel_hi:[0,1,1] neg_lo:[1,0,0] neg_hi:[1,0,0]
	s_waitcnt lgkmcnt(0)
	v_pk_fma_f32 v[12:13], v[58:59], v[66:67], v[12:13] op_sel_hi:[0,1,1] neg_lo:[1,0,0] neg_hi:[1,0,0]
.LBB100_794:
	s_or_b64 exec, exec, s[0:1]
	v_lshl_add_u32 v58, v61, 2, v57
	s_barrier
	ds_write_b32 v58, v0
	s_waitcnt lgkmcnt(0)
	s_barrier
	ds_read_b32 v60, v57 offset:188
	s_cmp_lt_i32 s22, 49
	v_mov_b32_e32 v58, 47
	s_cbranch_scc1 .LBB100_797
; %bb.795:
	v_add_u32_e32 v63, 0xc0, v57
	v_mov_b32_e32 v58, 47
	s_mov_b32 s0, 48
.LBB100_796:                            ; =>This Inner Loop Header: Depth=1
	ds_read_b32 v64, v63
	v_mov_b32_e32 v65, s0
	s_add_i32 s0, s0, 1
	v_add_u32_e32 v63, 4, v63
	s_cmp_lg_u32 s22, s0
	s_waitcnt lgkmcnt(0)
	v_cmp_lt_f32_e64 vcc, |v60|, |v64|
	s_nop 1
	v_cndmask_b32_e32 v60, v60, v64, vcc
	v_cndmask_b32_e32 v58, v58, v65, vcc
	s_cbranch_scc1 .LBB100_796
.LBB100_797:
	s_waitcnt lgkmcnt(0)
	v_cmp_eq_f32_e32 vcc, 0, v60
	s_and_saveexec_b64 s[0:1], vcc
	s_xor_b64 s[0:1], exec, s[0:1]
; %bb.798:
	v_cmp_ne_u32_e32 vcc, 0, v62
	s_nop 1
	v_cndmask_b32_e32 v62, 48, v62, vcc
; %bb.799:
	s_andn2_saveexec_b64 s[0:1], s[0:1]
	s_cbranch_execz .LBB100_801
; %bb.800:
	v_div_scale_f32 v63, s[2:3], v60, v60, 1.0
	v_rcp_f32_e32 v64, v63
	v_div_scale_f32 v65, vcc, 1.0, v60, 1.0
	v_fma_f32 v66, -v63, v64, 1.0
	v_fmac_f32_e32 v64, v66, v64
	v_mul_f32_e32 v66, v65, v64
	v_fma_f32 v67, -v63, v66, v65
	v_fmac_f32_e32 v66, v67, v64
	v_fma_f32 v63, -v63, v66, v65
	v_div_fmas_f32 v63, v63, v64, v66
	v_div_fixup_f32 v60, v63, v60, 1.0
.LBB100_801:
	s_or_b64 exec, exec, s[0:1]
	v_cmp_ne_u32_e32 vcc, v61, v58
	s_and_saveexec_b64 s[0:1], vcc
	s_xor_b64 s[0:1], exec, s[0:1]
	s_cbranch_execz .LBB100_807
; %bb.802:
	v_cmp_eq_u32_e32 vcc, 47, v61
	s_and_saveexec_b64 s[2:3], vcc
	s_cbranch_execz .LBB100_806
; %bb.803:
	v_cmp_ne_u32_e32 vcc, 47, v58
	s_xor_b64 s[12:13], s[20:21], -1
	s_and_b64 s[14:15], s[12:13], vcc
	s_and_saveexec_b64 s[12:13], s[14:15]
	s_cbranch_execz .LBB100_805
; %bb.804:
	v_ashrrev_i32_e32 v59, 31, v58
	v_lshl_add_u64 v[64:65], v[58:59], 2, v[4:5]
	global_load_dword v59, v[64:65], off
	global_load_dword v61, v[4:5], off offset:188
	s_waitcnt vmcnt(1)
	global_store_dword v[4:5], v59, off offset:188
	s_waitcnt vmcnt(1)
	global_store_dword v[64:65], v61, off
.LBB100_805:
	s_or_b64 exec, exec, s[12:13]
	v_mov_b32_e32 v59, v58
	v_mov_b32_e32 v61, v58
.LBB100_806:
	s_or_b64 exec, exec, s[2:3]
.LBB100_807:
	s_andn2_saveexec_b64 s[0:1], s[0:1]
	s_cbranch_execz .LBB100_809
; %bb.808:
	v_pk_mov_b32 v[64:65], v[0:1], v[12:13] op_sel:[1,0]
	v_mov_b32_e32 v61, 47
	ds_write2_b32 v57, v64, v65 offset0:48 offset1:49
	ds_write_b32 v57, v13 offset:200
.LBB100_809:
	s_or_b64 exec, exec, s[0:1]
	v_cmp_lt_i32_e32 vcc, 47, v61
	s_waitcnt lgkmcnt(0)
	s_barrier
	s_and_saveexec_b64 s[0:1], vcc
	s_cbranch_execz .LBB100_811
; %bb.810:
	ds_read_b32 v58, v57 offset:192
	ds_read2_b32 v[64:65], v57 offset0:49 offset1:50
	v_mul_f32_e32 v0, v60, v0
	s_waitcnt lgkmcnt(1)
	v_fma_f32 v1, -v0, v58, v1
	s_waitcnt lgkmcnt(0)
	v_pk_fma_f32 v[12:13], v[0:1], v[64:65], v[12:13] op_sel_hi:[0,1,1] neg_lo:[1,0,0] neg_hi:[1,0,0]
.LBB100_811:
	s_or_b64 exec, exec, s[0:1]
	v_lshl_add_u32 v58, v61, 2, v57
	s_barrier
	ds_write_b32 v58, v1
	s_waitcnt lgkmcnt(0)
	s_barrier
	ds_read_b32 v60, v57 offset:192
	s_cmp_lt_i32 s22, 50
	v_mov_b32_e32 v58, 48
	s_cbranch_scc1 .LBB100_814
; %bb.812:
	v_add_u32_e32 v63, 0xc4, v57
	v_mov_b32_e32 v58, 48
	s_mov_b32 s0, 49
.LBB100_813:                            ; =>This Inner Loop Header: Depth=1
	ds_read_b32 v64, v63
	v_mov_b32_e32 v65, s0
	s_add_i32 s0, s0, 1
	v_add_u32_e32 v63, 4, v63
	s_cmp_lg_u32 s22, s0
	s_waitcnt lgkmcnt(0)
	v_cmp_lt_f32_e64 vcc, |v60|, |v64|
	s_nop 1
	v_cndmask_b32_e32 v60, v60, v64, vcc
	v_cndmask_b32_e32 v58, v58, v65, vcc
	s_cbranch_scc1 .LBB100_813
.LBB100_814:
	s_waitcnt lgkmcnt(0)
	v_cmp_eq_f32_e32 vcc, 0, v60
	s_and_saveexec_b64 s[0:1], vcc
	s_xor_b64 s[0:1], exec, s[0:1]
; %bb.815:
	v_cmp_ne_u32_e32 vcc, 0, v62
	s_nop 1
	v_cndmask_b32_e32 v62, 49, v62, vcc
; %bb.816:
	s_andn2_saveexec_b64 s[0:1], s[0:1]
	s_cbranch_execz .LBB100_818
; %bb.817:
	v_div_scale_f32 v63, s[2:3], v60, v60, 1.0
	v_rcp_f32_e32 v64, v63
	v_div_scale_f32 v65, vcc, 1.0, v60, 1.0
	v_fma_f32 v66, -v63, v64, 1.0
	v_fmac_f32_e32 v64, v66, v64
	v_mul_f32_e32 v66, v65, v64
	v_fma_f32 v67, -v63, v66, v65
	v_fmac_f32_e32 v66, v67, v64
	v_fma_f32 v63, -v63, v66, v65
	v_div_fmas_f32 v63, v63, v64, v66
	v_div_fixup_f32 v60, v63, v60, 1.0
.LBB100_818:
	s_or_b64 exec, exec, s[0:1]
	v_cmp_ne_u32_e32 vcc, v61, v58
	s_and_saveexec_b64 s[0:1], vcc
	s_xor_b64 s[0:1], exec, s[0:1]
	s_cbranch_execz .LBB100_824
; %bb.819:
	v_cmp_eq_u32_e32 vcc, 48, v61
	s_and_saveexec_b64 s[2:3], vcc
	s_cbranch_execz .LBB100_823
; %bb.820:
	v_cmp_ne_u32_e32 vcc, 48, v58
	s_xor_b64 s[12:13], s[20:21], -1
	s_and_b64 s[14:15], s[12:13], vcc
	s_and_saveexec_b64 s[12:13], s[14:15]
	s_cbranch_execz .LBB100_822
; %bb.821:
	v_ashrrev_i32_e32 v59, 31, v58
	v_lshl_add_u64 v[64:65], v[58:59], 2, v[4:5]
	global_load_dword v59, v[64:65], off
	global_load_dword v61, v[4:5], off offset:192
	s_waitcnt vmcnt(1)
	global_store_dword v[4:5], v59, off offset:192
	s_waitcnt vmcnt(1)
	global_store_dword v[64:65], v61, off
.LBB100_822:
	s_or_b64 exec, exec, s[12:13]
	v_mov_b32_e32 v59, v58
	v_mov_b32_e32 v61, v58
.LBB100_823:
	s_or_b64 exec, exec, s[2:3]
.LBB100_824:
	s_andn2_saveexec_b64 s[0:1], s[0:1]
; %bb.825:
	v_mov_b32_e32 v61, 48
	ds_write2_b32 v57, v12, v13 offset0:49 offset1:50
; %bb.826:
	s_or_b64 exec, exec, s[0:1]
	v_cmp_lt_i32_e32 vcc, 48, v61
	s_waitcnt lgkmcnt(0)
	s_barrier
	s_and_saveexec_b64 s[0:1], vcc
	s_cbranch_execz .LBB100_828
; %bb.827:
	ds_read2_b32 v[64:65], v57 offset0:49 offset1:50
	v_mul_f32_e32 v58, v60, v1
	v_mov_b32_e32 v1, v58
	s_waitcnt lgkmcnt(0)
	v_pk_fma_f32 v[12:13], v[58:59], v[64:65], v[12:13] op_sel_hi:[0,1,1] neg_lo:[1,0,0] neg_hi:[1,0,0]
.LBB100_828:
	s_or_b64 exec, exec, s[0:1]
	v_lshl_add_u32 v58, v61, 2, v57
	s_barrier
	ds_write_b32 v58, v12
	s_waitcnt lgkmcnt(0)
	s_barrier
	ds_read_b32 v60, v57 offset:196
	s_cmp_lt_i32 s22, 51
	v_mov_b32_e32 v58, 49
	s_cbranch_scc1 .LBB100_831
; %bb.829:
	v_add_u32_e32 v63, 0xc8, v57
	v_mov_b32_e32 v58, 49
	s_mov_b32 s0, 50
.LBB100_830:                            ; =>This Inner Loop Header: Depth=1
	ds_read_b32 v64, v63
	v_mov_b32_e32 v65, s0
	s_add_i32 s0, s0, 1
	v_add_u32_e32 v63, 4, v63
	s_cmp_lg_u32 s22, s0
	s_waitcnt lgkmcnt(0)
	v_cmp_lt_f32_e64 vcc, |v60|, |v64|
	s_nop 1
	v_cndmask_b32_e32 v60, v60, v64, vcc
	v_cndmask_b32_e32 v58, v58, v65, vcc
	s_cbranch_scc1 .LBB100_830
.LBB100_831:
	s_waitcnt lgkmcnt(0)
	v_cmp_eq_f32_e32 vcc, 0, v60
	s_and_saveexec_b64 s[0:1], vcc
	s_xor_b64 s[0:1], exec, s[0:1]
; %bb.832:
	v_cmp_ne_u32_e32 vcc, 0, v62
	s_nop 1
	v_cndmask_b32_e32 v62, 50, v62, vcc
; %bb.833:
	s_andn2_saveexec_b64 s[0:1], s[0:1]
	s_cbranch_execz .LBB100_835
; %bb.834:
	v_div_scale_f32 v63, s[2:3], v60, v60, 1.0
	v_rcp_f32_e32 v64, v63
	v_div_scale_f32 v65, vcc, 1.0, v60, 1.0
	v_fma_f32 v66, -v63, v64, 1.0
	v_fmac_f32_e32 v64, v66, v64
	v_mul_f32_e32 v66, v65, v64
	v_fma_f32 v67, -v63, v66, v65
	v_fmac_f32_e32 v66, v67, v64
	v_fma_f32 v63, -v63, v66, v65
	v_div_fmas_f32 v63, v63, v64, v66
	v_div_fixup_f32 v60, v63, v60, 1.0
.LBB100_835:
	s_or_b64 exec, exec, s[0:1]
	v_cmp_ne_u32_e32 vcc, v61, v58
	s_and_saveexec_b64 s[0:1], vcc
	s_xor_b64 s[0:1], exec, s[0:1]
	s_cbranch_execz .LBB100_841
; %bb.836:
	v_cmp_eq_u32_e32 vcc, 49, v61
	s_and_saveexec_b64 s[2:3], vcc
	s_cbranch_execz .LBB100_840
; %bb.837:
	v_cmp_ne_u32_e32 vcc, 49, v58
	s_xor_b64 s[12:13], s[20:21], -1
	s_and_b64 s[14:15], s[12:13], vcc
	s_and_saveexec_b64 s[12:13], s[14:15]
	s_cbranch_execz .LBB100_839
; %bb.838:
	v_ashrrev_i32_e32 v59, 31, v58
	v_lshl_add_u64 v[64:65], v[58:59], 2, v[4:5]
	global_load_dword v59, v[64:65], off
	global_load_dword v61, v[4:5], off offset:196
	s_waitcnt vmcnt(1)
	global_store_dword v[4:5], v59, off offset:196
	s_waitcnt vmcnt(1)
	global_store_dword v[64:65], v61, off
.LBB100_839:
	s_or_b64 exec, exec, s[12:13]
	v_mov_b32_e32 v59, v58
	v_mov_b32_e32 v61, v58
.LBB100_840:
	s_or_b64 exec, exec, s[2:3]
.LBB100_841:
	s_andn2_saveexec_b64 s[0:1], s[0:1]
; %bb.842:
	v_mov_b32_e32 v61, 49
	ds_write_b32 v57, v13 offset:200
; %bb.843:
	s_or_b64 exec, exec, s[0:1]
	v_cmp_lt_i32_e32 vcc, 49, v61
	s_waitcnt lgkmcnt(0)
	s_barrier
	s_and_saveexec_b64 s[0:1], vcc
	s_cbranch_execz .LBB100_845
; %bb.844:
	ds_read_b32 v58, v57 offset:200
	v_mul_f32_e32 v12, v60, v12
	s_waitcnt lgkmcnt(0)
	v_fma_f32 v13, -v12, v58, v13
.LBB100_845:
	s_or_b64 exec, exec, s[0:1]
	v_lshl_add_u32 v58, v61, 2, v57
	s_barrier
	ds_write_b32 v58, v13
	s_waitcnt lgkmcnt(0)
	s_barrier
	ds_read_b32 v63, v57 offset:200
	s_cmp_lt_i32 s22, 52
	v_mov_b32_e32 v58, 50
	s_cbranch_scc1 .LBB100_848
; %bb.846:
	v_add_u32_e32 v57, 0xcc, v57
	v_mov_b32_e32 v58, 50
	s_mov_b32 s0, 51
.LBB100_847:                            ; =>This Inner Loop Header: Depth=1
	ds_read_b32 v60, v57
	v_mov_b32_e32 v64, s0
	s_add_i32 s0, s0, 1
	v_add_u32_e32 v57, 4, v57
	s_cmp_lg_u32 s22, s0
	s_waitcnt lgkmcnt(0)
	v_cmp_lt_f32_e64 vcc, |v63|, |v60|
	s_nop 1
	v_cndmask_b32_e32 v63, v63, v60, vcc
	v_cndmask_b32_e32 v58, v58, v64, vcc
	s_cbranch_scc1 .LBB100_847
.LBB100_848:
	s_waitcnt lgkmcnt(0)
	v_cmp_eq_f32_e32 vcc, 0, v63
	s_and_saveexec_b64 s[0:1], vcc
	s_xor_b64 s[0:1], exec, s[0:1]
; %bb.849:
	v_cmp_ne_u32_e32 vcc, 0, v62
	s_nop 1
	v_cndmask_b32_e32 v62, 51, v62, vcc
; %bb.850:
	s_andn2_saveexec_b64 s[0:1], s[0:1]
	s_cbranch_execz .LBB100_852
; %bb.851:
	v_div_scale_f32 v57, s[2:3], v63, v63, 1.0
	v_rcp_f32_e32 v60, v57
	v_div_scale_f32 v64, vcc, 1.0, v63, 1.0
	v_fma_f32 v65, -v57, v60, 1.0
	v_fmac_f32_e32 v60, v65, v60
	v_mul_f32_e32 v65, v64, v60
	v_fma_f32 v66, -v57, v65, v64
	v_fmac_f32_e32 v65, v66, v60
	v_fma_f32 v57, -v57, v65, v64
	v_div_fmas_f32 v57, v57, v60, v65
	v_div_fixup_f32 v63, v57, v63, 1.0
.LBB100_852:
	s_or_b64 exec, exec, s[0:1]
	v_cmp_ne_u32_e32 vcc, v61, v58
	v_mov_b32_e32 v60, 50
	s_and_saveexec_b64 s[0:1], vcc
	s_cbranch_execz .LBB100_858
; %bb.853:
	v_cmp_eq_u32_e32 vcc, 50, v61
	s_and_saveexec_b64 s[2:3], vcc
	s_cbranch_execz .LBB100_857
; %bb.854:
	v_cmp_ne_u32_e32 vcc, 50, v58
	s_xor_b64 s[12:13], s[20:21], -1
	s_and_b64 s[14:15], s[12:13], vcc
	s_and_saveexec_b64 s[12:13], s[14:15]
	s_cbranch_execz .LBB100_856
; %bb.855:
	v_ashrrev_i32_e32 v59, 31, v58
	v_lshl_add_u64 v[60:61], v[58:59], 2, v[4:5]
	global_load_dword v57, v[60:61], off
	global_load_dword v59, v[4:5], off offset:200
	s_waitcnt vmcnt(1)
	global_store_dword v[4:5], v57, off offset:200
	s_waitcnt vmcnt(1)
	global_store_dword v[60:61], v59, off
.LBB100_856:
	s_or_b64 exec, exec, s[12:13]
	v_mov_b32_e32 v59, v58
	v_mov_b32_e32 v61, v58
.LBB100_857:
	s_or_b64 exec, exec, s[2:3]
	v_mov_b32_e32 v60, v61
.LBB100_858:
	s_or_b64 exec, exec, s[0:1]
	v_cmp_gt_i32_e32 vcc, 51, v60
	v_ashrrev_i32_e32 v61, 31, v60
	s_barrier
	s_barrier
	s_and_saveexec_b64 s[0:1], vcc
	s_cbranch_execz .LBB100_860
; %bb.859:
	v_mul_lo_u32 v57, s11, v2
	v_mul_lo_u32 v58, s10, v3
	v_mad_u64_u32 v[64:65], s[2:3], s10, v2, 0
	v_mov_b32_e32 v4, s6
	v_mov_b32_e32 v5, s7
	v_add3_u32 v65, v65, v58, v57
	v_lshl_add_u64 v[4:5], v[64:65], 2, v[4:5]
	v_lshl_add_u64 v[4:5], s[8:9], 2, v[4:5]
	;; [unrolled: 1-line block ×3, first 2 shown]
	v_add3_u32 v57, v59, s19, 1
	global_store_dword v[4:5], v57, off
.LBB100_860:
	s_or_b64 exec, exec, s[0:1]
	v_cmp_eq_u32_e32 vcc, 0, v60
	s_and_saveexec_b64 s[2:3], vcc
	s_cbranch_execz .LBB100_863
; %bb.861:
	v_mov_b32_e32 v4, s4
	v_mov_b32_e32 v5, s5
	v_lshl_add_u64 v[2:3], v[2:3], 2, v[4:5]
	global_load_dword v4, v[2:3], off
	v_cmp_ne_u32_e64 s[0:1], 0, v62
	s_waitcnt vmcnt(0)
	v_cmp_eq_u32_e32 vcc, 0, v4
	s_and_b64 s[0:1], vcc, s[0:1]
	s_and_b64 exec, exec, s[0:1]
	s_cbranch_execz .LBB100_863
; %bb.862:
	v_add_u32_e32 v4, s19, v62
	global_store_dword v[2:3], v4, off
.LBB100_863:
	s_or_b64 exec, exec, s[2:3]
	v_mul_f32_e32 v2, v63, v13
	v_cmp_lt_i32_e32 vcc, 50, v60
	s_nop 1
	v_cndmask_b32_e32 v13, v13, v2, vcc
	v_lshl_add_u64 v[2:3], v[60:61], 2, v[6:7]
	global_store_dword v[2:3], v56, off
	v_lshl_add_u64 v[2:3], s[16:17], 2, v[2:3]
	global_store_dword v[2:3], v46, off
	v_add_u32_e32 v2, s18, v60
	v_ashrrev_i32_e32 v3, 31, v2
	v_lshl_add_u64 v[4:5], v[2:3], 2, v[6:7]
	v_add_u32_e32 v2, s16, v2
	v_ashrrev_i32_e32 v3, 31, v2
	global_store_dword v[4:5], v47, off
	v_lshl_add_u64 v[4:5], v[2:3], 2, v[6:7]
	v_add_u32_e32 v2, s16, v2
	v_ashrrev_i32_e32 v3, 31, v2
	global_store_dword v[4:5], v44, off
	;; [unrolled: 4-line block ×46, first 2 shown]
	v_lshl_add_u64 v[4:5], v[2:3], 2, v[6:7]
	v_add_u32_e32 v0, s16, v2
	global_store_dword v[4:5], v1, off
	v_ashrrev_i32_e32 v1, 31, v0
	v_lshl_add_u64 v[2:3], v[0:1], 2, v[6:7]
	v_add_u32_e32 v0, s16, v0
	v_ashrrev_i32_e32 v1, 31, v0
	v_lshl_add_u64 v[0:1], v[0:1], 2, v[6:7]
	global_store_dword v[2:3], v12, off
	global_store_dword v[0:1], v13, off
.LBB100_864:
	s_endpgm
	.section	.rodata,"a",@progbits
	.p2align	6, 0x0
	.amdhsa_kernel _ZN9rocsolver6v33100L18getf2_small_kernelILi51EfiiPfEEvT1_T3_lS3_lPS3_llPT2_S3_S3_S5_l
		.amdhsa_group_segment_fixed_size 0
		.amdhsa_private_segment_fixed_size 0
		.amdhsa_kernarg_size 352
		.amdhsa_user_sgpr_count 2
		.amdhsa_user_sgpr_dispatch_ptr 0
		.amdhsa_user_sgpr_queue_ptr 0
		.amdhsa_user_sgpr_kernarg_segment_ptr 1
		.amdhsa_user_sgpr_dispatch_id 0
		.amdhsa_user_sgpr_kernarg_preload_length 0
		.amdhsa_user_sgpr_kernarg_preload_offset 0
		.amdhsa_user_sgpr_private_segment_size 0
		.amdhsa_uses_dynamic_stack 0
		.amdhsa_enable_private_segment 0
		.amdhsa_system_sgpr_workgroup_id_x 1
		.amdhsa_system_sgpr_workgroup_id_y 1
		.amdhsa_system_sgpr_workgroup_id_z 0
		.amdhsa_system_sgpr_workgroup_info 0
		.amdhsa_system_vgpr_workitem_id 1
		.amdhsa_next_free_vgpr 80
		.amdhsa_next_free_sgpr 26
		.amdhsa_accum_offset 80
		.amdhsa_reserve_vcc 1
		.amdhsa_float_round_mode_32 0
		.amdhsa_float_round_mode_16_64 0
		.amdhsa_float_denorm_mode_32 3
		.amdhsa_float_denorm_mode_16_64 3
		.amdhsa_dx10_clamp 1
		.amdhsa_ieee_mode 1
		.amdhsa_fp16_overflow 0
		.amdhsa_tg_split 0
		.amdhsa_exception_fp_ieee_invalid_op 0
		.amdhsa_exception_fp_denorm_src 0
		.amdhsa_exception_fp_ieee_div_zero 0
		.amdhsa_exception_fp_ieee_overflow 0
		.amdhsa_exception_fp_ieee_underflow 0
		.amdhsa_exception_fp_ieee_inexact 0
		.amdhsa_exception_int_div_zero 0
	.end_amdhsa_kernel
	.section	.text._ZN9rocsolver6v33100L18getf2_small_kernelILi51EfiiPfEEvT1_T3_lS3_lPS3_llPT2_S3_S3_S5_l,"axG",@progbits,_ZN9rocsolver6v33100L18getf2_small_kernelILi51EfiiPfEEvT1_T3_lS3_lPS3_llPT2_S3_S3_S5_l,comdat
.Lfunc_end100:
	.size	_ZN9rocsolver6v33100L18getf2_small_kernelILi51EfiiPfEEvT1_T3_lS3_lPS3_llPT2_S3_S3_S5_l, .Lfunc_end100-_ZN9rocsolver6v33100L18getf2_small_kernelILi51EfiiPfEEvT1_T3_lS3_lPS3_llPT2_S3_S3_S5_l
                                        ; -- End function
	.set _ZN9rocsolver6v33100L18getf2_small_kernelILi51EfiiPfEEvT1_T3_lS3_lPS3_llPT2_S3_S3_S5_l.num_vgpr, 80
	.set _ZN9rocsolver6v33100L18getf2_small_kernelILi51EfiiPfEEvT1_T3_lS3_lPS3_llPT2_S3_S3_S5_l.num_agpr, 0
	.set _ZN9rocsolver6v33100L18getf2_small_kernelILi51EfiiPfEEvT1_T3_lS3_lPS3_llPT2_S3_S3_S5_l.numbered_sgpr, 26
	.set _ZN9rocsolver6v33100L18getf2_small_kernelILi51EfiiPfEEvT1_T3_lS3_lPS3_llPT2_S3_S3_S5_l.num_named_barrier, 0
	.set _ZN9rocsolver6v33100L18getf2_small_kernelILi51EfiiPfEEvT1_T3_lS3_lPS3_llPT2_S3_S3_S5_l.private_seg_size, 0
	.set _ZN9rocsolver6v33100L18getf2_small_kernelILi51EfiiPfEEvT1_T3_lS3_lPS3_llPT2_S3_S3_S5_l.uses_vcc, 1
	.set _ZN9rocsolver6v33100L18getf2_small_kernelILi51EfiiPfEEvT1_T3_lS3_lPS3_llPT2_S3_S3_S5_l.uses_flat_scratch, 0
	.set _ZN9rocsolver6v33100L18getf2_small_kernelILi51EfiiPfEEvT1_T3_lS3_lPS3_llPT2_S3_S3_S5_l.has_dyn_sized_stack, 0
	.set _ZN9rocsolver6v33100L18getf2_small_kernelILi51EfiiPfEEvT1_T3_lS3_lPS3_llPT2_S3_S3_S5_l.has_recursion, 0
	.set _ZN9rocsolver6v33100L18getf2_small_kernelILi51EfiiPfEEvT1_T3_lS3_lPS3_llPT2_S3_S3_S5_l.has_indirect_call, 0
	.section	.AMDGPU.csdata,"",@progbits
; Kernel info:
; codeLenInByte = 43360
; TotalNumSgprs: 32
; NumVgprs: 80
; NumAgprs: 0
; TotalNumVgprs: 80
; ScratchSize: 0
; MemoryBound: 0
; FloatMode: 240
; IeeeMode: 1
; LDSByteSize: 0 bytes/workgroup (compile time only)
; SGPRBlocks: 3
; VGPRBlocks: 9
; NumSGPRsForWavesPerEU: 32
; NumVGPRsForWavesPerEU: 80
; AccumOffset: 80
; Occupancy: 6
; WaveLimiterHint : 0
; COMPUTE_PGM_RSRC2:SCRATCH_EN: 0
; COMPUTE_PGM_RSRC2:USER_SGPR: 2
; COMPUTE_PGM_RSRC2:TRAP_HANDLER: 0
; COMPUTE_PGM_RSRC2:TGID_X_EN: 1
; COMPUTE_PGM_RSRC2:TGID_Y_EN: 1
; COMPUTE_PGM_RSRC2:TGID_Z_EN: 0
; COMPUTE_PGM_RSRC2:TIDIG_COMP_CNT: 1
; COMPUTE_PGM_RSRC3_GFX90A:ACCUM_OFFSET: 19
; COMPUTE_PGM_RSRC3_GFX90A:TG_SPLIT: 0
	.section	.text._ZN9rocsolver6v33100L23getf2_npvt_small_kernelILi51EfiiPfEEvT1_T3_lS3_lPT2_S3_S3_,"axG",@progbits,_ZN9rocsolver6v33100L23getf2_npvt_small_kernelILi51EfiiPfEEvT1_T3_lS3_lPT2_S3_S3_,comdat
	.globl	_ZN9rocsolver6v33100L23getf2_npvt_small_kernelILi51EfiiPfEEvT1_T3_lS3_lPT2_S3_S3_ ; -- Begin function _ZN9rocsolver6v33100L23getf2_npvt_small_kernelILi51EfiiPfEEvT1_T3_lS3_lPT2_S3_S3_
	.p2align	8
	.type	_ZN9rocsolver6v33100L23getf2_npvt_small_kernelILi51EfiiPfEEvT1_T3_lS3_lPT2_S3_S3_,@function
_ZN9rocsolver6v33100L23getf2_npvt_small_kernelILi51EfiiPfEEvT1_T3_lS3_lPT2_S3_S3_: ; @_ZN9rocsolver6v33100L23getf2_npvt_small_kernelILi51EfiiPfEEvT1_T3_lS3_lPT2_S3_S3_
; %bb.0:
	s_load_dword s2, s[0:1], 0x44
	s_load_dwordx2 s[8:9], s[0:1], 0x30
	v_bfe_u32 v156, v0, 10, 10
	s_waitcnt lgkmcnt(0)
	s_lshr_b32 s10, s2, 16
	s_mul_i32 s3, s3, s10
	v_add_u32_e32 v34, s3, v156
	v_cmp_gt_i32_e32 vcc, s8, v34
	s_and_saveexec_b64 s[2:3], vcc
	s_cbranch_execz .LBB101_283
; %bb.1:
	s_load_dwordx4 s[12:15], s[0:1], 0x8
	s_load_dword s2, s[0:1], 0x18
	s_load_dwordx4 s[4:7], s[0:1], 0x20
	v_and_b32_e32 v25, 0x3ff, v0
	v_ashrrev_i32_e32 v35, 31, v34
	s_waitcnt lgkmcnt(0)
	v_mov_b32_e32 v2, s12
	v_mov_b32_e32 v3, s13
	v_mad_u64_u32 v[0:1], s[0:1], s4, v34, 0
	s_add_i32 s0, s2, s2
	s_nop 0
	v_add_u32_e32 v6, s0, v25
	v_add_u32_e32 v8, s2, v6
	v_add_u32_e32 v10, s2, v8
	v_add_u32_e32 v12, s2, v10
	v_add_u32_e32 v14, s2, v12
	v_add_u32_e32 v26, s2, v14
	v_add_u32_e32 v28, s2, v26
	v_add_u32_e32 v30, s2, v28
	v_add_u32_e32 v32, s2, v30
	v_add_u32_e32 v36, s2, v32
	v_add_u32_e32 v38, s2, v36
	v_add_u32_e32 v40, s2, v38
	v_add_u32_e32 v42, s2, v40
	v_add_u32_e32 v52, s2, v42
	v_add_u32_e32 v54, s2, v52
	v_add_u32_e32 v56, s2, v54
	v_add_u32_e32 v58, s2, v56
	v_add_u32_e32 v60, s2, v58
	v_add_u32_e32 v62, s2, v60
	v_add_u32_e32 v64, s2, v62
	v_add_u32_e32 v66, s2, v64
	v_add_u32_e32 v76, s2, v66
	v_add_u32_e32 v78, s2, v76
	v_add_u32_e32 v80, s2, v78
	v_add_u32_e32 v82, s2, v80
	v_add_u32_e32 v84, s2, v82
	v_add_u32_e32 v86, s2, v84
	v_add_u32_e32 v88, s2, v86
	v_add_u32_e32 v90, s2, v88
	v_add_u32_e32 v100, s2, v90
	v_add_u32_e32 v102, s2, v100
	v_add_u32_e32 v104, s2, v102
	v_add_u32_e32 v106, s2, v104
	v_add_u32_e32 v108, s2, v106
	v_add_u32_e32 v110, s2, v108
	v_add_u32_e32 v112, s2, v110
	v_add_u32_e32 v114, s2, v112
	v_add_u32_e32 v124, s2, v114
	v_add_u32_e32 v126, s2, v124
	v_add_u32_e32 v128, s2, v126
	v_add_u32_e32 v130, s2, v128
	v_add_u32_e32 v132, s2, v130
	v_mul_lo_u32 v4, s5, v34
	v_mul_lo_u32 v5, s4, v35
	v_add_u32_e32 v134, s2, v132
	v_add3_u32 v1, v1, v5, v4
	v_add_u32_e32 v136, s2, v134
	v_lshl_add_u64 v[0:1], v[0:1], 2, v[2:3]
	v_add_u32_e32 v138, s2, v136
	v_lshl_add_u64 v[152:153], s[14:15], 2, v[0:1]
	v_lshlrev_b32_e32 v0, 2, v25
	v_mov_b32_e32 v1, 0
	v_ashrrev_i32_e32 v7, 31, v6
	v_ashrrev_i32_e32 v9, 31, v8
	;; [unrolled: 1-line block ×39, first 2 shown]
	v_add_u32_e32 v148, s2, v138
	s_ashr_i32 s3, s2, 31
	v_lshl_add_u64 v[0:1], v[152:153], 0, v[0:1]
	v_lshl_add_u64 v[4:5], v[6:7], 2, v[152:153]
	;; [unrolled: 1-line block ×40, first 2 shown]
	v_ashrrev_i32_e32 v129, 31, v128
	v_ashrrev_i32_e32 v131, 31, v130
	;; [unrolled: 1-line block ×7, first 2 shown]
	v_lshl_add_u64 v[2:3], s[2:3], 2, v[0:1]
	global_load_dword v24, v[0:1], off
	global_load_dword v18, v[2:3], off
	;; [unrolled: 1-line block ×40, first 2 shown]
	v_lshl_add_u64 v[126:127], v[128:129], 2, v[152:153]
	v_lshl_add_u64 v[128:129], v[130:131], 2, v[152:153]
	v_lshl_add_u64 v[130:131], v[132:133], 2, v[152:153]
	v_lshl_add_u64 v[132:133], v[134:135], 2, v[152:153]
	v_lshl_add_u64 v[134:135], v[136:137], 2, v[152:153]
	v_lshl_add_u64 v[136:137], v[138:139], 2, v[152:153]
	v_lshl_add_u64 v[138:139], v[148:149], 2, v[152:153]
	global_load_dword v121, v[124:125], off
	global_load_dword v146, v[126:127], off
	global_load_dword v147, v[128:129], off
	global_load_dword v140, v[130:131], off
	global_load_dword v141, v[132:133], off
	global_load_dword v142, v[134:135], off
	global_load_dword v143, v[136:137], off
	global_load_dword v144, v[138:139], off
	v_add_u32_e32 v150, s2, v148
	v_add_u32_e32 v154, s2, v150
	v_ashrrev_i32_e32 v151, 31, v150
	v_ashrrev_i32_e32 v155, 31, v154
	v_lshl_add_u64 v[148:149], v[150:151], 2, v[152:153]
	v_lshl_add_u64 v[150:151], v[154:155], 2, v[152:153]
	v_add_u32_e32 v154, s2, v154
	v_ashrrev_i32_e32 v155, 31, v154
	v_lshl_add_u64 v[152:153], v[154:155], 2, v[152:153]
	global_load_dword v145, v[148:149], off
	global_load_dword v154, v[150:151], off
	;; [unrolled: 1-line block ×3, first 2 shown]
	s_mulk_i32 s10, 0xcc
	v_cmp_eq_u32_e64 s[0:1], 0, v25
	v_cmp_ne_u32_e64 s[2:3], 0, v25
	s_movk_i32 s11, 0xcc
	s_add_i32 s8, s10, 0
	s_and_saveexec_b64 s[4:5], s[2:3]
	s_xor_b64 s[4:5], exec, s[4:5]
	s_or_saveexec_b64 s[4:5], s[4:5]
	v_mad_u32_u24 v157, v156, s11, 0
	v_lshl_add_u32 v156, v156, 2, s8
	s_xor_b64 exec, exec, s[4:5]
	s_cbranch_execz .LBB101_5
; %bb.2:
	s_waitcnt vmcnt(50)
	ds_write_b32 v156, v24
	s_waitcnt vmcnt(48)
	ds_write2_b32 v157, v18, v19 offset0:1 offset1:2
	s_waitcnt vmcnt(46)
	ds_write2_b32 v157, v20, v21 offset0:3 offset1:4
	s_waitcnt vmcnt(44)
	ds_write2_b32 v157, v22, v23 offset0:5 offset1:6
	s_waitcnt vmcnt(42)
	ds_write2_b32 v157, v16, v17 offset0:7 offset1:8
	s_waitcnt vmcnt(40)
	ds_write2_b32 v157, v46, v47 offset0:9 offset1:10
	s_waitcnt vmcnt(38)
	ds_write2_b32 v157, v50, v51 offset0:11 offset1:12
	s_waitcnt vmcnt(36)
	ds_write2_b32 v157, v44, v45 offset0:13 offset1:14
	s_waitcnt vmcnt(34)
	ds_write2_b32 v157, v48, v49 offset0:15 offset1:16
	s_waitcnt vmcnt(32)
	ds_write2_b32 v157, v74, v75 offset0:17 offset1:18
	s_waitcnt vmcnt(30)
	ds_write2_b32 v157, v68, v69 offset0:19 offset1:20
	s_waitcnt vmcnt(28)
	ds_write2_b32 v157, v70, v71 offset0:21 offset1:22
	s_waitcnt vmcnt(26)
	ds_write2_b32 v157, v72, v73 offset0:23 offset1:24
	s_waitcnt vmcnt(24)
	ds_write2_b32 v157, v94, v95 offset0:25 offset1:26
	s_waitcnt vmcnt(22)
	ds_write2_b32 v157, v96, v97 offset0:27 offset1:28
	s_waitcnt vmcnt(20)
	ds_write2_b32 v157, v98, v99 offset0:29 offset1:30
	s_waitcnt vmcnt(18)
	ds_write2_b32 v157, v92, v93 offset0:31 offset1:32
	s_waitcnt vmcnt(16)
	ds_write2_b32 v157, v118, v119 offset0:33 offset1:34
	s_waitcnt vmcnt(14)
	ds_write2_b32 v157, v122, v123 offset0:35 offset1:36
	s_waitcnt vmcnt(12)
	ds_write2_b32 v157, v116, v117 offset0:37 offset1:38
	s_waitcnt vmcnt(10)
	ds_write2_b32 v157, v120, v121 offset0:39 offset1:40
	s_waitcnt vmcnt(8)
	ds_write2_b32 v157, v146, v147 offset0:41 offset1:42
	s_waitcnt vmcnt(6)
	ds_write2_b32 v157, v140, v141 offset0:43 offset1:44
	s_waitcnt vmcnt(4)
	ds_write2_b32 v157, v142, v143 offset0:45 offset1:46
	s_waitcnt vmcnt(2)
	ds_write2_b32 v157, v144, v145 offset0:47 offset1:48
	s_waitcnt vmcnt(0)
	ds_write2_b32 v157, v154, v155 offset0:49 offset1:50
	ds_read_b32 v158, v156
	s_waitcnt lgkmcnt(0)
	v_cmp_neq_f32_e32 vcc, 0, v158
	s_and_saveexec_b64 s[10:11], vcc
	s_cbranch_execz .LBB101_4
; %bb.3:
	v_div_scale_f32 v159, s[12:13], v158, v158, 1.0
	v_rcp_f32_e32 v160, v159
	v_div_scale_f32 v161, vcc, 1.0, v158, 1.0
	v_fma_f32 v162, -v159, v160, 1.0
	v_fmac_f32_e32 v160, v162, v160
	v_mul_f32_e32 v162, v161, v160
	v_fma_f32 v163, -v159, v162, v161
	v_fmac_f32_e32 v162, v163, v160
	v_fma_f32 v159, -v159, v162, v161
	v_div_fmas_f32 v159, v159, v160, v162
	v_div_fixup_f32 v158, v159, v158, 1.0
	ds_write_b32 v156, v158
.LBB101_4:
	s_or_b64 exec, exec, s[10:11]
.LBB101_5:
	s_or_b64 exec, exec, s[4:5]
	s_waitcnt lgkmcnt(0)
	s_barrier
	ds_read_b32 v158, v156
	s_and_saveexec_b64 s[4:5], s[2:3]
	s_cbranch_execz .LBB101_7
; %bb.6:
	ds_read2_b32 v[160:161], v157 offset0:1 offset1:2
	s_waitcnt vmcnt(50) lgkmcnt(1)
	v_mul_f32_e32 v24, v158, v24
	s_waitcnt vmcnt(48) lgkmcnt(0)
	v_pk_fma_f32 v[18:19], v[24:25], v[160:161], v[18:19] op_sel_hi:[0,1,1] neg_lo:[1,0,0] neg_hi:[1,0,0]
	ds_read2_b32 v[160:161], v157 offset0:3 offset1:4
	s_waitcnt vmcnt(46) lgkmcnt(0)
	v_pk_fma_f32 v[20:21], v[24:25], v[160:161], v[20:21] op_sel_hi:[0,1,1] neg_lo:[1,0,0] neg_hi:[1,0,0]
	ds_read2_b32 v[160:161], v157 offset0:5 offset1:6
	;; [unrolled: 3-line block ×24, first 2 shown]
	s_waitcnt vmcnt(0) lgkmcnt(0)
	v_pk_fma_f32 v[154:155], v[24:25], v[160:161], v[154:155] op_sel_hi:[0,1,1] neg_lo:[1,0,0] neg_hi:[1,0,0]
.LBB101_7:
	s_or_b64 exec, exec, s[4:5]
	v_cmp_eq_u32_e32 vcc, 1, v25
	s_waitcnt lgkmcnt(0)
	s_barrier
	s_and_saveexec_b64 s[2:3], vcc
	s_cbranch_execz .LBB101_10
; %bb.8:
	s_waitcnt vmcnt(46)
	v_pk_mov_b32 v[160:161], v[18:19], v[20:21] op_sel:[1,0]
	ds_write_b32 v156, v18
	ds_write2_b32 v157, v160, v161 offset0:2 offset1:3
	s_waitcnt vmcnt(44)
	v_pk_mov_b32 v[160:161], v[20:21], v[22:23] op_sel:[1,0]
	ds_write2_b32 v157, v160, v161 offset0:4 offset1:5
	s_waitcnt vmcnt(42)
	v_pk_mov_b32 v[160:161], v[22:23], v[16:17] op_sel:[1,0]
	;; [unrolled: 3-line block ×23, first 2 shown]
	ds_write2_b32 v157, v160, v161 offset0:48 offset1:49
	ds_write_b32 v157, v155 offset:200
	ds_read_b32 v159, v156
	s_waitcnt lgkmcnt(0)
	v_cmp_neq_f32_e32 vcc, 0, v159
	s_and_b64 exec, exec, vcc
	s_cbranch_execz .LBB101_10
; %bb.9:
	v_div_scale_f32 v160, s[4:5], v159, v159, 1.0
	v_rcp_f32_e32 v161, v160
	v_div_scale_f32 v162, vcc, 1.0, v159, 1.0
	v_fma_f32 v163, -v160, v161, 1.0
	v_fmac_f32_e32 v161, v163, v161
	v_mul_f32_e32 v163, v162, v161
	v_fma_f32 v164, -v160, v163, v162
	v_fmac_f32_e32 v163, v164, v161
	v_fma_f32 v160, -v160, v163, v162
	v_div_fmas_f32 v160, v160, v161, v163
	v_div_fixup_f32 v159, v160, v159, 1.0
	ds_write_b32 v156, v159
.LBB101_10:
	s_or_b64 exec, exec, s[2:3]
	s_waitcnt lgkmcnt(0)
	s_barrier
	ds_read_b32 v159, v156
	v_cmp_lt_u32_e32 vcc, 1, v25
	s_and_saveexec_b64 s[2:3], vcc
	s_cbranch_execz .LBB101_12
; %bb.11:
	ds_read_b32 v160, v157 offset:8
	s_waitcnt vmcnt(49) lgkmcnt(1)
	v_mul_f32_e32 v18, v159, v18
	s_waitcnt vmcnt(48) lgkmcnt(0)
	v_fma_f32 v19, -v18, v160, v19
	ds_read2_b32 v[160:161], v157 offset0:3 offset1:4
	s_waitcnt vmcnt(46) lgkmcnt(0)
	v_pk_fma_f32 v[20:21], v[18:19], v[160:161], v[20:21] op_sel_hi:[0,1,1] neg_lo:[1,0,0] neg_hi:[1,0,0]
	ds_read2_b32 v[160:161], v157 offset0:5 offset1:6
	s_waitcnt vmcnt(44) lgkmcnt(0)
	v_pk_fma_f32 v[22:23], v[18:19], v[160:161], v[22:23] op_sel_hi:[0,1,1] neg_lo:[1,0,0] neg_hi:[1,0,0]
	;; [unrolled: 3-line block ×24, first 2 shown]
.LBB101_12:
	s_or_b64 exec, exec, s[2:3]
	v_cmp_eq_u32_e32 vcc, 2, v25
	s_waitcnt lgkmcnt(0)
	s_barrier
	s_and_saveexec_b64 s[2:3], vcc
	s_cbranch_execz .LBB101_15
; %bb.13:
	s_waitcnt vmcnt(48)
	ds_write_b32 v156, v19
	s_waitcnt vmcnt(46)
	ds_write2_b32 v157, v20, v21 offset0:3 offset1:4
	s_waitcnt vmcnt(44)
	ds_write2_b32 v157, v22, v23 offset0:5 offset1:6
	;; [unrolled: 2-line block ×24, first 2 shown]
	ds_read_b32 v160, v156
	s_waitcnt lgkmcnt(0)
	v_cmp_neq_f32_e32 vcc, 0, v160
	s_and_b64 exec, exec, vcc
	s_cbranch_execz .LBB101_15
; %bb.14:
	v_div_scale_f32 v161, s[4:5], v160, v160, 1.0
	v_rcp_f32_e32 v162, v161
	v_div_scale_f32 v163, vcc, 1.0, v160, 1.0
	v_fma_f32 v164, -v161, v162, 1.0
	v_fmac_f32_e32 v162, v164, v162
	v_mul_f32_e32 v164, v163, v162
	v_fma_f32 v165, -v161, v164, v163
	v_fmac_f32_e32 v164, v165, v162
	v_fma_f32 v161, -v161, v164, v163
	v_div_fmas_f32 v161, v161, v162, v164
	v_div_fixup_f32 v160, v161, v160, 1.0
	ds_write_b32 v156, v160
.LBB101_15:
	s_or_b64 exec, exec, s[2:3]
	s_waitcnt lgkmcnt(0)
	s_barrier
	ds_read_b32 v160, v156
	v_cmp_lt_u32_e32 vcc, 2, v25
	s_and_saveexec_b64 s[2:3], vcc
	s_cbranch_execz .LBB101_17
; %bb.16:
	ds_read2_b32 v[164:165], v157 offset0:3 offset1:4
	s_waitcnt vmcnt(48) lgkmcnt(1)
	v_mul_f32_e32 v162, v160, v19
	v_mov_b32_e32 v19, v162
	s_waitcnt vmcnt(46) lgkmcnt(0)
	v_pk_fma_f32 v[20:21], v[162:163], v[164:165], v[20:21] op_sel_hi:[0,1,1] neg_lo:[1,0,0] neg_hi:[1,0,0]
	ds_read2_b32 v[164:165], v157 offset0:5 offset1:6
	s_waitcnt vmcnt(44) lgkmcnt(0)
	v_pk_fma_f32 v[22:23], v[162:163], v[164:165], v[22:23] op_sel_hi:[0,1,1] neg_lo:[1,0,0] neg_hi:[1,0,0]
	ds_read2_b32 v[164:165], v157 offset0:7 offset1:8
	;; [unrolled: 3-line block ×23, first 2 shown]
	s_waitcnt vmcnt(0) lgkmcnt(0)
	v_pk_fma_f32 v[154:155], v[162:163], v[164:165], v[154:155] op_sel_hi:[0,1,1] neg_lo:[1,0,0] neg_hi:[1,0,0]
.LBB101_17:
	s_or_b64 exec, exec, s[2:3]
	v_cmp_eq_u32_e32 vcc, 3, v25
	s_waitcnt lgkmcnt(0)
	s_barrier
	s_and_saveexec_b64 s[2:3], vcc
	s_cbranch_execz .LBB101_20
; %bb.18:
	s_waitcnt vmcnt(44)
	v_pk_mov_b32 v[162:163], v[20:21], v[22:23] op_sel:[1,0]
	ds_write_b32 v156, v20
	ds_write2_b32 v157, v162, v163 offset0:4 offset1:5
	s_waitcnt vmcnt(42)
	v_pk_mov_b32 v[162:163], v[22:23], v[16:17] op_sel:[1,0]
	ds_write2_b32 v157, v162, v163 offset0:6 offset1:7
	s_waitcnt vmcnt(40)
	v_pk_mov_b32 v[162:163], v[16:17], v[46:47] op_sel:[1,0]
	;; [unrolled: 3-line block ×22, first 2 shown]
	ds_write2_b32 v157, v162, v163 offset0:48 offset1:49
	ds_write_b32 v157, v155 offset:200
	ds_read_b32 v161, v156
	s_waitcnt lgkmcnt(0)
	v_cmp_neq_f32_e32 vcc, 0, v161
	s_and_b64 exec, exec, vcc
	s_cbranch_execz .LBB101_20
; %bb.19:
	v_div_scale_f32 v162, s[4:5], v161, v161, 1.0
	v_rcp_f32_e32 v163, v162
	v_div_scale_f32 v164, vcc, 1.0, v161, 1.0
	v_fma_f32 v165, -v162, v163, 1.0
	v_fmac_f32_e32 v163, v165, v163
	v_mul_f32_e32 v165, v164, v163
	v_fma_f32 v166, -v162, v165, v164
	v_fmac_f32_e32 v165, v166, v163
	v_fma_f32 v162, -v162, v165, v164
	v_div_fmas_f32 v162, v162, v163, v165
	v_div_fixup_f32 v161, v162, v161, 1.0
	ds_write_b32 v156, v161
.LBB101_20:
	s_or_b64 exec, exec, s[2:3]
	s_waitcnt lgkmcnt(0)
	s_barrier
	ds_read_b32 v161, v156
	v_cmp_lt_u32_e32 vcc, 3, v25
	s_and_saveexec_b64 s[2:3], vcc
	s_cbranch_execz .LBB101_22
; %bb.21:
	ds_read_b32 v162, v157 offset:16
	s_waitcnt vmcnt(47) lgkmcnt(1)
	v_mul_f32_e32 v20, v161, v20
	s_waitcnt vmcnt(46) lgkmcnt(0)
	v_fma_f32 v21, -v20, v162, v21
	ds_read2_b32 v[162:163], v157 offset0:5 offset1:6
	s_waitcnt vmcnt(44) lgkmcnt(0)
	v_pk_fma_f32 v[22:23], v[20:21], v[162:163], v[22:23] op_sel_hi:[0,1,1] neg_lo:[1,0,0] neg_hi:[1,0,0]
	ds_read2_b32 v[162:163], v157 offset0:7 offset1:8
	s_waitcnt vmcnt(42) lgkmcnt(0)
	v_pk_fma_f32 v[16:17], v[20:21], v[162:163], v[16:17] op_sel_hi:[0,1,1] neg_lo:[1,0,0] neg_hi:[1,0,0]
	;; [unrolled: 3-line block ×23, first 2 shown]
.LBB101_22:
	s_or_b64 exec, exec, s[2:3]
	v_cmp_ne_u32_e32 vcc, 4, v25
	s_waitcnt lgkmcnt(0)
	s_barrier
	s_and_saveexec_b64 s[2:3], vcc
	s_xor_b64 s[2:3], exec, s[2:3]
	s_andn2_saveexec_b64 s[2:3], s[2:3]
	s_cbranch_execz .LBB101_26
; %bb.23:
	s_waitcnt vmcnt(46)
	ds_write_b32 v156, v21
	s_waitcnt vmcnt(44)
	ds_write2_b32 v157, v22, v23 offset0:5 offset1:6
	s_waitcnt vmcnt(42)
	ds_write2_b32 v157, v16, v17 offset0:7 offset1:8
	;; [unrolled: 2-line block ×23, first 2 shown]
	ds_read_b32 v162, v156
	s_waitcnt lgkmcnt(0)
	v_cmp_neq_f32_e32 vcc, 0, v162
	s_and_saveexec_b64 s[4:5], vcc
	s_cbranch_execz .LBB101_25
; %bb.24:
	v_div_scale_f32 v163, s[10:11], v162, v162, 1.0
	v_rcp_f32_e32 v164, v163
	v_div_scale_f32 v165, vcc, 1.0, v162, 1.0
	v_fma_f32 v166, -v163, v164, 1.0
	v_fmac_f32_e32 v164, v166, v164
	v_mul_f32_e32 v166, v165, v164
	v_fma_f32 v167, -v163, v166, v165
	v_fmac_f32_e32 v166, v167, v164
	v_fma_f32 v163, -v163, v166, v165
	v_div_fmas_f32 v163, v163, v164, v166
	v_div_fixup_f32 v162, v163, v162, 1.0
	ds_write_b32 v156, v162
.LBB101_25:
	s_or_b64 exec, exec, s[4:5]
.LBB101_26:
	s_or_b64 exec, exec, s[2:3]
	s_waitcnt lgkmcnt(0)
	s_barrier
	ds_read_b32 v162, v156
	v_cmp_lt_u32_e32 vcc, 4, v25
	s_and_saveexec_b64 s[2:3], vcc
	s_cbranch_execz .LBB101_28
; %bb.27:
	ds_read2_b32 v[166:167], v157 offset0:5 offset1:6
	s_waitcnt vmcnt(46) lgkmcnt(1)
	v_mul_f32_e32 v164, v162, v21
	v_mov_b32_e32 v21, v164
	s_waitcnt vmcnt(44) lgkmcnt(0)
	v_pk_fma_f32 v[22:23], v[164:165], v[166:167], v[22:23] op_sel_hi:[0,1,1] neg_lo:[1,0,0] neg_hi:[1,0,0]
	ds_read2_b32 v[166:167], v157 offset0:7 offset1:8
	s_waitcnt vmcnt(42) lgkmcnt(0)
	v_pk_fma_f32 v[16:17], v[164:165], v[166:167], v[16:17] op_sel_hi:[0,1,1] neg_lo:[1,0,0] neg_hi:[1,0,0]
	ds_read2_b32 v[166:167], v157 offset0:9 offset1:10
	;; [unrolled: 3-line block ×22, first 2 shown]
	s_waitcnt vmcnt(0) lgkmcnt(0)
	v_pk_fma_f32 v[154:155], v[164:165], v[166:167], v[154:155] op_sel_hi:[0,1,1] neg_lo:[1,0,0] neg_hi:[1,0,0]
.LBB101_28:
	s_or_b64 exec, exec, s[2:3]
	v_cmp_eq_u32_e32 vcc, 5, v25
	s_waitcnt lgkmcnt(0)
	s_barrier
	s_and_saveexec_b64 s[2:3], vcc
	s_cbranch_execz .LBB101_31
; %bb.29:
	s_waitcnt vmcnt(42)
	v_pk_mov_b32 v[164:165], v[22:23], v[16:17] op_sel:[1,0]
	ds_write_b32 v156, v22
	ds_write2_b32 v157, v164, v165 offset0:6 offset1:7
	s_waitcnt vmcnt(40)
	v_pk_mov_b32 v[164:165], v[16:17], v[46:47] op_sel:[1,0]
	ds_write2_b32 v157, v164, v165 offset0:8 offset1:9
	s_waitcnt vmcnt(38)
	v_pk_mov_b32 v[164:165], v[46:47], v[50:51] op_sel:[1,0]
	;; [unrolled: 3-line block ×21, first 2 shown]
	ds_write2_b32 v157, v164, v165 offset0:48 offset1:49
	ds_write_b32 v157, v155 offset:200
	ds_read_b32 v163, v156
	s_waitcnt lgkmcnt(0)
	v_cmp_neq_f32_e32 vcc, 0, v163
	s_and_b64 exec, exec, vcc
	s_cbranch_execz .LBB101_31
; %bb.30:
	v_div_scale_f32 v164, s[4:5], v163, v163, 1.0
	v_rcp_f32_e32 v165, v164
	v_div_scale_f32 v166, vcc, 1.0, v163, 1.0
	v_fma_f32 v167, -v164, v165, 1.0
	v_fmac_f32_e32 v165, v167, v165
	v_mul_f32_e32 v167, v166, v165
	v_fma_f32 v168, -v164, v167, v166
	v_fmac_f32_e32 v167, v168, v165
	v_fma_f32 v164, -v164, v167, v166
	v_div_fmas_f32 v164, v164, v165, v167
	v_div_fixup_f32 v163, v164, v163, 1.0
	ds_write_b32 v156, v163
.LBB101_31:
	s_or_b64 exec, exec, s[2:3]
	s_waitcnt lgkmcnt(0)
	s_barrier
	ds_read_b32 v163, v156
	v_cmp_lt_u32_e32 vcc, 5, v25
	s_and_saveexec_b64 s[2:3], vcc
	s_cbranch_execz .LBB101_33
; %bb.32:
	ds_read_b32 v170, v157 offset:24
	ds_read2_b32 v[164:165], v157 offset0:7 offset1:8
	ds_read2_b32 v[166:167], v157 offset0:9 offset1:10
	s_waitcnt vmcnt(45) lgkmcnt(3)
	v_mul_f32_e32 v22, v163, v22
	ds_read2_b32 v[168:169], v157 offset0:11 offset1:12
	s_waitcnt vmcnt(44) lgkmcnt(3)
	v_fma_f32 v23, -v22, v170, v23
	s_waitcnt vmcnt(42) lgkmcnt(2)
	v_pk_fma_f32 v[16:17], v[22:23], v[164:165], v[16:17] op_sel_hi:[0,1,1] neg_lo:[1,0,0] neg_hi:[1,0,0]
	s_waitcnt vmcnt(40) lgkmcnt(1)
	v_pk_fma_f32 v[46:47], v[22:23], v[166:167], v[46:47] op_sel_hi:[0,1,1] neg_lo:[1,0,0] neg_hi:[1,0,0]
	ds_read2_b32 v[164:165], v157 offset0:13 offset1:14
	ds_read2_b32 v[166:167], v157 offset0:15 offset1:16
	ds_read2_b32 v[170:171], v157 offset0:17 offset1:18
	s_waitcnt vmcnt(38) lgkmcnt(3)
	v_pk_fma_f32 v[50:51], v[22:23], v[168:169], v[50:51] op_sel_hi:[0,1,1] neg_lo:[1,0,0] neg_hi:[1,0,0]
	ds_read2_b32 v[168:169], v157 offset0:19 offset1:20
	s_waitcnt vmcnt(36) lgkmcnt(3)
	v_pk_fma_f32 v[44:45], v[22:23], v[164:165], v[44:45] op_sel_hi:[0,1,1] neg_lo:[1,0,0] neg_hi:[1,0,0]
	s_waitcnt vmcnt(34) lgkmcnt(2)
	v_pk_fma_f32 v[48:49], v[22:23], v[166:167], v[48:49] op_sel_hi:[0,1,1] neg_lo:[1,0,0] neg_hi:[1,0,0]
	s_waitcnt vmcnt(32) lgkmcnt(1)
	v_pk_fma_f32 v[74:75], v[22:23], v[170:171], v[74:75] op_sel_hi:[0,1,1] neg_lo:[1,0,0] neg_hi:[1,0,0]
	ds_read2_b32 v[164:165], v157 offset0:21 offset1:22
	ds_read2_b32 v[166:167], v157 offset0:23 offset1:24
	ds_read2_b32 v[170:171], v157 offset0:25 offset1:26
	s_waitcnt vmcnt(30) lgkmcnt(3)
	v_pk_fma_f32 v[68:69], v[22:23], v[168:169], v[68:69] op_sel_hi:[0,1,1] neg_lo:[1,0,0] neg_hi:[1,0,0]
	ds_read2_b32 v[168:169], v157 offset0:27 offset1:28
	s_waitcnt vmcnt(28) lgkmcnt(3)
	v_pk_fma_f32 v[70:71], v[22:23], v[164:165], v[70:71] op_sel_hi:[0,1,1] neg_lo:[1,0,0] neg_hi:[1,0,0]
	;; [unrolled: 12-line block ×3, first 2 shown]
	s_waitcnt vmcnt(18) lgkmcnt(2)
	v_pk_fma_f32 v[92:93], v[22:23], v[166:167], v[92:93] op_sel_hi:[0,1,1] neg_lo:[1,0,0] neg_hi:[1,0,0]
	ds_read2_b32 v[164:165], v157 offset0:37 offset1:38
	ds_read2_b32 v[166:167], v157 offset0:39 offset1:40
	s_waitcnt vmcnt(16) lgkmcnt(3)
	v_pk_fma_f32 v[118:119], v[22:23], v[170:171], v[118:119] op_sel_hi:[0,1,1] neg_lo:[1,0,0] neg_hi:[1,0,0]
	s_waitcnt vmcnt(14) lgkmcnt(2)
	v_pk_fma_f32 v[122:123], v[22:23], v[168:169], v[122:123] op_sel_hi:[0,1,1] neg_lo:[1,0,0] neg_hi:[1,0,0]
	ds_read2_b32 v[168:169], v157 offset0:41 offset1:42
	ds_read2_b32 v[170:171], v157 offset0:43 offset1:44
	s_waitcnt vmcnt(12) lgkmcnt(3)
	v_pk_fma_f32 v[116:117], v[22:23], v[164:165], v[116:117] op_sel_hi:[0,1,1] neg_lo:[1,0,0] neg_hi:[1,0,0]
	s_waitcnt vmcnt(10) lgkmcnt(2)
	v_pk_fma_f32 v[120:121], v[22:23], v[166:167], v[120:121] op_sel_hi:[0,1,1] neg_lo:[1,0,0] neg_hi:[1,0,0]
	ds_read2_b32 v[164:165], v157 offset0:45 offset1:46
	ds_read2_b32 v[166:167], v157 offset0:47 offset1:48
	;; [unrolled: 1-line block ×3, first 2 shown]
	s_waitcnt vmcnt(8) lgkmcnt(4)
	v_pk_fma_f32 v[146:147], v[22:23], v[168:169], v[146:147] op_sel_hi:[0,1,1] neg_lo:[1,0,0] neg_hi:[1,0,0]
	s_waitcnt vmcnt(6) lgkmcnt(3)
	v_pk_fma_f32 v[140:141], v[22:23], v[170:171], v[140:141] op_sel_hi:[0,1,1] neg_lo:[1,0,0] neg_hi:[1,0,0]
	;; [unrolled: 2-line block ×5, first 2 shown]
.LBB101_33:
	s_or_b64 exec, exec, s[2:3]
	v_cmp_ne_u32_e32 vcc, 6, v25
	s_waitcnt lgkmcnt(0)
	s_barrier
	s_and_saveexec_b64 s[2:3], vcc
	s_xor_b64 s[2:3], exec, s[2:3]
	s_andn2_saveexec_b64 s[2:3], s[2:3]
	s_cbranch_execz .LBB101_37
; %bb.34:
	s_waitcnt vmcnt(44)
	ds_write_b32 v156, v23
	s_waitcnt vmcnt(42)
	ds_write2_b32 v157, v16, v17 offset0:7 offset1:8
	s_waitcnt vmcnt(40)
	ds_write2_b32 v157, v46, v47 offset0:9 offset1:10
	s_waitcnt vmcnt(38)
	ds_write2_b32 v157, v50, v51 offset0:11 offset1:12
	s_waitcnt vmcnt(36)
	ds_write2_b32 v157, v44, v45 offset0:13 offset1:14
	s_waitcnt vmcnt(34)
	ds_write2_b32 v157, v48, v49 offset0:15 offset1:16
	s_waitcnt vmcnt(32)
	ds_write2_b32 v157, v74, v75 offset0:17 offset1:18
	s_waitcnt vmcnt(30)
	ds_write2_b32 v157, v68, v69 offset0:19 offset1:20
	s_waitcnt vmcnt(28)
	ds_write2_b32 v157, v70, v71 offset0:21 offset1:22
	s_waitcnt vmcnt(26)
	ds_write2_b32 v157, v72, v73 offset0:23 offset1:24
	s_waitcnt vmcnt(24)
	ds_write2_b32 v157, v94, v95 offset0:25 offset1:26
	s_waitcnt vmcnt(22)
	ds_write2_b32 v157, v96, v97 offset0:27 offset1:28
	s_waitcnt vmcnt(20)
	ds_write2_b32 v157, v98, v99 offset0:29 offset1:30
	s_waitcnt vmcnt(18)
	ds_write2_b32 v157, v92, v93 offset0:31 offset1:32
	s_waitcnt vmcnt(16)
	ds_write2_b32 v157, v118, v119 offset0:33 offset1:34
	s_waitcnt vmcnt(14)
	ds_write2_b32 v157, v122, v123 offset0:35 offset1:36
	s_waitcnt vmcnt(12)
	ds_write2_b32 v157, v116, v117 offset0:37 offset1:38
	s_waitcnt vmcnt(10)
	ds_write2_b32 v157, v120, v121 offset0:39 offset1:40
	s_waitcnt vmcnt(8)
	ds_write2_b32 v157, v146, v147 offset0:41 offset1:42
	s_waitcnt vmcnt(6)
	ds_write2_b32 v157, v140, v141 offset0:43 offset1:44
	s_waitcnt vmcnt(4)
	ds_write2_b32 v157, v142, v143 offset0:45 offset1:46
	s_waitcnt vmcnt(2)
	ds_write2_b32 v157, v144, v145 offset0:47 offset1:48
	s_waitcnt vmcnt(0)
	ds_write2_b32 v157, v154, v155 offset0:49 offset1:50
	ds_read_b32 v164, v156
	s_waitcnt lgkmcnt(0)
	v_cmp_neq_f32_e32 vcc, 0, v164
	s_and_saveexec_b64 s[4:5], vcc
	s_cbranch_execz .LBB101_36
; %bb.35:
	v_div_scale_f32 v165, s[10:11], v164, v164, 1.0
	v_rcp_f32_e32 v166, v165
	v_div_scale_f32 v167, vcc, 1.0, v164, 1.0
	v_fma_f32 v168, -v165, v166, 1.0
	v_fmac_f32_e32 v166, v168, v166
	v_mul_f32_e32 v168, v167, v166
	v_fma_f32 v169, -v165, v168, v167
	v_fmac_f32_e32 v168, v169, v166
	v_fma_f32 v165, -v165, v168, v167
	v_div_fmas_f32 v165, v165, v166, v168
	v_div_fixup_f32 v164, v165, v164, 1.0
	ds_write_b32 v156, v164
.LBB101_36:
	s_or_b64 exec, exec, s[4:5]
.LBB101_37:
	s_or_b64 exec, exec, s[2:3]
	s_waitcnt lgkmcnt(0)
	s_barrier
	ds_read_b32 v164, v156
	v_cmp_lt_u32_e32 vcc, 6, v25
	s_and_saveexec_b64 s[2:3], vcc
	s_cbranch_execz .LBB101_39
; %bb.38:
	ds_read2_b32 v[166:167], v157 offset0:7 offset1:8
	ds_read2_b32 v[168:169], v157 offset0:9 offset1:10
	;; [unrolled: 1-line block ×4, first 2 shown]
	s_waitcnt vmcnt(44) lgkmcnt(4)
	v_mul_f32_e32 v172, v164, v23
	s_waitcnt vmcnt(42) lgkmcnt(3)
	v_pk_fma_f32 v[16:17], v[172:173], v[166:167], v[16:17] op_sel_hi:[0,1,1] neg_lo:[1,0,0] neg_hi:[1,0,0]
	s_waitcnt vmcnt(40) lgkmcnt(2)
	v_pk_fma_f32 v[46:47], v[172:173], v[168:169], v[46:47] op_sel_hi:[0,1,1] neg_lo:[1,0,0] neg_hi:[1,0,0]
	s_waitcnt vmcnt(38) lgkmcnt(1)
	v_pk_fma_f32 v[50:51], v[172:173], v[170:171], v[50:51] op_sel_hi:[0,1,1] neg_lo:[1,0,0] neg_hi:[1,0,0]
	ds_read2_b32 v[166:167], v157 offset0:15 offset1:16
	ds_read2_b32 v[168:169], v157 offset0:17 offset1:18
	ds_read2_b32 v[170:171], v157 offset0:19 offset1:20
	s_waitcnt vmcnt(36) lgkmcnt(3)
	v_pk_fma_f32 v[44:45], v[172:173], v[174:175], v[44:45] op_sel_hi:[0,1,1] neg_lo:[1,0,0] neg_hi:[1,0,0]
	ds_read2_b32 v[174:175], v157 offset0:21 offset1:22
	s_waitcnt vmcnt(34) lgkmcnt(3)
	v_pk_fma_f32 v[48:49], v[172:173], v[166:167], v[48:49] op_sel_hi:[0,1,1] neg_lo:[1,0,0] neg_hi:[1,0,0]
	s_waitcnt vmcnt(32) lgkmcnt(2)
	v_pk_fma_f32 v[74:75], v[172:173], v[168:169], v[74:75] op_sel_hi:[0,1,1] neg_lo:[1,0,0] neg_hi:[1,0,0]
	s_waitcnt vmcnt(30) lgkmcnt(1)
	v_pk_fma_f32 v[68:69], v[172:173], v[170:171], v[68:69] op_sel_hi:[0,1,1] neg_lo:[1,0,0] neg_hi:[1,0,0]
	ds_read2_b32 v[166:167], v157 offset0:23 offset1:24
	ds_read2_b32 v[168:169], v157 offset0:25 offset1:26
	ds_read2_b32 v[170:171], v157 offset0:27 offset1:28
	s_waitcnt vmcnt(28) lgkmcnt(3)
	v_pk_fma_f32 v[70:71], v[172:173], v[174:175], v[70:71] op_sel_hi:[0,1,1] neg_lo:[1,0,0] neg_hi:[1,0,0]
	ds_read2_b32 v[174:175], v157 offset0:29 offset1:30
	;; [unrolled: 12-line block ×3, first 2 shown]
	s_waitcnt vmcnt(18) lgkmcnt(3)
	v_pk_fma_f32 v[92:93], v[172:173], v[166:167], v[92:93] op_sel_hi:[0,1,1] neg_lo:[1,0,0] neg_hi:[1,0,0]
	ds_read2_b32 v[166:167], v157 offset0:39 offset1:40
	s_waitcnt vmcnt(16) lgkmcnt(3)
	v_pk_fma_f32 v[118:119], v[172:173], v[168:169], v[118:119] op_sel_hi:[0,1,1] neg_lo:[1,0,0] neg_hi:[1,0,0]
	s_waitcnt vmcnt(14) lgkmcnt(2)
	v_pk_fma_f32 v[122:123], v[172:173], v[170:171], v[122:123] op_sel_hi:[0,1,1] neg_lo:[1,0,0] neg_hi:[1,0,0]
	;; [unrolled: 2-line block ×3, first 2 shown]
	ds_read2_b32 v[168:169], v157 offset0:41 offset1:42
	ds_read2_b32 v[170:171], v157 offset0:43 offset1:44
	;; [unrolled: 1-line block ×3, first 2 shown]
	s_waitcnt vmcnt(10) lgkmcnt(3)
	v_pk_fma_f32 v[120:121], v[172:173], v[166:167], v[120:121] op_sel_hi:[0,1,1] neg_lo:[1,0,0] neg_hi:[1,0,0]
	ds_read2_b32 v[166:167], v157 offset0:47 offset1:48
	ds_read2_b32 v[176:177], v157 offset0:49 offset1:50
	s_waitcnt vmcnt(8) lgkmcnt(4)
	v_pk_fma_f32 v[146:147], v[172:173], v[168:169], v[146:147] op_sel_hi:[0,1,1] neg_lo:[1,0,0] neg_hi:[1,0,0]
	s_waitcnt vmcnt(6) lgkmcnt(3)
	v_pk_fma_f32 v[140:141], v[172:173], v[170:171], v[140:141] op_sel_hi:[0,1,1] neg_lo:[1,0,0] neg_hi:[1,0,0]
	s_waitcnt vmcnt(4) lgkmcnt(2)
	v_pk_fma_f32 v[142:143], v[172:173], v[174:175], v[142:143] op_sel_hi:[0,1,1] neg_lo:[1,0,0] neg_hi:[1,0,0]
	s_waitcnt vmcnt(2) lgkmcnt(1)
	v_pk_fma_f32 v[144:145], v[172:173], v[166:167], v[144:145] op_sel_hi:[0,1,1] neg_lo:[1,0,0] neg_hi:[1,0,0]
	s_waitcnt vmcnt(0) lgkmcnt(0)
	v_pk_fma_f32 v[154:155], v[172:173], v[176:177], v[154:155] op_sel_hi:[0,1,1] neg_lo:[1,0,0] neg_hi:[1,0,0]
	v_mov_b32_e32 v23, v172
.LBB101_39:
	s_or_b64 exec, exec, s[2:3]
	v_cmp_eq_u32_e32 vcc, 7, v25
	s_waitcnt lgkmcnt(0)
	s_barrier
	s_and_saveexec_b64 s[2:3], vcc
	s_cbranch_execz .LBB101_42
; %bb.40:
	s_waitcnt vmcnt(40)
	v_pk_mov_b32 v[166:167], v[16:17], v[46:47] op_sel:[1,0]
	ds_write_b32 v156, v16
	ds_write2_b32 v157, v166, v167 offset0:8 offset1:9
	s_waitcnt vmcnt(38)
	v_pk_mov_b32 v[166:167], v[46:47], v[50:51] op_sel:[1,0]
	ds_write2_b32 v157, v166, v167 offset0:10 offset1:11
	s_waitcnt vmcnt(36)
	v_pk_mov_b32 v[166:167], v[50:51], v[44:45] op_sel:[1,0]
	;; [unrolled: 3-line block ×20, first 2 shown]
	ds_write2_b32 v157, v166, v167 offset0:48 offset1:49
	ds_write_b32 v157, v155 offset:200
	ds_read_b32 v165, v156
	s_waitcnt lgkmcnt(0)
	v_cmp_neq_f32_e32 vcc, 0, v165
	s_and_b64 exec, exec, vcc
	s_cbranch_execz .LBB101_42
; %bb.41:
	v_div_scale_f32 v166, s[4:5], v165, v165, 1.0
	v_rcp_f32_e32 v167, v166
	v_div_scale_f32 v168, vcc, 1.0, v165, 1.0
	v_fma_f32 v169, -v166, v167, 1.0
	v_fmac_f32_e32 v167, v169, v167
	v_mul_f32_e32 v169, v168, v167
	v_fma_f32 v170, -v166, v169, v168
	v_fmac_f32_e32 v169, v170, v167
	v_fma_f32 v166, -v166, v169, v168
	v_div_fmas_f32 v166, v166, v167, v169
	v_div_fixup_f32 v165, v166, v165, 1.0
	ds_write_b32 v156, v165
.LBB101_42:
	s_or_b64 exec, exec, s[2:3]
	s_waitcnt lgkmcnt(0)
	s_barrier
	ds_read_b32 v165, v156
	v_cmp_lt_u32_e32 vcc, 7, v25
	s_and_saveexec_b64 s[2:3], vcc
	s_cbranch_execz .LBB101_44
; %bb.43:
	ds_read_b32 v172, v157 offset:32
	ds_read2_b32 v[166:167], v157 offset0:9 offset1:10
	ds_read2_b32 v[168:169], v157 offset0:11 offset1:12
	s_waitcnt vmcnt(43) lgkmcnt(3)
	v_mul_f32_e32 v16, v165, v16
	ds_read2_b32 v[170:171], v157 offset0:13 offset1:14
	s_waitcnt vmcnt(42) lgkmcnt(3)
	v_fma_f32 v17, -v16, v172, v17
	s_waitcnt vmcnt(40) lgkmcnt(2)
	v_pk_fma_f32 v[46:47], v[16:17], v[166:167], v[46:47] op_sel_hi:[0,1,1] neg_lo:[1,0,0] neg_hi:[1,0,0]
	s_waitcnt vmcnt(38) lgkmcnt(1)
	v_pk_fma_f32 v[50:51], v[16:17], v[168:169], v[50:51] op_sel_hi:[0,1,1] neg_lo:[1,0,0] neg_hi:[1,0,0]
	ds_read2_b32 v[166:167], v157 offset0:15 offset1:16
	ds_read2_b32 v[168:169], v157 offset0:17 offset1:18
	ds_read2_b32 v[172:173], v157 offset0:19 offset1:20
	s_waitcnt vmcnt(36) lgkmcnt(3)
	v_pk_fma_f32 v[44:45], v[16:17], v[170:171], v[44:45] op_sel_hi:[0,1,1] neg_lo:[1,0,0] neg_hi:[1,0,0]
	ds_read2_b32 v[170:171], v157 offset0:21 offset1:22
	s_waitcnt vmcnt(34) lgkmcnt(3)
	v_pk_fma_f32 v[48:49], v[16:17], v[166:167], v[48:49] op_sel_hi:[0,1,1] neg_lo:[1,0,0] neg_hi:[1,0,0]
	s_waitcnt vmcnt(32) lgkmcnt(2)
	v_pk_fma_f32 v[74:75], v[16:17], v[168:169], v[74:75] op_sel_hi:[0,1,1] neg_lo:[1,0,0] neg_hi:[1,0,0]
	s_waitcnt vmcnt(30) lgkmcnt(1)
	v_pk_fma_f32 v[68:69], v[16:17], v[172:173], v[68:69] op_sel_hi:[0,1,1] neg_lo:[1,0,0] neg_hi:[1,0,0]
	ds_read2_b32 v[166:167], v157 offset0:23 offset1:24
	ds_read2_b32 v[168:169], v157 offset0:25 offset1:26
	ds_read2_b32 v[172:173], v157 offset0:27 offset1:28
	s_waitcnt vmcnt(28) lgkmcnt(3)
	v_pk_fma_f32 v[70:71], v[16:17], v[170:171], v[70:71] op_sel_hi:[0,1,1] neg_lo:[1,0,0] neg_hi:[1,0,0]
	ds_read2_b32 v[170:171], v157 offset0:29 offset1:30
	s_waitcnt vmcnt(26) lgkmcnt(3)
	v_pk_fma_f32 v[72:73], v[16:17], v[166:167], v[72:73] op_sel_hi:[0,1,1] neg_lo:[1,0,0] neg_hi:[1,0,0]
	;; [unrolled: 12-line block ×3, first 2 shown]
	ds_read2_b32 v[166:167], v157 offset0:39 offset1:40
	s_waitcnt vmcnt(16) lgkmcnt(3)
	v_pk_fma_f32 v[118:119], v[16:17], v[168:169], v[118:119] op_sel_hi:[0,1,1] neg_lo:[1,0,0] neg_hi:[1,0,0]
	s_waitcnt vmcnt(14) lgkmcnt(2)
	v_pk_fma_f32 v[122:123], v[16:17], v[172:173], v[122:123] op_sel_hi:[0,1,1] neg_lo:[1,0,0] neg_hi:[1,0,0]
	;; [unrolled: 2-line block ×3, first 2 shown]
	ds_read2_b32 v[168:169], v157 offset0:41 offset1:42
	ds_read2_b32 v[170:171], v157 offset0:43 offset1:44
	;; [unrolled: 1-line block ×3, first 2 shown]
	s_waitcnt vmcnt(10) lgkmcnt(3)
	v_pk_fma_f32 v[120:121], v[16:17], v[166:167], v[120:121] op_sel_hi:[0,1,1] neg_lo:[1,0,0] neg_hi:[1,0,0]
	ds_read2_b32 v[166:167], v157 offset0:47 offset1:48
	ds_read2_b32 v[174:175], v157 offset0:49 offset1:50
	s_waitcnt vmcnt(8) lgkmcnt(4)
	v_pk_fma_f32 v[146:147], v[16:17], v[168:169], v[146:147] op_sel_hi:[0,1,1] neg_lo:[1,0,0] neg_hi:[1,0,0]
	s_waitcnt vmcnt(6) lgkmcnt(3)
	v_pk_fma_f32 v[140:141], v[16:17], v[170:171], v[140:141] op_sel_hi:[0,1,1] neg_lo:[1,0,0] neg_hi:[1,0,0]
	;; [unrolled: 2-line block ×5, first 2 shown]
.LBB101_44:
	s_or_b64 exec, exec, s[2:3]
	v_cmp_ne_u32_e32 vcc, 8, v25
	s_waitcnt lgkmcnt(0)
	s_barrier
	s_and_saveexec_b64 s[2:3], vcc
	s_xor_b64 s[2:3], exec, s[2:3]
	s_andn2_saveexec_b64 s[2:3], s[2:3]
	s_cbranch_execz .LBB101_48
; %bb.45:
	s_waitcnt vmcnt(42)
	ds_write_b32 v156, v17
	s_waitcnt vmcnt(40)
	ds_write2_b32 v157, v46, v47 offset0:9 offset1:10
	s_waitcnt vmcnt(38)
	ds_write2_b32 v157, v50, v51 offset0:11 offset1:12
	;; [unrolled: 2-line block ×21, first 2 shown]
	ds_read_b32 v166, v156
	s_waitcnt lgkmcnt(0)
	v_cmp_neq_f32_e32 vcc, 0, v166
	s_and_saveexec_b64 s[4:5], vcc
	s_cbranch_execz .LBB101_47
; %bb.46:
	v_div_scale_f32 v167, s[10:11], v166, v166, 1.0
	v_rcp_f32_e32 v168, v167
	v_div_scale_f32 v169, vcc, 1.0, v166, 1.0
	v_fma_f32 v170, -v167, v168, 1.0
	v_fmac_f32_e32 v168, v170, v168
	v_mul_f32_e32 v170, v169, v168
	v_fma_f32 v171, -v167, v170, v169
	v_fmac_f32_e32 v170, v171, v168
	v_fma_f32 v167, -v167, v170, v169
	v_div_fmas_f32 v167, v167, v168, v170
	v_div_fixup_f32 v166, v167, v166, 1.0
	ds_write_b32 v156, v166
.LBB101_47:
	s_or_b64 exec, exec, s[4:5]
.LBB101_48:
	s_or_b64 exec, exec, s[2:3]
	s_waitcnt lgkmcnt(0)
	s_barrier
	ds_read_b32 v166, v156
	v_cmp_lt_u32_e32 vcc, 8, v25
	s_and_saveexec_b64 s[2:3], vcc
	s_cbranch_execz .LBB101_50
; %bb.49:
	ds_read2_b32 v[168:169], v157 offset0:9 offset1:10
	ds_read2_b32 v[170:171], v157 offset0:11 offset1:12
	;; [unrolled: 1-line block ×3, first 2 shown]
	s_waitcnt vmcnt(42) lgkmcnt(3)
	v_mul_f32_e32 v174, v166, v17
	ds_read2_b32 v[176:177], v157 offset0:15 offset1:16
	s_waitcnt vmcnt(40) lgkmcnt(3)
	v_pk_fma_f32 v[46:47], v[174:175], v[168:169], v[46:47] op_sel_hi:[0,1,1] neg_lo:[1,0,0] neg_hi:[1,0,0]
	s_waitcnt vmcnt(38) lgkmcnt(2)
	v_pk_fma_f32 v[50:51], v[174:175], v[170:171], v[50:51] op_sel_hi:[0,1,1] neg_lo:[1,0,0] neg_hi:[1,0,0]
	;; [unrolled: 2-line block ×3, first 2 shown]
	ds_read2_b32 v[168:169], v157 offset0:17 offset1:18
	ds_read2_b32 v[170:171], v157 offset0:19 offset1:20
	;; [unrolled: 1-line block ×3, first 2 shown]
	s_waitcnt vmcnt(34) lgkmcnt(3)
	v_pk_fma_f32 v[48:49], v[174:175], v[176:177], v[48:49] op_sel_hi:[0,1,1] neg_lo:[1,0,0] neg_hi:[1,0,0]
	ds_read2_b32 v[176:177], v157 offset0:23 offset1:24
	s_waitcnt vmcnt(32) lgkmcnt(3)
	v_pk_fma_f32 v[74:75], v[174:175], v[168:169], v[74:75] op_sel_hi:[0,1,1] neg_lo:[1,0,0] neg_hi:[1,0,0]
	s_waitcnt vmcnt(30) lgkmcnt(2)
	v_pk_fma_f32 v[68:69], v[174:175], v[170:171], v[68:69] op_sel_hi:[0,1,1] neg_lo:[1,0,0] neg_hi:[1,0,0]
	;; [unrolled: 2-line block ×3, first 2 shown]
	ds_read2_b32 v[168:169], v157 offset0:25 offset1:26
	ds_read2_b32 v[170:171], v157 offset0:27 offset1:28
	;; [unrolled: 1-line block ×3, first 2 shown]
	s_waitcnt vmcnt(26) lgkmcnt(3)
	v_pk_fma_f32 v[72:73], v[174:175], v[176:177], v[72:73] op_sel_hi:[0,1,1] neg_lo:[1,0,0] neg_hi:[1,0,0]
	ds_read2_b32 v[176:177], v157 offset0:31 offset1:32
	s_waitcnt vmcnt(24) lgkmcnt(3)
	v_pk_fma_f32 v[94:95], v[174:175], v[168:169], v[94:95] op_sel_hi:[0,1,1] neg_lo:[1,0,0] neg_hi:[1,0,0]
	s_waitcnt vmcnt(22) lgkmcnt(2)
	v_pk_fma_f32 v[96:97], v[174:175], v[170:171], v[96:97] op_sel_hi:[0,1,1] neg_lo:[1,0,0] neg_hi:[1,0,0]
	;; [unrolled: 2-line block ×3, first 2 shown]
	ds_read2_b32 v[168:169], v157 offset0:33 offset1:34
	ds_read2_b32 v[170:171], v157 offset0:35 offset1:36
	;; [unrolled: 1-line block ×4, first 2 shown]
	s_waitcnt vmcnt(18) lgkmcnt(4)
	v_pk_fma_f32 v[92:93], v[174:175], v[176:177], v[92:93] op_sel_hi:[0,1,1] neg_lo:[1,0,0] neg_hi:[1,0,0]
	s_waitcnt vmcnt(16) lgkmcnt(3)
	v_pk_fma_f32 v[118:119], v[174:175], v[168:169], v[118:119] op_sel_hi:[0,1,1] neg_lo:[1,0,0] neg_hi:[1,0,0]
	s_waitcnt vmcnt(14) lgkmcnt(2)
	v_pk_fma_f32 v[122:123], v[174:175], v[170:171], v[122:123] op_sel_hi:[0,1,1] neg_lo:[1,0,0] neg_hi:[1,0,0]
	s_waitcnt vmcnt(12) lgkmcnt(1)
	v_pk_fma_f32 v[116:117], v[174:175], v[172:173], v[116:117] op_sel_hi:[0,1,1] neg_lo:[1,0,0] neg_hi:[1,0,0]
	s_waitcnt vmcnt(10) lgkmcnt(0)
	v_pk_fma_f32 v[120:121], v[174:175], v[178:179], v[120:121] op_sel_hi:[0,1,1] neg_lo:[1,0,0] neg_hi:[1,0,0]
	ds_read2_b32 v[168:169], v157 offset0:41 offset1:42
	ds_read2_b32 v[170:171], v157 offset0:43 offset1:44
	;; [unrolled: 1-line block ×5, first 2 shown]
	s_waitcnt vmcnt(8) lgkmcnt(4)
	v_pk_fma_f32 v[146:147], v[174:175], v[168:169], v[146:147] op_sel_hi:[0,1,1] neg_lo:[1,0,0] neg_hi:[1,0,0]
	s_waitcnt vmcnt(6) lgkmcnt(3)
	v_pk_fma_f32 v[140:141], v[174:175], v[170:171], v[140:141] op_sel_hi:[0,1,1] neg_lo:[1,0,0] neg_hi:[1,0,0]
	;; [unrolled: 2-line block ×5, first 2 shown]
	v_mov_b32_e32 v17, v174
.LBB101_50:
	s_or_b64 exec, exec, s[2:3]
	v_cmp_eq_u32_e32 vcc, 9, v25
	s_waitcnt lgkmcnt(0)
	s_barrier
	s_and_saveexec_b64 s[2:3], vcc
	s_cbranch_execz .LBB101_53
; %bb.51:
	s_waitcnt vmcnt(38)
	v_pk_mov_b32 v[168:169], v[46:47], v[50:51] op_sel:[1,0]
	ds_write_b32 v156, v46
	ds_write2_b32 v157, v168, v169 offset0:10 offset1:11
	s_waitcnt vmcnt(36)
	v_pk_mov_b32 v[168:169], v[50:51], v[44:45] op_sel:[1,0]
	ds_write2_b32 v157, v168, v169 offset0:12 offset1:13
	s_waitcnt vmcnt(34)
	v_pk_mov_b32 v[168:169], v[44:45], v[48:49] op_sel:[1,0]
	;; [unrolled: 3-line block ×19, first 2 shown]
	ds_write2_b32 v157, v168, v169 offset0:48 offset1:49
	ds_write_b32 v157, v155 offset:200
	ds_read_b32 v167, v156
	s_waitcnt lgkmcnt(0)
	v_cmp_neq_f32_e32 vcc, 0, v167
	s_and_b64 exec, exec, vcc
	s_cbranch_execz .LBB101_53
; %bb.52:
	v_div_scale_f32 v168, s[4:5], v167, v167, 1.0
	v_rcp_f32_e32 v169, v168
	v_div_scale_f32 v170, vcc, 1.0, v167, 1.0
	v_fma_f32 v171, -v168, v169, 1.0
	v_fmac_f32_e32 v169, v171, v169
	v_mul_f32_e32 v171, v170, v169
	v_fma_f32 v172, -v168, v171, v170
	v_fmac_f32_e32 v171, v172, v169
	v_fma_f32 v168, -v168, v171, v170
	v_div_fmas_f32 v168, v168, v169, v171
	v_div_fixup_f32 v167, v168, v167, 1.0
	ds_write_b32 v156, v167
.LBB101_53:
	s_or_b64 exec, exec, s[2:3]
	s_waitcnt lgkmcnt(0)
	s_barrier
	ds_read_b32 v167, v156
	v_cmp_lt_u32_e32 vcc, 9, v25
	s_and_saveexec_b64 s[2:3], vcc
	s_cbranch_execz .LBB101_55
; %bb.54:
	ds_read_b32 v174, v157 offset:40
	ds_read2_b32 v[168:169], v157 offset0:11 offset1:12
	ds_read2_b32 v[170:171], v157 offset0:13 offset1:14
	s_waitcnt vmcnt(41) lgkmcnt(3)
	v_mul_f32_e32 v46, v167, v46
	ds_read2_b32 v[172:173], v157 offset0:15 offset1:16
	s_waitcnt vmcnt(40) lgkmcnt(3)
	v_fma_f32 v47, -v46, v174, v47
	s_waitcnt vmcnt(38) lgkmcnt(2)
	v_pk_fma_f32 v[50:51], v[46:47], v[168:169], v[50:51] op_sel_hi:[0,1,1] neg_lo:[1,0,0] neg_hi:[1,0,0]
	s_waitcnt vmcnt(36) lgkmcnt(1)
	v_pk_fma_f32 v[44:45], v[46:47], v[170:171], v[44:45] op_sel_hi:[0,1,1] neg_lo:[1,0,0] neg_hi:[1,0,0]
	ds_read2_b32 v[168:169], v157 offset0:17 offset1:18
	ds_read2_b32 v[170:171], v157 offset0:19 offset1:20
	ds_read2_b32 v[174:175], v157 offset0:21 offset1:22
	s_waitcnt vmcnt(34) lgkmcnt(3)
	v_pk_fma_f32 v[48:49], v[46:47], v[172:173], v[48:49] op_sel_hi:[0,1,1] neg_lo:[1,0,0] neg_hi:[1,0,0]
	ds_read2_b32 v[172:173], v157 offset0:23 offset1:24
	s_waitcnt vmcnt(32) lgkmcnt(3)
	v_pk_fma_f32 v[74:75], v[46:47], v[168:169], v[74:75] op_sel_hi:[0,1,1] neg_lo:[1,0,0] neg_hi:[1,0,0]
	s_waitcnt vmcnt(30) lgkmcnt(2)
	v_pk_fma_f32 v[68:69], v[46:47], v[170:171], v[68:69] op_sel_hi:[0,1,1] neg_lo:[1,0,0] neg_hi:[1,0,0]
	s_waitcnt vmcnt(28) lgkmcnt(1)
	v_pk_fma_f32 v[70:71], v[46:47], v[174:175], v[70:71] op_sel_hi:[0,1,1] neg_lo:[1,0,0] neg_hi:[1,0,0]
	ds_read2_b32 v[168:169], v157 offset0:25 offset1:26
	ds_read2_b32 v[170:171], v157 offset0:27 offset1:28
	;; [unrolled: 1-line block ×3, first 2 shown]
	s_waitcnt vmcnt(26) lgkmcnt(3)
	v_pk_fma_f32 v[72:73], v[46:47], v[172:173], v[72:73] op_sel_hi:[0,1,1] neg_lo:[1,0,0] neg_hi:[1,0,0]
	ds_read2_b32 v[172:173], v157 offset0:31 offset1:32
	s_waitcnt vmcnt(24) lgkmcnt(3)
	v_pk_fma_f32 v[94:95], v[46:47], v[168:169], v[94:95] op_sel_hi:[0,1,1] neg_lo:[1,0,0] neg_hi:[1,0,0]
	s_waitcnt vmcnt(22) lgkmcnt(2)
	v_pk_fma_f32 v[96:97], v[46:47], v[170:171], v[96:97] op_sel_hi:[0,1,1] neg_lo:[1,0,0] neg_hi:[1,0,0]
	s_waitcnt vmcnt(20) lgkmcnt(1)
	v_pk_fma_f32 v[98:99], v[46:47], v[174:175], v[98:99] op_sel_hi:[0,1,1] neg_lo:[1,0,0] neg_hi:[1,0,0]
	ds_read2_b32 v[168:169], v157 offset0:33 offset1:34
	ds_read2_b32 v[170:171], v157 offset0:35 offset1:36
	;; [unrolled: 1-line block ×4, first 2 shown]
	s_waitcnt vmcnt(18) lgkmcnt(4)
	v_pk_fma_f32 v[92:93], v[46:47], v[172:173], v[92:93] op_sel_hi:[0,1,1] neg_lo:[1,0,0] neg_hi:[1,0,0]
	s_waitcnt vmcnt(16) lgkmcnt(3)
	v_pk_fma_f32 v[118:119], v[46:47], v[168:169], v[118:119] op_sel_hi:[0,1,1] neg_lo:[1,0,0] neg_hi:[1,0,0]
	s_waitcnt vmcnt(14) lgkmcnt(2)
	v_pk_fma_f32 v[122:123], v[46:47], v[170:171], v[122:123] op_sel_hi:[0,1,1] neg_lo:[1,0,0] neg_hi:[1,0,0]
	s_waitcnt vmcnt(12) lgkmcnt(1)
	v_pk_fma_f32 v[116:117], v[46:47], v[174:175], v[116:117] op_sel_hi:[0,1,1] neg_lo:[1,0,0] neg_hi:[1,0,0]
	s_waitcnt vmcnt(10) lgkmcnt(0)
	v_pk_fma_f32 v[120:121], v[46:47], v[176:177], v[120:121] op_sel_hi:[0,1,1] neg_lo:[1,0,0] neg_hi:[1,0,0]
	ds_read2_b32 v[168:169], v157 offset0:41 offset1:42
	ds_read2_b32 v[170:171], v157 offset0:43 offset1:44
	;; [unrolled: 1-line block ×5, first 2 shown]
	s_waitcnt vmcnt(8) lgkmcnt(4)
	v_pk_fma_f32 v[146:147], v[46:47], v[168:169], v[146:147] op_sel_hi:[0,1,1] neg_lo:[1,0,0] neg_hi:[1,0,0]
	s_waitcnt vmcnt(6) lgkmcnt(3)
	v_pk_fma_f32 v[140:141], v[46:47], v[170:171], v[140:141] op_sel_hi:[0,1,1] neg_lo:[1,0,0] neg_hi:[1,0,0]
	;; [unrolled: 2-line block ×5, first 2 shown]
.LBB101_55:
	s_or_b64 exec, exec, s[2:3]
	v_cmp_ne_u32_e32 vcc, 10, v25
	s_waitcnt lgkmcnt(0)
	s_barrier
	s_and_saveexec_b64 s[2:3], vcc
	s_xor_b64 s[2:3], exec, s[2:3]
	s_andn2_saveexec_b64 s[2:3], s[2:3]
	s_cbranch_execz .LBB101_59
; %bb.56:
	s_waitcnt vmcnt(40)
	ds_write_b32 v156, v47
	s_waitcnt vmcnt(38)
	ds_write2_b32 v157, v50, v51 offset0:11 offset1:12
	s_waitcnt vmcnt(36)
	ds_write2_b32 v157, v44, v45 offset0:13 offset1:14
	;; [unrolled: 2-line block ×20, first 2 shown]
	ds_read_b32 v168, v156
	s_waitcnt lgkmcnt(0)
	v_cmp_neq_f32_e32 vcc, 0, v168
	s_and_saveexec_b64 s[4:5], vcc
	s_cbranch_execz .LBB101_58
; %bb.57:
	v_div_scale_f32 v169, s[10:11], v168, v168, 1.0
	v_rcp_f32_e32 v170, v169
	v_div_scale_f32 v171, vcc, 1.0, v168, 1.0
	v_fma_f32 v172, -v169, v170, 1.0
	v_fmac_f32_e32 v170, v172, v170
	v_mul_f32_e32 v172, v171, v170
	v_fma_f32 v173, -v169, v172, v171
	v_fmac_f32_e32 v172, v173, v170
	v_fma_f32 v169, -v169, v172, v171
	v_div_fmas_f32 v169, v169, v170, v172
	v_div_fixup_f32 v168, v169, v168, 1.0
	ds_write_b32 v156, v168
.LBB101_58:
	s_or_b64 exec, exec, s[4:5]
.LBB101_59:
	s_or_b64 exec, exec, s[2:3]
	s_waitcnt lgkmcnt(0)
	s_barrier
	ds_read_b32 v168, v156
	v_cmp_lt_u32_e32 vcc, 10, v25
	s_and_saveexec_b64 s[2:3], vcc
	s_cbranch_execz .LBB101_61
; %bb.60:
	ds_read2_b32 v[170:171], v157 offset0:11 offset1:12
	ds_read2_b32 v[172:173], v157 offset0:13 offset1:14
	;; [unrolled: 1-line block ×3, first 2 shown]
	s_waitcnt vmcnt(40) lgkmcnt(3)
	v_mul_f32_e32 v176, v168, v47
	ds_read2_b32 v[178:179], v157 offset0:17 offset1:18
	s_waitcnt vmcnt(38) lgkmcnt(3)
	v_pk_fma_f32 v[50:51], v[176:177], v[170:171], v[50:51] op_sel_hi:[0,1,1] neg_lo:[1,0,0] neg_hi:[1,0,0]
	s_waitcnt vmcnt(36) lgkmcnt(2)
	v_pk_fma_f32 v[44:45], v[176:177], v[172:173], v[44:45] op_sel_hi:[0,1,1] neg_lo:[1,0,0] neg_hi:[1,0,0]
	s_waitcnt vmcnt(34) lgkmcnt(1)
	v_pk_fma_f32 v[48:49], v[176:177], v[174:175], v[48:49] op_sel_hi:[0,1,1] neg_lo:[1,0,0] neg_hi:[1,0,0]
	ds_read2_b32 v[170:171], v157 offset0:19 offset1:20
	ds_read2_b32 v[172:173], v157 offset0:21 offset1:22
	ds_read2_b32 v[174:175], v157 offset0:23 offset1:24
	s_waitcnt vmcnt(32) lgkmcnt(3)
	v_pk_fma_f32 v[74:75], v[176:177], v[178:179], v[74:75] op_sel_hi:[0,1,1] neg_lo:[1,0,0] neg_hi:[1,0,0]
	ds_read2_b32 v[178:179], v157 offset0:25 offset1:26
	s_waitcnt vmcnt(30) lgkmcnt(3)
	v_pk_fma_f32 v[68:69], v[176:177], v[170:171], v[68:69] op_sel_hi:[0,1,1] neg_lo:[1,0,0] neg_hi:[1,0,0]
	s_waitcnt vmcnt(28) lgkmcnt(2)
	v_pk_fma_f32 v[70:71], v[176:177], v[172:173], v[70:71] op_sel_hi:[0,1,1] neg_lo:[1,0,0] neg_hi:[1,0,0]
	s_waitcnt vmcnt(26) lgkmcnt(1)
	v_pk_fma_f32 v[72:73], v[176:177], v[174:175], v[72:73] op_sel_hi:[0,1,1] neg_lo:[1,0,0] neg_hi:[1,0,0]
	ds_read2_b32 v[170:171], v157 offset0:27 offset1:28
	ds_read2_b32 v[172:173], v157 offset0:29 offset1:30
	ds_read2_b32 v[174:175], v157 offset0:31 offset1:32
	s_waitcnt vmcnt(24) lgkmcnt(3)
	v_pk_fma_f32 v[94:95], v[176:177], v[178:179], v[94:95] op_sel_hi:[0,1,1] neg_lo:[1,0,0] neg_hi:[1,0,0]
	;; [unrolled: 12-line block ×3, first 2 shown]
	ds_read2_b32 v[178:179], v157 offset0:41 offset1:42
	s_waitcnt vmcnt(14) lgkmcnt(3)
	v_pk_fma_f32 v[122:123], v[176:177], v[170:171], v[122:123] op_sel_hi:[0,1,1] neg_lo:[1,0,0] neg_hi:[1,0,0]
	s_waitcnt vmcnt(12) lgkmcnt(2)
	v_pk_fma_f32 v[116:117], v[176:177], v[172:173], v[116:117] op_sel_hi:[0,1,1] neg_lo:[1,0,0] neg_hi:[1,0,0]
	;; [unrolled: 2-line block ×3, first 2 shown]
	ds_read2_b32 v[170:171], v157 offset0:43 offset1:44
	ds_read2_b32 v[172:173], v157 offset0:45 offset1:46
	;; [unrolled: 1-line block ×4, first 2 shown]
	s_waitcnt vmcnt(8) lgkmcnt(4)
	v_pk_fma_f32 v[146:147], v[176:177], v[178:179], v[146:147] op_sel_hi:[0,1,1] neg_lo:[1,0,0] neg_hi:[1,0,0]
	s_waitcnt vmcnt(6) lgkmcnt(3)
	v_pk_fma_f32 v[140:141], v[176:177], v[170:171], v[140:141] op_sel_hi:[0,1,1] neg_lo:[1,0,0] neg_hi:[1,0,0]
	;; [unrolled: 2-line block ×5, first 2 shown]
	v_mov_b32_e32 v47, v176
.LBB101_61:
	s_or_b64 exec, exec, s[2:3]
	v_cmp_eq_u32_e32 vcc, 11, v25
	s_waitcnt lgkmcnt(0)
	s_barrier
	s_and_saveexec_b64 s[2:3], vcc
	s_cbranch_execz .LBB101_64
; %bb.62:
	s_waitcnt vmcnt(36)
	v_pk_mov_b32 v[170:171], v[50:51], v[44:45] op_sel:[1,0]
	ds_write_b32 v156, v50
	ds_write2_b32 v157, v170, v171 offset0:12 offset1:13
	s_waitcnt vmcnt(34)
	v_pk_mov_b32 v[170:171], v[44:45], v[48:49] op_sel:[1,0]
	ds_write2_b32 v157, v170, v171 offset0:14 offset1:15
	s_waitcnt vmcnt(32)
	v_pk_mov_b32 v[170:171], v[48:49], v[74:75] op_sel:[1,0]
	;; [unrolled: 3-line block ×18, first 2 shown]
	ds_write2_b32 v157, v170, v171 offset0:48 offset1:49
	ds_write_b32 v157, v155 offset:200
	ds_read_b32 v169, v156
	s_waitcnt lgkmcnt(0)
	v_cmp_neq_f32_e32 vcc, 0, v169
	s_and_b64 exec, exec, vcc
	s_cbranch_execz .LBB101_64
; %bb.63:
	v_div_scale_f32 v170, s[4:5], v169, v169, 1.0
	v_rcp_f32_e32 v171, v170
	v_div_scale_f32 v172, vcc, 1.0, v169, 1.0
	v_fma_f32 v173, -v170, v171, 1.0
	v_fmac_f32_e32 v171, v173, v171
	v_mul_f32_e32 v173, v172, v171
	v_fma_f32 v174, -v170, v173, v172
	v_fmac_f32_e32 v173, v174, v171
	v_fma_f32 v170, -v170, v173, v172
	v_div_fmas_f32 v170, v170, v171, v173
	v_div_fixup_f32 v169, v170, v169, 1.0
	ds_write_b32 v156, v169
.LBB101_64:
	s_or_b64 exec, exec, s[2:3]
	s_waitcnt lgkmcnt(0)
	s_barrier
	ds_read_b32 v169, v156
	v_cmp_lt_u32_e32 vcc, 11, v25
	s_and_saveexec_b64 s[2:3], vcc
	s_cbranch_execz .LBB101_66
; %bb.65:
	ds_read_b32 v176, v157 offset:48
	ds_read2_b32 v[170:171], v157 offset0:13 offset1:14
	ds_read2_b32 v[172:173], v157 offset0:15 offset1:16
	s_waitcnt vmcnt(39) lgkmcnt(3)
	v_mul_f32_e32 v50, v169, v50
	ds_read2_b32 v[174:175], v157 offset0:17 offset1:18
	s_waitcnt vmcnt(38) lgkmcnt(3)
	v_fma_f32 v51, -v50, v176, v51
	s_waitcnt vmcnt(36) lgkmcnt(2)
	v_pk_fma_f32 v[44:45], v[50:51], v[170:171], v[44:45] op_sel_hi:[0,1,1] neg_lo:[1,0,0] neg_hi:[1,0,0]
	s_waitcnt vmcnt(34) lgkmcnt(1)
	v_pk_fma_f32 v[48:49], v[50:51], v[172:173], v[48:49] op_sel_hi:[0,1,1] neg_lo:[1,0,0] neg_hi:[1,0,0]
	ds_read2_b32 v[170:171], v157 offset0:19 offset1:20
	ds_read2_b32 v[172:173], v157 offset0:21 offset1:22
	ds_read2_b32 v[176:177], v157 offset0:23 offset1:24
	s_waitcnt vmcnt(32) lgkmcnt(3)
	v_pk_fma_f32 v[74:75], v[50:51], v[174:175], v[74:75] op_sel_hi:[0,1,1] neg_lo:[1,0,0] neg_hi:[1,0,0]
	ds_read2_b32 v[174:175], v157 offset0:25 offset1:26
	s_waitcnt vmcnt(30) lgkmcnt(3)
	v_pk_fma_f32 v[68:69], v[50:51], v[170:171], v[68:69] op_sel_hi:[0,1,1] neg_lo:[1,0,0] neg_hi:[1,0,0]
	s_waitcnt vmcnt(28) lgkmcnt(2)
	v_pk_fma_f32 v[70:71], v[50:51], v[172:173], v[70:71] op_sel_hi:[0,1,1] neg_lo:[1,0,0] neg_hi:[1,0,0]
	s_waitcnt vmcnt(26) lgkmcnt(1)
	v_pk_fma_f32 v[72:73], v[50:51], v[176:177], v[72:73] op_sel_hi:[0,1,1] neg_lo:[1,0,0] neg_hi:[1,0,0]
	ds_read2_b32 v[170:171], v157 offset0:27 offset1:28
	ds_read2_b32 v[172:173], v157 offset0:29 offset1:30
	ds_read2_b32 v[176:177], v157 offset0:31 offset1:32
	s_waitcnt vmcnt(24) lgkmcnt(3)
	v_pk_fma_f32 v[94:95], v[50:51], v[174:175], v[94:95] op_sel_hi:[0,1,1] neg_lo:[1,0,0] neg_hi:[1,0,0]
	ds_read2_b32 v[174:175], v157 offset0:33 offset1:34
	s_waitcnt vmcnt(22) lgkmcnt(3)
	v_pk_fma_f32 v[96:97], v[50:51], v[170:171], v[96:97] op_sel_hi:[0,1,1] neg_lo:[1,0,0] neg_hi:[1,0,0]
	;; [unrolled: 12-line block ×3, first 2 shown]
	s_waitcnt vmcnt(12) lgkmcnt(2)
	v_pk_fma_f32 v[116:117], v[50:51], v[172:173], v[116:117] op_sel_hi:[0,1,1] neg_lo:[1,0,0] neg_hi:[1,0,0]
	s_waitcnt vmcnt(10) lgkmcnt(1)
	v_pk_fma_f32 v[120:121], v[50:51], v[176:177], v[120:121] op_sel_hi:[0,1,1] neg_lo:[1,0,0] neg_hi:[1,0,0]
	ds_read2_b32 v[170:171], v157 offset0:43 offset1:44
	ds_read2_b32 v[172:173], v157 offset0:45 offset1:46
	;; [unrolled: 1-line block ×4, first 2 shown]
	s_waitcnt vmcnt(8) lgkmcnt(4)
	v_pk_fma_f32 v[146:147], v[50:51], v[174:175], v[146:147] op_sel_hi:[0,1,1] neg_lo:[1,0,0] neg_hi:[1,0,0]
	s_waitcnt vmcnt(6) lgkmcnt(3)
	v_pk_fma_f32 v[140:141], v[50:51], v[170:171], v[140:141] op_sel_hi:[0,1,1] neg_lo:[1,0,0] neg_hi:[1,0,0]
	;; [unrolled: 2-line block ×5, first 2 shown]
.LBB101_66:
	s_or_b64 exec, exec, s[2:3]
	v_cmp_ne_u32_e32 vcc, 12, v25
	s_waitcnt lgkmcnt(0)
	s_barrier
	s_and_saveexec_b64 s[2:3], vcc
	s_xor_b64 s[2:3], exec, s[2:3]
	s_andn2_saveexec_b64 s[2:3], s[2:3]
	s_cbranch_execz .LBB101_70
; %bb.67:
	s_waitcnt vmcnt(38)
	ds_write_b32 v156, v51
	s_waitcnt vmcnt(36)
	ds_write2_b32 v157, v44, v45 offset0:13 offset1:14
	s_waitcnt vmcnt(34)
	ds_write2_b32 v157, v48, v49 offset0:15 offset1:16
	;; [unrolled: 2-line block ×19, first 2 shown]
	ds_read_b32 v170, v156
	s_waitcnt lgkmcnt(0)
	v_cmp_neq_f32_e32 vcc, 0, v170
	s_and_saveexec_b64 s[4:5], vcc
	s_cbranch_execz .LBB101_69
; %bb.68:
	v_div_scale_f32 v171, s[10:11], v170, v170, 1.0
	v_rcp_f32_e32 v172, v171
	v_div_scale_f32 v173, vcc, 1.0, v170, 1.0
	v_fma_f32 v174, -v171, v172, 1.0
	v_fmac_f32_e32 v172, v174, v172
	v_mul_f32_e32 v174, v173, v172
	v_fma_f32 v175, -v171, v174, v173
	v_fmac_f32_e32 v174, v175, v172
	v_fma_f32 v171, -v171, v174, v173
	v_div_fmas_f32 v171, v171, v172, v174
	v_div_fixup_f32 v170, v171, v170, 1.0
	ds_write_b32 v156, v170
.LBB101_69:
	s_or_b64 exec, exec, s[4:5]
.LBB101_70:
	s_or_b64 exec, exec, s[2:3]
	s_waitcnt lgkmcnt(0)
	s_barrier
	ds_read_b32 v170, v156
	v_cmp_lt_u32_e32 vcc, 12, v25
	s_and_saveexec_b64 s[2:3], vcc
	s_cbranch_execz .LBB101_72
; %bb.71:
	ds_read2_b32 v[172:173], v157 offset0:13 offset1:14
	ds_read2_b32 v[174:175], v157 offset0:15 offset1:16
	;; [unrolled: 1-line block ×3, first 2 shown]
	s_waitcnt vmcnt(38) lgkmcnt(3)
	v_mul_f32_e32 v178, v170, v51
	ds_read2_b32 v[180:181], v157 offset0:19 offset1:20
	s_waitcnt vmcnt(36) lgkmcnt(3)
	v_pk_fma_f32 v[44:45], v[178:179], v[172:173], v[44:45] op_sel_hi:[0,1,1] neg_lo:[1,0,0] neg_hi:[1,0,0]
	s_waitcnt vmcnt(34) lgkmcnt(2)
	v_pk_fma_f32 v[48:49], v[178:179], v[174:175], v[48:49] op_sel_hi:[0,1,1] neg_lo:[1,0,0] neg_hi:[1,0,0]
	;; [unrolled: 2-line block ×3, first 2 shown]
	ds_read2_b32 v[172:173], v157 offset0:21 offset1:22
	ds_read2_b32 v[174:175], v157 offset0:23 offset1:24
	;; [unrolled: 1-line block ×3, first 2 shown]
	s_waitcnt vmcnt(30) lgkmcnt(3)
	v_pk_fma_f32 v[68:69], v[178:179], v[180:181], v[68:69] op_sel_hi:[0,1,1] neg_lo:[1,0,0] neg_hi:[1,0,0]
	ds_read2_b32 v[180:181], v157 offset0:27 offset1:28
	s_waitcnt vmcnt(28) lgkmcnt(3)
	v_pk_fma_f32 v[70:71], v[178:179], v[172:173], v[70:71] op_sel_hi:[0,1,1] neg_lo:[1,0,0] neg_hi:[1,0,0]
	s_waitcnt vmcnt(26) lgkmcnt(2)
	v_pk_fma_f32 v[72:73], v[178:179], v[174:175], v[72:73] op_sel_hi:[0,1,1] neg_lo:[1,0,0] neg_hi:[1,0,0]
	;; [unrolled: 2-line block ×3, first 2 shown]
	ds_read2_b32 v[172:173], v157 offset0:29 offset1:30
	ds_read2_b32 v[174:175], v157 offset0:31 offset1:32
	ds_read2_b32 v[176:177], v157 offset0:33 offset1:34
	s_waitcnt vmcnt(22) lgkmcnt(3)
	v_pk_fma_f32 v[96:97], v[178:179], v[180:181], v[96:97] op_sel_hi:[0,1,1] neg_lo:[1,0,0] neg_hi:[1,0,0]
	ds_read2_b32 v[180:181], v157 offset0:35 offset1:36
	s_waitcnt vmcnt(20) lgkmcnt(3)
	v_pk_fma_f32 v[98:99], v[178:179], v[172:173], v[98:99] op_sel_hi:[0,1,1] neg_lo:[1,0,0] neg_hi:[1,0,0]
	s_waitcnt vmcnt(18) lgkmcnt(2)
	v_pk_fma_f32 v[92:93], v[178:179], v[174:175], v[92:93] op_sel_hi:[0,1,1] neg_lo:[1,0,0] neg_hi:[1,0,0]
	ds_read2_b32 v[172:173], v157 offset0:37 offset1:38
	ds_read2_b32 v[174:175], v157 offset0:39 offset1:40
	s_waitcnt vmcnt(16) lgkmcnt(3)
	v_pk_fma_f32 v[118:119], v[178:179], v[176:177], v[118:119] op_sel_hi:[0,1,1] neg_lo:[1,0,0] neg_hi:[1,0,0]
	s_waitcnt vmcnt(14) lgkmcnt(2)
	v_pk_fma_f32 v[122:123], v[178:179], v[180:181], v[122:123] op_sel_hi:[0,1,1] neg_lo:[1,0,0] neg_hi:[1,0,0]
	ds_read2_b32 v[176:177], v157 offset0:41 offset1:42
	;; [unrolled: 6-line block ×3, first 2 shown]
	ds_read2_b32 v[174:175], v157 offset0:47 offset1:48
	ds_read2_b32 v[182:183], v157 offset0:49 offset1:50
	s_waitcnt vmcnt(8) lgkmcnt(4)
	v_pk_fma_f32 v[146:147], v[178:179], v[176:177], v[146:147] op_sel_hi:[0,1,1] neg_lo:[1,0,0] neg_hi:[1,0,0]
	s_waitcnt vmcnt(6) lgkmcnt(3)
	v_pk_fma_f32 v[140:141], v[178:179], v[180:181], v[140:141] op_sel_hi:[0,1,1] neg_lo:[1,0,0] neg_hi:[1,0,0]
	;; [unrolled: 2-line block ×5, first 2 shown]
	v_mov_b32_e32 v51, v178
.LBB101_72:
	s_or_b64 exec, exec, s[2:3]
	v_cmp_eq_u32_e32 vcc, 13, v25
	s_waitcnt lgkmcnt(0)
	s_barrier
	s_and_saveexec_b64 s[2:3], vcc
	s_cbranch_execz .LBB101_75
; %bb.73:
	s_waitcnt vmcnt(34)
	v_pk_mov_b32 v[172:173], v[44:45], v[48:49] op_sel:[1,0]
	ds_write_b32 v156, v44
	ds_write2_b32 v157, v172, v173 offset0:14 offset1:15
	s_waitcnt vmcnt(32)
	v_pk_mov_b32 v[172:173], v[48:49], v[74:75] op_sel:[1,0]
	ds_write2_b32 v157, v172, v173 offset0:16 offset1:17
	s_waitcnt vmcnt(30)
	v_pk_mov_b32 v[172:173], v[74:75], v[68:69] op_sel:[1,0]
	;; [unrolled: 3-line block ×17, first 2 shown]
	ds_write2_b32 v157, v172, v173 offset0:48 offset1:49
	ds_write_b32 v157, v155 offset:200
	ds_read_b32 v171, v156
	s_waitcnt lgkmcnt(0)
	v_cmp_neq_f32_e32 vcc, 0, v171
	s_and_b64 exec, exec, vcc
	s_cbranch_execz .LBB101_75
; %bb.74:
	v_div_scale_f32 v172, s[4:5], v171, v171, 1.0
	v_rcp_f32_e32 v173, v172
	v_div_scale_f32 v174, vcc, 1.0, v171, 1.0
	v_fma_f32 v175, -v172, v173, 1.0
	v_fmac_f32_e32 v173, v175, v173
	v_mul_f32_e32 v175, v174, v173
	v_fma_f32 v176, -v172, v175, v174
	v_fmac_f32_e32 v175, v176, v173
	v_fma_f32 v172, -v172, v175, v174
	v_div_fmas_f32 v172, v172, v173, v175
	v_div_fixup_f32 v171, v172, v171, 1.0
	ds_write_b32 v156, v171
.LBB101_75:
	s_or_b64 exec, exec, s[2:3]
	s_waitcnt lgkmcnt(0)
	s_barrier
	ds_read_b32 v171, v156
	v_cmp_lt_u32_e32 vcc, 13, v25
	s_and_saveexec_b64 s[2:3], vcc
	s_cbranch_execz .LBB101_77
; %bb.76:
	ds_read_b32 v178, v157 offset:56
	ds_read2_b32 v[172:173], v157 offset0:15 offset1:16
	ds_read2_b32 v[174:175], v157 offset0:17 offset1:18
	s_waitcnt vmcnt(37) lgkmcnt(3)
	v_mul_f32_e32 v44, v171, v44
	ds_read2_b32 v[176:177], v157 offset0:19 offset1:20
	s_waitcnt vmcnt(36) lgkmcnt(3)
	v_fma_f32 v45, -v44, v178, v45
	s_waitcnt vmcnt(34) lgkmcnt(2)
	v_pk_fma_f32 v[48:49], v[44:45], v[172:173], v[48:49] op_sel_hi:[0,1,1] neg_lo:[1,0,0] neg_hi:[1,0,0]
	s_waitcnt vmcnt(32) lgkmcnt(1)
	v_pk_fma_f32 v[74:75], v[44:45], v[174:175], v[74:75] op_sel_hi:[0,1,1] neg_lo:[1,0,0] neg_hi:[1,0,0]
	ds_read2_b32 v[172:173], v157 offset0:21 offset1:22
	ds_read2_b32 v[174:175], v157 offset0:23 offset1:24
	;; [unrolled: 1-line block ×3, first 2 shown]
	s_waitcnt vmcnt(30) lgkmcnt(3)
	v_pk_fma_f32 v[68:69], v[44:45], v[176:177], v[68:69] op_sel_hi:[0,1,1] neg_lo:[1,0,0] neg_hi:[1,0,0]
	ds_read2_b32 v[176:177], v157 offset0:27 offset1:28
	s_waitcnt vmcnt(28) lgkmcnt(3)
	v_pk_fma_f32 v[70:71], v[44:45], v[172:173], v[70:71] op_sel_hi:[0,1,1] neg_lo:[1,0,0] neg_hi:[1,0,0]
	s_waitcnt vmcnt(26) lgkmcnt(2)
	v_pk_fma_f32 v[72:73], v[44:45], v[174:175], v[72:73] op_sel_hi:[0,1,1] neg_lo:[1,0,0] neg_hi:[1,0,0]
	;; [unrolled: 2-line block ×3, first 2 shown]
	ds_read2_b32 v[172:173], v157 offset0:29 offset1:30
	ds_read2_b32 v[174:175], v157 offset0:31 offset1:32
	;; [unrolled: 1-line block ×3, first 2 shown]
	s_waitcnt vmcnt(22) lgkmcnt(3)
	v_pk_fma_f32 v[96:97], v[44:45], v[176:177], v[96:97] op_sel_hi:[0,1,1] neg_lo:[1,0,0] neg_hi:[1,0,0]
	ds_read2_b32 v[176:177], v157 offset0:35 offset1:36
	s_waitcnt vmcnt(20) lgkmcnt(3)
	v_pk_fma_f32 v[98:99], v[44:45], v[172:173], v[98:99] op_sel_hi:[0,1,1] neg_lo:[1,0,0] neg_hi:[1,0,0]
	s_waitcnt vmcnt(18) lgkmcnt(2)
	v_pk_fma_f32 v[92:93], v[44:45], v[174:175], v[92:93] op_sel_hi:[0,1,1] neg_lo:[1,0,0] neg_hi:[1,0,0]
	ds_read2_b32 v[172:173], v157 offset0:37 offset1:38
	ds_read2_b32 v[174:175], v157 offset0:39 offset1:40
	s_waitcnt vmcnt(16) lgkmcnt(3)
	v_pk_fma_f32 v[118:119], v[44:45], v[178:179], v[118:119] op_sel_hi:[0,1,1] neg_lo:[1,0,0] neg_hi:[1,0,0]
	s_waitcnt vmcnt(14) lgkmcnt(2)
	v_pk_fma_f32 v[122:123], v[44:45], v[176:177], v[122:123] op_sel_hi:[0,1,1] neg_lo:[1,0,0] neg_hi:[1,0,0]
	ds_read2_b32 v[176:177], v157 offset0:41 offset1:42
	;; [unrolled: 6-line block ×3, first 2 shown]
	ds_read2_b32 v[174:175], v157 offset0:47 offset1:48
	ds_read2_b32 v[180:181], v157 offset0:49 offset1:50
	s_waitcnt vmcnt(8) lgkmcnt(4)
	v_pk_fma_f32 v[146:147], v[44:45], v[176:177], v[146:147] op_sel_hi:[0,1,1] neg_lo:[1,0,0] neg_hi:[1,0,0]
	s_waitcnt vmcnt(6) lgkmcnt(3)
	v_pk_fma_f32 v[140:141], v[44:45], v[178:179], v[140:141] op_sel_hi:[0,1,1] neg_lo:[1,0,0] neg_hi:[1,0,0]
	;; [unrolled: 2-line block ×5, first 2 shown]
.LBB101_77:
	s_or_b64 exec, exec, s[2:3]
	v_cmp_ne_u32_e32 vcc, 14, v25
	s_waitcnt lgkmcnt(0)
	s_barrier
	s_and_saveexec_b64 s[2:3], vcc
	s_xor_b64 s[2:3], exec, s[2:3]
	s_andn2_saveexec_b64 s[2:3], s[2:3]
	s_cbranch_execz .LBB101_81
; %bb.78:
	s_waitcnt vmcnt(36)
	ds_write_b32 v156, v45
	s_waitcnt vmcnt(34)
	ds_write2_b32 v157, v48, v49 offset0:15 offset1:16
	s_waitcnt vmcnt(32)
	ds_write2_b32 v157, v74, v75 offset0:17 offset1:18
	;; [unrolled: 2-line block ×18, first 2 shown]
	ds_read_b32 v172, v156
	s_waitcnt lgkmcnt(0)
	v_cmp_neq_f32_e32 vcc, 0, v172
	s_and_saveexec_b64 s[4:5], vcc
	s_cbranch_execz .LBB101_80
; %bb.79:
	v_div_scale_f32 v173, s[10:11], v172, v172, 1.0
	v_rcp_f32_e32 v174, v173
	v_div_scale_f32 v175, vcc, 1.0, v172, 1.0
	v_fma_f32 v176, -v173, v174, 1.0
	v_fmac_f32_e32 v174, v176, v174
	v_mul_f32_e32 v176, v175, v174
	v_fma_f32 v177, -v173, v176, v175
	v_fmac_f32_e32 v176, v177, v174
	v_fma_f32 v173, -v173, v176, v175
	v_div_fmas_f32 v173, v173, v174, v176
	v_div_fixup_f32 v172, v173, v172, 1.0
	ds_write_b32 v156, v172
.LBB101_80:
	s_or_b64 exec, exec, s[4:5]
.LBB101_81:
	s_or_b64 exec, exec, s[2:3]
	s_waitcnt lgkmcnt(0)
	s_barrier
	ds_read_b32 v172, v156
	v_cmp_lt_u32_e32 vcc, 14, v25
	s_and_saveexec_b64 s[2:3], vcc
	s_cbranch_execz .LBB101_83
; %bb.82:
	ds_read2_b32 v[174:175], v157 offset0:15 offset1:16
	ds_read2_b32 v[176:177], v157 offset0:17 offset1:18
	;; [unrolled: 1-line block ×4, first 2 shown]
	s_waitcnt vmcnt(36) lgkmcnt(4)
	v_mul_f32_e32 v180, v172, v45
	s_waitcnt vmcnt(34) lgkmcnt(3)
	v_pk_fma_f32 v[48:49], v[180:181], v[174:175], v[48:49] op_sel_hi:[0,1,1] neg_lo:[1,0,0] neg_hi:[1,0,0]
	s_waitcnt vmcnt(32) lgkmcnt(2)
	v_pk_fma_f32 v[74:75], v[180:181], v[176:177], v[74:75] op_sel_hi:[0,1,1] neg_lo:[1,0,0] neg_hi:[1,0,0]
	;; [unrolled: 2-line block ×3, first 2 shown]
	ds_read2_b32 v[174:175], v157 offset0:23 offset1:24
	ds_read2_b32 v[176:177], v157 offset0:25 offset1:26
	;; [unrolled: 1-line block ×3, first 2 shown]
	s_waitcnt vmcnt(28) lgkmcnt(3)
	v_pk_fma_f32 v[70:71], v[180:181], v[182:183], v[70:71] op_sel_hi:[0,1,1] neg_lo:[1,0,0] neg_hi:[1,0,0]
	ds_read2_b32 v[182:183], v157 offset0:29 offset1:30
	s_waitcnt vmcnt(26) lgkmcnt(3)
	v_pk_fma_f32 v[72:73], v[180:181], v[174:175], v[72:73] op_sel_hi:[0,1,1] neg_lo:[1,0,0] neg_hi:[1,0,0]
	s_waitcnt vmcnt(24) lgkmcnt(2)
	v_pk_fma_f32 v[94:95], v[180:181], v[176:177], v[94:95] op_sel_hi:[0,1,1] neg_lo:[1,0,0] neg_hi:[1,0,0]
	;; [unrolled: 2-line block ×3, first 2 shown]
	ds_read2_b32 v[174:175], v157 offset0:31 offset1:32
	ds_read2_b32 v[176:177], v157 offset0:33 offset1:34
	;; [unrolled: 1-line block ×3, first 2 shown]
	s_waitcnt vmcnt(20) lgkmcnt(3)
	v_pk_fma_f32 v[98:99], v[180:181], v[182:183], v[98:99] op_sel_hi:[0,1,1] neg_lo:[1,0,0] neg_hi:[1,0,0]
	ds_read2_b32 v[182:183], v157 offset0:37 offset1:38
	s_waitcnt vmcnt(18) lgkmcnt(3)
	v_pk_fma_f32 v[92:93], v[180:181], v[174:175], v[92:93] op_sel_hi:[0,1,1] neg_lo:[1,0,0] neg_hi:[1,0,0]
	ds_read2_b32 v[174:175], v157 offset0:39 offset1:40
	s_waitcnt vmcnt(16) lgkmcnt(3)
	v_pk_fma_f32 v[118:119], v[180:181], v[176:177], v[118:119] op_sel_hi:[0,1,1] neg_lo:[1,0,0] neg_hi:[1,0,0]
	s_waitcnt vmcnt(14) lgkmcnt(2)
	v_pk_fma_f32 v[122:123], v[180:181], v[178:179], v[122:123] op_sel_hi:[0,1,1] neg_lo:[1,0,0] neg_hi:[1,0,0]
	;; [unrolled: 2-line block ×3, first 2 shown]
	ds_read2_b32 v[176:177], v157 offset0:41 offset1:42
	ds_read2_b32 v[178:179], v157 offset0:43 offset1:44
	;; [unrolled: 1-line block ×3, first 2 shown]
	s_waitcnt vmcnt(10) lgkmcnt(3)
	v_pk_fma_f32 v[120:121], v[180:181], v[174:175], v[120:121] op_sel_hi:[0,1,1] neg_lo:[1,0,0] neg_hi:[1,0,0]
	ds_read2_b32 v[174:175], v157 offset0:47 offset1:48
	ds_read2_b32 v[184:185], v157 offset0:49 offset1:50
	s_waitcnt vmcnt(8) lgkmcnt(4)
	v_pk_fma_f32 v[146:147], v[180:181], v[176:177], v[146:147] op_sel_hi:[0,1,1] neg_lo:[1,0,0] neg_hi:[1,0,0]
	s_waitcnt vmcnt(6) lgkmcnt(3)
	v_pk_fma_f32 v[140:141], v[180:181], v[178:179], v[140:141] op_sel_hi:[0,1,1] neg_lo:[1,0,0] neg_hi:[1,0,0]
	;; [unrolled: 2-line block ×5, first 2 shown]
	v_mov_b32_e32 v45, v180
.LBB101_83:
	s_or_b64 exec, exec, s[2:3]
	v_cmp_eq_u32_e32 vcc, 15, v25
	s_waitcnt lgkmcnt(0)
	s_barrier
	s_and_saveexec_b64 s[2:3], vcc
	s_cbranch_execz .LBB101_86
; %bb.84:
	s_waitcnt vmcnt(32)
	v_pk_mov_b32 v[174:175], v[48:49], v[74:75] op_sel:[1,0]
	ds_write_b32 v156, v48
	ds_write2_b32 v157, v174, v175 offset0:16 offset1:17
	s_waitcnt vmcnt(30)
	v_pk_mov_b32 v[174:175], v[74:75], v[68:69] op_sel:[1,0]
	ds_write2_b32 v157, v174, v175 offset0:18 offset1:19
	s_waitcnt vmcnt(28)
	v_pk_mov_b32 v[174:175], v[68:69], v[70:71] op_sel:[1,0]
	;; [unrolled: 3-line block ×16, first 2 shown]
	ds_write2_b32 v157, v174, v175 offset0:48 offset1:49
	ds_write_b32 v157, v155 offset:200
	ds_read_b32 v173, v156
	s_waitcnt lgkmcnt(0)
	v_cmp_neq_f32_e32 vcc, 0, v173
	s_and_b64 exec, exec, vcc
	s_cbranch_execz .LBB101_86
; %bb.85:
	v_div_scale_f32 v174, s[4:5], v173, v173, 1.0
	v_rcp_f32_e32 v175, v174
	v_div_scale_f32 v176, vcc, 1.0, v173, 1.0
	v_fma_f32 v177, -v174, v175, 1.0
	v_fmac_f32_e32 v175, v177, v175
	v_mul_f32_e32 v177, v176, v175
	v_fma_f32 v178, -v174, v177, v176
	v_fmac_f32_e32 v177, v178, v175
	v_fma_f32 v174, -v174, v177, v176
	v_div_fmas_f32 v174, v174, v175, v177
	v_div_fixup_f32 v173, v174, v173, 1.0
	ds_write_b32 v156, v173
.LBB101_86:
	s_or_b64 exec, exec, s[2:3]
	s_waitcnt lgkmcnt(0)
	s_barrier
	ds_read_b32 v173, v156
	v_cmp_lt_u32_e32 vcc, 15, v25
	s_and_saveexec_b64 s[2:3], vcc
	s_cbranch_execz .LBB101_88
; %bb.87:
	ds_read_b32 v180, v157 offset:64
	ds_read2_b32 v[174:175], v157 offset0:17 offset1:18
	ds_read2_b32 v[176:177], v157 offset0:19 offset1:20
	s_waitcnt vmcnt(35) lgkmcnt(3)
	v_mul_f32_e32 v48, v173, v48
	ds_read2_b32 v[178:179], v157 offset0:21 offset1:22
	s_waitcnt vmcnt(34) lgkmcnt(3)
	v_fma_f32 v49, -v48, v180, v49
	s_waitcnt vmcnt(32) lgkmcnt(2)
	v_pk_fma_f32 v[74:75], v[48:49], v[174:175], v[74:75] op_sel_hi:[0,1,1] neg_lo:[1,0,0] neg_hi:[1,0,0]
	s_waitcnt vmcnt(30) lgkmcnt(1)
	v_pk_fma_f32 v[68:69], v[48:49], v[176:177], v[68:69] op_sel_hi:[0,1,1] neg_lo:[1,0,0] neg_hi:[1,0,0]
	ds_read2_b32 v[174:175], v157 offset0:23 offset1:24
	ds_read2_b32 v[176:177], v157 offset0:25 offset1:26
	;; [unrolled: 1-line block ×3, first 2 shown]
	s_waitcnt vmcnt(28) lgkmcnt(3)
	v_pk_fma_f32 v[70:71], v[48:49], v[178:179], v[70:71] op_sel_hi:[0,1,1] neg_lo:[1,0,0] neg_hi:[1,0,0]
	ds_read2_b32 v[178:179], v157 offset0:29 offset1:30
	s_waitcnt vmcnt(26) lgkmcnt(3)
	v_pk_fma_f32 v[72:73], v[48:49], v[174:175], v[72:73] op_sel_hi:[0,1,1] neg_lo:[1,0,0] neg_hi:[1,0,0]
	s_waitcnt vmcnt(24) lgkmcnt(2)
	v_pk_fma_f32 v[94:95], v[48:49], v[176:177], v[94:95] op_sel_hi:[0,1,1] neg_lo:[1,0,0] neg_hi:[1,0,0]
	;; [unrolled: 2-line block ×3, first 2 shown]
	ds_read2_b32 v[174:175], v157 offset0:31 offset1:32
	ds_read2_b32 v[176:177], v157 offset0:33 offset1:34
	;; [unrolled: 1-line block ×3, first 2 shown]
	s_waitcnt vmcnt(20) lgkmcnt(3)
	v_pk_fma_f32 v[98:99], v[48:49], v[178:179], v[98:99] op_sel_hi:[0,1,1] neg_lo:[1,0,0] neg_hi:[1,0,0]
	ds_read2_b32 v[178:179], v157 offset0:37 offset1:38
	s_waitcnt vmcnt(18) lgkmcnt(3)
	v_pk_fma_f32 v[92:93], v[48:49], v[174:175], v[92:93] op_sel_hi:[0,1,1] neg_lo:[1,0,0] neg_hi:[1,0,0]
	ds_read2_b32 v[174:175], v157 offset0:39 offset1:40
	s_waitcnt vmcnt(16) lgkmcnt(3)
	v_pk_fma_f32 v[118:119], v[48:49], v[176:177], v[118:119] op_sel_hi:[0,1,1] neg_lo:[1,0,0] neg_hi:[1,0,0]
	s_waitcnt vmcnt(14) lgkmcnt(2)
	v_pk_fma_f32 v[122:123], v[48:49], v[180:181], v[122:123] op_sel_hi:[0,1,1] neg_lo:[1,0,0] neg_hi:[1,0,0]
	;; [unrolled: 2-line block ×3, first 2 shown]
	ds_read2_b32 v[176:177], v157 offset0:41 offset1:42
	ds_read2_b32 v[178:179], v157 offset0:43 offset1:44
	;; [unrolled: 1-line block ×3, first 2 shown]
	s_waitcnt vmcnt(10) lgkmcnt(3)
	v_pk_fma_f32 v[120:121], v[48:49], v[174:175], v[120:121] op_sel_hi:[0,1,1] neg_lo:[1,0,0] neg_hi:[1,0,0]
	ds_read2_b32 v[174:175], v157 offset0:47 offset1:48
	ds_read2_b32 v[182:183], v157 offset0:49 offset1:50
	s_waitcnt vmcnt(8) lgkmcnt(4)
	v_pk_fma_f32 v[146:147], v[48:49], v[176:177], v[146:147] op_sel_hi:[0,1,1] neg_lo:[1,0,0] neg_hi:[1,0,0]
	s_waitcnt vmcnt(6) lgkmcnt(3)
	v_pk_fma_f32 v[140:141], v[48:49], v[178:179], v[140:141] op_sel_hi:[0,1,1] neg_lo:[1,0,0] neg_hi:[1,0,0]
	;; [unrolled: 2-line block ×5, first 2 shown]
.LBB101_88:
	s_or_b64 exec, exec, s[2:3]
	v_cmp_ne_u32_e32 vcc, 16, v25
	s_waitcnt lgkmcnt(0)
	s_barrier
	s_and_saveexec_b64 s[2:3], vcc
	s_xor_b64 s[2:3], exec, s[2:3]
	s_andn2_saveexec_b64 s[2:3], s[2:3]
	s_cbranch_execz .LBB101_92
; %bb.89:
	s_waitcnt vmcnt(34)
	ds_write_b32 v156, v49
	s_waitcnt vmcnt(32)
	ds_write2_b32 v157, v74, v75 offset0:17 offset1:18
	s_waitcnt vmcnt(30)
	ds_write2_b32 v157, v68, v69 offset0:19 offset1:20
	s_waitcnt vmcnt(28)
	ds_write2_b32 v157, v70, v71 offset0:21 offset1:22
	s_waitcnt vmcnt(26)
	ds_write2_b32 v157, v72, v73 offset0:23 offset1:24
	s_waitcnt vmcnt(24)
	ds_write2_b32 v157, v94, v95 offset0:25 offset1:26
	s_waitcnt vmcnt(22)
	ds_write2_b32 v157, v96, v97 offset0:27 offset1:28
	s_waitcnt vmcnt(20)
	ds_write2_b32 v157, v98, v99 offset0:29 offset1:30
	s_waitcnt vmcnt(18)
	ds_write2_b32 v157, v92, v93 offset0:31 offset1:32
	s_waitcnt vmcnt(16)
	ds_write2_b32 v157, v118, v119 offset0:33 offset1:34
	s_waitcnt vmcnt(14)
	ds_write2_b32 v157, v122, v123 offset0:35 offset1:36
	s_waitcnt vmcnt(12)
	ds_write2_b32 v157, v116, v117 offset0:37 offset1:38
	s_waitcnt vmcnt(10)
	ds_write2_b32 v157, v120, v121 offset0:39 offset1:40
	s_waitcnt vmcnt(8)
	ds_write2_b32 v157, v146, v147 offset0:41 offset1:42
	s_waitcnt vmcnt(6)
	ds_write2_b32 v157, v140, v141 offset0:43 offset1:44
	s_waitcnt vmcnt(4)
	ds_write2_b32 v157, v142, v143 offset0:45 offset1:46
	s_waitcnt vmcnt(2)
	ds_write2_b32 v157, v144, v145 offset0:47 offset1:48
	s_waitcnt vmcnt(0)
	ds_write2_b32 v157, v154, v155 offset0:49 offset1:50
	ds_read_b32 v174, v156
	s_waitcnt lgkmcnt(0)
	v_cmp_neq_f32_e32 vcc, 0, v174
	s_and_saveexec_b64 s[4:5], vcc
	s_cbranch_execz .LBB101_91
; %bb.90:
	v_div_scale_f32 v175, s[10:11], v174, v174, 1.0
	v_rcp_f32_e32 v176, v175
	v_div_scale_f32 v177, vcc, 1.0, v174, 1.0
	v_fma_f32 v178, -v175, v176, 1.0
	v_fmac_f32_e32 v176, v178, v176
	v_mul_f32_e32 v178, v177, v176
	v_fma_f32 v179, -v175, v178, v177
	v_fmac_f32_e32 v178, v179, v176
	v_fma_f32 v175, -v175, v178, v177
	v_div_fmas_f32 v175, v175, v176, v178
	v_div_fixup_f32 v174, v175, v174, 1.0
	ds_write_b32 v156, v174
.LBB101_91:
	s_or_b64 exec, exec, s[4:5]
.LBB101_92:
	s_or_b64 exec, exec, s[2:3]
	s_waitcnt lgkmcnt(0)
	s_barrier
	ds_read_b32 v174, v156
	v_cmp_lt_u32_e32 vcc, 16, v25
	s_and_saveexec_b64 s[2:3], vcc
	s_cbranch_execz .LBB101_94
; %bb.93:
	ds_read2_b32 v[176:177], v157 offset0:17 offset1:18
	ds_read2_b32 v[178:179], v157 offset0:19 offset1:20
	;; [unrolled: 1-line block ×3, first 2 shown]
	s_waitcnt vmcnt(34) lgkmcnt(3)
	v_mul_f32_e32 v182, v174, v49
	ds_read2_b32 v[184:185], v157 offset0:23 offset1:24
	s_waitcnt vmcnt(32) lgkmcnt(3)
	v_pk_fma_f32 v[74:75], v[182:183], v[176:177], v[74:75] op_sel_hi:[0,1,1] neg_lo:[1,0,0] neg_hi:[1,0,0]
	s_waitcnt vmcnt(30) lgkmcnt(2)
	v_pk_fma_f32 v[68:69], v[182:183], v[178:179], v[68:69] op_sel_hi:[0,1,1] neg_lo:[1,0,0] neg_hi:[1,0,0]
	;; [unrolled: 2-line block ×3, first 2 shown]
	ds_read2_b32 v[176:177], v157 offset0:25 offset1:26
	ds_read2_b32 v[178:179], v157 offset0:27 offset1:28
	;; [unrolled: 1-line block ×3, first 2 shown]
	s_waitcnt vmcnt(26) lgkmcnt(3)
	v_pk_fma_f32 v[72:73], v[182:183], v[184:185], v[72:73] op_sel_hi:[0,1,1] neg_lo:[1,0,0] neg_hi:[1,0,0]
	ds_read2_b32 v[184:185], v157 offset0:31 offset1:32
	s_waitcnt vmcnt(24) lgkmcnt(3)
	v_pk_fma_f32 v[94:95], v[182:183], v[176:177], v[94:95] op_sel_hi:[0,1,1] neg_lo:[1,0,0] neg_hi:[1,0,0]
	s_waitcnt vmcnt(22) lgkmcnt(2)
	v_pk_fma_f32 v[96:97], v[182:183], v[178:179], v[96:97] op_sel_hi:[0,1,1] neg_lo:[1,0,0] neg_hi:[1,0,0]
	s_waitcnt vmcnt(20) lgkmcnt(1)
	v_pk_fma_f32 v[98:99], v[182:183], v[180:181], v[98:99] op_sel_hi:[0,1,1] neg_lo:[1,0,0] neg_hi:[1,0,0]
	ds_read2_b32 v[176:177], v157 offset0:33 offset1:34
	ds_read2_b32 v[178:179], v157 offset0:35 offset1:36
	;; [unrolled: 1-line block ×4, first 2 shown]
	s_waitcnt vmcnt(18) lgkmcnt(4)
	v_pk_fma_f32 v[92:93], v[182:183], v[184:185], v[92:93] op_sel_hi:[0,1,1] neg_lo:[1,0,0] neg_hi:[1,0,0]
	s_waitcnt vmcnt(16) lgkmcnt(3)
	v_pk_fma_f32 v[118:119], v[182:183], v[176:177], v[118:119] op_sel_hi:[0,1,1] neg_lo:[1,0,0] neg_hi:[1,0,0]
	;; [unrolled: 2-line block ×5, first 2 shown]
	ds_read2_b32 v[176:177], v157 offset0:41 offset1:42
	ds_read2_b32 v[178:179], v157 offset0:43 offset1:44
	;; [unrolled: 1-line block ×5, first 2 shown]
	s_waitcnt vmcnt(8) lgkmcnt(4)
	v_pk_fma_f32 v[146:147], v[182:183], v[176:177], v[146:147] op_sel_hi:[0,1,1] neg_lo:[1,0,0] neg_hi:[1,0,0]
	s_waitcnt vmcnt(6) lgkmcnt(3)
	v_pk_fma_f32 v[140:141], v[182:183], v[178:179], v[140:141] op_sel_hi:[0,1,1] neg_lo:[1,0,0] neg_hi:[1,0,0]
	;; [unrolled: 2-line block ×5, first 2 shown]
	v_mov_b32_e32 v49, v182
.LBB101_94:
	s_or_b64 exec, exec, s[2:3]
	v_cmp_eq_u32_e32 vcc, 17, v25
	s_waitcnt lgkmcnt(0)
	s_barrier
	s_and_saveexec_b64 s[2:3], vcc
	s_cbranch_execz .LBB101_97
; %bb.95:
	s_waitcnt vmcnt(30)
	v_pk_mov_b32 v[176:177], v[74:75], v[68:69] op_sel:[1,0]
	ds_write_b32 v156, v74
	ds_write2_b32 v157, v176, v177 offset0:18 offset1:19
	s_waitcnt vmcnt(28)
	v_pk_mov_b32 v[176:177], v[68:69], v[70:71] op_sel:[1,0]
	ds_write2_b32 v157, v176, v177 offset0:20 offset1:21
	s_waitcnt vmcnt(26)
	v_pk_mov_b32 v[176:177], v[70:71], v[72:73] op_sel:[1,0]
	;; [unrolled: 3-line block ×15, first 2 shown]
	ds_write2_b32 v157, v176, v177 offset0:48 offset1:49
	ds_write_b32 v157, v155 offset:200
	ds_read_b32 v175, v156
	s_waitcnt lgkmcnt(0)
	v_cmp_neq_f32_e32 vcc, 0, v175
	s_and_b64 exec, exec, vcc
	s_cbranch_execz .LBB101_97
; %bb.96:
	v_div_scale_f32 v176, s[4:5], v175, v175, 1.0
	v_rcp_f32_e32 v177, v176
	v_div_scale_f32 v178, vcc, 1.0, v175, 1.0
	v_fma_f32 v179, -v176, v177, 1.0
	v_fmac_f32_e32 v177, v179, v177
	v_mul_f32_e32 v179, v178, v177
	v_fma_f32 v180, -v176, v179, v178
	v_fmac_f32_e32 v179, v180, v177
	v_fma_f32 v176, -v176, v179, v178
	v_div_fmas_f32 v176, v176, v177, v179
	v_div_fixup_f32 v175, v176, v175, 1.0
	ds_write_b32 v156, v175
.LBB101_97:
	s_or_b64 exec, exec, s[2:3]
	s_waitcnt lgkmcnt(0)
	s_barrier
	ds_read_b32 v175, v156
	v_cmp_lt_u32_e32 vcc, 17, v25
	s_and_saveexec_b64 s[2:3], vcc
	s_cbranch_execz .LBB101_99
; %bb.98:
	ds_read_b32 v182, v157 offset:72
	ds_read2_b32 v[176:177], v157 offset0:19 offset1:20
	ds_read2_b32 v[178:179], v157 offset0:21 offset1:22
	s_waitcnt vmcnt(33) lgkmcnt(3)
	v_mul_f32_e32 v74, v175, v74
	ds_read2_b32 v[180:181], v157 offset0:23 offset1:24
	s_waitcnt vmcnt(32) lgkmcnt(3)
	v_fma_f32 v75, -v74, v182, v75
	s_waitcnt vmcnt(30) lgkmcnt(2)
	v_pk_fma_f32 v[68:69], v[74:75], v[176:177], v[68:69] op_sel_hi:[0,1,1] neg_lo:[1,0,0] neg_hi:[1,0,0]
	s_waitcnt vmcnt(28) lgkmcnt(1)
	v_pk_fma_f32 v[70:71], v[74:75], v[178:179], v[70:71] op_sel_hi:[0,1,1] neg_lo:[1,0,0] neg_hi:[1,0,0]
	ds_read2_b32 v[176:177], v157 offset0:25 offset1:26
	ds_read2_b32 v[178:179], v157 offset0:27 offset1:28
	;; [unrolled: 1-line block ×3, first 2 shown]
	s_waitcnt vmcnt(26) lgkmcnt(3)
	v_pk_fma_f32 v[72:73], v[74:75], v[180:181], v[72:73] op_sel_hi:[0,1,1] neg_lo:[1,0,0] neg_hi:[1,0,0]
	ds_read2_b32 v[180:181], v157 offset0:31 offset1:32
	s_waitcnt vmcnt(24) lgkmcnt(3)
	v_pk_fma_f32 v[94:95], v[74:75], v[176:177], v[94:95] op_sel_hi:[0,1,1] neg_lo:[1,0,0] neg_hi:[1,0,0]
	s_waitcnt vmcnt(22) lgkmcnt(2)
	v_pk_fma_f32 v[96:97], v[74:75], v[178:179], v[96:97] op_sel_hi:[0,1,1] neg_lo:[1,0,0] neg_hi:[1,0,0]
	;; [unrolled: 2-line block ×3, first 2 shown]
	ds_read2_b32 v[176:177], v157 offset0:33 offset1:34
	ds_read2_b32 v[178:179], v157 offset0:35 offset1:36
	;; [unrolled: 1-line block ×4, first 2 shown]
	s_waitcnt vmcnt(18) lgkmcnt(4)
	v_pk_fma_f32 v[92:93], v[74:75], v[180:181], v[92:93] op_sel_hi:[0,1,1] neg_lo:[1,0,0] neg_hi:[1,0,0]
	s_waitcnt vmcnt(16) lgkmcnt(3)
	v_pk_fma_f32 v[118:119], v[74:75], v[176:177], v[118:119] op_sel_hi:[0,1,1] neg_lo:[1,0,0] neg_hi:[1,0,0]
	;; [unrolled: 2-line block ×5, first 2 shown]
	ds_read2_b32 v[176:177], v157 offset0:41 offset1:42
	ds_read2_b32 v[178:179], v157 offset0:43 offset1:44
	;; [unrolled: 1-line block ×5, first 2 shown]
	s_waitcnt vmcnt(8) lgkmcnt(4)
	v_pk_fma_f32 v[146:147], v[74:75], v[176:177], v[146:147] op_sel_hi:[0,1,1] neg_lo:[1,0,0] neg_hi:[1,0,0]
	s_waitcnt vmcnt(6) lgkmcnt(3)
	v_pk_fma_f32 v[140:141], v[74:75], v[178:179], v[140:141] op_sel_hi:[0,1,1] neg_lo:[1,0,0] neg_hi:[1,0,0]
	;; [unrolled: 2-line block ×5, first 2 shown]
.LBB101_99:
	s_or_b64 exec, exec, s[2:3]
	v_cmp_ne_u32_e32 vcc, 18, v25
	s_waitcnt lgkmcnt(0)
	s_barrier
	s_and_saveexec_b64 s[2:3], vcc
	s_xor_b64 s[2:3], exec, s[2:3]
	s_andn2_saveexec_b64 s[2:3], s[2:3]
	s_cbranch_execz .LBB101_103
; %bb.100:
	s_waitcnt vmcnt(32)
	ds_write_b32 v156, v75
	s_waitcnt vmcnt(30)
	ds_write2_b32 v157, v68, v69 offset0:19 offset1:20
	s_waitcnt vmcnt(28)
	ds_write2_b32 v157, v70, v71 offset0:21 offset1:22
	;; [unrolled: 2-line block ×16, first 2 shown]
	ds_read_b32 v176, v156
	s_waitcnt lgkmcnt(0)
	v_cmp_neq_f32_e32 vcc, 0, v176
	s_and_saveexec_b64 s[4:5], vcc
	s_cbranch_execz .LBB101_102
; %bb.101:
	v_div_scale_f32 v177, s[10:11], v176, v176, 1.0
	v_rcp_f32_e32 v178, v177
	v_div_scale_f32 v179, vcc, 1.0, v176, 1.0
	v_fma_f32 v180, -v177, v178, 1.0
	v_fmac_f32_e32 v178, v180, v178
	v_mul_f32_e32 v180, v179, v178
	v_fma_f32 v181, -v177, v180, v179
	v_fmac_f32_e32 v180, v181, v178
	v_fma_f32 v177, -v177, v180, v179
	v_div_fmas_f32 v177, v177, v178, v180
	v_div_fixup_f32 v176, v177, v176, 1.0
	ds_write_b32 v156, v176
.LBB101_102:
	s_or_b64 exec, exec, s[4:5]
.LBB101_103:
	s_or_b64 exec, exec, s[2:3]
	s_waitcnt lgkmcnt(0)
	s_barrier
	ds_read_b32 v176, v156
	v_cmp_lt_u32_e32 vcc, 18, v25
	s_and_saveexec_b64 s[2:3], vcc
	s_cbranch_execz .LBB101_105
; %bb.104:
	ds_read2_b32 v[178:179], v157 offset0:19 offset1:20
	ds_read2_b32 v[180:181], v157 offset0:21 offset1:22
	;; [unrolled: 1-line block ×3, first 2 shown]
	s_waitcnt vmcnt(32) lgkmcnt(3)
	v_mul_f32_e32 v184, v176, v75
	ds_read2_b32 v[186:187], v157 offset0:25 offset1:26
	s_waitcnt vmcnt(30) lgkmcnt(3)
	v_pk_fma_f32 v[68:69], v[184:185], v[178:179], v[68:69] op_sel_hi:[0,1,1] neg_lo:[1,0,0] neg_hi:[1,0,0]
	s_waitcnt vmcnt(28) lgkmcnt(2)
	v_pk_fma_f32 v[70:71], v[184:185], v[180:181], v[70:71] op_sel_hi:[0,1,1] neg_lo:[1,0,0] neg_hi:[1,0,0]
	;; [unrolled: 2-line block ×3, first 2 shown]
	ds_read2_b32 v[178:179], v157 offset0:27 offset1:28
	ds_read2_b32 v[180:181], v157 offset0:29 offset1:30
	;; [unrolled: 1-line block ×3, first 2 shown]
	s_waitcnt vmcnt(24) lgkmcnt(3)
	v_pk_fma_f32 v[94:95], v[184:185], v[186:187], v[94:95] op_sel_hi:[0,1,1] neg_lo:[1,0,0] neg_hi:[1,0,0]
	ds_read2_b32 v[186:187], v157 offset0:33 offset1:34
	s_waitcnt vmcnt(22) lgkmcnt(3)
	v_pk_fma_f32 v[96:97], v[184:185], v[178:179], v[96:97] op_sel_hi:[0,1,1] neg_lo:[1,0,0] neg_hi:[1,0,0]
	s_waitcnt vmcnt(20) lgkmcnt(2)
	v_pk_fma_f32 v[98:99], v[184:185], v[180:181], v[98:99] op_sel_hi:[0,1,1] neg_lo:[1,0,0] neg_hi:[1,0,0]
	;; [unrolled: 2-line block ×3, first 2 shown]
	ds_read2_b32 v[178:179], v157 offset0:35 offset1:36
	ds_read2_b32 v[180:181], v157 offset0:37 offset1:38
	ds_read2_b32 v[182:183], v157 offset0:39 offset1:40
	s_waitcnt vmcnt(16) lgkmcnt(3)
	v_pk_fma_f32 v[118:119], v[184:185], v[186:187], v[118:119] op_sel_hi:[0,1,1] neg_lo:[1,0,0] neg_hi:[1,0,0]
	ds_read2_b32 v[186:187], v157 offset0:41 offset1:42
	s_waitcnt vmcnt(14) lgkmcnt(3)
	v_pk_fma_f32 v[122:123], v[184:185], v[178:179], v[122:123] op_sel_hi:[0,1,1] neg_lo:[1,0,0] neg_hi:[1,0,0]
	s_waitcnt vmcnt(12) lgkmcnt(2)
	v_pk_fma_f32 v[116:117], v[184:185], v[180:181], v[116:117] op_sel_hi:[0,1,1] neg_lo:[1,0,0] neg_hi:[1,0,0]
	;; [unrolled: 2-line block ×3, first 2 shown]
	ds_read2_b32 v[178:179], v157 offset0:43 offset1:44
	ds_read2_b32 v[180:181], v157 offset0:45 offset1:46
	;; [unrolled: 1-line block ×4, first 2 shown]
	s_waitcnt vmcnt(8) lgkmcnt(4)
	v_pk_fma_f32 v[146:147], v[184:185], v[186:187], v[146:147] op_sel_hi:[0,1,1] neg_lo:[1,0,0] neg_hi:[1,0,0]
	s_waitcnt vmcnt(6) lgkmcnt(3)
	v_pk_fma_f32 v[140:141], v[184:185], v[178:179], v[140:141] op_sel_hi:[0,1,1] neg_lo:[1,0,0] neg_hi:[1,0,0]
	;; [unrolled: 2-line block ×5, first 2 shown]
	v_mov_b32_e32 v75, v184
.LBB101_105:
	s_or_b64 exec, exec, s[2:3]
	v_cmp_eq_u32_e32 vcc, 19, v25
	s_waitcnt lgkmcnt(0)
	s_barrier
	s_and_saveexec_b64 s[2:3], vcc
	s_cbranch_execz .LBB101_108
; %bb.106:
	s_waitcnt vmcnt(28)
	v_pk_mov_b32 v[178:179], v[68:69], v[70:71] op_sel:[1,0]
	ds_write_b32 v156, v68
	ds_write2_b32 v157, v178, v179 offset0:20 offset1:21
	s_waitcnt vmcnt(26)
	v_pk_mov_b32 v[178:179], v[70:71], v[72:73] op_sel:[1,0]
	ds_write2_b32 v157, v178, v179 offset0:22 offset1:23
	s_waitcnt vmcnt(24)
	v_pk_mov_b32 v[178:179], v[72:73], v[94:95] op_sel:[1,0]
	;; [unrolled: 3-line block ×14, first 2 shown]
	ds_write2_b32 v157, v178, v179 offset0:48 offset1:49
	ds_write_b32 v157, v155 offset:200
	ds_read_b32 v177, v156
	s_waitcnt lgkmcnt(0)
	v_cmp_neq_f32_e32 vcc, 0, v177
	s_and_b64 exec, exec, vcc
	s_cbranch_execz .LBB101_108
; %bb.107:
	v_div_scale_f32 v178, s[4:5], v177, v177, 1.0
	v_rcp_f32_e32 v179, v178
	v_div_scale_f32 v180, vcc, 1.0, v177, 1.0
	v_fma_f32 v181, -v178, v179, 1.0
	v_fmac_f32_e32 v179, v181, v179
	v_mul_f32_e32 v181, v180, v179
	v_fma_f32 v182, -v178, v181, v180
	v_fmac_f32_e32 v181, v182, v179
	v_fma_f32 v178, -v178, v181, v180
	v_div_fmas_f32 v178, v178, v179, v181
	v_div_fixup_f32 v177, v178, v177, 1.0
	ds_write_b32 v156, v177
.LBB101_108:
	s_or_b64 exec, exec, s[2:3]
	s_waitcnt lgkmcnt(0)
	s_barrier
	ds_read_b32 v177, v156
	v_cmp_lt_u32_e32 vcc, 19, v25
	s_and_saveexec_b64 s[2:3], vcc
	s_cbranch_execz .LBB101_110
; %bb.109:
	ds_read_b32 v184, v157 offset:80
	ds_read2_b32 v[178:179], v157 offset0:21 offset1:22
	ds_read2_b32 v[180:181], v157 offset0:23 offset1:24
	s_waitcnt vmcnt(31) lgkmcnt(3)
	v_mul_f32_e32 v68, v177, v68
	ds_read2_b32 v[182:183], v157 offset0:25 offset1:26
	s_waitcnt vmcnt(30) lgkmcnt(3)
	v_fma_f32 v69, -v68, v184, v69
	s_waitcnt vmcnt(28) lgkmcnt(2)
	v_pk_fma_f32 v[70:71], v[68:69], v[178:179], v[70:71] op_sel_hi:[0,1,1] neg_lo:[1,0,0] neg_hi:[1,0,0]
	s_waitcnt vmcnt(26) lgkmcnt(1)
	v_pk_fma_f32 v[72:73], v[68:69], v[180:181], v[72:73] op_sel_hi:[0,1,1] neg_lo:[1,0,0] neg_hi:[1,0,0]
	ds_read2_b32 v[178:179], v157 offset0:27 offset1:28
	ds_read2_b32 v[180:181], v157 offset0:29 offset1:30
	;; [unrolled: 1-line block ×3, first 2 shown]
	s_waitcnt vmcnt(24) lgkmcnt(3)
	v_pk_fma_f32 v[94:95], v[68:69], v[182:183], v[94:95] op_sel_hi:[0,1,1] neg_lo:[1,0,0] neg_hi:[1,0,0]
	ds_read2_b32 v[182:183], v157 offset0:33 offset1:34
	s_waitcnt vmcnt(22) lgkmcnt(3)
	v_pk_fma_f32 v[96:97], v[68:69], v[178:179], v[96:97] op_sel_hi:[0,1,1] neg_lo:[1,0,0] neg_hi:[1,0,0]
	s_waitcnt vmcnt(20) lgkmcnt(2)
	v_pk_fma_f32 v[98:99], v[68:69], v[180:181], v[98:99] op_sel_hi:[0,1,1] neg_lo:[1,0,0] neg_hi:[1,0,0]
	;; [unrolled: 2-line block ×3, first 2 shown]
	ds_read2_b32 v[178:179], v157 offset0:35 offset1:36
	ds_read2_b32 v[180:181], v157 offset0:37 offset1:38
	;; [unrolled: 1-line block ×3, first 2 shown]
	s_waitcnt vmcnt(16) lgkmcnt(3)
	v_pk_fma_f32 v[118:119], v[68:69], v[182:183], v[118:119] op_sel_hi:[0,1,1] neg_lo:[1,0,0] neg_hi:[1,0,0]
	ds_read2_b32 v[182:183], v157 offset0:41 offset1:42
	s_waitcnt vmcnt(14) lgkmcnt(3)
	v_pk_fma_f32 v[122:123], v[68:69], v[178:179], v[122:123] op_sel_hi:[0,1,1] neg_lo:[1,0,0] neg_hi:[1,0,0]
	s_waitcnt vmcnt(12) lgkmcnt(2)
	v_pk_fma_f32 v[116:117], v[68:69], v[180:181], v[116:117] op_sel_hi:[0,1,1] neg_lo:[1,0,0] neg_hi:[1,0,0]
	;; [unrolled: 2-line block ×3, first 2 shown]
	ds_read2_b32 v[178:179], v157 offset0:43 offset1:44
	ds_read2_b32 v[180:181], v157 offset0:45 offset1:46
	;; [unrolled: 1-line block ×4, first 2 shown]
	s_waitcnt vmcnt(8) lgkmcnt(4)
	v_pk_fma_f32 v[146:147], v[68:69], v[182:183], v[146:147] op_sel_hi:[0,1,1] neg_lo:[1,0,0] neg_hi:[1,0,0]
	s_waitcnt vmcnt(6) lgkmcnt(3)
	v_pk_fma_f32 v[140:141], v[68:69], v[178:179], v[140:141] op_sel_hi:[0,1,1] neg_lo:[1,0,0] neg_hi:[1,0,0]
	;; [unrolled: 2-line block ×5, first 2 shown]
.LBB101_110:
	s_or_b64 exec, exec, s[2:3]
	v_cmp_ne_u32_e32 vcc, 20, v25
	s_waitcnt lgkmcnt(0)
	s_barrier
	s_and_saveexec_b64 s[2:3], vcc
	s_xor_b64 s[2:3], exec, s[2:3]
	s_andn2_saveexec_b64 s[2:3], s[2:3]
	s_cbranch_execz .LBB101_114
; %bb.111:
	s_waitcnt vmcnt(30)
	ds_write_b32 v156, v69
	s_waitcnt vmcnt(28)
	ds_write2_b32 v157, v70, v71 offset0:21 offset1:22
	s_waitcnt vmcnt(26)
	ds_write2_b32 v157, v72, v73 offset0:23 offset1:24
	;; [unrolled: 2-line block ×15, first 2 shown]
	ds_read_b32 v178, v156
	s_waitcnt lgkmcnt(0)
	v_cmp_neq_f32_e32 vcc, 0, v178
	s_and_saveexec_b64 s[4:5], vcc
	s_cbranch_execz .LBB101_113
; %bb.112:
	v_div_scale_f32 v179, s[10:11], v178, v178, 1.0
	v_rcp_f32_e32 v180, v179
	v_div_scale_f32 v181, vcc, 1.0, v178, 1.0
	v_fma_f32 v182, -v179, v180, 1.0
	v_fmac_f32_e32 v180, v182, v180
	v_mul_f32_e32 v182, v181, v180
	v_fma_f32 v183, -v179, v182, v181
	v_fmac_f32_e32 v182, v183, v180
	v_fma_f32 v179, -v179, v182, v181
	v_div_fmas_f32 v179, v179, v180, v182
	v_div_fixup_f32 v178, v179, v178, 1.0
	ds_write_b32 v156, v178
.LBB101_113:
	s_or_b64 exec, exec, s[4:5]
.LBB101_114:
	s_or_b64 exec, exec, s[2:3]
	s_waitcnt lgkmcnt(0)
	s_barrier
	ds_read_b32 v178, v156
	v_cmp_lt_u32_e32 vcc, 20, v25
	s_and_saveexec_b64 s[2:3], vcc
	s_cbranch_execz .LBB101_116
; %bb.115:
	ds_read2_b32 v[180:181], v157 offset0:21 offset1:22
	ds_read2_b32 v[182:183], v157 offset0:23 offset1:24
	;; [unrolled: 1-line block ×3, first 2 shown]
	s_waitcnt vmcnt(30) lgkmcnt(3)
	v_mul_f32_e32 v186, v178, v69
	ds_read2_b32 v[188:189], v157 offset0:27 offset1:28
	s_waitcnt vmcnt(28) lgkmcnt(3)
	v_pk_fma_f32 v[70:71], v[186:187], v[180:181], v[70:71] op_sel_hi:[0,1,1] neg_lo:[1,0,0] neg_hi:[1,0,0]
	s_waitcnt vmcnt(26) lgkmcnt(2)
	v_pk_fma_f32 v[72:73], v[186:187], v[182:183], v[72:73] op_sel_hi:[0,1,1] neg_lo:[1,0,0] neg_hi:[1,0,0]
	;; [unrolled: 2-line block ×3, first 2 shown]
	ds_read2_b32 v[180:181], v157 offset0:29 offset1:30
	ds_read2_b32 v[182:183], v157 offset0:31 offset1:32
	;; [unrolled: 1-line block ×3, first 2 shown]
	s_waitcnt vmcnt(22) lgkmcnt(3)
	v_pk_fma_f32 v[96:97], v[186:187], v[188:189], v[96:97] op_sel_hi:[0,1,1] neg_lo:[1,0,0] neg_hi:[1,0,0]
	ds_read2_b32 v[188:189], v157 offset0:35 offset1:36
	s_waitcnt vmcnt(20) lgkmcnt(3)
	v_pk_fma_f32 v[98:99], v[186:187], v[180:181], v[98:99] op_sel_hi:[0,1,1] neg_lo:[1,0,0] neg_hi:[1,0,0]
	s_waitcnt vmcnt(18) lgkmcnt(2)
	v_pk_fma_f32 v[92:93], v[186:187], v[182:183], v[92:93] op_sel_hi:[0,1,1] neg_lo:[1,0,0] neg_hi:[1,0,0]
	ds_read2_b32 v[180:181], v157 offset0:37 offset1:38
	ds_read2_b32 v[182:183], v157 offset0:39 offset1:40
	s_waitcnt vmcnt(16) lgkmcnt(3)
	v_pk_fma_f32 v[118:119], v[186:187], v[184:185], v[118:119] op_sel_hi:[0,1,1] neg_lo:[1,0,0] neg_hi:[1,0,0]
	s_waitcnt vmcnt(14) lgkmcnt(2)
	v_pk_fma_f32 v[122:123], v[186:187], v[188:189], v[122:123] op_sel_hi:[0,1,1] neg_lo:[1,0,0] neg_hi:[1,0,0]
	ds_read2_b32 v[184:185], v157 offset0:41 offset1:42
	;; [unrolled: 6-line block ×3, first 2 shown]
	ds_read2_b32 v[182:183], v157 offset0:47 offset1:48
	ds_read2_b32 v[190:191], v157 offset0:49 offset1:50
	s_waitcnt vmcnt(8) lgkmcnt(4)
	v_pk_fma_f32 v[146:147], v[186:187], v[184:185], v[146:147] op_sel_hi:[0,1,1] neg_lo:[1,0,0] neg_hi:[1,0,0]
	s_waitcnt vmcnt(6) lgkmcnt(3)
	v_pk_fma_f32 v[140:141], v[186:187], v[188:189], v[140:141] op_sel_hi:[0,1,1] neg_lo:[1,0,0] neg_hi:[1,0,0]
	s_waitcnt vmcnt(4) lgkmcnt(2)
	v_pk_fma_f32 v[142:143], v[186:187], v[180:181], v[142:143] op_sel_hi:[0,1,1] neg_lo:[1,0,0] neg_hi:[1,0,0]
	s_waitcnt vmcnt(2) lgkmcnt(1)
	v_pk_fma_f32 v[144:145], v[186:187], v[182:183], v[144:145] op_sel_hi:[0,1,1] neg_lo:[1,0,0] neg_hi:[1,0,0]
	s_waitcnt vmcnt(0) lgkmcnt(0)
	v_pk_fma_f32 v[154:155], v[186:187], v[190:191], v[154:155] op_sel_hi:[0,1,1] neg_lo:[1,0,0] neg_hi:[1,0,0]
	v_mov_b32_e32 v69, v186
.LBB101_116:
	s_or_b64 exec, exec, s[2:3]
	v_cmp_eq_u32_e32 vcc, 21, v25
	s_waitcnt lgkmcnt(0)
	s_barrier
	s_and_saveexec_b64 s[2:3], vcc
	s_cbranch_execz .LBB101_119
; %bb.117:
	s_waitcnt vmcnt(26)
	v_pk_mov_b32 v[180:181], v[70:71], v[72:73] op_sel:[1,0]
	ds_write_b32 v156, v70
	ds_write2_b32 v157, v180, v181 offset0:22 offset1:23
	s_waitcnt vmcnt(24)
	v_pk_mov_b32 v[180:181], v[72:73], v[94:95] op_sel:[1,0]
	ds_write2_b32 v157, v180, v181 offset0:24 offset1:25
	s_waitcnt vmcnt(22)
	v_pk_mov_b32 v[180:181], v[94:95], v[96:97] op_sel:[1,0]
	;; [unrolled: 3-line block ×13, first 2 shown]
	ds_write2_b32 v157, v180, v181 offset0:48 offset1:49
	ds_write_b32 v157, v155 offset:200
	ds_read_b32 v179, v156
	s_waitcnt lgkmcnt(0)
	v_cmp_neq_f32_e32 vcc, 0, v179
	s_and_b64 exec, exec, vcc
	s_cbranch_execz .LBB101_119
; %bb.118:
	v_div_scale_f32 v180, s[4:5], v179, v179, 1.0
	v_rcp_f32_e32 v181, v180
	v_div_scale_f32 v182, vcc, 1.0, v179, 1.0
	v_fma_f32 v183, -v180, v181, 1.0
	v_fmac_f32_e32 v181, v183, v181
	v_mul_f32_e32 v183, v182, v181
	v_fma_f32 v184, -v180, v183, v182
	v_fmac_f32_e32 v183, v184, v181
	v_fma_f32 v180, -v180, v183, v182
	v_div_fmas_f32 v180, v180, v181, v183
	v_div_fixup_f32 v179, v180, v179, 1.0
	ds_write_b32 v156, v179
.LBB101_119:
	s_or_b64 exec, exec, s[2:3]
	s_waitcnt lgkmcnt(0)
	s_barrier
	ds_read_b32 v179, v156
	v_cmp_lt_u32_e32 vcc, 21, v25
	s_and_saveexec_b64 s[2:3], vcc
	s_cbranch_execz .LBB101_121
; %bb.120:
	ds_read_b32 v186, v157 offset:88
	ds_read2_b32 v[180:181], v157 offset0:23 offset1:24
	ds_read2_b32 v[182:183], v157 offset0:25 offset1:26
	s_waitcnt vmcnt(29) lgkmcnt(3)
	v_mul_f32_e32 v70, v179, v70
	ds_read2_b32 v[184:185], v157 offset0:27 offset1:28
	s_waitcnt vmcnt(28) lgkmcnt(3)
	v_fma_f32 v71, -v70, v186, v71
	s_waitcnt vmcnt(26) lgkmcnt(2)
	v_pk_fma_f32 v[72:73], v[70:71], v[180:181], v[72:73] op_sel_hi:[0,1,1] neg_lo:[1,0,0] neg_hi:[1,0,0]
	s_waitcnt vmcnt(24) lgkmcnt(1)
	v_pk_fma_f32 v[94:95], v[70:71], v[182:183], v[94:95] op_sel_hi:[0,1,1] neg_lo:[1,0,0] neg_hi:[1,0,0]
	ds_read2_b32 v[180:181], v157 offset0:29 offset1:30
	ds_read2_b32 v[182:183], v157 offset0:31 offset1:32
	;; [unrolled: 1-line block ×3, first 2 shown]
	s_waitcnt vmcnt(22) lgkmcnt(3)
	v_pk_fma_f32 v[96:97], v[70:71], v[184:185], v[96:97] op_sel_hi:[0,1,1] neg_lo:[1,0,0] neg_hi:[1,0,0]
	ds_read2_b32 v[184:185], v157 offset0:35 offset1:36
	s_waitcnt vmcnt(20) lgkmcnt(3)
	v_pk_fma_f32 v[98:99], v[70:71], v[180:181], v[98:99] op_sel_hi:[0,1,1] neg_lo:[1,0,0] neg_hi:[1,0,0]
	s_waitcnt vmcnt(18) lgkmcnt(2)
	v_pk_fma_f32 v[92:93], v[70:71], v[182:183], v[92:93] op_sel_hi:[0,1,1] neg_lo:[1,0,0] neg_hi:[1,0,0]
	ds_read2_b32 v[180:181], v157 offset0:37 offset1:38
	ds_read2_b32 v[182:183], v157 offset0:39 offset1:40
	s_waitcnt vmcnt(16) lgkmcnt(3)
	v_pk_fma_f32 v[118:119], v[70:71], v[186:187], v[118:119] op_sel_hi:[0,1,1] neg_lo:[1,0,0] neg_hi:[1,0,0]
	s_waitcnt vmcnt(14) lgkmcnt(2)
	v_pk_fma_f32 v[122:123], v[70:71], v[184:185], v[122:123] op_sel_hi:[0,1,1] neg_lo:[1,0,0] neg_hi:[1,0,0]
	ds_read2_b32 v[184:185], v157 offset0:41 offset1:42
	ds_read2_b32 v[186:187], v157 offset0:43 offset1:44
	s_waitcnt vmcnt(12) lgkmcnt(3)
	v_pk_fma_f32 v[116:117], v[70:71], v[180:181], v[116:117] op_sel_hi:[0,1,1] neg_lo:[1,0,0] neg_hi:[1,0,0]
	s_waitcnt vmcnt(10) lgkmcnt(2)
	v_pk_fma_f32 v[120:121], v[70:71], v[182:183], v[120:121] op_sel_hi:[0,1,1] neg_lo:[1,0,0] neg_hi:[1,0,0]
	ds_read2_b32 v[180:181], v157 offset0:45 offset1:46
	ds_read2_b32 v[182:183], v157 offset0:47 offset1:48
	ds_read2_b32 v[188:189], v157 offset0:49 offset1:50
	s_waitcnt vmcnt(8) lgkmcnt(4)
	v_pk_fma_f32 v[146:147], v[70:71], v[184:185], v[146:147] op_sel_hi:[0,1,1] neg_lo:[1,0,0] neg_hi:[1,0,0]
	s_waitcnt vmcnt(6) lgkmcnt(3)
	v_pk_fma_f32 v[140:141], v[70:71], v[186:187], v[140:141] op_sel_hi:[0,1,1] neg_lo:[1,0,0] neg_hi:[1,0,0]
	;; [unrolled: 2-line block ×5, first 2 shown]
.LBB101_121:
	s_or_b64 exec, exec, s[2:3]
	v_cmp_ne_u32_e32 vcc, 22, v25
	s_waitcnt lgkmcnt(0)
	s_barrier
	s_and_saveexec_b64 s[2:3], vcc
	s_xor_b64 s[2:3], exec, s[2:3]
	s_andn2_saveexec_b64 s[2:3], s[2:3]
	s_cbranch_execz .LBB101_125
; %bb.122:
	s_waitcnt vmcnt(28)
	ds_write_b32 v156, v71
	s_waitcnt vmcnt(26)
	ds_write2_b32 v157, v72, v73 offset0:23 offset1:24
	s_waitcnt vmcnt(24)
	ds_write2_b32 v157, v94, v95 offset0:25 offset1:26
	;; [unrolled: 2-line block ×14, first 2 shown]
	ds_read_b32 v180, v156
	s_waitcnt lgkmcnt(0)
	v_cmp_neq_f32_e32 vcc, 0, v180
	s_and_saveexec_b64 s[4:5], vcc
	s_cbranch_execz .LBB101_124
; %bb.123:
	v_div_scale_f32 v181, s[10:11], v180, v180, 1.0
	v_rcp_f32_e32 v182, v181
	v_div_scale_f32 v183, vcc, 1.0, v180, 1.0
	v_fma_f32 v184, -v181, v182, 1.0
	v_fmac_f32_e32 v182, v184, v182
	v_mul_f32_e32 v184, v183, v182
	v_fma_f32 v185, -v181, v184, v183
	v_fmac_f32_e32 v184, v185, v182
	v_fma_f32 v181, -v181, v184, v183
	v_div_fmas_f32 v181, v181, v182, v184
	v_div_fixup_f32 v180, v181, v180, 1.0
	ds_write_b32 v156, v180
.LBB101_124:
	s_or_b64 exec, exec, s[4:5]
.LBB101_125:
	s_or_b64 exec, exec, s[2:3]
	s_waitcnt lgkmcnt(0)
	s_barrier
	ds_read_b32 v180, v156
	v_cmp_lt_u32_e32 vcc, 22, v25
	s_and_saveexec_b64 s[2:3], vcc
	s_cbranch_execz .LBB101_127
; %bb.126:
	ds_read2_b32 v[182:183], v157 offset0:23 offset1:24
	ds_read2_b32 v[184:185], v157 offset0:25 offset1:26
	;; [unrolled: 1-line block ×4, first 2 shown]
	s_waitcnt vmcnt(28) lgkmcnt(4)
	v_mul_f32_e32 v188, v180, v71
	s_waitcnt vmcnt(26) lgkmcnt(3)
	v_pk_fma_f32 v[72:73], v[188:189], v[182:183], v[72:73] op_sel_hi:[0,1,1] neg_lo:[1,0,0] neg_hi:[1,0,0]
	s_waitcnt vmcnt(24) lgkmcnt(2)
	v_pk_fma_f32 v[94:95], v[188:189], v[184:185], v[94:95] op_sel_hi:[0,1,1] neg_lo:[1,0,0] neg_hi:[1,0,0]
	;; [unrolled: 2-line block ×3, first 2 shown]
	ds_read2_b32 v[182:183], v157 offset0:31 offset1:32
	ds_read2_b32 v[184:185], v157 offset0:33 offset1:34
	;; [unrolled: 1-line block ×3, first 2 shown]
	s_waitcnt vmcnt(20) lgkmcnt(3)
	v_pk_fma_f32 v[98:99], v[188:189], v[190:191], v[98:99] op_sel_hi:[0,1,1] neg_lo:[1,0,0] neg_hi:[1,0,0]
	ds_read2_b32 v[190:191], v157 offset0:37 offset1:38
	s_waitcnt vmcnt(18) lgkmcnt(3)
	v_pk_fma_f32 v[92:93], v[188:189], v[182:183], v[92:93] op_sel_hi:[0,1,1] neg_lo:[1,0,0] neg_hi:[1,0,0]
	ds_read2_b32 v[182:183], v157 offset0:39 offset1:40
	s_waitcnt vmcnt(16) lgkmcnt(3)
	v_pk_fma_f32 v[118:119], v[188:189], v[184:185], v[118:119] op_sel_hi:[0,1,1] neg_lo:[1,0,0] neg_hi:[1,0,0]
	s_waitcnt vmcnt(14) lgkmcnt(2)
	v_pk_fma_f32 v[122:123], v[188:189], v[186:187], v[122:123] op_sel_hi:[0,1,1] neg_lo:[1,0,0] neg_hi:[1,0,0]
	;; [unrolled: 2-line block ×3, first 2 shown]
	ds_read2_b32 v[184:185], v157 offset0:41 offset1:42
	ds_read2_b32 v[186:187], v157 offset0:43 offset1:44
	;; [unrolled: 1-line block ×3, first 2 shown]
	s_waitcnt vmcnt(10) lgkmcnt(3)
	v_pk_fma_f32 v[120:121], v[188:189], v[182:183], v[120:121] op_sel_hi:[0,1,1] neg_lo:[1,0,0] neg_hi:[1,0,0]
	ds_read2_b32 v[182:183], v157 offset0:47 offset1:48
	ds_read2_b32 v[192:193], v157 offset0:49 offset1:50
	s_waitcnt vmcnt(8) lgkmcnt(4)
	v_pk_fma_f32 v[146:147], v[188:189], v[184:185], v[146:147] op_sel_hi:[0,1,1] neg_lo:[1,0,0] neg_hi:[1,0,0]
	s_waitcnt vmcnt(6) lgkmcnt(3)
	v_pk_fma_f32 v[140:141], v[188:189], v[186:187], v[140:141] op_sel_hi:[0,1,1] neg_lo:[1,0,0] neg_hi:[1,0,0]
	s_waitcnt vmcnt(4) lgkmcnt(2)
	v_pk_fma_f32 v[142:143], v[188:189], v[190:191], v[142:143] op_sel_hi:[0,1,1] neg_lo:[1,0,0] neg_hi:[1,0,0]
	s_waitcnt vmcnt(2) lgkmcnt(1)
	v_pk_fma_f32 v[144:145], v[188:189], v[182:183], v[144:145] op_sel_hi:[0,1,1] neg_lo:[1,0,0] neg_hi:[1,0,0]
	s_waitcnt vmcnt(0) lgkmcnt(0)
	v_pk_fma_f32 v[154:155], v[188:189], v[192:193], v[154:155] op_sel_hi:[0,1,1] neg_lo:[1,0,0] neg_hi:[1,0,0]
	v_mov_b32_e32 v71, v188
.LBB101_127:
	s_or_b64 exec, exec, s[2:3]
	v_cmp_eq_u32_e32 vcc, 23, v25
	s_waitcnt lgkmcnt(0)
	s_barrier
	s_and_saveexec_b64 s[2:3], vcc
	s_cbranch_execz .LBB101_130
; %bb.128:
	s_waitcnt vmcnt(24)
	v_pk_mov_b32 v[182:183], v[72:73], v[94:95] op_sel:[1,0]
	ds_write_b32 v156, v72
	ds_write2_b32 v157, v182, v183 offset0:24 offset1:25
	s_waitcnt vmcnt(22)
	v_pk_mov_b32 v[182:183], v[94:95], v[96:97] op_sel:[1,0]
	ds_write2_b32 v157, v182, v183 offset0:26 offset1:27
	s_waitcnt vmcnt(20)
	v_pk_mov_b32 v[182:183], v[96:97], v[98:99] op_sel:[1,0]
	;; [unrolled: 3-line block ×12, first 2 shown]
	ds_write2_b32 v157, v182, v183 offset0:48 offset1:49
	ds_write_b32 v157, v155 offset:200
	ds_read_b32 v181, v156
	s_waitcnt lgkmcnt(0)
	v_cmp_neq_f32_e32 vcc, 0, v181
	s_and_b64 exec, exec, vcc
	s_cbranch_execz .LBB101_130
; %bb.129:
	v_div_scale_f32 v182, s[4:5], v181, v181, 1.0
	v_rcp_f32_e32 v183, v182
	v_div_scale_f32 v184, vcc, 1.0, v181, 1.0
	v_fma_f32 v185, -v182, v183, 1.0
	v_fmac_f32_e32 v183, v185, v183
	v_mul_f32_e32 v185, v184, v183
	v_fma_f32 v186, -v182, v185, v184
	v_fmac_f32_e32 v185, v186, v183
	v_fma_f32 v182, -v182, v185, v184
	v_div_fmas_f32 v182, v182, v183, v185
	v_div_fixup_f32 v181, v182, v181, 1.0
	ds_write_b32 v156, v181
.LBB101_130:
	s_or_b64 exec, exec, s[2:3]
	s_waitcnt lgkmcnt(0)
	s_barrier
	ds_read_b32 v181, v156
	v_cmp_lt_u32_e32 vcc, 23, v25
	s_and_saveexec_b64 s[2:3], vcc
	s_cbranch_execz .LBB101_132
; %bb.131:
	ds_read_b32 v188, v157 offset:96
	ds_read2_b32 v[182:183], v157 offset0:25 offset1:26
	ds_read2_b32 v[184:185], v157 offset0:27 offset1:28
	s_waitcnt vmcnt(27) lgkmcnt(3)
	v_mul_f32_e32 v72, v181, v72
	ds_read2_b32 v[186:187], v157 offset0:29 offset1:30
	s_waitcnt vmcnt(26) lgkmcnt(3)
	v_fma_f32 v73, -v72, v188, v73
	s_waitcnt vmcnt(24) lgkmcnt(2)
	v_pk_fma_f32 v[94:95], v[72:73], v[182:183], v[94:95] op_sel_hi:[0,1,1] neg_lo:[1,0,0] neg_hi:[1,0,0]
	s_waitcnt vmcnt(22) lgkmcnt(1)
	v_pk_fma_f32 v[96:97], v[72:73], v[184:185], v[96:97] op_sel_hi:[0,1,1] neg_lo:[1,0,0] neg_hi:[1,0,0]
	ds_read2_b32 v[182:183], v157 offset0:31 offset1:32
	ds_read2_b32 v[184:185], v157 offset0:33 offset1:34
	;; [unrolled: 1-line block ×3, first 2 shown]
	s_waitcnt vmcnt(20) lgkmcnt(3)
	v_pk_fma_f32 v[98:99], v[72:73], v[186:187], v[98:99] op_sel_hi:[0,1,1] neg_lo:[1,0,0] neg_hi:[1,0,0]
	ds_read2_b32 v[186:187], v157 offset0:37 offset1:38
	s_waitcnt vmcnt(18) lgkmcnt(3)
	v_pk_fma_f32 v[92:93], v[72:73], v[182:183], v[92:93] op_sel_hi:[0,1,1] neg_lo:[1,0,0] neg_hi:[1,0,0]
	ds_read2_b32 v[182:183], v157 offset0:39 offset1:40
	s_waitcnt vmcnt(16) lgkmcnt(3)
	v_pk_fma_f32 v[118:119], v[72:73], v[184:185], v[118:119] op_sel_hi:[0,1,1] neg_lo:[1,0,0] neg_hi:[1,0,0]
	s_waitcnt vmcnt(14) lgkmcnt(2)
	v_pk_fma_f32 v[122:123], v[72:73], v[188:189], v[122:123] op_sel_hi:[0,1,1] neg_lo:[1,0,0] neg_hi:[1,0,0]
	;; [unrolled: 2-line block ×3, first 2 shown]
	ds_read2_b32 v[184:185], v157 offset0:41 offset1:42
	ds_read2_b32 v[186:187], v157 offset0:43 offset1:44
	;; [unrolled: 1-line block ×3, first 2 shown]
	s_waitcnt vmcnt(10) lgkmcnt(3)
	v_pk_fma_f32 v[120:121], v[72:73], v[182:183], v[120:121] op_sel_hi:[0,1,1] neg_lo:[1,0,0] neg_hi:[1,0,0]
	ds_read2_b32 v[182:183], v157 offset0:47 offset1:48
	ds_read2_b32 v[190:191], v157 offset0:49 offset1:50
	s_waitcnt vmcnt(8) lgkmcnt(4)
	v_pk_fma_f32 v[146:147], v[72:73], v[184:185], v[146:147] op_sel_hi:[0,1,1] neg_lo:[1,0,0] neg_hi:[1,0,0]
	s_waitcnt vmcnt(6) lgkmcnt(3)
	v_pk_fma_f32 v[140:141], v[72:73], v[186:187], v[140:141] op_sel_hi:[0,1,1] neg_lo:[1,0,0] neg_hi:[1,0,0]
	;; [unrolled: 2-line block ×5, first 2 shown]
.LBB101_132:
	s_or_b64 exec, exec, s[2:3]
	v_cmp_ne_u32_e32 vcc, 24, v25
	s_waitcnt lgkmcnt(0)
	s_barrier
	s_and_saveexec_b64 s[2:3], vcc
	s_xor_b64 s[2:3], exec, s[2:3]
	s_andn2_saveexec_b64 s[2:3], s[2:3]
	s_cbranch_execz .LBB101_136
; %bb.133:
	s_waitcnt vmcnt(26)
	ds_write_b32 v156, v73
	s_waitcnt vmcnt(24)
	ds_write2_b32 v157, v94, v95 offset0:25 offset1:26
	s_waitcnt vmcnt(22)
	ds_write2_b32 v157, v96, v97 offset0:27 offset1:28
	;; [unrolled: 2-line block ×13, first 2 shown]
	ds_read_b32 v182, v156
	s_waitcnt lgkmcnt(0)
	v_cmp_neq_f32_e32 vcc, 0, v182
	s_and_saveexec_b64 s[4:5], vcc
	s_cbranch_execz .LBB101_135
; %bb.134:
	v_div_scale_f32 v183, s[10:11], v182, v182, 1.0
	v_rcp_f32_e32 v184, v183
	v_div_scale_f32 v185, vcc, 1.0, v182, 1.0
	v_fma_f32 v186, -v183, v184, 1.0
	v_fmac_f32_e32 v184, v186, v184
	v_mul_f32_e32 v186, v185, v184
	v_fma_f32 v187, -v183, v186, v185
	v_fmac_f32_e32 v186, v187, v184
	v_fma_f32 v183, -v183, v186, v185
	v_div_fmas_f32 v183, v183, v184, v186
	v_div_fixup_f32 v182, v183, v182, 1.0
	ds_write_b32 v156, v182
.LBB101_135:
	s_or_b64 exec, exec, s[4:5]
.LBB101_136:
	s_or_b64 exec, exec, s[2:3]
	s_waitcnt lgkmcnt(0)
	s_barrier
	ds_read_b32 v182, v156
	v_cmp_lt_u32_e32 vcc, 24, v25
	s_and_saveexec_b64 s[2:3], vcc
	s_cbranch_execz .LBB101_138
; %bb.137:
	ds_read2_b32 v[184:185], v157 offset0:25 offset1:26
	ds_read2_b32 v[186:187], v157 offset0:27 offset1:28
	;; [unrolled: 1-line block ×3, first 2 shown]
	s_waitcnt vmcnt(26) lgkmcnt(3)
	v_mul_f32_e32 v190, v182, v73
	ds_read2_b32 v[192:193], v157 offset0:31 offset1:32
	s_waitcnt vmcnt(24) lgkmcnt(3)
	v_pk_fma_f32 v[94:95], v[190:191], v[184:185], v[94:95] op_sel_hi:[0,1,1] neg_lo:[1,0,0] neg_hi:[1,0,0]
	s_waitcnt vmcnt(22) lgkmcnt(2)
	v_pk_fma_f32 v[96:97], v[190:191], v[186:187], v[96:97] op_sel_hi:[0,1,1] neg_lo:[1,0,0] neg_hi:[1,0,0]
	;; [unrolled: 2-line block ×3, first 2 shown]
	ds_read2_b32 v[184:185], v157 offset0:33 offset1:34
	ds_read2_b32 v[186:187], v157 offset0:35 offset1:36
	;; [unrolled: 1-line block ×4, first 2 shown]
	s_waitcnt vmcnt(18) lgkmcnt(4)
	v_pk_fma_f32 v[92:93], v[190:191], v[192:193], v[92:93] op_sel_hi:[0,1,1] neg_lo:[1,0,0] neg_hi:[1,0,0]
	s_waitcnt vmcnt(16) lgkmcnt(3)
	v_pk_fma_f32 v[118:119], v[190:191], v[184:185], v[118:119] op_sel_hi:[0,1,1] neg_lo:[1,0,0] neg_hi:[1,0,0]
	s_waitcnt vmcnt(14) lgkmcnt(2)
	v_pk_fma_f32 v[122:123], v[190:191], v[186:187], v[122:123] op_sel_hi:[0,1,1] neg_lo:[1,0,0] neg_hi:[1,0,0]
	s_waitcnt vmcnt(12) lgkmcnt(1)
	v_pk_fma_f32 v[116:117], v[190:191], v[188:189], v[116:117] op_sel_hi:[0,1,1] neg_lo:[1,0,0] neg_hi:[1,0,0]
	s_waitcnt vmcnt(10) lgkmcnt(0)
	v_pk_fma_f32 v[120:121], v[190:191], v[194:195], v[120:121] op_sel_hi:[0,1,1] neg_lo:[1,0,0] neg_hi:[1,0,0]
	ds_read2_b32 v[184:185], v157 offset0:41 offset1:42
	ds_read2_b32 v[186:187], v157 offset0:43 offset1:44
	;; [unrolled: 1-line block ×5, first 2 shown]
	s_waitcnt vmcnt(8) lgkmcnt(4)
	v_pk_fma_f32 v[146:147], v[190:191], v[184:185], v[146:147] op_sel_hi:[0,1,1] neg_lo:[1,0,0] neg_hi:[1,0,0]
	s_waitcnt vmcnt(6) lgkmcnt(3)
	v_pk_fma_f32 v[140:141], v[190:191], v[186:187], v[140:141] op_sel_hi:[0,1,1] neg_lo:[1,0,0] neg_hi:[1,0,0]
	;; [unrolled: 2-line block ×5, first 2 shown]
	v_mov_b32_e32 v73, v190
.LBB101_138:
	s_or_b64 exec, exec, s[2:3]
	v_cmp_eq_u32_e32 vcc, 25, v25
	s_waitcnt lgkmcnt(0)
	s_barrier
	s_and_saveexec_b64 s[2:3], vcc
	s_cbranch_execz .LBB101_141
; %bb.139:
	s_waitcnt vmcnt(22)
	v_pk_mov_b32 v[184:185], v[94:95], v[96:97] op_sel:[1,0]
	ds_write_b32 v156, v94
	ds_write2_b32 v157, v184, v185 offset0:26 offset1:27
	s_waitcnt vmcnt(20)
	v_pk_mov_b32 v[184:185], v[96:97], v[98:99] op_sel:[1,0]
	ds_write2_b32 v157, v184, v185 offset0:28 offset1:29
	s_waitcnt vmcnt(18)
	v_pk_mov_b32 v[184:185], v[98:99], v[92:93] op_sel:[1,0]
	;; [unrolled: 3-line block ×11, first 2 shown]
	ds_write2_b32 v157, v184, v185 offset0:48 offset1:49
	ds_write_b32 v157, v155 offset:200
	ds_read_b32 v183, v156
	s_waitcnt lgkmcnt(0)
	v_cmp_neq_f32_e32 vcc, 0, v183
	s_and_b64 exec, exec, vcc
	s_cbranch_execz .LBB101_141
; %bb.140:
	v_div_scale_f32 v184, s[4:5], v183, v183, 1.0
	v_rcp_f32_e32 v185, v184
	v_div_scale_f32 v186, vcc, 1.0, v183, 1.0
	v_fma_f32 v187, -v184, v185, 1.0
	v_fmac_f32_e32 v185, v187, v185
	v_mul_f32_e32 v187, v186, v185
	v_fma_f32 v188, -v184, v187, v186
	v_fmac_f32_e32 v187, v188, v185
	v_fma_f32 v184, -v184, v187, v186
	v_div_fmas_f32 v184, v184, v185, v187
	v_div_fixup_f32 v183, v184, v183, 1.0
	ds_write_b32 v156, v183
.LBB101_141:
	s_or_b64 exec, exec, s[2:3]
	s_waitcnt lgkmcnt(0)
	s_barrier
	ds_read_b32 v183, v156
	v_cmp_lt_u32_e32 vcc, 25, v25
	s_and_saveexec_b64 s[2:3], vcc
	s_cbranch_execz .LBB101_143
; %bb.142:
	ds_read_b32 v190, v157 offset:104
	ds_read2_b32 v[184:185], v157 offset0:27 offset1:28
	ds_read2_b32 v[186:187], v157 offset0:29 offset1:30
	s_waitcnt vmcnt(25) lgkmcnt(3)
	v_mul_f32_e32 v94, v183, v94
	ds_read2_b32 v[188:189], v157 offset0:31 offset1:32
	s_waitcnt vmcnt(24) lgkmcnt(3)
	v_fma_f32 v95, -v94, v190, v95
	s_waitcnt vmcnt(22) lgkmcnt(2)
	v_pk_fma_f32 v[96:97], v[94:95], v[184:185], v[96:97] op_sel_hi:[0,1,1] neg_lo:[1,0,0] neg_hi:[1,0,0]
	s_waitcnt vmcnt(20) lgkmcnt(1)
	v_pk_fma_f32 v[98:99], v[94:95], v[186:187], v[98:99] op_sel_hi:[0,1,1] neg_lo:[1,0,0] neg_hi:[1,0,0]
	ds_read2_b32 v[184:185], v157 offset0:33 offset1:34
	ds_read2_b32 v[186:187], v157 offset0:35 offset1:36
	;; [unrolled: 1-line block ×4, first 2 shown]
	s_waitcnt vmcnt(18) lgkmcnt(4)
	v_pk_fma_f32 v[92:93], v[94:95], v[188:189], v[92:93] op_sel_hi:[0,1,1] neg_lo:[1,0,0] neg_hi:[1,0,0]
	s_waitcnt vmcnt(16) lgkmcnt(3)
	v_pk_fma_f32 v[118:119], v[94:95], v[184:185], v[118:119] op_sel_hi:[0,1,1] neg_lo:[1,0,0] neg_hi:[1,0,0]
	;; [unrolled: 2-line block ×5, first 2 shown]
	ds_read2_b32 v[184:185], v157 offset0:41 offset1:42
	ds_read2_b32 v[186:187], v157 offset0:43 offset1:44
	;; [unrolled: 1-line block ×5, first 2 shown]
	s_waitcnt vmcnt(8) lgkmcnt(4)
	v_pk_fma_f32 v[146:147], v[94:95], v[184:185], v[146:147] op_sel_hi:[0,1,1] neg_lo:[1,0,0] neg_hi:[1,0,0]
	s_waitcnt vmcnt(6) lgkmcnt(3)
	v_pk_fma_f32 v[140:141], v[94:95], v[186:187], v[140:141] op_sel_hi:[0,1,1] neg_lo:[1,0,0] neg_hi:[1,0,0]
	;; [unrolled: 2-line block ×5, first 2 shown]
.LBB101_143:
	s_or_b64 exec, exec, s[2:3]
	v_cmp_ne_u32_e32 vcc, 26, v25
	s_waitcnt lgkmcnt(0)
	s_barrier
	s_and_saveexec_b64 s[2:3], vcc
	s_xor_b64 s[2:3], exec, s[2:3]
	s_andn2_saveexec_b64 s[2:3], s[2:3]
	s_cbranch_execz .LBB101_147
; %bb.144:
	s_waitcnt vmcnt(24)
	ds_write_b32 v156, v95
	s_waitcnt vmcnt(22)
	ds_write2_b32 v157, v96, v97 offset0:27 offset1:28
	s_waitcnt vmcnt(20)
	ds_write2_b32 v157, v98, v99 offset0:29 offset1:30
	;; [unrolled: 2-line block ×12, first 2 shown]
	ds_read_b32 v184, v156
	s_waitcnt lgkmcnt(0)
	v_cmp_neq_f32_e32 vcc, 0, v184
	s_and_saveexec_b64 s[4:5], vcc
	s_cbranch_execz .LBB101_146
; %bb.145:
	v_div_scale_f32 v185, s[10:11], v184, v184, 1.0
	v_rcp_f32_e32 v186, v185
	v_div_scale_f32 v187, vcc, 1.0, v184, 1.0
	v_fma_f32 v188, -v185, v186, 1.0
	v_fmac_f32_e32 v186, v188, v186
	v_mul_f32_e32 v188, v187, v186
	v_fma_f32 v189, -v185, v188, v187
	v_fmac_f32_e32 v188, v189, v186
	v_fma_f32 v185, -v185, v188, v187
	v_div_fmas_f32 v185, v185, v186, v188
	v_div_fixup_f32 v184, v185, v184, 1.0
	ds_write_b32 v156, v184
.LBB101_146:
	s_or_b64 exec, exec, s[4:5]
.LBB101_147:
	s_or_b64 exec, exec, s[2:3]
	s_waitcnt lgkmcnt(0)
	s_barrier
	ds_read_b32 v184, v156
	v_cmp_lt_u32_e32 vcc, 26, v25
	s_and_saveexec_b64 s[2:3], vcc
	s_cbranch_execz .LBB101_149
; %bb.148:
	ds_read2_b32 v[186:187], v157 offset0:27 offset1:28
	ds_read2_b32 v[188:189], v157 offset0:29 offset1:30
	ds_read2_b32 v[190:191], v157 offset0:31 offset1:32
	s_waitcnt vmcnt(24) lgkmcnt(3)
	v_mul_f32_e32 v192, v184, v95
	ds_read2_b32 v[194:195], v157 offset0:33 offset1:34
	s_waitcnt vmcnt(22) lgkmcnt(3)
	v_pk_fma_f32 v[96:97], v[192:193], v[186:187], v[96:97] op_sel_hi:[0,1,1] neg_lo:[1,0,0] neg_hi:[1,0,0]
	s_waitcnt vmcnt(20) lgkmcnt(2)
	v_pk_fma_f32 v[98:99], v[192:193], v[188:189], v[98:99] op_sel_hi:[0,1,1] neg_lo:[1,0,0] neg_hi:[1,0,0]
	;; [unrolled: 2-line block ×3, first 2 shown]
	ds_read2_b32 v[186:187], v157 offset0:35 offset1:36
	ds_read2_b32 v[188:189], v157 offset0:37 offset1:38
	ds_read2_b32 v[190:191], v157 offset0:39 offset1:40
	s_waitcnt vmcnt(16) lgkmcnt(3)
	v_pk_fma_f32 v[118:119], v[192:193], v[194:195], v[118:119] op_sel_hi:[0,1,1] neg_lo:[1,0,0] neg_hi:[1,0,0]
	ds_read2_b32 v[194:195], v157 offset0:41 offset1:42
	s_waitcnt vmcnt(14) lgkmcnt(3)
	v_pk_fma_f32 v[122:123], v[192:193], v[186:187], v[122:123] op_sel_hi:[0,1,1] neg_lo:[1,0,0] neg_hi:[1,0,0]
	s_waitcnt vmcnt(12) lgkmcnt(2)
	v_pk_fma_f32 v[116:117], v[192:193], v[188:189], v[116:117] op_sel_hi:[0,1,1] neg_lo:[1,0,0] neg_hi:[1,0,0]
	;; [unrolled: 2-line block ×3, first 2 shown]
	ds_read2_b32 v[186:187], v157 offset0:43 offset1:44
	ds_read2_b32 v[188:189], v157 offset0:45 offset1:46
	;; [unrolled: 1-line block ×4, first 2 shown]
	s_waitcnt vmcnt(8) lgkmcnt(4)
	v_pk_fma_f32 v[146:147], v[192:193], v[194:195], v[146:147] op_sel_hi:[0,1,1] neg_lo:[1,0,0] neg_hi:[1,0,0]
	s_waitcnt vmcnt(6) lgkmcnt(3)
	v_pk_fma_f32 v[140:141], v[192:193], v[186:187], v[140:141] op_sel_hi:[0,1,1] neg_lo:[1,0,0] neg_hi:[1,0,0]
	;; [unrolled: 2-line block ×5, first 2 shown]
	v_mov_b32_e32 v95, v192
.LBB101_149:
	s_or_b64 exec, exec, s[2:3]
	v_cmp_eq_u32_e32 vcc, 27, v25
	s_waitcnt lgkmcnt(0)
	s_barrier
	s_and_saveexec_b64 s[2:3], vcc
	s_cbranch_execz .LBB101_152
; %bb.150:
	s_waitcnt vmcnt(20)
	v_pk_mov_b32 v[186:187], v[96:97], v[98:99] op_sel:[1,0]
	ds_write_b32 v156, v96
	ds_write2_b32 v157, v186, v187 offset0:28 offset1:29
	s_waitcnt vmcnt(18)
	v_pk_mov_b32 v[186:187], v[98:99], v[92:93] op_sel:[1,0]
	ds_write2_b32 v157, v186, v187 offset0:30 offset1:31
	s_waitcnt vmcnt(16)
	v_pk_mov_b32 v[186:187], v[92:93], v[118:119] op_sel:[1,0]
	;; [unrolled: 3-line block ×10, first 2 shown]
	ds_write2_b32 v157, v186, v187 offset0:48 offset1:49
	ds_write_b32 v157, v155 offset:200
	ds_read_b32 v185, v156
	s_waitcnt lgkmcnt(0)
	v_cmp_neq_f32_e32 vcc, 0, v185
	s_and_b64 exec, exec, vcc
	s_cbranch_execz .LBB101_152
; %bb.151:
	v_div_scale_f32 v186, s[4:5], v185, v185, 1.0
	v_rcp_f32_e32 v187, v186
	v_div_scale_f32 v188, vcc, 1.0, v185, 1.0
	v_fma_f32 v189, -v186, v187, 1.0
	v_fmac_f32_e32 v187, v189, v187
	v_mul_f32_e32 v189, v188, v187
	v_fma_f32 v190, -v186, v189, v188
	v_fmac_f32_e32 v189, v190, v187
	v_fma_f32 v186, -v186, v189, v188
	v_div_fmas_f32 v186, v186, v187, v189
	v_div_fixup_f32 v185, v186, v185, 1.0
	ds_write_b32 v156, v185
.LBB101_152:
	s_or_b64 exec, exec, s[2:3]
	s_waitcnt lgkmcnt(0)
	s_barrier
	ds_read_b32 v185, v156
	v_cmp_lt_u32_e32 vcc, 27, v25
	s_and_saveexec_b64 s[2:3], vcc
	s_cbranch_execz .LBB101_154
; %bb.153:
	ds_read_b32 v192, v157 offset:112
	ds_read2_b32 v[186:187], v157 offset0:29 offset1:30
	ds_read2_b32 v[188:189], v157 offset0:31 offset1:32
	s_waitcnt vmcnt(23) lgkmcnt(3)
	v_mul_f32_e32 v96, v185, v96
	ds_read2_b32 v[190:191], v157 offset0:33 offset1:34
	s_waitcnt vmcnt(22) lgkmcnt(3)
	v_fma_f32 v97, -v96, v192, v97
	s_waitcnt vmcnt(20) lgkmcnt(2)
	v_pk_fma_f32 v[98:99], v[96:97], v[186:187], v[98:99] op_sel_hi:[0,1,1] neg_lo:[1,0,0] neg_hi:[1,0,0]
	s_waitcnt vmcnt(18) lgkmcnt(1)
	v_pk_fma_f32 v[92:93], v[96:97], v[188:189], v[92:93] op_sel_hi:[0,1,1] neg_lo:[1,0,0] neg_hi:[1,0,0]
	ds_read2_b32 v[186:187], v157 offset0:35 offset1:36
	ds_read2_b32 v[188:189], v157 offset0:37 offset1:38
	;; [unrolled: 1-line block ×3, first 2 shown]
	s_waitcnt vmcnt(16) lgkmcnt(3)
	v_pk_fma_f32 v[118:119], v[96:97], v[190:191], v[118:119] op_sel_hi:[0,1,1] neg_lo:[1,0,0] neg_hi:[1,0,0]
	ds_read2_b32 v[190:191], v157 offset0:41 offset1:42
	s_waitcnt vmcnt(14) lgkmcnt(3)
	v_pk_fma_f32 v[122:123], v[96:97], v[186:187], v[122:123] op_sel_hi:[0,1,1] neg_lo:[1,0,0] neg_hi:[1,0,0]
	s_waitcnt vmcnt(12) lgkmcnt(2)
	v_pk_fma_f32 v[116:117], v[96:97], v[188:189], v[116:117] op_sel_hi:[0,1,1] neg_lo:[1,0,0] neg_hi:[1,0,0]
	s_waitcnt vmcnt(10) lgkmcnt(1)
	v_pk_fma_f32 v[120:121], v[96:97], v[192:193], v[120:121] op_sel_hi:[0,1,1] neg_lo:[1,0,0] neg_hi:[1,0,0]
	ds_read2_b32 v[186:187], v157 offset0:43 offset1:44
	ds_read2_b32 v[188:189], v157 offset0:45 offset1:46
	ds_read2_b32 v[192:193], v157 offset0:47 offset1:48
	ds_read2_b32 v[194:195], v157 offset0:49 offset1:50
	s_waitcnt vmcnt(8) lgkmcnt(4)
	v_pk_fma_f32 v[146:147], v[96:97], v[190:191], v[146:147] op_sel_hi:[0,1,1] neg_lo:[1,0,0] neg_hi:[1,0,0]
	s_waitcnt vmcnt(6) lgkmcnt(3)
	v_pk_fma_f32 v[140:141], v[96:97], v[186:187], v[140:141] op_sel_hi:[0,1,1] neg_lo:[1,0,0] neg_hi:[1,0,0]
	;; [unrolled: 2-line block ×5, first 2 shown]
.LBB101_154:
	s_or_b64 exec, exec, s[2:3]
	v_cmp_ne_u32_e32 vcc, 28, v25
	s_waitcnt lgkmcnt(0)
	s_barrier
	s_and_saveexec_b64 s[2:3], vcc
	s_xor_b64 s[2:3], exec, s[2:3]
	s_andn2_saveexec_b64 s[2:3], s[2:3]
	s_cbranch_execz .LBB101_158
; %bb.155:
	s_waitcnt vmcnt(22)
	ds_write_b32 v156, v97
	s_waitcnt vmcnt(20)
	ds_write2_b32 v157, v98, v99 offset0:29 offset1:30
	s_waitcnt vmcnt(18)
	ds_write2_b32 v157, v92, v93 offset0:31 offset1:32
	;; [unrolled: 2-line block ×11, first 2 shown]
	ds_read_b32 v186, v156
	s_waitcnt lgkmcnt(0)
	v_cmp_neq_f32_e32 vcc, 0, v186
	s_and_saveexec_b64 s[4:5], vcc
	s_cbranch_execz .LBB101_157
; %bb.156:
	v_div_scale_f32 v187, s[10:11], v186, v186, 1.0
	v_rcp_f32_e32 v188, v187
	v_div_scale_f32 v189, vcc, 1.0, v186, 1.0
	v_fma_f32 v190, -v187, v188, 1.0
	v_fmac_f32_e32 v188, v190, v188
	v_mul_f32_e32 v190, v189, v188
	v_fma_f32 v191, -v187, v190, v189
	v_fmac_f32_e32 v190, v191, v188
	v_fma_f32 v187, -v187, v190, v189
	v_div_fmas_f32 v187, v187, v188, v190
	v_div_fixup_f32 v186, v187, v186, 1.0
	ds_write_b32 v156, v186
.LBB101_157:
	s_or_b64 exec, exec, s[4:5]
.LBB101_158:
	s_or_b64 exec, exec, s[2:3]
	s_waitcnt lgkmcnt(0)
	s_barrier
	ds_read_b32 v186, v156
	v_cmp_lt_u32_e32 vcc, 28, v25
	s_and_saveexec_b64 s[2:3], vcc
	s_cbranch_execz .LBB101_160
; %bb.159:
	ds_read2_b32 v[188:189], v157 offset0:29 offset1:30
	ds_read2_b32 v[190:191], v157 offset0:31 offset1:32
	;; [unrolled: 1-line block ×3, first 2 shown]
	s_waitcnt vmcnt(22) lgkmcnt(3)
	v_mul_f32_e32 v194, v186, v97
	ds_read2_b32 v[196:197], v157 offset0:35 offset1:36
	s_waitcnt vmcnt(20) lgkmcnt(3)
	v_pk_fma_f32 v[98:99], v[194:195], v[188:189], v[98:99] op_sel_hi:[0,1,1] neg_lo:[1,0,0] neg_hi:[1,0,0]
	s_waitcnt vmcnt(18) lgkmcnt(2)
	v_pk_fma_f32 v[92:93], v[194:195], v[190:191], v[92:93] op_sel_hi:[0,1,1] neg_lo:[1,0,0] neg_hi:[1,0,0]
	ds_read2_b32 v[188:189], v157 offset0:37 offset1:38
	ds_read2_b32 v[190:191], v157 offset0:39 offset1:40
	s_waitcnt vmcnt(16) lgkmcnt(3)
	v_pk_fma_f32 v[118:119], v[194:195], v[192:193], v[118:119] op_sel_hi:[0,1,1] neg_lo:[1,0,0] neg_hi:[1,0,0]
	s_waitcnt vmcnt(14) lgkmcnt(2)
	v_pk_fma_f32 v[122:123], v[194:195], v[196:197], v[122:123] op_sel_hi:[0,1,1] neg_lo:[1,0,0] neg_hi:[1,0,0]
	ds_read2_b32 v[192:193], v157 offset0:41 offset1:42
	;; [unrolled: 6-line block ×3, first 2 shown]
	ds_read2_b32 v[190:191], v157 offset0:47 offset1:48
	ds_read2_b32 v[198:199], v157 offset0:49 offset1:50
	s_waitcnt vmcnt(8) lgkmcnt(4)
	v_pk_fma_f32 v[146:147], v[194:195], v[192:193], v[146:147] op_sel_hi:[0,1,1] neg_lo:[1,0,0] neg_hi:[1,0,0]
	s_waitcnt vmcnt(6) lgkmcnt(3)
	v_pk_fma_f32 v[140:141], v[194:195], v[196:197], v[140:141] op_sel_hi:[0,1,1] neg_lo:[1,0,0] neg_hi:[1,0,0]
	;; [unrolled: 2-line block ×5, first 2 shown]
	v_mov_b32_e32 v97, v194
.LBB101_160:
	s_or_b64 exec, exec, s[2:3]
	v_cmp_eq_u32_e32 vcc, 29, v25
	s_waitcnt lgkmcnt(0)
	s_barrier
	s_and_saveexec_b64 s[2:3], vcc
	s_cbranch_execz .LBB101_163
; %bb.161:
	s_waitcnt vmcnt(18)
	v_pk_mov_b32 v[188:189], v[98:99], v[92:93] op_sel:[1,0]
	ds_write_b32 v156, v98
	ds_write2_b32 v157, v188, v189 offset0:30 offset1:31
	s_waitcnt vmcnt(16)
	v_pk_mov_b32 v[188:189], v[92:93], v[118:119] op_sel:[1,0]
	ds_write2_b32 v157, v188, v189 offset0:32 offset1:33
	s_waitcnt vmcnt(14)
	v_pk_mov_b32 v[188:189], v[118:119], v[122:123] op_sel:[1,0]
	;; [unrolled: 3-line block ×9, first 2 shown]
	ds_write2_b32 v157, v188, v189 offset0:48 offset1:49
	ds_write_b32 v157, v155 offset:200
	ds_read_b32 v187, v156
	s_waitcnt lgkmcnt(0)
	v_cmp_neq_f32_e32 vcc, 0, v187
	s_and_b64 exec, exec, vcc
	s_cbranch_execz .LBB101_163
; %bb.162:
	v_div_scale_f32 v188, s[4:5], v187, v187, 1.0
	v_rcp_f32_e32 v189, v188
	v_div_scale_f32 v190, vcc, 1.0, v187, 1.0
	v_fma_f32 v191, -v188, v189, 1.0
	v_fmac_f32_e32 v189, v191, v189
	v_mul_f32_e32 v191, v190, v189
	v_fma_f32 v192, -v188, v191, v190
	v_fmac_f32_e32 v191, v192, v189
	v_fma_f32 v188, -v188, v191, v190
	v_div_fmas_f32 v188, v188, v189, v191
	v_div_fixup_f32 v187, v188, v187, 1.0
	ds_write_b32 v156, v187
.LBB101_163:
	s_or_b64 exec, exec, s[2:3]
	s_waitcnt lgkmcnt(0)
	s_barrier
	ds_read_b32 v187, v156
	v_cmp_lt_u32_e32 vcc, 29, v25
	s_and_saveexec_b64 s[2:3], vcc
	s_cbranch_execz .LBB101_165
; %bb.164:
	ds_read_b32 v194, v157 offset:120
	ds_read2_b32 v[188:189], v157 offset0:31 offset1:32
	ds_read2_b32 v[190:191], v157 offset0:33 offset1:34
	s_waitcnt vmcnt(21) lgkmcnt(3)
	v_mul_f32_e32 v98, v187, v98
	ds_read2_b32 v[192:193], v157 offset0:35 offset1:36
	s_waitcnt vmcnt(20) lgkmcnt(3)
	v_fma_f32 v99, -v98, v194, v99
	s_waitcnt vmcnt(18) lgkmcnt(2)
	v_pk_fma_f32 v[92:93], v[98:99], v[188:189], v[92:93] op_sel_hi:[0,1,1] neg_lo:[1,0,0] neg_hi:[1,0,0]
	s_waitcnt vmcnt(16) lgkmcnt(1)
	v_pk_fma_f32 v[118:119], v[98:99], v[190:191], v[118:119] op_sel_hi:[0,1,1] neg_lo:[1,0,0] neg_hi:[1,0,0]
	ds_read2_b32 v[188:189], v157 offset0:37 offset1:38
	ds_read2_b32 v[190:191], v157 offset0:39 offset1:40
	s_waitcnt vmcnt(14) lgkmcnt(2)
	v_pk_fma_f32 v[122:123], v[98:99], v[192:193], v[122:123] op_sel_hi:[0,1,1] neg_lo:[1,0,0] neg_hi:[1,0,0]
	ds_read2_b32 v[192:193], v157 offset0:41 offset1:42
	ds_read2_b32 v[194:195], v157 offset0:43 offset1:44
	s_waitcnt vmcnt(12) lgkmcnt(3)
	v_pk_fma_f32 v[116:117], v[98:99], v[188:189], v[116:117] op_sel_hi:[0,1,1] neg_lo:[1,0,0] neg_hi:[1,0,0]
	s_waitcnt vmcnt(10) lgkmcnt(2)
	v_pk_fma_f32 v[120:121], v[98:99], v[190:191], v[120:121] op_sel_hi:[0,1,1] neg_lo:[1,0,0] neg_hi:[1,0,0]
	ds_read2_b32 v[188:189], v157 offset0:45 offset1:46
	ds_read2_b32 v[190:191], v157 offset0:47 offset1:48
	;; [unrolled: 1-line block ×3, first 2 shown]
	s_waitcnt vmcnt(8) lgkmcnt(4)
	v_pk_fma_f32 v[146:147], v[98:99], v[192:193], v[146:147] op_sel_hi:[0,1,1] neg_lo:[1,0,0] neg_hi:[1,0,0]
	s_waitcnt vmcnt(6) lgkmcnt(3)
	v_pk_fma_f32 v[140:141], v[98:99], v[194:195], v[140:141] op_sel_hi:[0,1,1] neg_lo:[1,0,0] neg_hi:[1,0,0]
	;; [unrolled: 2-line block ×5, first 2 shown]
.LBB101_165:
	s_or_b64 exec, exec, s[2:3]
	v_cmp_ne_u32_e32 vcc, 30, v25
	s_waitcnt lgkmcnt(0)
	s_barrier
	s_and_saveexec_b64 s[2:3], vcc
	s_xor_b64 s[2:3], exec, s[2:3]
	s_andn2_saveexec_b64 s[2:3], s[2:3]
	s_cbranch_execz .LBB101_169
; %bb.166:
	s_waitcnt vmcnt(20)
	ds_write_b32 v156, v99
	s_waitcnt vmcnt(18)
	ds_write2_b32 v157, v92, v93 offset0:31 offset1:32
	s_waitcnt vmcnt(16)
	ds_write2_b32 v157, v118, v119 offset0:33 offset1:34
	;; [unrolled: 2-line block ×10, first 2 shown]
	ds_read_b32 v188, v156
	s_waitcnt lgkmcnt(0)
	v_cmp_neq_f32_e32 vcc, 0, v188
	s_and_saveexec_b64 s[4:5], vcc
	s_cbranch_execz .LBB101_168
; %bb.167:
	v_div_scale_f32 v189, s[10:11], v188, v188, 1.0
	v_rcp_f32_e32 v190, v189
	v_div_scale_f32 v191, vcc, 1.0, v188, 1.0
	v_fma_f32 v192, -v189, v190, 1.0
	v_fmac_f32_e32 v190, v192, v190
	v_mul_f32_e32 v192, v191, v190
	v_fma_f32 v193, -v189, v192, v191
	v_fmac_f32_e32 v192, v193, v190
	v_fma_f32 v189, -v189, v192, v191
	v_div_fmas_f32 v189, v189, v190, v192
	v_div_fixup_f32 v188, v189, v188, 1.0
	ds_write_b32 v156, v188
.LBB101_168:
	s_or_b64 exec, exec, s[4:5]
.LBB101_169:
	s_or_b64 exec, exec, s[2:3]
	s_waitcnt lgkmcnt(0)
	s_barrier
	ds_read_b32 v188, v156
	v_cmp_lt_u32_e32 vcc, 30, v25
	s_and_saveexec_b64 s[2:3], vcc
	s_cbranch_execz .LBB101_171
; %bb.170:
	ds_read2_b32 v[190:191], v157 offset0:31 offset1:32
	ds_read2_b32 v[192:193], v157 offset0:33 offset1:34
	;; [unrolled: 1-line block ×3, first 2 shown]
	s_waitcnt vmcnt(20) lgkmcnt(3)
	v_mul_f32_e32 v196, v188, v99
	ds_read2_b32 v[198:199], v157 offset0:37 offset1:38
	s_waitcnt vmcnt(18) lgkmcnt(3)
	v_pk_fma_f32 v[92:93], v[196:197], v[190:191], v[92:93] op_sel_hi:[0,1,1] neg_lo:[1,0,0] neg_hi:[1,0,0]
	ds_read2_b32 v[190:191], v157 offset0:39 offset1:40
	s_waitcnt vmcnt(16) lgkmcnt(3)
	v_pk_fma_f32 v[118:119], v[196:197], v[192:193], v[118:119] op_sel_hi:[0,1,1] neg_lo:[1,0,0] neg_hi:[1,0,0]
	s_waitcnt vmcnt(14) lgkmcnt(2)
	v_pk_fma_f32 v[122:123], v[196:197], v[194:195], v[122:123] op_sel_hi:[0,1,1] neg_lo:[1,0,0] neg_hi:[1,0,0]
	;; [unrolled: 2-line block ×3, first 2 shown]
	ds_read2_b32 v[192:193], v157 offset0:41 offset1:42
	ds_read2_b32 v[194:195], v157 offset0:43 offset1:44
	;; [unrolled: 1-line block ×3, first 2 shown]
	s_waitcnt vmcnt(10) lgkmcnt(3)
	v_pk_fma_f32 v[120:121], v[196:197], v[190:191], v[120:121] op_sel_hi:[0,1,1] neg_lo:[1,0,0] neg_hi:[1,0,0]
	ds_read2_b32 v[190:191], v157 offset0:47 offset1:48
	ds_read2_b32 v[200:201], v157 offset0:49 offset1:50
	s_waitcnt vmcnt(8) lgkmcnt(4)
	v_pk_fma_f32 v[146:147], v[196:197], v[192:193], v[146:147] op_sel_hi:[0,1,1] neg_lo:[1,0,0] neg_hi:[1,0,0]
	s_waitcnt vmcnt(6) lgkmcnt(3)
	v_pk_fma_f32 v[140:141], v[196:197], v[194:195], v[140:141] op_sel_hi:[0,1,1] neg_lo:[1,0,0] neg_hi:[1,0,0]
	;; [unrolled: 2-line block ×5, first 2 shown]
	v_mov_b32_e32 v99, v196
.LBB101_171:
	s_or_b64 exec, exec, s[2:3]
	v_cmp_eq_u32_e32 vcc, 31, v25
	s_waitcnt lgkmcnt(0)
	s_barrier
	s_and_saveexec_b64 s[2:3], vcc
	s_cbranch_execz .LBB101_174
; %bb.172:
	s_waitcnt vmcnt(16)
	v_pk_mov_b32 v[190:191], v[92:93], v[118:119] op_sel:[1,0]
	ds_write_b32 v156, v92
	ds_write2_b32 v157, v190, v191 offset0:32 offset1:33
	s_waitcnt vmcnt(14)
	v_pk_mov_b32 v[190:191], v[118:119], v[122:123] op_sel:[1,0]
	ds_write2_b32 v157, v190, v191 offset0:34 offset1:35
	s_waitcnt vmcnt(12)
	v_pk_mov_b32 v[190:191], v[122:123], v[116:117] op_sel:[1,0]
	ds_write2_b32 v157, v190, v191 offset0:36 offset1:37
	s_waitcnt vmcnt(10)
	v_pk_mov_b32 v[190:191], v[116:117], v[120:121] op_sel:[1,0]
	ds_write2_b32 v157, v190, v191 offset0:38 offset1:39
	s_waitcnt vmcnt(8)
	v_pk_mov_b32 v[190:191], v[120:121], v[146:147] op_sel:[1,0]
	ds_write2_b32 v157, v190, v191 offset0:40 offset1:41
	s_waitcnt vmcnt(6)
	v_pk_mov_b32 v[190:191], v[146:147], v[140:141] op_sel:[1,0]
	ds_write2_b32 v157, v190, v191 offset0:42 offset1:43
	s_waitcnt vmcnt(4)
	v_pk_mov_b32 v[190:191], v[140:141], v[142:143] op_sel:[1,0]
	ds_write2_b32 v157, v190, v191 offset0:44 offset1:45
	s_waitcnt vmcnt(2)
	v_pk_mov_b32 v[190:191], v[142:143], v[144:145] op_sel:[1,0]
	ds_write2_b32 v157, v190, v191 offset0:46 offset1:47
	s_waitcnt vmcnt(0)
	v_pk_mov_b32 v[190:191], v[144:145], v[154:155] op_sel:[1,0]
	ds_write2_b32 v157, v190, v191 offset0:48 offset1:49
	ds_write_b32 v157, v155 offset:200
	ds_read_b32 v189, v156
	s_waitcnt lgkmcnt(0)
	v_cmp_neq_f32_e32 vcc, 0, v189
	s_and_b64 exec, exec, vcc
	s_cbranch_execz .LBB101_174
; %bb.173:
	v_div_scale_f32 v190, s[4:5], v189, v189, 1.0
	v_rcp_f32_e32 v191, v190
	v_div_scale_f32 v192, vcc, 1.0, v189, 1.0
	v_fma_f32 v193, -v190, v191, 1.0
	v_fmac_f32_e32 v191, v193, v191
	v_mul_f32_e32 v193, v192, v191
	v_fma_f32 v194, -v190, v193, v192
	v_fmac_f32_e32 v193, v194, v191
	v_fma_f32 v190, -v190, v193, v192
	v_div_fmas_f32 v190, v190, v191, v193
	v_div_fixup_f32 v189, v190, v189, 1.0
	ds_write_b32 v156, v189
.LBB101_174:
	s_or_b64 exec, exec, s[2:3]
	s_waitcnt lgkmcnt(0)
	s_barrier
	ds_read_b32 v189, v156
	v_cmp_lt_u32_e32 vcc, 31, v25
	s_and_saveexec_b64 s[2:3], vcc
	s_cbranch_execz .LBB101_176
; %bb.175:
	ds_read_b32 v196, v157 offset:128
	ds_read2_b32 v[190:191], v157 offset0:33 offset1:34
	ds_read2_b32 v[192:193], v157 offset0:35 offset1:36
	s_waitcnt vmcnt(19) lgkmcnt(3)
	v_mul_f32_e32 v92, v189, v92
	ds_read2_b32 v[194:195], v157 offset0:37 offset1:38
	s_waitcnt vmcnt(18) lgkmcnt(3)
	v_fma_f32 v93, -v92, v196, v93
	s_waitcnt vmcnt(16) lgkmcnt(2)
	v_pk_fma_f32 v[118:119], v[92:93], v[190:191], v[118:119] op_sel_hi:[0,1,1] neg_lo:[1,0,0] neg_hi:[1,0,0]
	ds_read2_b32 v[190:191], v157 offset0:39 offset1:40
	s_waitcnt vmcnt(14) lgkmcnt(2)
	v_pk_fma_f32 v[122:123], v[92:93], v[192:193], v[122:123] op_sel_hi:[0,1,1] neg_lo:[1,0,0] neg_hi:[1,0,0]
	s_waitcnt vmcnt(12) lgkmcnt(1)
	v_pk_fma_f32 v[116:117], v[92:93], v[194:195], v[116:117] op_sel_hi:[0,1,1] neg_lo:[1,0,0] neg_hi:[1,0,0]
	ds_read2_b32 v[192:193], v157 offset0:41 offset1:42
	ds_read2_b32 v[194:195], v157 offset0:43 offset1:44
	;; [unrolled: 1-line block ×3, first 2 shown]
	s_waitcnt vmcnt(10) lgkmcnt(3)
	v_pk_fma_f32 v[120:121], v[92:93], v[190:191], v[120:121] op_sel_hi:[0,1,1] neg_lo:[1,0,0] neg_hi:[1,0,0]
	ds_read2_b32 v[190:191], v157 offset0:47 offset1:48
	ds_read2_b32 v[198:199], v157 offset0:49 offset1:50
	s_waitcnt vmcnt(8) lgkmcnt(4)
	v_pk_fma_f32 v[146:147], v[92:93], v[192:193], v[146:147] op_sel_hi:[0,1,1] neg_lo:[1,0,0] neg_hi:[1,0,0]
	s_waitcnt vmcnt(6) lgkmcnt(3)
	v_pk_fma_f32 v[140:141], v[92:93], v[194:195], v[140:141] op_sel_hi:[0,1,1] neg_lo:[1,0,0] neg_hi:[1,0,0]
	;; [unrolled: 2-line block ×5, first 2 shown]
.LBB101_176:
	s_or_b64 exec, exec, s[2:3]
	v_cmp_ne_u32_e32 vcc, 32, v25
	s_waitcnt lgkmcnt(0)
	s_barrier
	s_and_saveexec_b64 s[2:3], vcc
	s_xor_b64 s[2:3], exec, s[2:3]
	s_andn2_saveexec_b64 s[2:3], s[2:3]
	s_cbranch_execz .LBB101_180
; %bb.177:
	s_waitcnt vmcnt(18)
	ds_write_b32 v156, v93
	s_waitcnt vmcnt(16)
	ds_write2_b32 v157, v118, v119 offset0:33 offset1:34
	s_waitcnt vmcnt(14)
	ds_write2_b32 v157, v122, v123 offset0:35 offset1:36
	;; [unrolled: 2-line block ×9, first 2 shown]
	ds_read_b32 v190, v156
	s_waitcnt lgkmcnt(0)
	v_cmp_neq_f32_e32 vcc, 0, v190
	s_and_saveexec_b64 s[4:5], vcc
	s_cbranch_execz .LBB101_179
; %bb.178:
	v_div_scale_f32 v191, s[10:11], v190, v190, 1.0
	v_rcp_f32_e32 v192, v191
	v_div_scale_f32 v193, vcc, 1.0, v190, 1.0
	v_fma_f32 v194, -v191, v192, 1.0
	v_fmac_f32_e32 v192, v194, v192
	v_mul_f32_e32 v194, v193, v192
	v_fma_f32 v195, -v191, v194, v193
	v_fmac_f32_e32 v194, v195, v192
	v_fma_f32 v191, -v191, v194, v193
	v_div_fmas_f32 v191, v191, v192, v194
	v_div_fixup_f32 v190, v191, v190, 1.0
	ds_write_b32 v156, v190
.LBB101_179:
	s_or_b64 exec, exec, s[4:5]
.LBB101_180:
	s_or_b64 exec, exec, s[2:3]
	s_waitcnt lgkmcnt(0)
	s_barrier
	ds_read_b32 v190, v156
	v_cmp_lt_u32_e32 vcc, 32, v25
	s_and_saveexec_b64 s[2:3], vcc
	s_cbranch_execz .LBB101_182
; %bb.181:
	ds_read2_b32 v[192:193], v157 offset0:33 offset1:34
	ds_read2_b32 v[194:195], v157 offset0:35 offset1:36
	;; [unrolled: 1-line block ×4, first 2 shown]
	s_waitcnt vmcnt(18) lgkmcnt(4)
	v_mul_f32_e32 v200, v190, v93
	s_waitcnt vmcnt(16) lgkmcnt(3)
	v_pk_fma_f32 v[118:119], v[200:201], v[192:193], v[118:119] op_sel_hi:[0,1,1] neg_lo:[1,0,0] neg_hi:[1,0,0]
	s_waitcnt vmcnt(14) lgkmcnt(2)
	v_pk_fma_f32 v[122:123], v[200:201], v[194:195], v[122:123] op_sel_hi:[0,1,1] neg_lo:[1,0,0] neg_hi:[1,0,0]
	;; [unrolled: 2-line block ×4, first 2 shown]
	ds_read2_b32 v[192:193], v157 offset0:41 offset1:42
	ds_read2_b32 v[194:195], v157 offset0:43 offset1:44
	;; [unrolled: 1-line block ×5, first 2 shown]
	s_waitcnt vmcnt(8) lgkmcnt(4)
	v_pk_fma_f32 v[146:147], v[200:201], v[192:193], v[146:147] op_sel_hi:[0,1,1] neg_lo:[1,0,0] neg_hi:[1,0,0]
	s_waitcnt vmcnt(6) lgkmcnt(3)
	v_pk_fma_f32 v[140:141], v[200:201], v[194:195], v[140:141] op_sel_hi:[0,1,1] neg_lo:[1,0,0] neg_hi:[1,0,0]
	;; [unrolled: 2-line block ×5, first 2 shown]
	v_mov_b32_e32 v93, v200
.LBB101_182:
	s_or_b64 exec, exec, s[2:3]
	v_cmp_eq_u32_e32 vcc, 33, v25
	s_waitcnt lgkmcnt(0)
	s_barrier
	s_and_saveexec_b64 s[2:3], vcc
	s_cbranch_execz .LBB101_185
; %bb.183:
	s_waitcnt vmcnt(14)
	v_pk_mov_b32 v[192:193], v[118:119], v[122:123] op_sel:[1,0]
	ds_write_b32 v156, v118
	ds_write2_b32 v157, v192, v193 offset0:34 offset1:35
	s_waitcnt vmcnt(12)
	v_pk_mov_b32 v[192:193], v[122:123], v[116:117] op_sel:[1,0]
	ds_write2_b32 v157, v192, v193 offset0:36 offset1:37
	s_waitcnt vmcnt(10)
	v_pk_mov_b32 v[192:193], v[116:117], v[120:121] op_sel:[1,0]
	;; [unrolled: 3-line block ×7, first 2 shown]
	ds_write2_b32 v157, v192, v193 offset0:48 offset1:49
	ds_write_b32 v157, v155 offset:200
	ds_read_b32 v191, v156
	s_waitcnt lgkmcnt(0)
	v_cmp_neq_f32_e32 vcc, 0, v191
	s_and_b64 exec, exec, vcc
	s_cbranch_execz .LBB101_185
; %bb.184:
	v_div_scale_f32 v192, s[4:5], v191, v191, 1.0
	v_rcp_f32_e32 v193, v192
	v_div_scale_f32 v194, vcc, 1.0, v191, 1.0
	v_fma_f32 v195, -v192, v193, 1.0
	v_fmac_f32_e32 v193, v195, v193
	v_mul_f32_e32 v195, v194, v193
	v_fma_f32 v196, -v192, v195, v194
	v_fmac_f32_e32 v195, v196, v193
	v_fma_f32 v192, -v192, v195, v194
	v_div_fmas_f32 v192, v192, v193, v195
	v_div_fixup_f32 v191, v192, v191, 1.0
	ds_write_b32 v156, v191
.LBB101_185:
	s_or_b64 exec, exec, s[2:3]
	s_waitcnt lgkmcnt(0)
	s_barrier
	ds_read_b32 v191, v156
	v_cmp_lt_u32_e32 vcc, 33, v25
	s_and_saveexec_b64 s[2:3], vcc
	s_cbranch_execz .LBB101_187
; %bb.186:
	ds_read_b32 v198, v157 offset:136
	ds_read2_b32 v[192:193], v157 offset0:35 offset1:36
	ds_read2_b32 v[194:195], v157 offset0:37 offset1:38
	;; [unrolled: 1-line block ×3, first 2 shown]
	s_waitcnt vmcnt(17) lgkmcnt(4)
	v_mul_f32_e32 v118, v191, v118
	s_waitcnt vmcnt(16) lgkmcnt(3)
	v_fma_f32 v119, -v118, v198, v119
	s_waitcnt vmcnt(14) lgkmcnt(2)
	v_pk_fma_f32 v[122:123], v[118:119], v[192:193], v[122:123] op_sel_hi:[0,1,1] neg_lo:[1,0,0] neg_hi:[1,0,0]
	s_waitcnt vmcnt(12) lgkmcnt(1)
	v_pk_fma_f32 v[116:117], v[118:119], v[194:195], v[116:117] op_sel_hi:[0,1,1] neg_lo:[1,0,0] neg_hi:[1,0,0]
	;; [unrolled: 2-line block ×3, first 2 shown]
	ds_read2_b32 v[192:193], v157 offset0:41 offset1:42
	ds_read2_b32 v[194:195], v157 offset0:43 offset1:44
	;; [unrolled: 1-line block ×5, first 2 shown]
	s_waitcnt vmcnt(8) lgkmcnt(4)
	v_pk_fma_f32 v[146:147], v[118:119], v[192:193], v[146:147] op_sel_hi:[0,1,1] neg_lo:[1,0,0] neg_hi:[1,0,0]
	s_waitcnt vmcnt(6) lgkmcnt(3)
	v_pk_fma_f32 v[140:141], v[118:119], v[194:195], v[140:141] op_sel_hi:[0,1,1] neg_lo:[1,0,0] neg_hi:[1,0,0]
	;; [unrolled: 2-line block ×5, first 2 shown]
.LBB101_187:
	s_or_b64 exec, exec, s[2:3]
	v_cmp_ne_u32_e32 vcc, 34, v25
	s_waitcnt lgkmcnt(0)
	s_barrier
	s_and_saveexec_b64 s[2:3], vcc
	s_xor_b64 s[2:3], exec, s[2:3]
	s_andn2_saveexec_b64 s[2:3], s[2:3]
	s_cbranch_execz .LBB101_191
; %bb.188:
	s_waitcnt vmcnt(16)
	ds_write_b32 v156, v119
	s_waitcnt vmcnt(14)
	ds_write2_b32 v157, v122, v123 offset0:35 offset1:36
	s_waitcnt vmcnt(12)
	ds_write2_b32 v157, v116, v117 offset0:37 offset1:38
	;; [unrolled: 2-line block ×8, first 2 shown]
	ds_read_b32 v192, v156
	s_waitcnt lgkmcnt(0)
	v_cmp_neq_f32_e32 vcc, 0, v192
	s_and_saveexec_b64 s[4:5], vcc
	s_cbranch_execz .LBB101_190
; %bb.189:
	v_div_scale_f32 v193, s[10:11], v192, v192, 1.0
	v_rcp_f32_e32 v194, v193
	v_div_scale_f32 v195, vcc, 1.0, v192, 1.0
	v_fma_f32 v196, -v193, v194, 1.0
	v_fmac_f32_e32 v194, v196, v194
	v_mul_f32_e32 v196, v195, v194
	v_fma_f32 v197, -v193, v196, v195
	v_fmac_f32_e32 v196, v197, v194
	v_fma_f32 v193, -v193, v196, v195
	v_div_fmas_f32 v193, v193, v194, v196
	v_div_fixup_f32 v192, v193, v192, 1.0
	ds_write_b32 v156, v192
.LBB101_190:
	s_or_b64 exec, exec, s[4:5]
.LBB101_191:
	s_or_b64 exec, exec, s[2:3]
	s_waitcnt lgkmcnt(0)
	s_barrier
	ds_read_b32 v192, v156
	v_cmp_lt_u32_e32 vcc, 34, v25
	s_and_saveexec_b64 s[2:3], vcc
	s_cbranch_execz .LBB101_193
; %bb.192:
	ds_read2_b32 v[194:195], v157 offset0:35 offset1:36
	ds_read2_b32 v[196:197], v157 offset0:37 offset1:38
	;; [unrolled: 1-line block ×3, first 2 shown]
	s_waitcnt vmcnt(16) lgkmcnt(3)
	v_mul_f32_e32 v200, v192, v119
	ds_read2_b32 v[202:203], v157 offset0:41 offset1:42
	s_waitcnt vmcnt(14) lgkmcnt(3)
	v_pk_fma_f32 v[122:123], v[200:201], v[194:195], v[122:123] op_sel_hi:[0,1,1] neg_lo:[1,0,0] neg_hi:[1,0,0]
	s_waitcnt vmcnt(12) lgkmcnt(2)
	v_pk_fma_f32 v[116:117], v[200:201], v[196:197], v[116:117] op_sel_hi:[0,1,1] neg_lo:[1,0,0] neg_hi:[1,0,0]
	;; [unrolled: 2-line block ×3, first 2 shown]
	ds_read2_b32 v[194:195], v157 offset0:43 offset1:44
	ds_read2_b32 v[196:197], v157 offset0:45 offset1:46
	;; [unrolled: 1-line block ×4, first 2 shown]
	s_waitcnt vmcnt(8) lgkmcnt(4)
	v_pk_fma_f32 v[146:147], v[200:201], v[202:203], v[146:147] op_sel_hi:[0,1,1] neg_lo:[1,0,0] neg_hi:[1,0,0]
	s_waitcnt vmcnt(6) lgkmcnt(3)
	v_pk_fma_f32 v[140:141], v[200:201], v[194:195], v[140:141] op_sel_hi:[0,1,1] neg_lo:[1,0,0] neg_hi:[1,0,0]
	;; [unrolled: 2-line block ×5, first 2 shown]
	v_mov_b32_e32 v119, v200
.LBB101_193:
	s_or_b64 exec, exec, s[2:3]
	v_cmp_eq_u32_e32 vcc, 35, v25
	s_waitcnt lgkmcnt(0)
	s_barrier
	s_and_saveexec_b64 s[2:3], vcc
	s_cbranch_execz .LBB101_196
; %bb.194:
	s_waitcnt vmcnt(12)
	v_pk_mov_b32 v[194:195], v[122:123], v[116:117] op_sel:[1,0]
	ds_write_b32 v156, v122
	ds_write2_b32 v157, v194, v195 offset0:36 offset1:37
	s_waitcnt vmcnt(10)
	v_pk_mov_b32 v[194:195], v[116:117], v[120:121] op_sel:[1,0]
	ds_write2_b32 v157, v194, v195 offset0:38 offset1:39
	s_waitcnt vmcnt(8)
	v_pk_mov_b32 v[194:195], v[120:121], v[146:147] op_sel:[1,0]
	ds_write2_b32 v157, v194, v195 offset0:40 offset1:41
	s_waitcnt vmcnt(6)
	v_pk_mov_b32 v[194:195], v[146:147], v[140:141] op_sel:[1,0]
	ds_write2_b32 v157, v194, v195 offset0:42 offset1:43
	s_waitcnt vmcnt(4)
	v_pk_mov_b32 v[194:195], v[140:141], v[142:143] op_sel:[1,0]
	ds_write2_b32 v157, v194, v195 offset0:44 offset1:45
	s_waitcnt vmcnt(2)
	v_pk_mov_b32 v[194:195], v[142:143], v[144:145] op_sel:[1,0]
	ds_write2_b32 v157, v194, v195 offset0:46 offset1:47
	s_waitcnt vmcnt(0)
	v_pk_mov_b32 v[194:195], v[144:145], v[154:155] op_sel:[1,0]
	ds_write2_b32 v157, v194, v195 offset0:48 offset1:49
	ds_write_b32 v157, v155 offset:200
	ds_read_b32 v193, v156
	s_waitcnt lgkmcnt(0)
	v_cmp_neq_f32_e32 vcc, 0, v193
	s_and_b64 exec, exec, vcc
	s_cbranch_execz .LBB101_196
; %bb.195:
	v_div_scale_f32 v194, s[4:5], v193, v193, 1.0
	v_rcp_f32_e32 v195, v194
	v_div_scale_f32 v196, vcc, 1.0, v193, 1.0
	v_fma_f32 v197, -v194, v195, 1.0
	v_fmac_f32_e32 v195, v197, v195
	v_mul_f32_e32 v197, v196, v195
	v_fma_f32 v198, -v194, v197, v196
	v_fmac_f32_e32 v197, v198, v195
	v_fma_f32 v194, -v194, v197, v196
	v_div_fmas_f32 v194, v194, v195, v197
	v_div_fixup_f32 v193, v194, v193, 1.0
	ds_write_b32 v156, v193
.LBB101_196:
	s_or_b64 exec, exec, s[2:3]
	s_waitcnt lgkmcnt(0)
	s_barrier
	ds_read_b32 v193, v156
	v_cmp_lt_u32_e32 vcc, 35, v25
	s_and_saveexec_b64 s[2:3], vcc
	s_cbranch_execz .LBB101_198
; %bb.197:
	ds_read_b32 v200, v157 offset:144
	ds_read2_b32 v[194:195], v157 offset0:37 offset1:38
	ds_read2_b32 v[196:197], v157 offset0:39 offset1:40
	s_waitcnt vmcnt(15) lgkmcnt(3)
	v_mul_f32_e32 v122, v193, v122
	ds_read2_b32 v[198:199], v157 offset0:41 offset1:42
	s_waitcnt vmcnt(14) lgkmcnt(3)
	v_fma_f32 v123, -v122, v200, v123
	s_waitcnt vmcnt(12) lgkmcnt(2)
	v_pk_fma_f32 v[116:117], v[122:123], v[194:195], v[116:117] op_sel_hi:[0,1,1] neg_lo:[1,0,0] neg_hi:[1,0,0]
	s_waitcnt vmcnt(10) lgkmcnt(1)
	v_pk_fma_f32 v[120:121], v[122:123], v[196:197], v[120:121] op_sel_hi:[0,1,1] neg_lo:[1,0,0] neg_hi:[1,0,0]
	ds_read2_b32 v[194:195], v157 offset0:43 offset1:44
	ds_read2_b32 v[196:197], v157 offset0:45 offset1:46
	;; [unrolled: 1-line block ×4, first 2 shown]
	s_waitcnt vmcnt(8) lgkmcnt(4)
	v_pk_fma_f32 v[146:147], v[122:123], v[198:199], v[146:147] op_sel_hi:[0,1,1] neg_lo:[1,0,0] neg_hi:[1,0,0]
	s_waitcnt vmcnt(6) lgkmcnt(3)
	v_pk_fma_f32 v[140:141], v[122:123], v[194:195], v[140:141] op_sel_hi:[0,1,1] neg_lo:[1,0,0] neg_hi:[1,0,0]
	;; [unrolled: 2-line block ×5, first 2 shown]
.LBB101_198:
	s_or_b64 exec, exec, s[2:3]
	v_cmp_ne_u32_e32 vcc, 36, v25
	s_waitcnt lgkmcnt(0)
	s_barrier
	s_and_saveexec_b64 s[2:3], vcc
	s_xor_b64 s[2:3], exec, s[2:3]
	s_andn2_saveexec_b64 s[2:3], s[2:3]
	s_cbranch_execz .LBB101_202
; %bb.199:
	s_waitcnt vmcnt(14)
	ds_write_b32 v156, v123
	s_waitcnt vmcnt(12)
	ds_write2_b32 v157, v116, v117 offset0:37 offset1:38
	s_waitcnt vmcnt(10)
	ds_write2_b32 v157, v120, v121 offset0:39 offset1:40
	;; [unrolled: 2-line block ×7, first 2 shown]
	ds_read_b32 v194, v156
	s_waitcnt lgkmcnt(0)
	v_cmp_neq_f32_e32 vcc, 0, v194
	s_and_saveexec_b64 s[4:5], vcc
	s_cbranch_execz .LBB101_201
; %bb.200:
	v_div_scale_f32 v195, s[10:11], v194, v194, 1.0
	v_rcp_f32_e32 v196, v195
	v_div_scale_f32 v197, vcc, 1.0, v194, 1.0
	v_fma_f32 v198, -v195, v196, 1.0
	v_fmac_f32_e32 v196, v198, v196
	v_mul_f32_e32 v198, v197, v196
	v_fma_f32 v199, -v195, v198, v197
	v_fmac_f32_e32 v198, v199, v196
	v_fma_f32 v195, -v195, v198, v197
	v_div_fmas_f32 v195, v195, v196, v198
	v_div_fixup_f32 v194, v195, v194, 1.0
	ds_write_b32 v156, v194
.LBB101_201:
	s_or_b64 exec, exec, s[4:5]
.LBB101_202:
	s_or_b64 exec, exec, s[2:3]
	s_waitcnt lgkmcnt(0)
	s_barrier
	ds_read_b32 v194, v156
	v_cmp_lt_u32_e32 vcc, 36, v25
	s_and_saveexec_b64 s[2:3], vcc
	s_cbranch_execz .LBB101_204
; %bb.203:
	ds_read2_b32 v[196:197], v157 offset0:37 offset1:38
	ds_read2_b32 v[198:199], v157 offset0:39 offset1:40
	s_waitcnt vmcnt(14) lgkmcnt(2)
	v_mul_f32_e32 v200, v194, v123
	ds_read2_b32 v[202:203], v157 offset0:41 offset1:42
	ds_read2_b32 v[204:205], v157 offset0:43 offset1:44
	v_mov_b32_e32 v123, v200
	s_waitcnt vmcnt(12) lgkmcnt(3)
	v_pk_fma_f32 v[116:117], v[200:201], v[196:197], v[116:117] op_sel_hi:[0,1,1] neg_lo:[1,0,0] neg_hi:[1,0,0]
	s_waitcnt vmcnt(10) lgkmcnt(2)
	v_pk_fma_f32 v[120:121], v[200:201], v[198:199], v[120:121] op_sel_hi:[0,1,1] neg_lo:[1,0,0] neg_hi:[1,0,0]
	ds_read2_b32 v[196:197], v157 offset0:45 offset1:46
	ds_read2_b32 v[198:199], v157 offset0:47 offset1:48
	;; [unrolled: 1-line block ×3, first 2 shown]
	s_waitcnt vmcnt(8) lgkmcnt(4)
	v_pk_fma_f32 v[146:147], v[200:201], v[202:203], v[146:147] op_sel_hi:[0,1,1] neg_lo:[1,0,0] neg_hi:[1,0,0]
	s_waitcnt vmcnt(6) lgkmcnt(3)
	v_pk_fma_f32 v[140:141], v[200:201], v[204:205], v[140:141] op_sel_hi:[0,1,1] neg_lo:[1,0,0] neg_hi:[1,0,0]
	;; [unrolled: 2-line block ×5, first 2 shown]
.LBB101_204:
	s_or_b64 exec, exec, s[2:3]
	v_cmp_eq_u32_e32 vcc, 37, v25
	s_waitcnt lgkmcnt(0)
	s_barrier
	s_and_saveexec_b64 s[2:3], vcc
	s_cbranch_execz .LBB101_207
; %bb.205:
	s_waitcnt vmcnt(10)
	v_pk_mov_b32 v[196:197], v[116:117], v[120:121] op_sel:[1,0]
	ds_write_b32 v156, v116
	ds_write2_b32 v157, v196, v197 offset0:38 offset1:39
	s_waitcnt vmcnt(8)
	v_pk_mov_b32 v[196:197], v[120:121], v[146:147] op_sel:[1,0]
	ds_write2_b32 v157, v196, v197 offset0:40 offset1:41
	s_waitcnt vmcnt(6)
	v_pk_mov_b32 v[196:197], v[146:147], v[140:141] op_sel:[1,0]
	;; [unrolled: 3-line block ×5, first 2 shown]
	ds_write2_b32 v157, v196, v197 offset0:48 offset1:49
	ds_write_b32 v157, v155 offset:200
	ds_read_b32 v195, v156
	s_waitcnt lgkmcnt(0)
	v_cmp_neq_f32_e32 vcc, 0, v195
	s_and_b64 exec, exec, vcc
	s_cbranch_execz .LBB101_207
; %bb.206:
	v_div_scale_f32 v196, s[4:5], v195, v195, 1.0
	v_rcp_f32_e32 v197, v196
	v_div_scale_f32 v198, vcc, 1.0, v195, 1.0
	v_fma_f32 v199, -v196, v197, 1.0
	v_fmac_f32_e32 v197, v199, v197
	v_mul_f32_e32 v199, v198, v197
	v_fma_f32 v200, -v196, v199, v198
	v_fmac_f32_e32 v199, v200, v197
	v_fma_f32 v196, -v196, v199, v198
	v_div_fmas_f32 v196, v196, v197, v199
	v_div_fixup_f32 v195, v196, v195, 1.0
	ds_write_b32 v156, v195
.LBB101_207:
	s_or_b64 exec, exec, s[2:3]
	s_waitcnt lgkmcnt(0)
	s_barrier
	ds_read_b32 v195, v156
	v_cmp_lt_u32_e32 vcc, 37, v25
	s_and_saveexec_b64 s[2:3], vcc
	s_cbranch_execz .LBB101_209
; %bb.208:
	ds_read_b32 v202, v157 offset:152
	ds_read2_b32 v[196:197], v157 offset0:39 offset1:40
	s_waitcnt vmcnt(13) lgkmcnt(2)
	v_mul_f32_e32 v116, v195, v116
	ds_read2_b32 v[198:199], v157 offset0:41 offset1:42
	ds_read2_b32 v[200:201], v157 offset0:43 offset1:44
	s_waitcnt vmcnt(12) lgkmcnt(3)
	v_fma_f32 v117, -v116, v202, v117
	s_waitcnt vmcnt(10) lgkmcnt(2)
	v_pk_fma_f32 v[120:121], v[116:117], v[196:197], v[120:121] op_sel_hi:[0,1,1] neg_lo:[1,0,0] neg_hi:[1,0,0]
	ds_read2_b32 v[196:197], v157 offset0:45 offset1:46
	ds_read2_b32 v[202:203], v157 offset0:47 offset1:48
	;; [unrolled: 1-line block ×3, first 2 shown]
	s_waitcnt vmcnt(8) lgkmcnt(4)
	v_pk_fma_f32 v[146:147], v[116:117], v[198:199], v[146:147] op_sel_hi:[0,1,1] neg_lo:[1,0,0] neg_hi:[1,0,0]
	s_waitcnt vmcnt(6) lgkmcnt(3)
	v_pk_fma_f32 v[140:141], v[116:117], v[200:201], v[140:141] op_sel_hi:[0,1,1] neg_lo:[1,0,0] neg_hi:[1,0,0]
	;; [unrolled: 2-line block ×5, first 2 shown]
.LBB101_209:
	s_or_b64 exec, exec, s[2:3]
	v_cmp_ne_u32_e32 vcc, 38, v25
	s_waitcnt lgkmcnt(0)
	s_barrier
	s_and_saveexec_b64 s[2:3], vcc
	s_xor_b64 s[2:3], exec, s[2:3]
	s_andn2_saveexec_b64 s[2:3], s[2:3]
	s_cbranch_execz .LBB101_213
; %bb.210:
	s_waitcnt vmcnt(12)
	ds_write_b32 v156, v117
	s_waitcnt vmcnt(10)
	ds_write2_b32 v157, v120, v121 offset0:39 offset1:40
	s_waitcnt vmcnt(8)
	ds_write2_b32 v157, v146, v147 offset0:41 offset1:42
	;; [unrolled: 2-line block ×6, first 2 shown]
	ds_read_b32 v196, v156
	s_waitcnt lgkmcnt(0)
	v_cmp_neq_f32_e32 vcc, 0, v196
	s_and_saveexec_b64 s[4:5], vcc
	s_cbranch_execz .LBB101_212
; %bb.211:
	v_div_scale_f32 v197, s[10:11], v196, v196, 1.0
	v_rcp_f32_e32 v198, v197
	v_div_scale_f32 v199, vcc, 1.0, v196, 1.0
	v_fma_f32 v200, -v197, v198, 1.0
	v_fmac_f32_e32 v198, v200, v198
	v_mul_f32_e32 v200, v199, v198
	v_fma_f32 v201, -v197, v200, v199
	v_fmac_f32_e32 v200, v201, v198
	v_fma_f32 v197, -v197, v200, v199
	v_div_fmas_f32 v197, v197, v198, v200
	v_div_fixup_f32 v196, v197, v196, 1.0
	ds_write_b32 v156, v196
.LBB101_212:
	s_or_b64 exec, exec, s[4:5]
.LBB101_213:
	s_or_b64 exec, exec, s[2:3]
	s_waitcnt lgkmcnt(0)
	s_barrier
	ds_read_b32 v196, v156
	v_cmp_lt_u32_e32 vcc, 38, v25
	s_and_saveexec_b64 s[2:3], vcc
	s_cbranch_execz .LBB101_215
; %bb.214:
	ds_read2_b32 v[198:199], v157 offset0:39 offset1:40
	s_waitcnt vmcnt(12) lgkmcnt(1)
	v_mul_f32_e32 v200, v196, v117
	ds_read2_b32 v[202:203], v157 offset0:41 offset1:42
	ds_read2_b32 v[204:205], v157 offset0:43 offset1:44
	;; [unrolled: 1-line block ×3, first 2 shown]
	v_mov_b32_e32 v117, v200
	s_waitcnt vmcnt(8) lgkmcnt(2)
	v_pk_fma_f32 v[146:147], v[200:201], v[202:203], v[146:147] op_sel_hi:[0,1,1] neg_lo:[1,0,0] neg_hi:[1,0,0]
	v_pk_fma_f32 v[120:121], v[200:201], v[198:199], v[120:121] op_sel_hi:[0,1,1] neg_lo:[1,0,0] neg_hi:[1,0,0]
	ds_read2_b32 v[198:199], v157 offset0:47 offset1:48
	ds_read2_b32 v[208:209], v157 offset0:49 offset1:50
	s_waitcnt vmcnt(6) lgkmcnt(3)
	v_pk_fma_f32 v[140:141], v[200:201], v[204:205], v[140:141] op_sel_hi:[0,1,1] neg_lo:[1,0,0] neg_hi:[1,0,0]
	s_waitcnt vmcnt(4) lgkmcnt(2)
	v_pk_fma_f32 v[142:143], v[200:201], v[206:207], v[142:143] op_sel_hi:[0,1,1] neg_lo:[1,0,0] neg_hi:[1,0,0]
	;; [unrolled: 2-line block ×4, first 2 shown]
.LBB101_215:
	s_or_b64 exec, exec, s[2:3]
	v_cmp_eq_u32_e32 vcc, 39, v25
	s_waitcnt lgkmcnt(0)
	s_barrier
	s_and_saveexec_b64 s[2:3], vcc
	s_cbranch_execz .LBB101_218
; %bb.216:
	s_waitcnt vmcnt(8)
	v_pk_mov_b32 v[198:199], v[120:121], v[146:147] op_sel:[1,0]
	ds_write_b32 v156, v120
	ds_write2_b32 v157, v198, v199 offset0:40 offset1:41
	s_waitcnt vmcnt(6)
	v_pk_mov_b32 v[198:199], v[146:147], v[140:141] op_sel:[1,0]
	ds_write2_b32 v157, v198, v199 offset0:42 offset1:43
	s_waitcnt vmcnt(4)
	v_pk_mov_b32 v[198:199], v[140:141], v[142:143] op_sel:[1,0]
	;; [unrolled: 3-line block ×4, first 2 shown]
	ds_write2_b32 v157, v198, v199 offset0:48 offset1:49
	ds_write_b32 v157, v155 offset:200
	ds_read_b32 v197, v156
	s_waitcnt lgkmcnt(0)
	v_cmp_neq_f32_e32 vcc, 0, v197
	s_and_b64 exec, exec, vcc
	s_cbranch_execz .LBB101_218
; %bb.217:
	v_div_scale_f32 v198, s[4:5], v197, v197, 1.0
	v_rcp_f32_e32 v199, v198
	v_div_scale_f32 v200, vcc, 1.0, v197, 1.0
	v_fma_f32 v201, -v198, v199, 1.0
	v_fmac_f32_e32 v199, v201, v199
	v_mul_f32_e32 v201, v200, v199
	v_fma_f32 v202, -v198, v201, v200
	v_fmac_f32_e32 v201, v202, v199
	v_fma_f32 v198, -v198, v201, v200
	v_div_fmas_f32 v198, v198, v199, v201
	v_div_fixup_f32 v197, v198, v197, 1.0
	ds_write_b32 v156, v197
.LBB101_218:
	s_or_b64 exec, exec, s[2:3]
	s_waitcnt lgkmcnt(0)
	s_barrier
	ds_read_b32 v197, v156
	v_cmp_lt_u32_e32 vcc, 39, v25
	s_and_saveexec_b64 s[2:3], vcc
	s_cbranch_execz .LBB101_220
; %bb.219:
	ds_read_b32 v204, v157 offset:160
	s_waitcnt vmcnt(11) lgkmcnt(1)
	v_mul_f32_e32 v120, v197, v120
	ds_read2_b32 v[198:199], v157 offset0:41 offset1:42
	ds_read2_b32 v[200:201], v157 offset0:43 offset1:44
	ds_read2_b32 v[202:203], v157 offset0:45 offset1:46
	s_waitcnt vmcnt(10) lgkmcnt(3)
	v_fma_f32 v121, -v120, v204, v121
	ds_read2_b32 v[204:205], v157 offset0:47 offset1:48
	ds_read2_b32 v[206:207], v157 offset0:49 offset1:50
	s_waitcnt vmcnt(8) lgkmcnt(4)
	v_pk_fma_f32 v[146:147], v[120:121], v[198:199], v[146:147] op_sel_hi:[0,1,1] neg_lo:[1,0,0] neg_hi:[1,0,0]
	s_waitcnt vmcnt(6) lgkmcnt(3)
	v_pk_fma_f32 v[140:141], v[120:121], v[200:201], v[140:141] op_sel_hi:[0,1,1] neg_lo:[1,0,0] neg_hi:[1,0,0]
	;; [unrolled: 2-line block ×5, first 2 shown]
.LBB101_220:
	s_or_b64 exec, exec, s[2:3]
	v_cmp_ne_u32_e32 vcc, 40, v25
	s_waitcnt lgkmcnt(0)
	s_barrier
	s_and_saveexec_b64 s[2:3], vcc
	s_xor_b64 s[2:3], exec, s[2:3]
	s_andn2_saveexec_b64 s[2:3], s[2:3]
	s_cbranch_execz .LBB101_224
; %bb.221:
	s_waitcnt vmcnt(10)
	ds_write_b32 v156, v121
	s_waitcnt vmcnt(8)
	ds_write2_b32 v157, v146, v147 offset0:41 offset1:42
	s_waitcnt vmcnt(6)
	ds_write2_b32 v157, v140, v141 offset0:43 offset1:44
	s_waitcnt vmcnt(4)
	ds_write2_b32 v157, v142, v143 offset0:45 offset1:46
	s_waitcnt vmcnt(2)
	ds_write2_b32 v157, v144, v145 offset0:47 offset1:48
	s_waitcnt vmcnt(0)
	ds_write2_b32 v157, v154, v155 offset0:49 offset1:50
	ds_read_b32 v198, v156
	s_waitcnt lgkmcnt(0)
	v_cmp_neq_f32_e32 vcc, 0, v198
	s_and_saveexec_b64 s[4:5], vcc
	s_cbranch_execz .LBB101_223
; %bb.222:
	v_div_scale_f32 v199, s[10:11], v198, v198, 1.0
	v_rcp_f32_e32 v200, v199
	v_div_scale_f32 v201, vcc, 1.0, v198, 1.0
	v_fma_f32 v202, -v199, v200, 1.0
	v_fmac_f32_e32 v200, v202, v200
	v_mul_f32_e32 v202, v201, v200
	v_fma_f32 v203, -v199, v202, v201
	v_fmac_f32_e32 v202, v203, v200
	v_fma_f32 v199, -v199, v202, v201
	v_div_fmas_f32 v199, v199, v200, v202
	v_div_fixup_f32 v198, v199, v198, 1.0
	ds_write_b32 v156, v198
.LBB101_223:
	s_or_b64 exec, exec, s[4:5]
.LBB101_224:
	s_or_b64 exec, exec, s[2:3]
	s_waitcnt lgkmcnt(0)
	s_barrier
	ds_read_b32 v198, v156
	v_cmp_lt_u32_e32 vcc, 40, v25
	s_and_saveexec_b64 s[2:3], vcc
	s_cbranch_execz .LBB101_226
; %bb.225:
	ds_read2_b32 v[202:203], v157 offset0:41 offset1:42
	ds_read2_b32 v[204:205], v157 offset0:43 offset1:44
	;; [unrolled: 1-line block ×5, first 2 shown]
	s_waitcnt vmcnt(10) lgkmcnt(5)
	v_mul_f32_e32 v200, v198, v121
	s_waitcnt vmcnt(8) lgkmcnt(4)
	v_pk_fma_f32 v[146:147], v[200:201], v[202:203], v[146:147] op_sel_hi:[0,1,1] neg_lo:[1,0,0] neg_hi:[1,0,0]
	s_waitcnt vmcnt(6) lgkmcnt(3)
	v_pk_fma_f32 v[140:141], v[200:201], v[204:205], v[140:141] op_sel_hi:[0,1,1] neg_lo:[1,0,0] neg_hi:[1,0,0]
	;; [unrolled: 2-line block ×5, first 2 shown]
	v_mov_b32_e32 v121, v200
.LBB101_226:
	s_or_b64 exec, exec, s[2:3]
	v_cmp_eq_u32_e32 vcc, 41, v25
	s_waitcnt lgkmcnt(0)
	s_barrier
	s_and_saveexec_b64 s[2:3], vcc
	s_cbranch_execz .LBB101_229
; %bb.227:
	s_waitcnt vmcnt(6)
	v_pk_mov_b32 v[200:201], v[146:147], v[140:141] op_sel:[1,0]
	ds_write_b32 v156, v146
	ds_write2_b32 v157, v200, v201 offset0:42 offset1:43
	s_waitcnt vmcnt(4)
	v_pk_mov_b32 v[200:201], v[140:141], v[142:143] op_sel:[1,0]
	ds_write2_b32 v157, v200, v201 offset0:44 offset1:45
	s_waitcnt vmcnt(2)
	v_pk_mov_b32 v[200:201], v[142:143], v[144:145] op_sel:[1,0]
	;; [unrolled: 3-line block ×3, first 2 shown]
	ds_write2_b32 v157, v200, v201 offset0:48 offset1:49
	ds_write_b32 v157, v155 offset:200
	ds_read_b32 v199, v156
	s_waitcnt lgkmcnt(0)
	v_cmp_neq_f32_e32 vcc, 0, v199
	s_and_b64 exec, exec, vcc
	s_cbranch_execz .LBB101_229
; %bb.228:
	v_div_scale_f32 v200, s[4:5], v199, v199, 1.0
	v_rcp_f32_e32 v201, v200
	v_div_scale_f32 v202, vcc, 1.0, v199, 1.0
	v_fma_f32 v203, -v200, v201, 1.0
	v_fmac_f32_e32 v201, v203, v201
	v_mul_f32_e32 v203, v202, v201
	v_fma_f32 v204, -v200, v203, v202
	v_fmac_f32_e32 v203, v204, v201
	v_fma_f32 v200, -v200, v203, v202
	v_div_fmas_f32 v200, v200, v201, v203
	v_div_fixup_f32 v199, v200, v199, 1.0
	ds_write_b32 v156, v199
.LBB101_229:
	s_or_b64 exec, exec, s[2:3]
	s_waitcnt lgkmcnt(0)
	s_barrier
	ds_read_b32 v199, v156
	v_cmp_lt_u32_e32 vcc, 41, v25
	s_and_saveexec_b64 s[2:3], vcc
	s_cbranch_execz .LBB101_231
; %bb.230:
	ds_read_b32 v208, v157 offset:168
	ds_read2_b32 v[200:201], v157 offset0:43 offset1:44
	ds_read2_b32 v[202:203], v157 offset0:45 offset1:46
	;; [unrolled: 1-line block ×4, first 2 shown]
	s_waitcnt vmcnt(9) lgkmcnt(5)
	v_mul_f32_e32 v146, v199, v146
	s_waitcnt vmcnt(8) lgkmcnt(4)
	v_fma_f32 v147, -v146, v208, v147
	s_waitcnt vmcnt(6) lgkmcnt(3)
	v_pk_fma_f32 v[140:141], v[146:147], v[200:201], v[140:141] op_sel_hi:[0,1,1] neg_lo:[1,0,0] neg_hi:[1,0,0]
	s_waitcnt vmcnt(4) lgkmcnt(2)
	v_pk_fma_f32 v[142:143], v[146:147], v[202:203], v[142:143] op_sel_hi:[0,1,1] neg_lo:[1,0,0] neg_hi:[1,0,0]
	;; [unrolled: 2-line block ×4, first 2 shown]
.LBB101_231:
	s_or_b64 exec, exec, s[2:3]
	v_cmp_ne_u32_e32 vcc, 42, v25
	s_waitcnt lgkmcnt(0)
	s_barrier
	s_and_saveexec_b64 s[2:3], vcc
	s_xor_b64 s[2:3], exec, s[2:3]
	s_andn2_saveexec_b64 s[2:3], s[2:3]
	s_cbranch_execz .LBB101_235
; %bb.232:
	s_waitcnt vmcnt(8)
	ds_write_b32 v156, v147
	s_waitcnt vmcnt(6)
	ds_write2_b32 v157, v140, v141 offset0:43 offset1:44
	s_waitcnt vmcnt(4)
	ds_write2_b32 v157, v142, v143 offset0:45 offset1:46
	;; [unrolled: 2-line block ×4, first 2 shown]
	ds_read_b32 v200, v156
	s_waitcnt lgkmcnt(0)
	v_cmp_neq_f32_e32 vcc, 0, v200
	s_and_saveexec_b64 s[4:5], vcc
	s_cbranch_execz .LBB101_234
; %bb.233:
	v_div_scale_f32 v201, s[10:11], v200, v200, 1.0
	v_rcp_f32_e32 v202, v201
	v_div_scale_f32 v203, vcc, 1.0, v200, 1.0
	v_fma_f32 v204, -v201, v202, 1.0
	v_fmac_f32_e32 v202, v204, v202
	v_mul_f32_e32 v204, v203, v202
	v_fma_f32 v205, -v201, v204, v203
	v_fmac_f32_e32 v204, v205, v202
	v_fma_f32 v201, -v201, v204, v203
	v_div_fmas_f32 v201, v201, v202, v204
	v_div_fixup_f32 v200, v201, v200, 1.0
	ds_write_b32 v156, v200
.LBB101_234:
	s_or_b64 exec, exec, s[4:5]
.LBB101_235:
	s_or_b64 exec, exec, s[2:3]
	s_waitcnt lgkmcnt(0)
	s_barrier
	ds_read_b32 v200, v156
	v_cmp_lt_u32_e32 vcc, 42, v25
	s_and_saveexec_b64 s[2:3], vcc
	s_cbranch_execz .LBB101_237
; %bb.236:
	ds_read2_b32 v[202:203], v157 offset0:43 offset1:44
	ds_read2_b32 v[204:205], v157 offset0:45 offset1:46
	;; [unrolled: 1-line block ×4, first 2 shown]
	s_waitcnt vmcnt(8) lgkmcnt(4)
	v_mul_f32_e32 v210, v200, v147
	s_waitcnt vmcnt(6) lgkmcnt(3)
	v_pk_fma_f32 v[140:141], v[210:211], v[202:203], v[140:141] op_sel_hi:[0,1,1] neg_lo:[1,0,0] neg_hi:[1,0,0]
	s_waitcnt vmcnt(4) lgkmcnt(2)
	v_pk_fma_f32 v[142:143], v[210:211], v[204:205], v[142:143] op_sel_hi:[0,1,1] neg_lo:[1,0,0] neg_hi:[1,0,0]
	;; [unrolled: 2-line block ×4, first 2 shown]
	v_mov_b32_e32 v147, v210
.LBB101_237:
	s_or_b64 exec, exec, s[2:3]
	v_cmp_eq_u32_e32 vcc, 43, v25
	s_waitcnt lgkmcnt(0)
	s_barrier
	s_and_saveexec_b64 s[2:3], vcc
	s_cbranch_execz .LBB101_240
; %bb.238:
	s_waitcnt vmcnt(4)
	v_pk_mov_b32 v[202:203], v[140:141], v[142:143] op_sel:[1,0]
	ds_write_b32 v156, v140
	ds_write2_b32 v157, v202, v203 offset0:44 offset1:45
	s_waitcnt vmcnt(2)
	v_pk_mov_b32 v[202:203], v[142:143], v[144:145] op_sel:[1,0]
	ds_write2_b32 v157, v202, v203 offset0:46 offset1:47
	s_waitcnt vmcnt(0)
	v_pk_mov_b32 v[202:203], v[144:145], v[154:155] op_sel:[1,0]
	ds_write2_b32 v157, v202, v203 offset0:48 offset1:49
	ds_write_b32 v157, v155 offset:200
	ds_read_b32 v201, v156
	s_waitcnt lgkmcnt(0)
	v_cmp_neq_f32_e32 vcc, 0, v201
	s_and_b64 exec, exec, vcc
	s_cbranch_execz .LBB101_240
; %bb.239:
	v_div_scale_f32 v202, s[4:5], v201, v201, 1.0
	v_rcp_f32_e32 v203, v202
	v_div_scale_f32 v204, vcc, 1.0, v201, 1.0
	v_fma_f32 v205, -v202, v203, 1.0
	v_fmac_f32_e32 v203, v205, v203
	v_mul_f32_e32 v205, v204, v203
	v_fma_f32 v206, -v202, v205, v204
	v_fmac_f32_e32 v205, v206, v203
	v_fma_f32 v202, -v202, v205, v204
	v_div_fmas_f32 v202, v202, v203, v205
	v_div_fixup_f32 v201, v202, v201, 1.0
	ds_write_b32 v156, v201
.LBB101_240:
	s_or_b64 exec, exec, s[2:3]
	s_waitcnt lgkmcnt(0)
	s_barrier
	ds_read_b32 v201, v156
	v_cmp_lt_u32_e32 vcc, 43, v25
	s_and_saveexec_b64 s[2:3], vcc
	s_cbranch_execz .LBB101_242
; %bb.241:
	ds_read_b32 v208, v157 offset:176
	ds_read2_b32 v[202:203], v157 offset0:45 offset1:46
	ds_read2_b32 v[204:205], v157 offset0:47 offset1:48
	;; [unrolled: 1-line block ×3, first 2 shown]
	s_waitcnt vmcnt(7) lgkmcnt(4)
	v_mul_f32_e32 v140, v201, v140
	s_waitcnt vmcnt(6) lgkmcnt(3)
	v_fma_f32 v141, -v140, v208, v141
	s_waitcnt vmcnt(4) lgkmcnt(2)
	v_pk_fma_f32 v[142:143], v[140:141], v[202:203], v[142:143] op_sel_hi:[0,1,1] neg_lo:[1,0,0] neg_hi:[1,0,0]
	s_waitcnt vmcnt(2) lgkmcnt(1)
	v_pk_fma_f32 v[144:145], v[140:141], v[204:205], v[144:145] op_sel_hi:[0,1,1] neg_lo:[1,0,0] neg_hi:[1,0,0]
	;; [unrolled: 2-line block ×3, first 2 shown]
.LBB101_242:
	s_or_b64 exec, exec, s[2:3]
	v_cmp_ne_u32_e32 vcc, 44, v25
	s_waitcnt lgkmcnt(0)
	s_barrier
	s_and_saveexec_b64 s[2:3], vcc
	s_xor_b64 s[2:3], exec, s[2:3]
	s_andn2_saveexec_b64 s[2:3], s[2:3]
	s_cbranch_execz .LBB101_246
; %bb.243:
	s_waitcnt vmcnt(6)
	ds_write_b32 v156, v141
	s_waitcnt vmcnt(4)
	ds_write2_b32 v157, v142, v143 offset0:45 offset1:46
	s_waitcnt vmcnt(2)
	ds_write2_b32 v157, v144, v145 offset0:47 offset1:48
	;; [unrolled: 2-line block ×3, first 2 shown]
	ds_read_b32 v202, v156
	s_waitcnt lgkmcnt(0)
	v_cmp_neq_f32_e32 vcc, 0, v202
	s_and_saveexec_b64 s[4:5], vcc
	s_cbranch_execz .LBB101_245
; %bb.244:
	v_div_scale_f32 v203, s[10:11], v202, v202, 1.0
	v_rcp_f32_e32 v204, v203
	v_div_scale_f32 v205, vcc, 1.0, v202, 1.0
	v_fma_f32 v206, -v203, v204, 1.0
	v_fmac_f32_e32 v204, v206, v204
	v_mul_f32_e32 v206, v205, v204
	v_fma_f32 v207, -v203, v206, v205
	v_fmac_f32_e32 v206, v207, v204
	v_fma_f32 v203, -v203, v206, v205
	v_div_fmas_f32 v203, v203, v204, v206
	v_div_fixup_f32 v202, v203, v202, 1.0
	ds_write_b32 v156, v202
.LBB101_245:
	s_or_b64 exec, exec, s[4:5]
.LBB101_246:
	s_or_b64 exec, exec, s[2:3]
	s_waitcnt lgkmcnt(0)
	s_barrier
	ds_read_b32 v202, v156
	v_cmp_lt_u32_e32 vcc, 44, v25
	s_and_saveexec_b64 s[2:3], vcc
	s_cbranch_execz .LBB101_248
; %bb.247:
	ds_read2_b32 v[204:205], v157 offset0:45 offset1:46
	ds_read2_b32 v[206:207], v157 offset0:47 offset1:48
	;; [unrolled: 1-line block ×3, first 2 shown]
	s_waitcnt vmcnt(6) lgkmcnt(3)
	v_mul_f32_e32 v210, v202, v141
	v_mov_b32_e32 v141, v210
	s_waitcnt vmcnt(4) lgkmcnt(2)
	v_pk_fma_f32 v[142:143], v[210:211], v[204:205], v[142:143] op_sel_hi:[0,1,1] neg_lo:[1,0,0] neg_hi:[1,0,0]
	s_waitcnt vmcnt(2) lgkmcnt(1)
	v_pk_fma_f32 v[144:145], v[210:211], v[206:207], v[144:145] op_sel_hi:[0,1,1] neg_lo:[1,0,0] neg_hi:[1,0,0]
	s_waitcnt vmcnt(0) lgkmcnt(0)
	v_pk_fma_f32 v[154:155], v[210:211], v[208:209], v[154:155] op_sel_hi:[0,1,1] neg_lo:[1,0,0] neg_hi:[1,0,0]
.LBB101_248:
	s_or_b64 exec, exec, s[2:3]
	v_cmp_eq_u32_e32 vcc, 45, v25
	s_waitcnt lgkmcnt(0)
	s_barrier
	s_and_saveexec_b64 s[2:3], vcc
	s_cbranch_execz .LBB101_251
; %bb.249:
	s_waitcnt vmcnt(2)
	v_pk_mov_b32 v[204:205], v[142:143], v[144:145] op_sel:[1,0]
	ds_write_b32 v156, v142
	ds_write2_b32 v157, v204, v205 offset0:46 offset1:47
	s_waitcnt vmcnt(0)
	v_pk_mov_b32 v[204:205], v[144:145], v[154:155] op_sel:[1,0]
	ds_write2_b32 v157, v204, v205 offset0:48 offset1:49
	ds_write_b32 v157, v155 offset:200
	ds_read_b32 v203, v156
	s_waitcnt lgkmcnt(0)
	v_cmp_neq_f32_e32 vcc, 0, v203
	s_and_b64 exec, exec, vcc
	s_cbranch_execz .LBB101_251
; %bb.250:
	v_div_scale_f32 v204, s[4:5], v203, v203, 1.0
	v_rcp_f32_e32 v205, v204
	v_div_scale_f32 v206, vcc, 1.0, v203, 1.0
	v_fma_f32 v207, -v204, v205, 1.0
	v_fmac_f32_e32 v205, v207, v205
	v_mul_f32_e32 v207, v206, v205
	v_fma_f32 v208, -v204, v207, v206
	v_fmac_f32_e32 v207, v208, v205
	v_fma_f32 v204, -v204, v207, v206
	v_div_fmas_f32 v204, v204, v205, v207
	v_div_fixup_f32 v203, v204, v203, 1.0
	ds_write_b32 v156, v203
.LBB101_251:
	s_or_b64 exec, exec, s[2:3]
	s_waitcnt lgkmcnt(0)
	s_barrier
	ds_read_b32 v203, v156
	v_cmp_lt_u32_e32 vcc, 45, v25
	s_and_saveexec_b64 s[2:3], vcc
	s_cbranch_execz .LBB101_253
; %bb.252:
	ds_read_b32 v208, v157 offset:184
	ds_read2_b32 v[204:205], v157 offset0:47 offset1:48
	ds_read2_b32 v[206:207], v157 offset0:49 offset1:50
	s_waitcnt vmcnt(5) lgkmcnt(3)
	v_mul_f32_e32 v142, v203, v142
	s_waitcnt vmcnt(4) lgkmcnt(2)
	v_fma_f32 v143, -v142, v208, v143
	s_waitcnt vmcnt(2) lgkmcnt(1)
	v_pk_fma_f32 v[144:145], v[142:143], v[204:205], v[144:145] op_sel_hi:[0,1,1] neg_lo:[1,0,0] neg_hi:[1,0,0]
	s_waitcnt vmcnt(0) lgkmcnt(0)
	v_pk_fma_f32 v[154:155], v[142:143], v[206:207], v[154:155] op_sel_hi:[0,1,1] neg_lo:[1,0,0] neg_hi:[1,0,0]
.LBB101_253:
	s_or_b64 exec, exec, s[2:3]
	v_cmp_ne_u32_e32 vcc, 46, v25
	s_waitcnt lgkmcnt(0)
	s_barrier
	s_and_saveexec_b64 s[2:3], vcc
	s_xor_b64 s[2:3], exec, s[2:3]
	s_andn2_saveexec_b64 s[2:3], s[2:3]
	s_cbranch_execz .LBB101_257
; %bb.254:
	s_waitcnt vmcnt(4)
	ds_write_b32 v156, v143
	s_waitcnt vmcnt(2)
	ds_write2_b32 v157, v144, v145 offset0:47 offset1:48
	s_waitcnt vmcnt(0)
	ds_write2_b32 v157, v154, v155 offset0:49 offset1:50
	ds_read_b32 v204, v156
	s_waitcnt lgkmcnt(0)
	v_cmp_neq_f32_e32 vcc, 0, v204
	s_and_saveexec_b64 s[4:5], vcc
	s_cbranch_execz .LBB101_256
; %bb.255:
	v_div_scale_f32 v205, s[10:11], v204, v204, 1.0
	v_rcp_f32_e32 v206, v205
	v_div_scale_f32 v207, vcc, 1.0, v204, 1.0
	v_fma_f32 v208, -v205, v206, 1.0
	v_fmac_f32_e32 v206, v208, v206
	v_mul_f32_e32 v208, v207, v206
	v_fma_f32 v209, -v205, v208, v207
	v_fmac_f32_e32 v208, v209, v206
	v_fma_f32 v205, -v205, v208, v207
	v_div_fmas_f32 v205, v205, v206, v208
	v_div_fixup_f32 v204, v205, v204, 1.0
	ds_write_b32 v156, v204
.LBB101_256:
	s_or_b64 exec, exec, s[4:5]
.LBB101_257:
	s_or_b64 exec, exec, s[2:3]
	s_waitcnt lgkmcnt(0)
	s_barrier
	ds_read_b32 v204, v156
	v_cmp_lt_u32_e32 vcc, 46, v25
	s_and_saveexec_b64 s[2:3], vcc
	s_cbranch_execz .LBB101_259
; %bb.258:
	ds_read2_b32 v[206:207], v157 offset0:47 offset1:48
	ds_read2_b32 v[208:209], v157 offset0:49 offset1:50
	s_waitcnt vmcnt(4) lgkmcnt(2)
	v_mul_f32_e32 v210, v204, v143
	v_mov_b32_e32 v143, v210
	s_waitcnt vmcnt(2) lgkmcnt(1)
	v_pk_fma_f32 v[144:145], v[210:211], v[206:207], v[144:145] op_sel_hi:[0,1,1] neg_lo:[1,0,0] neg_hi:[1,0,0]
	s_waitcnt vmcnt(0) lgkmcnt(0)
	v_pk_fma_f32 v[154:155], v[210:211], v[208:209], v[154:155] op_sel_hi:[0,1,1] neg_lo:[1,0,0] neg_hi:[1,0,0]
.LBB101_259:
	s_or_b64 exec, exec, s[2:3]
	v_cmp_eq_u32_e32 vcc, 47, v25
	s_waitcnt lgkmcnt(0)
	s_barrier
	s_and_saveexec_b64 s[2:3], vcc
	s_cbranch_execz .LBB101_262
; %bb.260:
	s_waitcnt vmcnt(0)
	v_pk_mov_b32 v[206:207], v[144:145], v[154:155] op_sel:[1,0]
	ds_write_b32 v156, v144
	ds_write2_b32 v157, v206, v207 offset0:48 offset1:49
	ds_write_b32 v157, v155 offset:200
	ds_read_b32 v205, v156
	s_waitcnt lgkmcnt(0)
	v_cmp_neq_f32_e32 vcc, 0, v205
	s_and_b64 exec, exec, vcc
	s_cbranch_execz .LBB101_262
; %bb.261:
	v_div_scale_f32 v206, s[4:5], v205, v205, 1.0
	v_rcp_f32_e32 v207, v206
	v_div_scale_f32 v208, vcc, 1.0, v205, 1.0
	v_fma_f32 v209, -v206, v207, 1.0
	v_fmac_f32_e32 v207, v209, v207
	v_mul_f32_e32 v209, v208, v207
	v_fma_f32 v210, -v206, v209, v208
	v_fmac_f32_e32 v209, v210, v207
	v_fma_f32 v206, -v206, v209, v208
	v_div_fmas_f32 v206, v206, v207, v209
	v_div_fixup_f32 v205, v206, v205, 1.0
	ds_write_b32 v156, v205
.LBB101_262:
	s_or_b64 exec, exec, s[2:3]
	s_waitcnt lgkmcnt(0)
	s_barrier
	ds_read_b32 v205, v156
	v_cmp_lt_u32_e32 vcc, 47, v25
	s_and_saveexec_b64 s[2:3], vcc
	s_cbranch_execz .LBB101_264
; %bb.263:
	ds_read_b32 v208, v157 offset:192
	ds_read2_b32 v[206:207], v157 offset0:49 offset1:50
	s_waitcnt vmcnt(3) lgkmcnt(2)
	v_mul_f32_e32 v144, v205, v144
	s_waitcnt vmcnt(2) lgkmcnt(1)
	v_fma_f32 v145, -v144, v208, v145
	s_waitcnt vmcnt(0) lgkmcnt(0)
	v_pk_fma_f32 v[154:155], v[144:145], v[206:207], v[154:155] op_sel_hi:[0,1,1] neg_lo:[1,0,0] neg_hi:[1,0,0]
.LBB101_264:
	s_or_b64 exec, exec, s[2:3]
	v_cmp_ne_u32_e32 vcc, 48, v25
	s_waitcnt lgkmcnt(0)
	s_barrier
	s_and_saveexec_b64 s[2:3], vcc
	s_xor_b64 s[2:3], exec, s[2:3]
	s_andn2_saveexec_b64 s[2:3], s[2:3]
	s_cbranch_execz .LBB101_268
; %bb.265:
	s_waitcnt vmcnt(2)
	ds_write_b32 v156, v145
	s_waitcnt vmcnt(0)
	ds_write2_b32 v157, v154, v155 offset0:49 offset1:50
	ds_read_b32 v206, v156
	s_waitcnt lgkmcnt(0)
	v_cmp_neq_f32_e32 vcc, 0, v206
	s_and_saveexec_b64 s[4:5], vcc
	s_cbranch_execz .LBB101_267
; %bb.266:
	v_div_scale_f32 v207, s[10:11], v206, v206, 1.0
	v_rcp_f32_e32 v208, v207
	v_div_scale_f32 v209, vcc, 1.0, v206, 1.0
	v_fma_f32 v210, -v207, v208, 1.0
	v_fmac_f32_e32 v208, v210, v208
	v_mul_f32_e32 v210, v209, v208
	v_fma_f32 v211, -v207, v210, v209
	v_fmac_f32_e32 v210, v211, v208
	v_fma_f32 v207, -v207, v210, v209
	v_div_fmas_f32 v207, v207, v208, v210
	v_div_fixup_f32 v206, v207, v206, 1.0
	ds_write_b32 v156, v206
.LBB101_267:
	s_or_b64 exec, exec, s[4:5]
.LBB101_268:
	s_or_b64 exec, exec, s[2:3]
	s_waitcnt lgkmcnt(0)
	s_barrier
	ds_read_b32 v206, v156
	v_cmp_lt_u32_e32 vcc, 48, v25
	s_and_saveexec_b64 s[2:3], vcc
	s_cbranch_execz .LBB101_270
; %bb.269:
	ds_read2_b32 v[208:209], v157 offset0:49 offset1:50
	s_waitcnt vmcnt(2) lgkmcnt(1)
	v_mul_f32_e32 v210, v206, v145
	v_mov_b32_e32 v145, v210
	s_waitcnt vmcnt(0) lgkmcnt(0)
	v_pk_fma_f32 v[154:155], v[210:211], v[208:209], v[154:155] op_sel_hi:[0,1,1] neg_lo:[1,0,0] neg_hi:[1,0,0]
.LBB101_270:
	s_or_b64 exec, exec, s[2:3]
	v_cmp_eq_u32_e32 vcc, 49, v25
	s_waitcnt lgkmcnt(0)
	s_barrier
	s_and_saveexec_b64 s[2:3], vcc
	s_cbranch_execz .LBB101_273
; %bb.271:
	s_waitcnt vmcnt(1)
	ds_write_b32 v156, v154
	s_waitcnt vmcnt(0)
	ds_write_b32 v157, v155 offset:200
	ds_read_b32 v207, v156
	s_waitcnt lgkmcnt(0)
	v_cmp_neq_f32_e32 vcc, 0, v207
	s_and_b64 exec, exec, vcc
	s_cbranch_execz .LBB101_273
; %bb.272:
	v_div_scale_f32 v208, s[4:5], v207, v207, 1.0
	v_rcp_f32_e32 v209, v208
	v_div_scale_f32 v210, vcc, 1.0, v207, 1.0
	v_fma_f32 v211, -v208, v209, 1.0
	v_fmac_f32_e32 v209, v211, v209
	v_mul_f32_e32 v211, v210, v209
	v_fma_f32 v212, -v208, v211, v210
	v_fmac_f32_e32 v211, v212, v209
	v_fma_f32 v208, -v208, v211, v210
	v_div_fmas_f32 v208, v208, v209, v211
	v_div_fixup_f32 v207, v208, v207, 1.0
	ds_write_b32 v156, v207
.LBB101_273:
	s_or_b64 exec, exec, s[2:3]
	s_waitcnt lgkmcnt(0)
	s_barrier
	ds_read_b32 v207, v156
	v_cmp_lt_u32_e32 vcc, 49, v25
	s_and_saveexec_b64 s[2:3], vcc
	s_cbranch_execz .LBB101_275
; %bb.274:
	ds_read_b32 v157, v157 offset:200
	s_waitcnt vmcnt(1) lgkmcnt(1)
	v_mul_f32_e32 v154, v207, v154
	s_waitcnt vmcnt(0) lgkmcnt(0)
	v_fma_f32 v155, -v154, v157, v155
.LBB101_275:
	s_or_b64 exec, exec, s[2:3]
	v_cmp_ne_u32_e32 vcc, 50, v25
	s_waitcnt lgkmcnt(0)
	s_barrier
	s_and_saveexec_b64 s[2:3], vcc
	s_xor_b64 s[2:3], exec, s[2:3]
	s_andn2_saveexec_b64 s[2:3], s[2:3]
	s_cbranch_execz .LBB101_279
; %bb.276:
	s_waitcnt vmcnt(0)
	v_cmp_neq_f32_e32 vcc, 0, v155
	ds_write_b32 v156, v155
	s_and_saveexec_b64 s[4:5], vcc
	s_cbranch_execz .LBB101_278
; %bb.277:
	v_div_scale_f32 v157, s[10:11], v155, v155, 1.0
	v_rcp_f32_e32 v208, v157
	v_div_scale_f32 v209, vcc, 1.0, v155, 1.0
	v_fma_f32 v210, -v157, v208, 1.0
	v_fmac_f32_e32 v208, v210, v208
	v_mul_f32_e32 v210, v209, v208
	v_fma_f32 v211, -v157, v210, v209
	v_fmac_f32_e32 v210, v211, v208
	v_fma_f32 v157, -v157, v210, v209
	v_div_fmas_f32 v157, v157, v208, v210
	v_div_fixup_f32 v157, v157, v155, 1.0
	ds_write_b32 v156, v157
.LBB101_278:
	s_or_b64 exec, exec, s[4:5]
.LBB101_279:
	s_or_b64 exec, exec, s[2:3]
	s_waitcnt lgkmcnt(0)
	s_barrier
	ds_read_b32 v156, v156
	s_waitcnt lgkmcnt(0)
	s_barrier
	s_and_saveexec_b64 s[2:3], s[0:1]
	s_cbranch_execz .LBB101_282
; %bb.280:
	v_cmp_eq_f32_e32 vcc, 0, v158
	v_cmp_neq_f32_e64 s[0:1], 0, v159
	v_mov_b32_e32 v158, s6
	v_cndmask_b32_e64 v157, 0, 1, vcc
	s_or_b64 vcc, s[0:1], vcc
	v_cndmask_b32_e32 v157, 2, v157, vcc
	v_cmp_eq_f32_e32 vcc, 0, v160
	v_cmp_eq_u32_e64 s[0:1], 0, v157
	s_and_b64 s[0:1], vcc, s[0:1]
	v_cmp_eq_f32_e32 vcc, 0, v161
	v_cndmask_b32_e64 v157, v157, 3, s[0:1]
	v_cmp_eq_u32_e64 s[0:1], 0, v157
	s_and_b64 s[0:1], vcc, s[0:1]
	v_cmp_eq_f32_e32 vcc, 0, v162
	v_cndmask_b32_e64 v157, v157, 4, s[0:1]
	;; [unrolled: 4-line block ×21, first 2 shown]
	v_cmp_eq_u32_e64 s[0:1], 0, v157
	s_and_b64 s[0:1], vcc, s[0:1]
	v_mov_b32_e32 v159, s7
	v_cndmask_b32_e64 v157, v157, 24, s[0:1]
	v_cmp_eq_f32_e32 vcc, 0, v182
	v_cmp_eq_u32_e64 s[0:1], 0, v157
	v_lshl_add_u64 v[34:35], v[34:35], 2, v[158:159]
	s_and_b64 s[0:1], vcc, s[0:1]
	global_load_dword v158, v[34:35], off
	v_cndmask_b32_e64 v157, v157, 25, s[0:1]
	v_cmp_eq_f32_e32 vcc, 0, v183
	v_cmp_eq_u32_e64 s[0:1], 0, v157
	s_and_b64 s[0:1], vcc, s[0:1]
	v_cmp_eq_f32_e32 vcc, 0, v184
	v_cndmask_b32_e64 v157, v157, 26, s[0:1]
	v_cmp_eq_u32_e64 s[0:1], 0, v157
	s_and_b64 s[0:1], vcc, s[0:1]
	v_cmp_eq_f32_e32 vcc, 0, v185
	v_cndmask_b32_e64 v157, v157, 27, s[0:1]
	;; [unrolled: 4-line block ×25, first 2 shown]
	v_cmp_eq_u32_e64 s[0:1], 0, v157
	s_and_b64 s[0:1], vcc, s[0:1]
	s_waitcnt vmcnt(0)
	v_cmp_eq_u32_e32 vcc, 0, v158
	v_cndmask_b32_e64 v157, v157, 51, s[0:1]
	v_cmp_ne_u32_e64 s[0:1], 0, v157
	s_and_b64 s[0:1], vcc, s[0:1]
	s_and_b64 exec, exec, s[0:1]
	s_cbranch_execz .LBB101_282
; %bb.281:
	v_add_u32_e32 v157, s9, v157
	global_store_dword v[34:35], v157, off
.LBB101_282:
	s_or_b64 exec, exec, s[2:3]
	s_waitcnt vmcnt(0)
	v_mul_f32_e32 v34, v156, v155
	v_cmp_lt_u32_e32 vcc, 50, v25
	s_nop 1
	v_cndmask_b32_e32 v25, v155, v34, vcc
	global_store_dword v[0:1], v24, off
	global_store_dword v[2:3], v18, off
	;; [unrolled: 1-line block ×51, first 2 shown]
.LBB101_283:
	s_endpgm
	.section	.rodata,"a",@progbits
	.p2align	6, 0x0
	.amdhsa_kernel _ZN9rocsolver6v33100L23getf2_npvt_small_kernelILi51EfiiPfEEvT1_T3_lS3_lPT2_S3_S3_
		.amdhsa_group_segment_fixed_size 0
		.amdhsa_private_segment_fixed_size 0
		.amdhsa_kernarg_size 312
		.amdhsa_user_sgpr_count 2
		.amdhsa_user_sgpr_dispatch_ptr 0
		.amdhsa_user_sgpr_queue_ptr 0
		.amdhsa_user_sgpr_kernarg_segment_ptr 1
		.amdhsa_user_sgpr_dispatch_id 0
		.amdhsa_user_sgpr_kernarg_preload_length 0
		.amdhsa_user_sgpr_kernarg_preload_offset 0
		.amdhsa_user_sgpr_private_segment_size 0
		.amdhsa_uses_dynamic_stack 0
		.amdhsa_enable_private_segment 0
		.amdhsa_system_sgpr_workgroup_id_x 1
		.amdhsa_system_sgpr_workgroup_id_y 1
		.amdhsa_system_sgpr_workgroup_id_z 0
		.amdhsa_system_sgpr_workgroup_info 0
		.amdhsa_system_vgpr_workitem_id 1
		.amdhsa_next_free_vgpr 213
		.amdhsa_next_free_sgpr 16
		.amdhsa_accum_offset 216
		.amdhsa_reserve_vcc 1
		.amdhsa_float_round_mode_32 0
		.amdhsa_float_round_mode_16_64 0
		.amdhsa_float_denorm_mode_32 3
		.amdhsa_float_denorm_mode_16_64 3
		.amdhsa_dx10_clamp 1
		.amdhsa_ieee_mode 1
		.amdhsa_fp16_overflow 0
		.amdhsa_tg_split 0
		.amdhsa_exception_fp_ieee_invalid_op 0
		.amdhsa_exception_fp_denorm_src 0
		.amdhsa_exception_fp_ieee_div_zero 0
		.amdhsa_exception_fp_ieee_overflow 0
		.amdhsa_exception_fp_ieee_underflow 0
		.amdhsa_exception_fp_ieee_inexact 0
		.amdhsa_exception_int_div_zero 0
	.end_amdhsa_kernel
	.section	.text._ZN9rocsolver6v33100L23getf2_npvt_small_kernelILi51EfiiPfEEvT1_T3_lS3_lPT2_S3_S3_,"axG",@progbits,_ZN9rocsolver6v33100L23getf2_npvt_small_kernelILi51EfiiPfEEvT1_T3_lS3_lPT2_S3_S3_,comdat
.Lfunc_end101:
	.size	_ZN9rocsolver6v33100L23getf2_npvt_small_kernelILi51EfiiPfEEvT1_T3_lS3_lPT2_S3_S3_, .Lfunc_end101-_ZN9rocsolver6v33100L23getf2_npvt_small_kernelILi51EfiiPfEEvT1_T3_lS3_lPT2_S3_S3_
                                        ; -- End function
	.set _ZN9rocsolver6v33100L23getf2_npvt_small_kernelILi51EfiiPfEEvT1_T3_lS3_lPT2_S3_S3_.num_vgpr, 213
	.set _ZN9rocsolver6v33100L23getf2_npvt_small_kernelILi51EfiiPfEEvT1_T3_lS3_lPT2_S3_S3_.num_agpr, 0
	.set _ZN9rocsolver6v33100L23getf2_npvt_small_kernelILi51EfiiPfEEvT1_T3_lS3_lPT2_S3_S3_.numbered_sgpr, 16
	.set _ZN9rocsolver6v33100L23getf2_npvt_small_kernelILi51EfiiPfEEvT1_T3_lS3_lPT2_S3_S3_.num_named_barrier, 0
	.set _ZN9rocsolver6v33100L23getf2_npvt_small_kernelILi51EfiiPfEEvT1_T3_lS3_lPT2_S3_S3_.private_seg_size, 0
	.set _ZN9rocsolver6v33100L23getf2_npvt_small_kernelILi51EfiiPfEEvT1_T3_lS3_lPT2_S3_S3_.uses_vcc, 1
	.set _ZN9rocsolver6v33100L23getf2_npvt_small_kernelILi51EfiiPfEEvT1_T3_lS3_lPT2_S3_S3_.uses_flat_scratch, 0
	.set _ZN9rocsolver6v33100L23getf2_npvt_small_kernelILi51EfiiPfEEvT1_T3_lS3_lPT2_S3_S3_.has_dyn_sized_stack, 0
	.set _ZN9rocsolver6v33100L23getf2_npvt_small_kernelILi51EfiiPfEEvT1_T3_lS3_lPT2_S3_S3_.has_recursion, 0
	.set _ZN9rocsolver6v33100L23getf2_npvt_small_kernelILi51EfiiPfEEvT1_T3_lS3_lPT2_S3_S3_.has_indirect_call, 0
	.section	.AMDGPU.csdata,"",@progbits
; Kernel info:
; codeLenInByte = 35672
; TotalNumSgprs: 22
; NumVgprs: 213
; NumAgprs: 0
; TotalNumVgprs: 213
; ScratchSize: 0
; MemoryBound: 0
; FloatMode: 240
; IeeeMode: 1
; LDSByteSize: 0 bytes/workgroup (compile time only)
; SGPRBlocks: 2
; VGPRBlocks: 26
; NumSGPRsForWavesPerEU: 22
; NumVGPRsForWavesPerEU: 213
; AccumOffset: 216
; Occupancy: 2
; WaveLimiterHint : 0
; COMPUTE_PGM_RSRC2:SCRATCH_EN: 0
; COMPUTE_PGM_RSRC2:USER_SGPR: 2
; COMPUTE_PGM_RSRC2:TRAP_HANDLER: 0
; COMPUTE_PGM_RSRC2:TGID_X_EN: 1
; COMPUTE_PGM_RSRC2:TGID_Y_EN: 1
; COMPUTE_PGM_RSRC2:TGID_Z_EN: 0
; COMPUTE_PGM_RSRC2:TIDIG_COMP_CNT: 1
; COMPUTE_PGM_RSRC3_GFX90A:ACCUM_OFFSET: 53
; COMPUTE_PGM_RSRC3_GFX90A:TG_SPLIT: 0
	.section	.text._ZN9rocsolver6v33100L18getf2_small_kernelILi52EfiiPfEEvT1_T3_lS3_lPS3_llPT2_S3_S3_S5_l,"axG",@progbits,_ZN9rocsolver6v33100L18getf2_small_kernelILi52EfiiPfEEvT1_T3_lS3_lPS3_llPT2_S3_S3_S5_l,comdat
	.globl	_ZN9rocsolver6v33100L18getf2_small_kernelILi52EfiiPfEEvT1_T3_lS3_lPS3_llPT2_S3_S3_S5_l ; -- Begin function _ZN9rocsolver6v33100L18getf2_small_kernelILi52EfiiPfEEvT1_T3_lS3_lPS3_llPT2_S3_S3_S5_l
	.p2align	8
	.type	_ZN9rocsolver6v33100L18getf2_small_kernelILi52EfiiPfEEvT1_T3_lS3_lPS3_llPT2_S3_S3_S5_l,@function
_ZN9rocsolver6v33100L18getf2_small_kernelILi52EfiiPfEEvT1_T3_lS3_lPS3_llPT2_S3_S3_S5_l: ; @_ZN9rocsolver6v33100L18getf2_small_kernelILi52EfiiPfEEvT1_T3_lS3_lPS3_llPT2_S3_S3_S5_l
; %bb.0:
	s_load_dword s2, s[0:1], 0x6c
	s_load_dwordx2 s[18:19], s[0:1], 0x48
	v_bfe_u32 v57, v0, 10, 10
	s_waitcnt lgkmcnt(0)
	s_lshr_b32 s2, s2, 16
	s_mul_i32 s3, s3, s2
	v_add_u32_e32 v2, s3, v57
	v_cmp_gt_i32_e32 vcc, s18, v2
	s_and_saveexec_b64 s[2:3], vcc
	s_cbranch_execz .LBB102_881
; %bb.1:
	s_load_dwordx4 s[4:7], s[0:1], 0x50
	v_ashrrev_i32_e32 v3, 31, v2
	v_mov_b64_e32 v[4:5], 0
	s_waitcnt lgkmcnt(0)
	s_cmp_eq_u64 s[4:5], 0
	s_cselect_b64 s[20:21], -1, 0
	s_and_b64 vcc, exec, s[20:21]
	s_cbranch_vccnz .LBB102_3
; %bb.2:
	v_mul_lo_u32 v1, s7, v2
	v_mul_lo_u32 v6, s6, v3
	v_mad_u64_u32 v[4:5], s[2:3], s6, v2, 0
	v_add3_u32 v5, v5, v6, v1
	v_lshl_add_u64 v[4:5], v[4:5], 2, s[4:5]
.LBB102_3:
	s_load_dwordx4 s[12:15], s[0:1], 0x8
	s_load_dwordx8 s[4:11], s[0:1], 0x20
	s_load_dword s16, s[0:1], 0x18
	s_load_dword s22, s[0:1], 0x0
	v_and_b32_e32 v59, 0x3ff, v0
	s_waitcnt lgkmcnt(0)
	v_mov_b32_e32 v6, s12
	v_mul_lo_u32 v1, s5, v2
	v_mul_lo_u32 v10, s4, v3
	v_mad_u64_u32 v[8:9], s[2:3], s4, v2, 0
	v_mov_b32_e32 v7, s13
	v_add3_u32 v9, v9, v10, v1
	s_add_i32 s18, s16, s16
	v_lshl_add_u64 v[6:7], v[8:9], 2, v[6:7]
	v_add_u32_e32 v0, s18, v59
	v_lshl_add_u64 v[6:7], s[14:15], 2, v[6:7]
	v_ashrrev_i32_e32 v1, 31, v0
	v_lshl_add_u64 v[50:51], v[0:1], 2, v[6:7]
	v_add_u32_e32 v0, s16, v0
	v_ashrrev_i32_e32 v1, 31, v0
	v_lshl_add_u64 v[62:63], v[0:1], 2, v[6:7]
	v_add_u32_e32 v0, s16, v0
	;; [unrolled: 3-line block ×4, first 2 shown]
	v_ashrrev_i32_e32 v1, 31, v0
	v_add_u32_e32 v52, s16, v0
	v_lshl_add_u64 v[68:69], v[0:1], 2, v[6:7]
	v_add_u32_e32 v0, s16, v52
	v_ashrrev_i32_e32 v1, 31, v0
	v_lshl_add_u64 v[8:9], v[0:1], 2, v[6:7]
	v_add_u32_e32 v0, s16, v0
	v_ashrrev_i32_e32 v1, 31, v0
	;; [unrolled: 3-line block ×9, first 2 shown]
	global_load_dword v48, v[8:9], off
	global_load_dword v49, v[10:11], off
	global_load_dword v44, v[12:13], off
	global_load_dword v45, v[14:15], off
	global_load_dword v38, v[16:17], off
	global_load_dword v39, v[18:19], off
	global_load_dword v30, v[20:21], off
	global_load_dword v31, v[22:23], off
	v_lshl_add_u64 v[8:9], v[0:1], 2, v[6:7]
	v_add_u32_e32 v0, s16, v0
	v_ashrrev_i32_e32 v1, 31, v0
	v_lshl_add_u64 v[10:11], v[0:1], 2, v[6:7]
	v_add_u32_e32 v0, s16, v0
	v_ashrrev_i32_e32 v1, 31, v0
	v_lshl_add_u64 v[12:13], v[0:1], 2, v[6:7]
	v_add_u32_e32 v0, s16, v0
	v_ashrrev_i32_e32 v1, 31, v0
	v_lshl_add_u64 v[14:15], v[0:1], 2, v[6:7]
	v_add_u32_e32 v0, s16, v0
	v_ashrrev_i32_e32 v1, 31, v0
	v_lshl_add_u64 v[16:17], v[0:1], 2, v[6:7]
	v_add_u32_e32 v0, s16, v0
	v_ashrrev_i32_e32 v1, 31, v0
	v_lshl_add_u64 v[18:19], v[0:1], 2, v[6:7]
	v_add_u32_e32 v0, s16, v0
	v_ashrrev_i32_e32 v1, 31, v0
	v_lshl_add_u64 v[20:21], v[0:1], 2, v[6:7]
	v_add_u32_e32 v0, s16, v0
	v_ashrrev_i32_e32 v1, 31, v0
	v_lshl_add_u64 v[24:25], v[0:1], 2, v[6:7]
	v_add_u32_e32 v0, s16, v0
	v_ashrrev_i32_e32 v1, 31, v0
	global_load_dword v46, v[8:9], off
	global_load_dword v47, v[10:11], off
	global_load_dword v40, v[12:13], off
	global_load_dword v41, v[14:15], off
	global_load_dword v32, v[16:17], off
	global_load_dword v33, v[18:19], off
	global_load_dword v22, v[20:21], off
	global_load_dword v23, v[24:25], off
	v_lshl_add_u64 v[8:9], v[0:1], 2, v[6:7]
	v_add_u32_e32 v0, s16, v0
	v_ashrrev_i32_e32 v1, 31, v0
	v_lshl_add_u64 v[10:11], v[0:1], 2, v[6:7]
	v_add_u32_e32 v0, s16, v0
	v_ashrrev_i32_e32 v1, 31, v0
	v_lshl_add_u64 v[12:13], v[0:1], 2, v[6:7]
	v_add_u32_e32 v0, s16, v0
	v_ashrrev_i32_e32 v1, 31, v0
	v_lshl_add_u64 v[14:15], v[0:1], 2, v[6:7]
	v_add_u32_e32 v0, s16, v0
	v_ashrrev_i32_e32 v1, 31, v0
	v_lshl_add_u64 v[18:19], v[0:1], 2, v[6:7]
	v_add_u32_e32 v0, s16, v0
	v_ashrrev_i32_e32 v1, 31, v0
	v_lshl_add_u64 v[20:21], v[0:1], 2, v[6:7]
	v_add_u32_e32 v0, s16, v0
	v_ashrrev_i32_e32 v1, 31, v0
	v_lshl_add_u64 v[26:27], v[0:1], 2, v[6:7]
	v_add_u32_e32 v0, s16, v0
	v_ashrrev_i32_e32 v1, 31, v0
	v_lshl_add_u64 v[28:29], v[0:1], 2, v[6:7]
	v_add_u32_e32 v0, s16, v0
	v_ashrrev_i32_e32 v1, 31, v0
	;; [unrolled: 32-line block ×3, first 2 shown]
	global_load_dword v36, v[8:9], off
	global_load_dword v37, v[12:13], off
	;; [unrolled: 1-line block ×8, first 2 shown]
	v_lshl_add_u64 v[8:9], v[0:1], 2, v[6:7]
	v_add_u32_e32 v0, s16, v0
	v_ashrrev_i32_e32 v1, 31, v0
	v_lshl_add_u64 v[12:13], v[0:1], 2, v[6:7]
	v_add_u32_e32 v0, s16, v0
	v_ashrrev_i32_e32 v1, 31, v0
	v_lshl_add_u64 v[14:15], v[0:1], 2, v[6:7]
	v_add_u32_e32 v0, s16, v0
	v_ashrrev_i32_e32 v1, 31, v0
	v_lshl_add_u64 v[54:55], v[0:1], 2, v[6:7]
	v_add_u32_e32 v0, s16, v0
	v_ashrrev_i32_e32 v1, 31, v0
	v_lshl_add_u64 v[60:61], v[0:1], 2, v[6:7]
	v_add_u32_e32 v0, s16, v0
	v_ashrrev_i32_e32 v1, 31, v0
	v_lshl_add_u64 v[70:71], v[0:1], 2, v[6:7]
	v_add_u32_e32 v0, s16, v0
	v_add_u32_e32 v74, s16, v0
	v_ashrrev_i32_e32 v1, 31, v0
	v_ashrrev_i32_e32 v75, 31, v74
	v_lshl_add_u64 v[72:73], v[0:1], 2, v[6:7]
	v_lshl_add_u64 v[76:77], v[74:75], 2, v[6:7]
	global_load_dword v28, v[8:9], off
	global_load_dword v29, v[12:13], off
	;; [unrolled: 1-line block ×3, first 2 shown]
                                        ; kill: killed $vgpr8_vgpr9
                                        ; kill: killed $vgpr12_vgpr13
                                        ; kill: killed $vgpr14_vgpr15
	global_load_dword v21, v[54:55], off
	s_nop 0
	global_load_dword v14, v[60:61], off
	global_load_dword v15, v[70:71], off
	;; [unrolled: 1-line block ×4, first 2 shown]
	v_add_u32_e32 v8, s16, v74
	v_ashrrev_i32_e32 v9, 31, v8
	v_lshl_add_u64 v[54:55], v[8:9], 2, v[6:7]
	v_add_u32_e32 v8, s16, v8
	v_ashrrev_i32_e32 v9, 31, v8
	v_lshl_add_u64 v[60:61], v[8:9], 2, v[6:7]
	;; [unrolled: 3-line block ×4, first 2 shown]
	global_load_dword v12, v[54:55], off
	global_load_dword v13, v[60:61], off
	;; [unrolled: 1-line block ×4, first 2 shown]
	v_lshlrev_b32_e32 v60, 2, v59
	v_mov_b32_e32 v61, 0
	v_ashrrev_i32_e32 v53, 31, v52
	v_lshl_add_u64 v[54:55], v[6:7], 0, v[60:61]
	s_ashr_i32 s17, s16, 31
	global_load_dword v56, v[54:55], off
	v_lshl_add_u64 v[70:71], v[52:53], 2, v[6:7]
	v_lshl_add_u64 v[72:73], s[16:17], 2, v[54:55]
	global_load_dword v54, v[50:51], off
	global_load_dword v55, v[62:63], off
	;; [unrolled: 1-line block ×3, first 2 shown]
                                        ; kill: killed $vgpr50_vgpr51
                                        ; kill: killed $vgpr62_vgpr63
                                        ; kill: killed $vgpr64_vgpr65
	global_load_dword v53, v[66:67], off
	s_nop 0
	global_load_dword v50, v[68:69], off
	global_load_dword v51, v[70:71], off
	;; [unrolled: 1-line block ×3, first 2 shown]
	s_max_i32 s2, s22, 52
	v_mul_lo_u32 v62, s2, v57
	v_lshl_add_u32 v57, v62, 2, 0
	v_add_u32_e32 v60, v57, v60
	s_load_dwordx2 s[4:5], s[0:1], 0x40
	s_cmp_lt_i32 s22, 2
	v_lshlrev_b32_e32 v62, 2, v62
	s_waitcnt vmcnt(7)
	ds_write_b32 v60, v56
	s_waitcnt lgkmcnt(0)
	s_barrier
	ds_read_b32 v60, v57
	s_cbranch_scc1 .LBB102_6
; %bb.4:
	v_add3_u32 v63, v62, 0, 4
	v_mov_b32_e32 v61, 0
	s_mov_b32 s0, 1
.LBB102_5:                              ; =>This Inner Loop Header: Depth=1
	ds_read_b32 v64, v63
	v_mov_b32_e32 v65, s0
	s_add_i32 s0, s0, 1
	v_add_u32_e32 v63, 4, v63
	s_cmp_eq_u32 s22, s0
	s_waitcnt lgkmcnt(0)
	v_cmp_lt_f32_e64 vcc, |v60|, |v64|
	s_nop 1
	v_cndmask_b32_e32 v60, v60, v64, vcc
	v_cndmask_b32_e32 v61, v61, v65, vcc
	s_cbranch_scc0 .LBB102_5
.LBB102_6:
	v_cmp_ne_u32_e32 vcc, v59, v61
                                        ; implicit-def: $vgpr63
	s_and_saveexec_b64 s[0:1], vcc
	s_xor_b64 s[0:1], exec, s[0:1]
	s_cbranch_execz .LBB102_12
; %bb.7:
	v_cmp_eq_u32_e32 vcc, 0, v59
	s_and_saveexec_b64 s[2:3], vcc
	s_cbranch_execz .LBB102_11
; %bb.8:
	v_cmp_ne_u32_e32 vcc, 0, v61
	s_xor_b64 s[12:13], s[20:21], -1
	s_and_b64 s[14:15], s[12:13], vcc
	s_and_saveexec_b64 s[12:13], s[14:15]
	s_cbranch_execz .LBB102_10
; %bb.9:
	v_ashrrev_i32_e32 v65, 31, v61
	v_mov_b32_e32 v64, v61
	v_lshl_add_u64 v[64:65], v[64:65], 2, v[4:5]
	global_load_dword v59, v[64:65], off
	global_load_dword v63, v[4:5], off
	s_waitcnt vmcnt(1)
	global_store_dword v[4:5], v59, off
	s_waitcnt vmcnt(1)
	global_store_dword v[64:65], v63, off
.LBB102_10:
	s_or_b64 exec, exec, s[12:13]
	v_mov_b32_e32 v59, v61
.LBB102_11:
	s_or_b64 exec, exec, s[2:3]
	v_mov_b32_e32 v63, v59
                                        ; implicit-def: $vgpr59
.LBB102_12:
	s_or_saveexec_b64 s[0:1], s[0:1]
	v_mov_b32_e32 v61, v63
	s_xor_b64 exec, exec, s[0:1]
	s_cbranch_execz .LBB102_14
; %bb.13:
	v_mov_b32_e32 v63, 0
	v_mov_b32_e32 v61, v59
	s_waitcnt vmcnt(0)
	ds_write2_b32 v57, v58, v54 offset0:1 offset1:2
	ds_write2_b32 v57, v55, v52 offset0:3 offset1:4
	;; [unrolled: 1-line block ×25, first 2 shown]
	ds_write_b32 v57, v9 offset:204
.LBB102_14:
	s_or_b64 exec, exec, s[0:1]
	s_waitcnt lgkmcnt(0)
	v_cmp_eq_f32_e64 s[0:1], 0, v60
	v_cmp_lt_i32_e32 vcc, 0, v63
	s_barrier
	s_and_saveexec_b64 s[2:3], vcc
	s_cbranch_execz .LBB102_16
; %bb.15:
	v_div_scale_f32 v59, s[12:13], v60, v60, 1.0
	v_rcp_f32_e32 v64, v59
	v_div_scale_f32 v65, vcc, 1.0, v60, 1.0
	v_fma_f32 v66, -v59, v64, 1.0
	v_fmac_f32_e32 v64, v66, v64
	v_mul_f32_e32 v66, v65, v64
	v_fma_f32 v67, -v59, v66, v65
	v_fmac_f32_e32 v66, v67, v64
	v_fma_f32 v59, -v59, v66, v65
	v_div_fmas_f32 v59, v59, v64, v66
	v_div_fixup_f32 v59, v59, v60, 1.0
	v_cndmask_b32_e64 v59, v59, v60, s[0:1]
	ds_read_b32 v60, v57 offset:4
	ds_read2_b32 v[64:65], v57 offset0:2 offset1:3
	ds_read2_b32 v[66:67], v57 offset0:4 offset1:5
	;; [unrolled: 1-line block ×3, first 2 shown]
	v_mul_f32_e32 v56, v59, v56
	s_waitcnt vmcnt(0) lgkmcnt(3)
	v_fma_f32 v58, -v56, v60, v58
	s_waitcnt lgkmcnt(2)
	v_pk_fma_f32 v[54:55], v[56:57], v[64:65], v[54:55] op_sel_hi:[0,1,1] neg_lo:[1,0,0] neg_hi:[1,0,0]
	s_waitcnt lgkmcnt(1)
	v_pk_fma_f32 v[52:53], v[56:57], v[66:67], v[52:53] op_sel_hi:[0,1,1] neg_lo:[1,0,0] neg_hi:[1,0,0]
	ds_read2_b32 v[64:65], v57 offset0:8 offset1:9
	ds_read2_b32 v[66:67], v57 offset0:10 offset1:11
	ds_read2_b32 v[70:71], v57 offset0:12 offset1:13
	s_waitcnt lgkmcnt(3)
	v_pk_fma_f32 v[50:51], v[56:57], v[68:69], v[50:51] op_sel_hi:[0,1,1] neg_lo:[1,0,0] neg_hi:[1,0,0]
	ds_read2_b32 v[68:69], v57 offset0:14 offset1:15
	s_waitcnt lgkmcnt(3)
	v_pk_fma_f32 v[48:49], v[56:57], v[64:65], v[48:49] op_sel_hi:[0,1,1] neg_lo:[1,0,0] neg_hi:[1,0,0]
	s_waitcnt lgkmcnt(2)
	v_pk_fma_f32 v[44:45], v[56:57], v[66:67], v[44:45] op_sel_hi:[0,1,1] neg_lo:[1,0,0] neg_hi:[1,0,0]
	s_waitcnt lgkmcnt(1)
	v_pk_fma_f32 v[38:39], v[56:57], v[70:71], v[38:39] op_sel_hi:[0,1,1] neg_lo:[1,0,0] neg_hi:[1,0,0]
	ds_read2_b32 v[64:65], v57 offset0:16 offset1:17
	ds_read2_b32 v[66:67], v57 offset0:18 offset1:19
	ds_read2_b32 v[70:71], v57 offset0:20 offset1:21
	s_waitcnt lgkmcnt(3)
	v_pk_fma_f32 v[30:31], v[56:57], v[68:69], v[30:31] op_sel_hi:[0,1,1] neg_lo:[1,0,0] neg_hi:[1,0,0]
	ds_read2_b32 v[68:69], v57 offset0:22 offset1:23
	s_waitcnt lgkmcnt(3)
	v_pk_fma_f32 v[46:47], v[56:57], v[64:65], v[46:47] op_sel_hi:[0,1,1] neg_lo:[1,0,0] neg_hi:[1,0,0]
	s_waitcnt lgkmcnt(2)
	v_pk_fma_f32 v[40:41], v[56:57], v[66:67], v[40:41] op_sel_hi:[0,1,1] neg_lo:[1,0,0] neg_hi:[1,0,0]
	s_waitcnt lgkmcnt(1)
	v_pk_fma_f32 v[32:33], v[56:57], v[70:71], v[32:33] op_sel_hi:[0,1,1] neg_lo:[1,0,0] neg_hi:[1,0,0]
	ds_read2_b32 v[64:65], v57 offset0:24 offset1:25
	ds_read2_b32 v[66:67], v57 offset0:26 offset1:27
	ds_read2_b32 v[70:71], v57 offset0:28 offset1:29
	s_waitcnt lgkmcnt(3)
	v_pk_fma_f32 v[22:23], v[56:57], v[68:69], v[22:23] op_sel_hi:[0,1,1] neg_lo:[1,0,0] neg_hi:[1,0,0]
	ds_read2_b32 v[68:69], v57 offset0:30 offset1:31
	s_waitcnt lgkmcnt(3)
	v_pk_fma_f32 v[42:43], v[56:57], v[64:65], v[42:43] op_sel_hi:[0,1,1] neg_lo:[1,0,0] neg_hi:[1,0,0]
	s_waitcnt lgkmcnt(2)
	v_pk_fma_f32 v[34:35], v[56:57], v[66:67], v[34:35] op_sel_hi:[0,1,1] neg_lo:[1,0,0] neg_hi:[1,0,0]
	s_waitcnt lgkmcnt(1)
	v_pk_fma_f32 v[24:25], v[56:57], v[70:71], v[24:25] op_sel_hi:[0,1,1] neg_lo:[1,0,0] neg_hi:[1,0,0]
	ds_read2_b32 v[64:65], v57 offset0:32 offset1:33
	ds_read2_b32 v[66:67], v57 offset0:34 offset1:35
	ds_read2_b32 v[70:71], v57 offset0:36 offset1:37
	s_waitcnt lgkmcnt(3)
	v_pk_fma_f32 v[16:17], v[56:57], v[68:69], v[16:17] op_sel_hi:[0,1,1] neg_lo:[1,0,0] neg_hi:[1,0,0]
	ds_read2_b32 v[68:69], v57 offset0:38 offset1:39
	s_waitcnt lgkmcnt(3)
	v_pk_fma_f32 v[36:37], v[56:57], v[64:65], v[36:37] op_sel_hi:[0,1,1] neg_lo:[1,0,0] neg_hi:[1,0,0]
	ds_read2_b32 v[64:65], v57 offset0:40 offset1:41
	s_waitcnt lgkmcnt(3)
	v_pk_fma_f32 v[26:27], v[56:57], v[66:67], v[26:27] op_sel_hi:[0,1,1] neg_lo:[1,0,0] neg_hi:[1,0,0]
	s_waitcnt lgkmcnt(2)
	v_pk_fma_f32 v[18:19], v[56:57], v[70:71], v[18:19] op_sel_hi:[0,1,1] neg_lo:[1,0,0] neg_hi:[1,0,0]
	;; [unrolled: 2-line block ×3, first 2 shown]
	ds_read2_b32 v[66:67], v57 offset0:42 offset1:43
	ds_read2_b32 v[68:69], v57 offset0:44 offset1:45
	;; [unrolled: 1-line block ×3, first 2 shown]
	s_waitcnt lgkmcnt(3)
	v_pk_fma_f32 v[28:29], v[56:57], v[64:65], v[28:29] op_sel_hi:[0,1,1] neg_lo:[1,0,0] neg_hi:[1,0,0]
	ds_read2_b32 v[64:65], v57 offset0:48 offset1:49
	ds_read2_b32 v[72:73], v57 offset0:50 offset1:51
	s_waitcnt lgkmcnt(4)
	v_pk_fma_f32 v[20:21], v[56:57], v[66:67], v[20:21] op_sel_hi:[0,1,1] neg_lo:[1,0,0] neg_hi:[1,0,0]
	s_waitcnt lgkmcnt(3)
	v_pk_fma_f32 v[14:15], v[56:57], v[68:69], v[14:15] op_sel_hi:[0,1,1] neg_lo:[1,0,0] neg_hi:[1,0,0]
	;; [unrolled: 2-line block ×5, first 2 shown]
.LBB102_16:
	s_or_b64 exec, exec, s[2:3]
	v_lshl_add_u32 v59, v63, 2, v57
	s_barrier
	s_waitcnt vmcnt(0)
	ds_write_b32 v59, v58
	s_waitcnt lgkmcnt(0)
	s_barrier
	ds_read_b32 v59, v57 offset:4
	s_mov_b32 s2, 2
	s_cmp_lt_i32 s22, 3
	v_mov_b32_e32 v60, 1
	s_cbranch_scc1 .LBB102_19
; %bb.17:
	v_add3_u32 v64, v62, 0, 8
	v_mov_b32_e32 v60, 1
.LBB102_18:                             ; =>This Inner Loop Header: Depth=1
	ds_read_b32 v65, v64
	v_mov_b32_e32 v66, s2
	s_add_i32 s2, s2, 1
	v_add_u32_e32 v64, 4, v64
	s_cmp_lg_u32 s22, s2
	s_waitcnt lgkmcnt(0)
	v_cmp_lt_f32_e64 vcc, |v59|, |v65|
	s_nop 1
	v_cndmask_b32_e32 v59, v59, v65, vcc
	v_cndmask_b32_e32 v60, v60, v66, vcc
	s_cbranch_scc1 .LBB102_18
.LBB102_19:
	v_cmp_ne_u32_e32 vcc, v63, v60
	s_and_saveexec_b64 s[2:3], vcc
	s_xor_b64 s[2:3], exec, s[2:3]
	s_cbranch_execz .LBB102_25
; %bb.20:
	v_cmp_eq_u32_e32 vcc, 1, v63
	s_and_saveexec_b64 s[12:13], vcc
	s_cbranch_execz .LBB102_24
; %bb.21:
	v_cmp_ne_u32_e32 vcc, 1, v60
	s_xor_b64 s[14:15], s[20:21], -1
	s_and_b64 s[24:25], s[14:15], vcc
	s_and_saveexec_b64 s[14:15], s[24:25]
	s_cbranch_execz .LBB102_23
; %bb.22:
	v_ashrrev_i32_e32 v61, 31, v60
	v_lshl_add_u64 v[64:65], v[60:61], 2, v[4:5]
	global_load_dword v61, v[64:65], off
	global_load_dword v63, v[4:5], off offset:4
	s_waitcnt vmcnt(1)
	global_store_dword v[4:5], v61, off offset:4
	s_waitcnt vmcnt(1)
	global_store_dword v[64:65], v63, off
.LBB102_23:
	s_or_b64 exec, exec, s[14:15]
	v_mov_b32_e32 v61, v60
	v_mov_b32_e32 v63, v60
.LBB102_24:
	s_or_b64 exec, exec, s[12:13]
.LBB102_25:
	s_andn2_saveexec_b64 s[2:3], s[2:3]
	s_cbranch_execz .LBB102_27
; %bb.26:
	v_mov_b32_e32 v63, 1
	ds_write2_b32 v57, v54, v55 offset0:2 offset1:3
	ds_write2_b32 v57, v52, v53 offset0:4 offset1:5
	;; [unrolled: 1-line block ×25, first 2 shown]
.LBB102_27:
	s_or_b64 exec, exec, s[2:3]
	s_waitcnt lgkmcnt(0)
	v_cmp_neq_f32_e64 s[2:3], 0, v59
	v_cmp_lt_i32_e32 vcc, 1, v63
	s_barrier
	s_and_saveexec_b64 s[12:13], vcc
	s_cbranch_execz .LBB102_29
; %bb.28:
	v_div_scale_f32 v60, s[14:15], v59, v59, 1.0
	v_rcp_f32_e32 v64, v60
	v_div_scale_f32 v65, vcc, 1.0, v59, 1.0
	v_fma_f32 v66, -v60, v64, 1.0
	v_fmac_f32_e32 v64, v66, v64
	v_mul_f32_e32 v66, v65, v64
	v_fma_f32 v67, -v60, v66, v65
	v_fmac_f32_e32 v66, v67, v64
	v_fma_f32 v60, -v60, v66, v65
	v_div_fmas_f32 v60, v60, v64, v66
	ds_read2_b32 v[64:65], v57 offset0:2 offset1:3
	ds_read2_b32 v[66:67], v57 offset0:4 offset1:5
	;; [unrolled: 1-line block ×3, first 2 shown]
	v_div_fixup_f32 v60, v60, v59, 1.0
	v_cndmask_b32_e64 v59, v59, v60, s[2:3]
	v_mul_f32_e32 v58, v59, v58
	ds_read2_b32 v[70:71], v57 offset0:8 offset1:9
	s_waitcnt lgkmcnt(3)
	v_pk_fma_f32 v[54:55], v[58:59], v[64:65], v[54:55] op_sel_hi:[0,1,1] neg_lo:[1,0,0] neg_hi:[1,0,0]
	s_waitcnt lgkmcnt(2)
	v_pk_fma_f32 v[52:53], v[58:59], v[66:67], v[52:53] op_sel_hi:[0,1,1] neg_lo:[1,0,0] neg_hi:[1,0,0]
	s_waitcnt lgkmcnt(1)
	v_pk_fma_f32 v[50:51], v[58:59], v[68:69], v[50:51] op_sel_hi:[0,1,1] neg_lo:[1,0,0] neg_hi:[1,0,0]
	ds_read2_b32 v[64:65], v57 offset0:10 offset1:11
	ds_read2_b32 v[66:67], v57 offset0:12 offset1:13
	ds_read2_b32 v[68:69], v57 offset0:14 offset1:15
	s_waitcnt lgkmcnt(3)
	v_pk_fma_f32 v[48:49], v[58:59], v[70:71], v[48:49] op_sel_hi:[0,1,1] neg_lo:[1,0,0] neg_hi:[1,0,0]
	ds_read2_b32 v[70:71], v57 offset0:16 offset1:17
	s_waitcnt lgkmcnt(3)
	v_pk_fma_f32 v[44:45], v[58:59], v[64:65], v[44:45] op_sel_hi:[0,1,1] neg_lo:[1,0,0] neg_hi:[1,0,0]
	s_waitcnt lgkmcnt(2)
	v_pk_fma_f32 v[38:39], v[58:59], v[66:67], v[38:39] op_sel_hi:[0,1,1] neg_lo:[1,0,0] neg_hi:[1,0,0]
	s_waitcnt lgkmcnt(1)
	v_pk_fma_f32 v[30:31], v[58:59], v[68:69], v[30:31] op_sel_hi:[0,1,1] neg_lo:[1,0,0] neg_hi:[1,0,0]
	ds_read2_b32 v[64:65], v57 offset0:18 offset1:19
	ds_read2_b32 v[66:67], v57 offset0:20 offset1:21
	ds_read2_b32 v[68:69], v57 offset0:22 offset1:23
	s_waitcnt lgkmcnt(3)
	v_pk_fma_f32 v[46:47], v[58:59], v[70:71], v[46:47] op_sel_hi:[0,1,1] neg_lo:[1,0,0] neg_hi:[1,0,0]
	;; [unrolled: 12-line block ×3, first 2 shown]
	ds_read2_b32 v[70:71], v57 offset0:32 offset1:33
	s_waitcnt lgkmcnt(3)
	v_pk_fma_f32 v[34:35], v[58:59], v[64:65], v[34:35] op_sel_hi:[0,1,1] neg_lo:[1,0,0] neg_hi:[1,0,0]
	s_waitcnt lgkmcnt(2)
	v_pk_fma_f32 v[24:25], v[58:59], v[66:67], v[24:25] op_sel_hi:[0,1,1] neg_lo:[1,0,0] neg_hi:[1,0,0]
	;; [unrolled: 2-line block ×3, first 2 shown]
	ds_read2_b32 v[64:65], v57 offset0:34 offset1:35
	ds_read2_b32 v[66:67], v57 offset0:36 offset1:37
	;; [unrolled: 1-line block ×4, first 2 shown]
	s_waitcnt lgkmcnt(4)
	v_pk_fma_f32 v[36:37], v[58:59], v[70:71], v[36:37] op_sel_hi:[0,1,1] neg_lo:[1,0,0] neg_hi:[1,0,0]
	s_waitcnt lgkmcnt(3)
	v_pk_fma_f32 v[26:27], v[58:59], v[64:65], v[26:27] op_sel_hi:[0,1,1] neg_lo:[1,0,0] neg_hi:[1,0,0]
	;; [unrolled: 2-line block ×5, first 2 shown]
	ds_read2_b32 v[64:65], v57 offset0:42 offset1:43
	ds_read2_b32 v[66:67], v57 offset0:44 offset1:45
	;; [unrolled: 1-line block ×5, first 2 shown]
	s_waitcnt lgkmcnt(4)
	v_pk_fma_f32 v[20:21], v[58:59], v[64:65], v[20:21] op_sel_hi:[0,1,1] neg_lo:[1,0,0] neg_hi:[1,0,0]
	s_waitcnt lgkmcnt(3)
	v_pk_fma_f32 v[14:15], v[58:59], v[66:67], v[14:15] op_sel_hi:[0,1,1] neg_lo:[1,0,0] neg_hi:[1,0,0]
	;; [unrolled: 2-line block ×5, first 2 shown]
.LBB102_29:
	s_or_b64 exec, exec, s[12:13]
	v_lshl_add_u32 v59, v63, 2, v57
	s_barrier
	ds_write_b32 v59, v54
	s_waitcnt lgkmcnt(0)
	s_barrier
	ds_read_b32 v64, v57 offset:8
	s_cmp_lt_i32 s22, 4
	v_mov_b32_e32 v60, 2
	s_cbranch_scc1 .LBB102_32
; %bb.30:
	v_mov_b32_e32 v60, 2
	v_add3_u32 v59, v62, 0, 12
	s_mov_b32 s12, 3
.LBB102_31:                             ; =>This Inner Loop Header: Depth=1
	ds_read_b32 v65, v59
	v_mov_b32_e32 v66, s12
	s_add_i32 s12, s12, 1
	v_add_u32_e32 v59, 4, v59
	s_cmp_lg_u32 s22, s12
	s_waitcnt lgkmcnt(0)
	v_cmp_lt_f32_e64 vcc, |v64|, |v65|
	s_nop 1
	v_cndmask_b32_e32 v64, v64, v65, vcc
	v_cndmask_b32_e32 v60, v60, v66, vcc
	s_cbranch_scc1 .LBB102_31
.LBB102_32:
	v_cndmask_b32_e64 v59, 2, 1, s[0:1]
	v_cndmask_b32_e64 v65, 0, 1, s[0:1]
	;; [unrolled: 1-line block ×3, first 2 shown]
	s_waitcnt lgkmcnt(0)
	v_cmp_eq_f32_e32 vcc, 0, v64
	s_and_saveexec_b64 s[0:1], vcc
	s_xor_b64 s[0:1], exec, s[0:1]
; %bb.33:
	v_cmp_ne_u32_e32 vcc, 0, v59
	s_nop 1
	v_cndmask_b32_e32 v59, 3, v59, vcc
; %bb.34:
	s_andn2_saveexec_b64 s[0:1], s[0:1]
	s_cbranch_execz .LBB102_36
; %bb.35:
	v_div_scale_f32 v65, s[2:3], v64, v64, 1.0
	v_rcp_f32_e32 v66, v65
	v_div_scale_f32 v67, vcc, 1.0, v64, 1.0
	v_fma_f32 v68, -v65, v66, 1.0
	v_fmac_f32_e32 v66, v68, v66
	v_mul_f32_e32 v68, v67, v66
	v_fma_f32 v69, -v65, v68, v67
	v_fmac_f32_e32 v68, v69, v66
	v_fma_f32 v65, -v65, v68, v67
	v_div_fmas_f32 v65, v65, v66, v68
	v_div_fixup_f32 v64, v65, v64, 1.0
.LBB102_36:
	s_or_b64 exec, exec, s[0:1]
	v_cmp_ne_u32_e32 vcc, v63, v60
	s_and_saveexec_b64 s[0:1], vcc
	s_xor_b64 s[0:1], exec, s[0:1]
	s_cbranch_execz .LBB102_42
; %bb.37:
	v_cmp_eq_u32_e32 vcc, 2, v63
	s_and_saveexec_b64 s[2:3], vcc
	s_cbranch_execz .LBB102_41
; %bb.38:
	v_cmp_ne_u32_e32 vcc, 2, v60
	s_xor_b64 s[12:13], s[20:21], -1
	s_and_b64 s[14:15], s[12:13], vcc
	s_and_saveexec_b64 s[12:13], s[14:15]
	s_cbranch_execz .LBB102_40
; %bb.39:
	v_ashrrev_i32_e32 v61, 31, v60
	v_lshl_add_u64 v[66:67], v[60:61], 2, v[4:5]
	global_load_dword v61, v[66:67], off
	global_load_dword v63, v[4:5], off offset:8
	s_waitcnt vmcnt(1)
	global_store_dword v[4:5], v61, off offset:8
	s_waitcnt vmcnt(1)
	global_store_dword v[66:67], v63, off
.LBB102_40:
	s_or_b64 exec, exec, s[12:13]
	v_mov_b32_e32 v61, v60
	v_mov_b32_e32 v63, v60
.LBB102_41:
	s_or_b64 exec, exec, s[2:3]
.LBB102_42:
	s_andn2_saveexec_b64 s[0:1], s[0:1]
	s_cbranch_execz .LBB102_44
; %bb.43:
	v_pk_mov_b32 v[66:67], v[54:55], v[52:53] op_sel:[1,0]
	ds_write2_b32 v57, v66, v67 offset0:3 offset1:4
	v_pk_mov_b32 v[66:67], v[52:53], v[50:51] op_sel:[1,0]
	ds_write2_b32 v57, v66, v67 offset0:5 offset1:6
	;; [unrolled: 2-line block ×23, first 2 shown]
	v_pk_mov_b32 v[66:67], v[12:13], v[8:9] op_sel:[1,0]
	v_mov_b32_e32 v63, 2
	ds_write2_b32 v57, v66, v67 offset0:49 offset1:50
	ds_write_b32 v57, v9 offset:204
.LBB102_44:
	s_or_b64 exec, exec, s[0:1]
	v_cmp_lt_i32_e32 vcc, 2, v63
	s_waitcnt lgkmcnt(0)
	s_barrier
	s_and_saveexec_b64 s[0:1], vcc
	s_cbranch_execz .LBB102_46
; %bb.45:
	ds_read_b32 v60, v57 offset:12
	v_mul_f32_e32 v54, v64, v54
	ds_read2_b32 v[64:65], v57 offset0:4 offset1:5
	s_waitcnt lgkmcnt(1)
	v_fma_f32 v55, -v54, v60, v55
	s_waitcnt lgkmcnt(0)
	v_pk_fma_f32 v[52:53], v[54:55], v[64:65], v[52:53] op_sel_hi:[0,1,1] neg_lo:[1,0,0] neg_hi:[1,0,0]
	ds_read2_b32 v[64:65], v57 offset0:6 offset1:7
	s_waitcnt lgkmcnt(0)
	v_pk_fma_f32 v[50:51], v[54:55], v[64:65], v[50:51] op_sel_hi:[0,1,1] neg_lo:[1,0,0] neg_hi:[1,0,0]
	ds_read2_b32 v[64:65], v57 offset0:8 offset1:9
	;; [unrolled: 3-line block ×23, first 2 shown]
	s_waitcnt lgkmcnt(0)
	v_pk_fma_f32 v[8:9], v[54:55], v[64:65], v[8:9] op_sel_hi:[0,1,1] neg_lo:[1,0,0] neg_hi:[1,0,0]
.LBB102_46:
	s_or_b64 exec, exec, s[0:1]
	v_lshl_add_u32 v60, v63, 2, v57
	s_barrier
	ds_write_b32 v60, v55
	s_waitcnt lgkmcnt(0)
	s_barrier
	ds_read_b32 v64, v57 offset:12
	s_cmp_lt_i32 s22, 5
	v_mov_b32_e32 v60, 3
	s_cbranch_scc1 .LBB102_49
; %bb.47:
	v_add3_u32 v65, v62, 0, 16
	v_mov_b32_e32 v60, 3
	s_mov_b32 s0, 4
.LBB102_48:                             ; =>This Inner Loop Header: Depth=1
	ds_read_b32 v66, v65
	v_mov_b32_e32 v67, s0
	s_add_i32 s0, s0, 1
	v_add_u32_e32 v65, 4, v65
	s_cmp_lg_u32 s22, s0
	s_waitcnt lgkmcnt(0)
	v_cmp_lt_f32_e64 vcc, |v64|, |v66|
	s_nop 1
	v_cndmask_b32_e32 v64, v64, v66, vcc
	v_cndmask_b32_e32 v60, v60, v67, vcc
	s_cbranch_scc1 .LBB102_48
.LBB102_49:
	s_waitcnt lgkmcnt(0)
	v_cmp_eq_f32_e32 vcc, 0, v64
	s_and_saveexec_b64 s[0:1], vcc
	s_xor_b64 s[0:1], exec, s[0:1]
; %bb.50:
	v_cmp_ne_u32_e32 vcc, 0, v59
	s_nop 1
	v_cndmask_b32_e32 v59, 4, v59, vcc
; %bb.51:
	s_andn2_saveexec_b64 s[0:1], s[0:1]
	s_cbranch_execz .LBB102_53
; %bb.52:
	v_div_scale_f32 v65, s[2:3], v64, v64, 1.0
	v_rcp_f32_e32 v66, v65
	v_div_scale_f32 v67, vcc, 1.0, v64, 1.0
	v_fma_f32 v68, -v65, v66, 1.0
	v_fmac_f32_e32 v66, v68, v66
	v_mul_f32_e32 v68, v67, v66
	v_fma_f32 v69, -v65, v68, v67
	v_fmac_f32_e32 v68, v69, v66
	v_fma_f32 v65, -v65, v68, v67
	v_div_fmas_f32 v65, v65, v66, v68
	v_div_fixup_f32 v64, v65, v64, 1.0
.LBB102_53:
	s_or_b64 exec, exec, s[0:1]
	v_cmp_ne_u32_e32 vcc, v63, v60
	s_and_saveexec_b64 s[0:1], vcc
	s_xor_b64 s[0:1], exec, s[0:1]
	s_cbranch_execz .LBB102_59
; %bb.54:
	v_cmp_eq_u32_e32 vcc, 3, v63
	s_and_saveexec_b64 s[2:3], vcc
	s_cbranch_execz .LBB102_58
; %bb.55:
	v_cmp_ne_u32_e32 vcc, 3, v60
	s_xor_b64 s[12:13], s[20:21], -1
	s_and_b64 s[14:15], s[12:13], vcc
	s_and_saveexec_b64 s[12:13], s[14:15]
	s_cbranch_execz .LBB102_57
; %bb.56:
	v_ashrrev_i32_e32 v61, 31, v60
	v_lshl_add_u64 v[66:67], v[60:61], 2, v[4:5]
	global_load_dword v61, v[66:67], off
	global_load_dword v63, v[4:5], off offset:12
	s_waitcnt vmcnt(1)
	global_store_dword v[4:5], v61, off offset:12
	s_waitcnt vmcnt(1)
	global_store_dword v[66:67], v63, off
.LBB102_57:
	s_or_b64 exec, exec, s[12:13]
	v_mov_b32_e32 v61, v60
	v_mov_b32_e32 v63, v60
.LBB102_58:
	s_or_b64 exec, exec, s[2:3]
.LBB102_59:
	s_andn2_saveexec_b64 s[0:1], s[0:1]
	s_cbranch_execz .LBB102_61
; %bb.60:
	v_mov_b32_e32 v63, 3
	ds_write2_b32 v57, v52, v53 offset0:4 offset1:5
	ds_write2_b32 v57, v50, v51 offset0:6 offset1:7
	ds_write2_b32 v57, v48, v49 offset0:8 offset1:9
	ds_write2_b32 v57, v44, v45 offset0:10 offset1:11
	ds_write2_b32 v57, v38, v39 offset0:12 offset1:13
	ds_write2_b32 v57, v30, v31 offset0:14 offset1:15
	ds_write2_b32 v57, v46, v47 offset0:16 offset1:17
	ds_write2_b32 v57, v40, v41 offset0:18 offset1:19
	ds_write2_b32 v57, v32, v33 offset0:20 offset1:21
	ds_write2_b32 v57, v22, v23 offset0:22 offset1:23
	ds_write2_b32 v57, v42, v43 offset0:24 offset1:25
	ds_write2_b32 v57, v34, v35 offset0:26 offset1:27
	ds_write2_b32 v57, v24, v25 offset0:28 offset1:29
	ds_write2_b32 v57, v16, v17 offset0:30 offset1:31
	ds_write2_b32 v57, v36, v37 offset0:32 offset1:33
	ds_write2_b32 v57, v26, v27 offset0:34 offset1:35
	ds_write2_b32 v57, v18, v19 offset0:36 offset1:37
	ds_write2_b32 v57, v10, v11 offset0:38 offset1:39
	ds_write2_b32 v57, v28, v29 offset0:40 offset1:41
	ds_write2_b32 v57, v20, v21 offset0:42 offset1:43
	ds_write2_b32 v57, v14, v15 offset0:44 offset1:45
	ds_write2_b32 v57, v0, v1 offset0:46 offset1:47
	ds_write2_b32 v57, v12, v13 offset0:48 offset1:49
	ds_write2_b32 v57, v8, v9 offset0:50 offset1:51
.LBB102_61:
	s_or_b64 exec, exec, s[0:1]
	v_cmp_lt_i32_e32 vcc, 3, v63
	s_waitcnt lgkmcnt(0)
	s_barrier
	s_and_saveexec_b64 s[0:1], vcc
	s_cbranch_execz .LBB102_63
; %bb.62:
	v_mul_f32_e32 v60, v64, v55
	ds_read2_b32 v[64:65], v57 offset0:4 offset1:5
	v_mov_b32_e32 v55, v60
	s_waitcnt lgkmcnt(0)
	v_pk_fma_f32 v[52:53], v[60:61], v[64:65], v[52:53] op_sel_hi:[0,1,1] neg_lo:[1,0,0] neg_hi:[1,0,0]
	ds_read2_b32 v[64:65], v57 offset0:6 offset1:7
	s_waitcnt lgkmcnt(0)
	v_pk_fma_f32 v[50:51], v[60:61], v[64:65], v[50:51] op_sel_hi:[0,1,1] neg_lo:[1,0,0] neg_hi:[1,0,0]
	ds_read2_b32 v[64:65], v57 offset0:8 offset1:9
	s_waitcnt lgkmcnt(0)
	v_pk_fma_f32 v[48:49], v[60:61], v[64:65], v[48:49] op_sel_hi:[0,1,1] neg_lo:[1,0,0] neg_hi:[1,0,0]
	ds_read2_b32 v[64:65], v57 offset0:10 offset1:11
	s_waitcnt lgkmcnt(0)
	v_pk_fma_f32 v[44:45], v[60:61], v[64:65], v[44:45] op_sel_hi:[0,1,1] neg_lo:[1,0,0] neg_hi:[1,0,0]
	ds_read2_b32 v[64:65], v57 offset0:12 offset1:13
	s_waitcnt lgkmcnt(0)
	v_pk_fma_f32 v[38:39], v[60:61], v[64:65], v[38:39] op_sel_hi:[0,1,1] neg_lo:[1,0,0] neg_hi:[1,0,0]
	ds_read2_b32 v[64:65], v57 offset0:14 offset1:15
	s_waitcnt lgkmcnt(0)
	v_pk_fma_f32 v[30:31], v[60:61], v[64:65], v[30:31] op_sel_hi:[0,1,1] neg_lo:[1,0,0] neg_hi:[1,0,0]
	ds_read2_b32 v[64:65], v57 offset0:16 offset1:17
	s_waitcnt lgkmcnt(0)
	v_pk_fma_f32 v[46:47], v[60:61], v[64:65], v[46:47] op_sel_hi:[0,1,1] neg_lo:[1,0,0] neg_hi:[1,0,0]
	ds_read2_b32 v[64:65], v57 offset0:18 offset1:19
	s_waitcnt lgkmcnt(0)
	v_pk_fma_f32 v[40:41], v[60:61], v[64:65], v[40:41] op_sel_hi:[0,1,1] neg_lo:[1,0,0] neg_hi:[1,0,0]
	ds_read2_b32 v[64:65], v57 offset0:20 offset1:21
	s_waitcnt lgkmcnt(0)
	v_pk_fma_f32 v[32:33], v[60:61], v[64:65], v[32:33] op_sel_hi:[0,1,1] neg_lo:[1,0,0] neg_hi:[1,0,0]
	ds_read2_b32 v[64:65], v57 offset0:22 offset1:23
	s_waitcnt lgkmcnt(0)
	v_pk_fma_f32 v[22:23], v[60:61], v[64:65], v[22:23] op_sel_hi:[0,1,1] neg_lo:[1,0,0] neg_hi:[1,0,0]
	ds_read2_b32 v[64:65], v57 offset0:24 offset1:25
	s_waitcnt lgkmcnt(0)
	v_pk_fma_f32 v[42:43], v[60:61], v[64:65], v[42:43] op_sel_hi:[0,1,1] neg_lo:[1,0,0] neg_hi:[1,0,0]
	ds_read2_b32 v[64:65], v57 offset0:26 offset1:27
	s_waitcnt lgkmcnt(0)
	v_pk_fma_f32 v[34:35], v[60:61], v[64:65], v[34:35] op_sel_hi:[0,1,1] neg_lo:[1,0,0] neg_hi:[1,0,0]
	ds_read2_b32 v[64:65], v57 offset0:28 offset1:29
	s_waitcnt lgkmcnt(0)
	v_pk_fma_f32 v[24:25], v[60:61], v[64:65], v[24:25] op_sel_hi:[0,1,1] neg_lo:[1,0,0] neg_hi:[1,0,0]
	ds_read2_b32 v[64:65], v57 offset0:30 offset1:31
	s_waitcnt lgkmcnt(0)
	v_pk_fma_f32 v[16:17], v[60:61], v[64:65], v[16:17] op_sel_hi:[0,1,1] neg_lo:[1,0,0] neg_hi:[1,0,0]
	ds_read2_b32 v[64:65], v57 offset0:32 offset1:33
	s_waitcnt lgkmcnt(0)
	v_pk_fma_f32 v[36:37], v[60:61], v[64:65], v[36:37] op_sel_hi:[0,1,1] neg_lo:[1,0,0] neg_hi:[1,0,0]
	ds_read2_b32 v[64:65], v57 offset0:34 offset1:35
	s_waitcnt lgkmcnt(0)
	v_pk_fma_f32 v[26:27], v[60:61], v[64:65], v[26:27] op_sel_hi:[0,1,1] neg_lo:[1,0,0] neg_hi:[1,0,0]
	ds_read2_b32 v[64:65], v57 offset0:36 offset1:37
	s_waitcnt lgkmcnt(0)
	v_pk_fma_f32 v[18:19], v[60:61], v[64:65], v[18:19] op_sel_hi:[0,1,1] neg_lo:[1,0,0] neg_hi:[1,0,0]
	ds_read2_b32 v[64:65], v57 offset0:38 offset1:39
	s_waitcnt lgkmcnt(0)
	v_pk_fma_f32 v[10:11], v[60:61], v[64:65], v[10:11] op_sel_hi:[0,1,1] neg_lo:[1,0,0] neg_hi:[1,0,0]
	ds_read2_b32 v[64:65], v57 offset0:40 offset1:41
	s_waitcnt lgkmcnt(0)
	v_pk_fma_f32 v[28:29], v[60:61], v[64:65], v[28:29] op_sel_hi:[0,1,1] neg_lo:[1,0,0] neg_hi:[1,0,0]
	ds_read2_b32 v[64:65], v57 offset0:42 offset1:43
	s_waitcnt lgkmcnt(0)
	v_pk_fma_f32 v[20:21], v[60:61], v[64:65], v[20:21] op_sel_hi:[0,1,1] neg_lo:[1,0,0] neg_hi:[1,0,0]
	ds_read2_b32 v[64:65], v57 offset0:44 offset1:45
	s_waitcnt lgkmcnt(0)
	v_pk_fma_f32 v[14:15], v[60:61], v[64:65], v[14:15] op_sel_hi:[0,1,1] neg_lo:[1,0,0] neg_hi:[1,0,0]
	ds_read2_b32 v[64:65], v57 offset0:46 offset1:47
	s_waitcnt lgkmcnt(0)
	v_pk_fma_f32 v[0:1], v[60:61], v[64:65], v[0:1] op_sel_hi:[0,1,1] neg_lo:[1,0,0] neg_hi:[1,0,0]
	ds_read2_b32 v[64:65], v57 offset0:48 offset1:49
	s_waitcnt lgkmcnt(0)
	v_pk_fma_f32 v[12:13], v[60:61], v[64:65], v[12:13] op_sel_hi:[0,1,1] neg_lo:[1,0,0] neg_hi:[1,0,0]
	ds_read2_b32 v[64:65], v57 offset0:50 offset1:51
	s_waitcnt lgkmcnt(0)
	v_pk_fma_f32 v[8:9], v[60:61], v[64:65], v[8:9] op_sel_hi:[0,1,1] neg_lo:[1,0,0] neg_hi:[1,0,0]
.LBB102_63:
	s_or_b64 exec, exec, s[0:1]
	v_lshl_add_u32 v60, v63, 2, v57
	s_barrier
	ds_write_b32 v60, v52
	s_waitcnt lgkmcnt(0)
	s_barrier
	ds_read_b32 v64, v57 offset:16
	s_cmp_lt_i32 s22, 6
	v_mov_b32_e32 v60, 4
	s_cbranch_scc1 .LBB102_66
; %bb.64:
	v_add3_u32 v65, v62, 0, 20
	v_mov_b32_e32 v60, 4
	s_mov_b32 s0, 5
.LBB102_65:                             ; =>This Inner Loop Header: Depth=1
	ds_read_b32 v66, v65
	v_mov_b32_e32 v67, s0
	s_add_i32 s0, s0, 1
	v_add_u32_e32 v65, 4, v65
	s_cmp_lg_u32 s22, s0
	s_waitcnt lgkmcnt(0)
	v_cmp_lt_f32_e64 vcc, |v64|, |v66|
	s_nop 1
	v_cndmask_b32_e32 v64, v64, v66, vcc
	v_cndmask_b32_e32 v60, v60, v67, vcc
	s_cbranch_scc1 .LBB102_65
.LBB102_66:
	s_waitcnt lgkmcnt(0)
	v_cmp_eq_f32_e32 vcc, 0, v64
	s_and_saveexec_b64 s[0:1], vcc
	s_xor_b64 s[0:1], exec, s[0:1]
; %bb.67:
	v_cmp_ne_u32_e32 vcc, 0, v59
	s_nop 1
	v_cndmask_b32_e32 v59, 5, v59, vcc
; %bb.68:
	s_andn2_saveexec_b64 s[0:1], s[0:1]
	s_cbranch_execz .LBB102_70
; %bb.69:
	v_div_scale_f32 v65, s[2:3], v64, v64, 1.0
	v_rcp_f32_e32 v66, v65
	v_div_scale_f32 v67, vcc, 1.0, v64, 1.0
	v_fma_f32 v68, -v65, v66, 1.0
	v_fmac_f32_e32 v66, v68, v66
	v_mul_f32_e32 v68, v67, v66
	v_fma_f32 v69, -v65, v68, v67
	v_fmac_f32_e32 v68, v69, v66
	v_fma_f32 v65, -v65, v68, v67
	v_div_fmas_f32 v65, v65, v66, v68
	v_div_fixup_f32 v64, v65, v64, 1.0
.LBB102_70:
	s_or_b64 exec, exec, s[0:1]
	v_cmp_ne_u32_e32 vcc, v63, v60
	s_and_saveexec_b64 s[0:1], vcc
	s_xor_b64 s[0:1], exec, s[0:1]
	s_cbranch_execz .LBB102_76
; %bb.71:
	v_cmp_eq_u32_e32 vcc, 4, v63
	s_and_saveexec_b64 s[2:3], vcc
	s_cbranch_execz .LBB102_75
; %bb.72:
	v_cmp_ne_u32_e32 vcc, 4, v60
	s_xor_b64 s[12:13], s[20:21], -1
	s_and_b64 s[14:15], s[12:13], vcc
	s_and_saveexec_b64 s[12:13], s[14:15]
	s_cbranch_execz .LBB102_74
; %bb.73:
	v_ashrrev_i32_e32 v61, 31, v60
	v_lshl_add_u64 v[66:67], v[60:61], 2, v[4:5]
	global_load_dword v61, v[66:67], off
	global_load_dword v63, v[4:5], off offset:16
	s_waitcnt vmcnt(1)
	global_store_dword v[4:5], v61, off offset:16
	s_waitcnt vmcnt(1)
	global_store_dword v[66:67], v63, off
.LBB102_74:
	s_or_b64 exec, exec, s[12:13]
	v_mov_b32_e32 v61, v60
	v_mov_b32_e32 v63, v60
.LBB102_75:
	s_or_b64 exec, exec, s[2:3]
.LBB102_76:
	s_andn2_saveexec_b64 s[0:1], s[0:1]
	s_cbranch_execz .LBB102_78
; %bb.77:
	v_pk_mov_b32 v[66:67], v[52:53], v[50:51] op_sel:[1,0]
	ds_write2_b32 v57, v66, v67 offset0:5 offset1:6
	v_pk_mov_b32 v[66:67], v[50:51], v[48:49] op_sel:[1,0]
	ds_write2_b32 v57, v66, v67 offset0:7 offset1:8
	;; [unrolled: 2-line block ×22, first 2 shown]
	v_pk_mov_b32 v[66:67], v[12:13], v[8:9] op_sel:[1,0]
	v_mov_b32_e32 v63, 4
	ds_write2_b32 v57, v66, v67 offset0:49 offset1:50
	ds_write_b32 v57, v9 offset:204
.LBB102_78:
	s_or_b64 exec, exec, s[0:1]
	v_cmp_lt_i32_e32 vcc, 4, v63
	s_waitcnt lgkmcnt(0)
	s_barrier
	s_and_saveexec_b64 s[0:1], vcc
	s_cbranch_execz .LBB102_80
; %bb.79:
	ds_read_b32 v60, v57 offset:20
	v_mul_f32_e32 v52, v64, v52
	ds_read2_b32 v[64:65], v57 offset0:6 offset1:7
	s_waitcnt lgkmcnt(1)
	v_fma_f32 v53, -v52, v60, v53
	s_waitcnt lgkmcnt(0)
	v_pk_fma_f32 v[50:51], v[52:53], v[64:65], v[50:51] op_sel_hi:[0,1,1] neg_lo:[1,0,0] neg_hi:[1,0,0]
	ds_read2_b32 v[64:65], v57 offset0:8 offset1:9
	s_waitcnt lgkmcnt(0)
	v_pk_fma_f32 v[48:49], v[52:53], v[64:65], v[48:49] op_sel_hi:[0,1,1] neg_lo:[1,0,0] neg_hi:[1,0,0]
	ds_read2_b32 v[64:65], v57 offset0:10 offset1:11
	;; [unrolled: 3-line block ×22, first 2 shown]
	s_waitcnt lgkmcnt(0)
	v_pk_fma_f32 v[8:9], v[52:53], v[64:65], v[8:9] op_sel_hi:[0,1,1] neg_lo:[1,0,0] neg_hi:[1,0,0]
.LBB102_80:
	s_or_b64 exec, exec, s[0:1]
	v_lshl_add_u32 v60, v63, 2, v57
	s_barrier
	ds_write_b32 v60, v53
	s_waitcnt lgkmcnt(0)
	s_barrier
	ds_read_b32 v64, v57 offset:20
	s_cmp_lt_i32 s22, 7
	v_mov_b32_e32 v60, 5
	s_cbranch_scc1 .LBB102_83
; %bb.81:
	v_add3_u32 v65, v62, 0, 24
	v_mov_b32_e32 v60, 5
	s_mov_b32 s0, 6
.LBB102_82:                             ; =>This Inner Loop Header: Depth=1
	ds_read_b32 v66, v65
	v_mov_b32_e32 v67, s0
	s_add_i32 s0, s0, 1
	v_add_u32_e32 v65, 4, v65
	s_cmp_lg_u32 s22, s0
	s_waitcnt lgkmcnt(0)
	v_cmp_lt_f32_e64 vcc, |v64|, |v66|
	s_nop 1
	v_cndmask_b32_e32 v64, v64, v66, vcc
	v_cndmask_b32_e32 v60, v60, v67, vcc
	s_cbranch_scc1 .LBB102_82
.LBB102_83:
	s_waitcnt lgkmcnt(0)
	v_cmp_eq_f32_e32 vcc, 0, v64
	s_and_saveexec_b64 s[0:1], vcc
	s_xor_b64 s[0:1], exec, s[0:1]
; %bb.84:
	v_cmp_ne_u32_e32 vcc, 0, v59
	s_nop 1
	v_cndmask_b32_e32 v59, 6, v59, vcc
; %bb.85:
	s_andn2_saveexec_b64 s[0:1], s[0:1]
	s_cbranch_execz .LBB102_87
; %bb.86:
	v_div_scale_f32 v65, s[2:3], v64, v64, 1.0
	v_rcp_f32_e32 v66, v65
	v_div_scale_f32 v67, vcc, 1.0, v64, 1.0
	v_fma_f32 v68, -v65, v66, 1.0
	v_fmac_f32_e32 v66, v68, v66
	v_mul_f32_e32 v68, v67, v66
	v_fma_f32 v69, -v65, v68, v67
	v_fmac_f32_e32 v68, v69, v66
	v_fma_f32 v65, -v65, v68, v67
	v_div_fmas_f32 v65, v65, v66, v68
	v_div_fixup_f32 v64, v65, v64, 1.0
.LBB102_87:
	s_or_b64 exec, exec, s[0:1]
	v_cmp_ne_u32_e32 vcc, v63, v60
	s_and_saveexec_b64 s[0:1], vcc
	s_xor_b64 s[0:1], exec, s[0:1]
	s_cbranch_execz .LBB102_93
; %bb.88:
	v_cmp_eq_u32_e32 vcc, 5, v63
	s_and_saveexec_b64 s[2:3], vcc
	s_cbranch_execz .LBB102_92
; %bb.89:
	v_cmp_ne_u32_e32 vcc, 5, v60
	s_xor_b64 s[12:13], s[20:21], -1
	s_and_b64 s[14:15], s[12:13], vcc
	s_and_saveexec_b64 s[12:13], s[14:15]
	s_cbranch_execz .LBB102_91
; %bb.90:
	v_ashrrev_i32_e32 v61, 31, v60
	v_lshl_add_u64 v[66:67], v[60:61], 2, v[4:5]
	global_load_dword v61, v[66:67], off
	global_load_dword v63, v[4:5], off offset:20
	s_waitcnt vmcnt(1)
	global_store_dword v[4:5], v61, off offset:20
	s_waitcnt vmcnt(1)
	global_store_dword v[66:67], v63, off
.LBB102_91:
	s_or_b64 exec, exec, s[12:13]
	v_mov_b32_e32 v61, v60
	v_mov_b32_e32 v63, v60
.LBB102_92:
	s_or_b64 exec, exec, s[2:3]
.LBB102_93:
	s_andn2_saveexec_b64 s[0:1], s[0:1]
	s_cbranch_execz .LBB102_95
; %bb.94:
	v_mov_b32_e32 v63, 5
	ds_write2_b32 v57, v50, v51 offset0:6 offset1:7
	ds_write2_b32 v57, v48, v49 offset0:8 offset1:9
	;; [unrolled: 1-line block ×23, first 2 shown]
.LBB102_95:
	s_or_b64 exec, exec, s[0:1]
	v_cmp_lt_i32_e32 vcc, 5, v63
	s_waitcnt lgkmcnt(0)
	s_barrier
	s_and_saveexec_b64 s[0:1], vcc
	s_cbranch_execz .LBB102_97
; %bb.96:
	v_mul_f32_e32 v60, v64, v53
	ds_read2_b32 v[64:65], v57 offset0:6 offset1:7
	v_mov_b32_e32 v53, v60
	s_waitcnt lgkmcnt(0)
	v_pk_fma_f32 v[50:51], v[60:61], v[64:65], v[50:51] op_sel_hi:[0,1,1] neg_lo:[1,0,0] neg_hi:[1,0,0]
	ds_read2_b32 v[64:65], v57 offset0:8 offset1:9
	s_waitcnt lgkmcnt(0)
	v_pk_fma_f32 v[48:49], v[60:61], v[64:65], v[48:49] op_sel_hi:[0,1,1] neg_lo:[1,0,0] neg_hi:[1,0,0]
	ds_read2_b32 v[64:65], v57 offset0:10 offset1:11
	;; [unrolled: 3-line block ×22, first 2 shown]
	s_waitcnt lgkmcnt(0)
	v_pk_fma_f32 v[8:9], v[60:61], v[64:65], v[8:9] op_sel_hi:[0,1,1] neg_lo:[1,0,0] neg_hi:[1,0,0]
.LBB102_97:
	s_or_b64 exec, exec, s[0:1]
	v_lshl_add_u32 v60, v63, 2, v57
	s_barrier
	ds_write_b32 v60, v50
	s_waitcnt lgkmcnt(0)
	s_barrier
	ds_read_b32 v64, v57 offset:24
	s_cmp_lt_i32 s22, 8
	v_mov_b32_e32 v60, 6
	s_cbranch_scc1 .LBB102_100
; %bb.98:
	v_add3_u32 v65, v62, 0, 28
	v_mov_b32_e32 v60, 6
	s_mov_b32 s0, 7
.LBB102_99:                             ; =>This Inner Loop Header: Depth=1
	ds_read_b32 v66, v65
	v_mov_b32_e32 v67, s0
	s_add_i32 s0, s0, 1
	v_add_u32_e32 v65, 4, v65
	s_cmp_lg_u32 s22, s0
	s_waitcnt lgkmcnt(0)
	v_cmp_lt_f32_e64 vcc, |v64|, |v66|
	s_nop 1
	v_cndmask_b32_e32 v64, v64, v66, vcc
	v_cndmask_b32_e32 v60, v60, v67, vcc
	s_cbranch_scc1 .LBB102_99
.LBB102_100:
	s_waitcnt lgkmcnt(0)
	v_cmp_eq_f32_e32 vcc, 0, v64
	s_and_saveexec_b64 s[0:1], vcc
	s_xor_b64 s[0:1], exec, s[0:1]
; %bb.101:
	v_cmp_ne_u32_e32 vcc, 0, v59
	s_nop 1
	v_cndmask_b32_e32 v59, 7, v59, vcc
; %bb.102:
	s_andn2_saveexec_b64 s[0:1], s[0:1]
	s_cbranch_execz .LBB102_104
; %bb.103:
	v_div_scale_f32 v65, s[2:3], v64, v64, 1.0
	v_rcp_f32_e32 v66, v65
	v_div_scale_f32 v67, vcc, 1.0, v64, 1.0
	v_fma_f32 v68, -v65, v66, 1.0
	v_fmac_f32_e32 v66, v68, v66
	v_mul_f32_e32 v68, v67, v66
	v_fma_f32 v69, -v65, v68, v67
	v_fmac_f32_e32 v68, v69, v66
	v_fma_f32 v65, -v65, v68, v67
	v_div_fmas_f32 v65, v65, v66, v68
	v_div_fixup_f32 v64, v65, v64, 1.0
.LBB102_104:
	s_or_b64 exec, exec, s[0:1]
	v_cmp_ne_u32_e32 vcc, v63, v60
	s_and_saveexec_b64 s[0:1], vcc
	s_xor_b64 s[0:1], exec, s[0:1]
	s_cbranch_execz .LBB102_110
; %bb.105:
	v_cmp_eq_u32_e32 vcc, 6, v63
	s_and_saveexec_b64 s[2:3], vcc
	s_cbranch_execz .LBB102_109
; %bb.106:
	v_cmp_ne_u32_e32 vcc, 6, v60
	s_xor_b64 s[12:13], s[20:21], -1
	s_and_b64 s[14:15], s[12:13], vcc
	s_and_saveexec_b64 s[12:13], s[14:15]
	s_cbranch_execz .LBB102_108
; %bb.107:
	v_ashrrev_i32_e32 v61, 31, v60
	v_lshl_add_u64 v[66:67], v[60:61], 2, v[4:5]
	global_load_dword v61, v[66:67], off
	global_load_dword v63, v[4:5], off offset:24
	s_waitcnt vmcnt(1)
	global_store_dword v[4:5], v61, off offset:24
	s_waitcnt vmcnt(1)
	global_store_dword v[66:67], v63, off
.LBB102_108:
	s_or_b64 exec, exec, s[12:13]
	v_mov_b32_e32 v61, v60
	v_mov_b32_e32 v63, v60
.LBB102_109:
	s_or_b64 exec, exec, s[2:3]
.LBB102_110:
	s_andn2_saveexec_b64 s[0:1], s[0:1]
	s_cbranch_execz .LBB102_112
; %bb.111:
	v_pk_mov_b32 v[66:67], v[50:51], v[48:49] op_sel:[1,0]
	ds_write2_b32 v57, v66, v67 offset0:7 offset1:8
	v_pk_mov_b32 v[66:67], v[48:49], v[44:45] op_sel:[1,0]
	ds_write2_b32 v57, v66, v67 offset0:9 offset1:10
	;; [unrolled: 2-line block ×21, first 2 shown]
	v_pk_mov_b32 v[66:67], v[12:13], v[8:9] op_sel:[1,0]
	v_mov_b32_e32 v63, 6
	ds_write2_b32 v57, v66, v67 offset0:49 offset1:50
	ds_write_b32 v57, v9 offset:204
.LBB102_112:
	s_or_b64 exec, exec, s[0:1]
	v_cmp_lt_i32_e32 vcc, 6, v63
	s_waitcnt lgkmcnt(0)
	s_barrier
	s_and_saveexec_b64 s[0:1], vcc
	s_cbranch_execz .LBB102_114
; %bb.113:
	ds_read_b32 v60, v57 offset:28
	v_mul_f32_e32 v50, v64, v50
	ds_read2_b32 v[64:65], v57 offset0:8 offset1:9
	s_waitcnt lgkmcnt(1)
	v_fma_f32 v51, -v50, v60, v51
	s_waitcnt lgkmcnt(0)
	v_pk_fma_f32 v[48:49], v[50:51], v[64:65], v[48:49] op_sel_hi:[0,1,1] neg_lo:[1,0,0] neg_hi:[1,0,0]
	ds_read2_b32 v[64:65], v57 offset0:10 offset1:11
	s_waitcnt lgkmcnt(0)
	v_pk_fma_f32 v[44:45], v[50:51], v[64:65], v[44:45] op_sel_hi:[0,1,1] neg_lo:[1,0,0] neg_hi:[1,0,0]
	ds_read2_b32 v[64:65], v57 offset0:12 offset1:13
	;; [unrolled: 3-line block ×21, first 2 shown]
	s_waitcnt lgkmcnt(0)
	v_pk_fma_f32 v[8:9], v[50:51], v[64:65], v[8:9] op_sel_hi:[0,1,1] neg_lo:[1,0,0] neg_hi:[1,0,0]
.LBB102_114:
	s_or_b64 exec, exec, s[0:1]
	v_lshl_add_u32 v60, v63, 2, v57
	s_barrier
	ds_write_b32 v60, v51
	s_waitcnt lgkmcnt(0)
	s_barrier
	ds_read_b32 v64, v57 offset:28
	s_cmp_lt_i32 s22, 9
	v_mov_b32_e32 v60, 7
	s_cbranch_scc1 .LBB102_117
; %bb.115:
	v_add3_u32 v65, v62, 0, 32
	v_mov_b32_e32 v60, 7
	s_mov_b32 s0, 8
.LBB102_116:                            ; =>This Inner Loop Header: Depth=1
	ds_read_b32 v66, v65
	v_mov_b32_e32 v67, s0
	s_add_i32 s0, s0, 1
	v_add_u32_e32 v65, 4, v65
	s_cmp_lg_u32 s22, s0
	s_waitcnt lgkmcnt(0)
	v_cmp_lt_f32_e64 vcc, |v64|, |v66|
	s_nop 1
	v_cndmask_b32_e32 v64, v64, v66, vcc
	v_cndmask_b32_e32 v60, v60, v67, vcc
	s_cbranch_scc1 .LBB102_116
.LBB102_117:
	s_waitcnt lgkmcnt(0)
	v_cmp_eq_f32_e32 vcc, 0, v64
	s_and_saveexec_b64 s[0:1], vcc
	s_xor_b64 s[0:1], exec, s[0:1]
; %bb.118:
	v_cmp_ne_u32_e32 vcc, 0, v59
	s_nop 1
	v_cndmask_b32_e32 v59, 8, v59, vcc
; %bb.119:
	s_andn2_saveexec_b64 s[0:1], s[0:1]
	s_cbranch_execz .LBB102_121
; %bb.120:
	v_div_scale_f32 v65, s[2:3], v64, v64, 1.0
	v_rcp_f32_e32 v66, v65
	v_div_scale_f32 v67, vcc, 1.0, v64, 1.0
	v_fma_f32 v68, -v65, v66, 1.0
	v_fmac_f32_e32 v66, v68, v66
	v_mul_f32_e32 v68, v67, v66
	v_fma_f32 v69, -v65, v68, v67
	v_fmac_f32_e32 v68, v69, v66
	v_fma_f32 v65, -v65, v68, v67
	v_div_fmas_f32 v65, v65, v66, v68
	v_div_fixup_f32 v64, v65, v64, 1.0
.LBB102_121:
	s_or_b64 exec, exec, s[0:1]
	v_cmp_ne_u32_e32 vcc, v63, v60
	s_and_saveexec_b64 s[0:1], vcc
	s_xor_b64 s[0:1], exec, s[0:1]
	s_cbranch_execz .LBB102_127
; %bb.122:
	v_cmp_eq_u32_e32 vcc, 7, v63
	s_and_saveexec_b64 s[2:3], vcc
	s_cbranch_execz .LBB102_126
; %bb.123:
	v_cmp_ne_u32_e32 vcc, 7, v60
	s_xor_b64 s[12:13], s[20:21], -1
	s_and_b64 s[14:15], s[12:13], vcc
	s_and_saveexec_b64 s[12:13], s[14:15]
	s_cbranch_execz .LBB102_125
; %bb.124:
	v_ashrrev_i32_e32 v61, 31, v60
	v_lshl_add_u64 v[66:67], v[60:61], 2, v[4:5]
	global_load_dword v61, v[66:67], off
	global_load_dword v63, v[4:5], off offset:28
	s_waitcnt vmcnt(1)
	global_store_dword v[4:5], v61, off offset:28
	s_waitcnt vmcnt(1)
	global_store_dword v[66:67], v63, off
.LBB102_125:
	s_or_b64 exec, exec, s[12:13]
	v_mov_b32_e32 v61, v60
	v_mov_b32_e32 v63, v60
.LBB102_126:
	s_or_b64 exec, exec, s[2:3]
.LBB102_127:
	s_andn2_saveexec_b64 s[0:1], s[0:1]
	s_cbranch_execz .LBB102_129
; %bb.128:
	v_mov_b32_e32 v63, 7
	ds_write2_b32 v57, v48, v49 offset0:8 offset1:9
	ds_write2_b32 v57, v44, v45 offset0:10 offset1:11
	;; [unrolled: 1-line block ×22, first 2 shown]
.LBB102_129:
	s_or_b64 exec, exec, s[0:1]
	v_cmp_lt_i32_e32 vcc, 7, v63
	s_waitcnt lgkmcnt(0)
	s_barrier
	s_and_saveexec_b64 s[0:1], vcc
	s_cbranch_execz .LBB102_131
; %bb.130:
	v_mul_f32_e32 v60, v64, v51
	ds_read2_b32 v[64:65], v57 offset0:8 offset1:9
	v_mov_b32_e32 v51, v60
	s_waitcnt lgkmcnt(0)
	v_pk_fma_f32 v[48:49], v[60:61], v[64:65], v[48:49] op_sel_hi:[0,1,1] neg_lo:[1,0,0] neg_hi:[1,0,0]
	ds_read2_b32 v[64:65], v57 offset0:10 offset1:11
	s_waitcnt lgkmcnt(0)
	v_pk_fma_f32 v[44:45], v[60:61], v[64:65], v[44:45] op_sel_hi:[0,1,1] neg_lo:[1,0,0] neg_hi:[1,0,0]
	ds_read2_b32 v[64:65], v57 offset0:12 offset1:13
	;; [unrolled: 3-line block ×21, first 2 shown]
	s_waitcnt lgkmcnt(0)
	v_pk_fma_f32 v[8:9], v[60:61], v[64:65], v[8:9] op_sel_hi:[0,1,1] neg_lo:[1,0,0] neg_hi:[1,0,0]
.LBB102_131:
	s_or_b64 exec, exec, s[0:1]
	v_lshl_add_u32 v60, v63, 2, v57
	s_barrier
	ds_write_b32 v60, v48
	s_waitcnt lgkmcnt(0)
	s_barrier
	ds_read_b32 v64, v57 offset:32
	s_cmp_lt_i32 s22, 10
	v_mov_b32_e32 v60, 8
	s_cbranch_scc1 .LBB102_134
; %bb.132:
	v_add3_u32 v65, v62, 0, 36
	v_mov_b32_e32 v60, 8
	s_mov_b32 s0, 9
.LBB102_133:                            ; =>This Inner Loop Header: Depth=1
	ds_read_b32 v66, v65
	v_mov_b32_e32 v67, s0
	s_add_i32 s0, s0, 1
	v_add_u32_e32 v65, 4, v65
	s_cmp_lg_u32 s22, s0
	s_waitcnt lgkmcnt(0)
	v_cmp_lt_f32_e64 vcc, |v64|, |v66|
	s_nop 1
	v_cndmask_b32_e32 v64, v64, v66, vcc
	v_cndmask_b32_e32 v60, v60, v67, vcc
	s_cbranch_scc1 .LBB102_133
.LBB102_134:
	s_waitcnt lgkmcnt(0)
	v_cmp_eq_f32_e32 vcc, 0, v64
	s_and_saveexec_b64 s[0:1], vcc
	s_xor_b64 s[0:1], exec, s[0:1]
; %bb.135:
	v_cmp_ne_u32_e32 vcc, 0, v59
	s_nop 1
	v_cndmask_b32_e32 v59, 9, v59, vcc
; %bb.136:
	s_andn2_saveexec_b64 s[0:1], s[0:1]
	s_cbranch_execz .LBB102_138
; %bb.137:
	v_div_scale_f32 v65, s[2:3], v64, v64, 1.0
	v_rcp_f32_e32 v66, v65
	v_div_scale_f32 v67, vcc, 1.0, v64, 1.0
	v_fma_f32 v68, -v65, v66, 1.0
	v_fmac_f32_e32 v66, v68, v66
	v_mul_f32_e32 v68, v67, v66
	v_fma_f32 v69, -v65, v68, v67
	v_fmac_f32_e32 v68, v69, v66
	v_fma_f32 v65, -v65, v68, v67
	v_div_fmas_f32 v65, v65, v66, v68
	v_div_fixup_f32 v64, v65, v64, 1.0
.LBB102_138:
	s_or_b64 exec, exec, s[0:1]
	v_cmp_ne_u32_e32 vcc, v63, v60
	s_and_saveexec_b64 s[0:1], vcc
	s_xor_b64 s[0:1], exec, s[0:1]
	s_cbranch_execz .LBB102_144
; %bb.139:
	v_cmp_eq_u32_e32 vcc, 8, v63
	s_and_saveexec_b64 s[2:3], vcc
	s_cbranch_execz .LBB102_143
; %bb.140:
	v_cmp_ne_u32_e32 vcc, 8, v60
	s_xor_b64 s[12:13], s[20:21], -1
	s_and_b64 s[14:15], s[12:13], vcc
	s_and_saveexec_b64 s[12:13], s[14:15]
	s_cbranch_execz .LBB102_142
; %bb.141:
	v_ashrrev_i32_e32 v61, 31, v60
	v_lshl_add_u64 v[66:67], v[60:61], 2, v[4:5]
	global_load_dword v61, v[66:67], off
	global_load_dword v63, v[4:5], off offset:32
	s_waitcnt vmcnt(1)
	global_store_dword v[4:5], v61, off offset:32
	s_waitcnt vmcnt(1)
	global_store_dword v[66:67], v63, off
.LBB102_142:
	s_or_b64 exec, exec, s[12:13]
	v_mov_b32_e32 v61, v60
	v_mov_b32_e32 v63, v60
.LBB102_143:
	s_or_b64 exec, exec, s[2:3]
.LBB102_144:
	s_andn2_saveexec_b64 s[0:1], s[0:1]
	s_cbranch_execz .LBB102_146
; %bb.145:
	v_pk_mov_b32 v[66:67], v[48:49], v[44:45] op_sel:[1,0]
	ds_write2_b32 v57, v66, v67 offset0:9 offset1:10
	v_pk_mov_b32 v[66:67], v[44:45], v[38:39] op_sel:[1,0]
	ds_write2_b32 v57, v66, v67 offset0:11 offset1:12
	;; [unrolled: 2-line block ×20, first 2 shown]
	v_pk_mov_b32 v[66:67], v[12:13], v[8:9] op_sel:[1,0]
	v_mov_b32_e32 v63, 8
	ds_write2_b32 v57, v66, v67 offset0:49 offset1:50
	ds_write_b32 v57, v9 offset:204
.LBB102_146:
	s_or_b64 exec, exec, s[0:1]
	v_cmp_lt_i32_e32 vcc, 8, v63
	s_waitcnt lgkmcnt(0)
	s_barrier
	s_and_saveexec_b64 s[0:1], vcc
	s_cbranch_execz .LBB102_148
; %bb.147:
	ds_read_b32 v60, v57 offset:36
	v_mul_f32_e32 v48, v64, v48
	ds_read2_b32 v[64:65], v57 offset0:10 offset1:11
	s_waitcnt lgkmcnt(1)
	v_fma_f32 v49, -v48, v60, v49
	s_waitcnt lgkmcnt(0)
	v_pk_fma_f32 v[44:45], v[48:49], v[64:65], v[44:45] op_sel_hi:[0,1,1] neg_lo:[1,0,0] neg_hi:[1,0,0]
	ds_read2_b32 v[64:65], v57 offset0:12 offset1:13
	s_waitcnt lgkmcnt(0)
	v_pk_fma_f32 v[38:39], v[48:49], v[64:65], v[38:39] op_sel_hi:[0,1,1] neg_lo:[1,0,0] neg_hi:[1,0,0]
	ds_read2_b32 v[64:65], v57 offset0:14 offset1:15
	;; [unrolled: 3-line block ×20, first 2 shown]
	s_waitcnt lgkmcnt(0)
	v_pk_fma_f32 v[8:9], v[48:49], v[64:65], v[8:9] op_sel_hi:[0,1,1] neg_lo:[1,0,0] neg_hi:[1,0,0]
.LBB102_148:
	s_or_b64 exec, exec, s[0:1]
	v_lshl_add_u32 v60, v63, 2, v57
	s_barrier
	ds_write_b32 v60, v49
	s_waitcnt lgkmcnt(0)
	s_barrier
	ds_read_b32 v64, v57 offset:36
	s_cmp_lt_i32 s22, 11
	v_mov_b32_e32 v60, 9
	s_cbranch_scc1 .LBB102_151
; %bb.149:
	v_add3_u32 v65, v62, 0, 40
	v_mov_b32_e32 v60, 9
	s_mov_b32 s0, 10
.LBB102_150:                            ; =>This Inner Loop Header: Depth=1
	ds_read_b32 v66, v65
	v_mov_b32_e32 v67, s0
	s_add_i32 s0, s0, 1
	v_add_u32_e32 v65, 4, v65
	s_cmp_lg_u32 s22, s0
	s_waitcnt lgkmcnt(0)
	v_cmp_lt_f32_e64 vcc, |v64|, |v66|
	s_nop 1
	v_cndmask_b32_e32 v64, v64, v66, vcc
	v_cndmask_b32_e32 v60, v60, v67, vcc
	s_cbranch_scc1 .LBB102_150
.LBB102_151:
	s_waitcnt lgkmcnt(0)
	v_cmp_eq_f32_e32 vcc, 0, v64
	s_and_saveexec_b64 s[0:1], vcc
	s_xor_b64 s[0:1], exec, s[0:1]
; %bb.152:
	v_cmp_ne_u32_e32 vcc, 0, v59
	s_nop 1
	v_cndmask_b32_e32 v59, 10, v59, vcc
; %bb.153:
	s_andn2_saveexec_b64 s[0:1], s[0:1]
	s_cbranch_execz .LBB102_155
; %bb.154:
	v_div_scale_f32 v65, s[2:3], v64, v64, 1.0
	v_rcp_f32_e32 v66, v65
	v_div_scale_f32 v67, vcc, 1.0, v64, 1.0
	v_fma_f32 v68, -v65, v66, 1.0
	v_fmac_f32_e32 v66, v68, v66
	v_mul_f32_e32 v68, v67, v66
	v_fma_f32 v69, -v65, v68, v67
	v_fmac_f32_e32 v68, v69, v66
	v_fma_f32 v65, -v65, v68, v67
	v_div_fmas_f32 v65, v65, v66, v68
	v_div_fixup_f32 v64, v65, v64, 1.0
.LBB102_155:
	s_or_b64 exec, exec, s[0:1]
	v_cmp_ne_u32_e32 vcc, v63, v60
	s_and_saveexec_b64 s[0:1], vcc
	s_xor_b64 s[0:1], exec, s[0:1]
	s_cbranch_execz .LBB102_161
; %bb.156:
	v_cmp_eq_u32_e32 vcc, 9, v63
	s_and_saveexec_b64 s[2:3], vcc
	s_cbranch_execz .LBB102_160
; %bb.157:
	v_cmp_ne_u32_e32 vcc, 9, v60
	s_xor_b64 s[12:13], s[20:21], -1
	s_and_b64 s[14:15], s[12:13], vcc
	s_and_saveexec_b64 s[12:13], s[14:15]
	s_cbranch_execz .LBB102_159
; %bb.158:
	v_ashrrev_i32_e32 v61, 31, v60
	v_lshl_add_u64 v[66:67], v[60:61], 2, v[4:5]
	global_load_dword v61, v[66:67], off
	global_load_dword v63, v[4:5], off offset:36
	s_waitcnt vmcnt(1)
	global_store_dword v[4:5], v61, off offset:36
	s_waitcnt vmcnt(1)
	global_store_dword v[66:67], v63, off
.LBB102_159:
	s_or_b64 exec, exec, s[12:13]
	v_mov_b32_e32 v61, v60
	v_mov_b32_e32 v63, v60
.LBB102_160:
	s_or_b64 exec, exec, s[2:3]
.LBB102_161:
	s_andn2_saveexec_b64 s[0:1], s[0:1]
	s_cbranch_execz .LBB102_163
; %bb.162:
	v_mov_b32_e32 v63, 9
	ds_write2_b32 v57, v44, v45 offset0:10 offset1:11
	ds_write2_b32 v57, v38, v39 offset0:12 offset1:13
	ds_write2_b32 v57, v30, v31 offset0:14 offset1:15
	ds_write2_b32 v57, v46, v47 offset0:16 offset1:17
	ds_write2_b32 v57, v40, v41 offset0:18 offset1:19
	ds_write2_b32 v57, v32, v33 offset0:20 offset1:21
	ds_write2_b32 v57, v22, v23 offset0:22 offset1:23
	ds_write2_b32 v57, v42, v43 offset0:24 offset1:25
	ds_write2_b32 v57, v34, v35 offset0:26 offset1:27
	ds_write2_b32 v57, v24, v25 offset0:28 offset1:29
	ds_write2_b32 v57, v16, v17 offset0:30 offset1:31
	ds_write2_b32 v57, v36, v37 offset0:32 offset1:33
	ds_write2_b32 v57, v26, v27 offset0:34 offset1:35
	ds_write2_b32 v57, v18, v19 offset0:36 offset1:37
	ds_write2_b32 v57, v10, v11 offset0:38 offset1:39
	ds_write2_b32 v57, v28, v29 offset0:40 offset1:41
	ds_write2_b32 v57, v20, v21 offset0:42 offset1:43
	ds_write2_b32 v57, v14, v15 offset0:44 offset1:45
	ds_write2_b32 v57, v0, v1 offset0:46 offset1:47
	ds_write2_b32 v57, v12, v13 offset0:48 offset1:49
	ds_write2_b32 v57, v8, v9 offset0:50 offset1:51
.LBB102_163:
	s_or_b64 exec, exec, s[0:1]
	v_cmp_lt_i32_e32 vcc, 9, v63
	s_waitcnt lgkmcnt(0)
	s_barrier
	s_and_saveexec_b64 s[0:1], vcc
	s_cbranch_execz .LBB102_165
; %bb.164:
	v_mul_f32_e32 v60, v64, v49
	ds_read2_b32 v[64:65], v57 offset0:10 offset1:11
	v_mov_b32_e32 v49, v60
	s_waitcnt lgkmcnt(0)
	v_pk_fma_f32 v[44:45], v[60:61], v[64:65], v[44:45] op_sel_hi:[0,1,1] neg_lo:[1,0,0] neg_hi:[1,0,0]
	ds_read2_b32 v[64:65], v57 offset0:12 offset1:13
	s_waitcnt lgkmcnt(0)
	v_pk_fma_f32 v[38:39], v[60:61], v[64:65], v[38:39] op_sel_hi:[0,1,1] neg_lo:[1,0,0] neg_hi:[1,0,0]
	ds_read2_b32 v[64:65], v57 offset0:14 offset1:15
	;; [unrolled: 3-line block ×20, first 2 shown]
	s_waitcnt lgkmcnt(0)
	v_pk_fma_f32 v[8:9], v[60:61], v[64:65], v[8:9] op_sel_hi:[0,1,1] neg_lo:[1,0,0] neg_hi:[1,0,0]
.LBB102_165:
	s_or_b64 exec, exec, s[0:1]
	v_lshl_add_u32 v60, v63, 2, v57
	s_barrier
	ds_write_b32 v60, v44
	s_waitcnt lgkmcnt(0)
	s_barrier
	ds_read_b32 v64, v57 offset:40
	s_cmp_lt_i32 s22, 12
	v_mov_b32_e32 v60, 10
	s_cbranch_scc1 .LBB102_168
; %bb.166:
	v_add3_u32 v65, v62, 0, 44
	v_mov_b32_e32 v60, 10
	s_mov_b32 s0, 11
.LBB102_167:                            ; =>This Inner Loop Header: Depth=1
	ds_read_b32 v66, v65
	v_mov_b32_e32 v67, s0
	s_add_i32 s0, s0, 1
	v_add_u32_e32 v65, 4, v65
	s_cmp_lg_u32 s22, s0
	s_waitcnt lgkmcnt(0)
	v_cmp_lt_f32_e64 vcc, |v64|, |v66|
	s_nop 1
	v_cndmask_b32_e32 v64, v64, v66, vcc
	v_cndmask_b32_e32 v60, v60, v67, vcc
	s_cbranch_scc1 .LBB102_167
.LBB102_168:
	s_waitcnt lgkmcnt(0)
	v_cmp_eq_f32_e32 vcc, 0, v64
	s_and_saveexec_b64 s[0:1], vcc
	s_xor_b64 s[0:1], exec, s[0:1]
; %bb.169:
	v_cmp_ne_u32_e32 vcc, 0, v59
	s_nop 1
	v_cndmask_b32_e32 v59, 11, v59, vcc
; %bb.170:
	s_andn2_saveexec_b64 s[0:1], s[0:1]
	s_cbranch_execz .LBB102_172
; %bb.171:
	v_div_scale_f32 v65, s[2:3], v64, v64, 1.0
	v_rcp_f32_e32 v66, v65
	v_div_scale_f32 v67, vcc, 1.0, v64, 1.0
	v_fma_f32 v68, -v65, v66, 1.0
	v_fmac_f32_e32 v66, v68, v66
	v_mul_f32_e32 v68, v67, v66
	v_fma_f32 v69, -v65, v68, v67
	v_fmac_f32_e32 v68, v69, v66
	v_fma_f32 v65, -v65, v68, v67
	v_div_fmas_f32 v65, v65, v66, v68
	v_div_fixup_f32 v64, v65, v64, 1.0
.LBB102_172:
	s_or_b64 exec, exec, s[0:1]
	v_cmp_ne_u32_e32 vcc, v63, v60
	s_and_saveexec_b64 s[0:1], vcc
	s_xor_b64 s[0:1], exec, s[0:1]
	s_cbranch_execz .LBB102_178
; %bb.173:
	v_cmp_eq_u32_e32 vcc, 10, v63
	s_and_saveexec_b64 s[2:3], vcc
	s_cbranch_execz .LBB102_177
; %bb.174:
	v_cmp_ne_u32_e32 vcc, 10, v60
	s_xor_b64 s[12:13], s[20:21], -1
	s_and_b64 s[14:15], s[12:13], vcc
	s_and_saveexec_b64 s[12:13], s[14:15]
	s_cbranch_execz .LBB102_176
; %bb.175:
	v_ashrrev_i32_e32 v61, 31, v60
	v_lshl_add_u64 v[66:67], v[60:61], 2, v[4:5]
	global_load_dword v61, v[66:67], off
	global_load_dword v63, v[4:5], off offset:40
	s_waitcnt vmcnt(1)
	global_store_dword v[4:5], v61, off offset:40
	s_waitcnt vmcnt(1)
	global_store_dword v[66:67], v63, off
.LBB102_176:
	s_or_b64 exec, exec, s[12:13]
	v_mov_b32_e32 v61, v60
	v_mov_b32_e32 v63, v60
.LBB102_177:
	s_or_b64 exec, exec, s[2:3]
.LBB102_178:
	s_andn2_saveexec_b64 s[0:1], s[0:1]
	s_cbranch_execz .LBB102_180
; %bb.179:
	v_pk_mov_b32 v[66:67], v[44:45], v[38:39] op_sel:[1,0]
	ds_write2_b32 v57, v66, v67 offset0:11 offset1:12
	v_pk_mov_b32 v[66:67], v[38:39], v[30:31] op_sel:[1,0]
	ds_write2_b32 v57, v66, v67 offset0:13 offset1:14
	;; [unrolled: 2-line block ×19, first 2 shown]
	v_pk_mov_b32 v[66:67], v[12:13], v[8:9] op_sel:[1,0]
	v_mov_b32_e32 v63, 10
	ds_write2_b32 v57, v66, v67 offset0:49 offset1:50
	ds_write_b32 v57, v9 offset:204
.LBB102_180:
	s_or_b64 exec, exec, s[0:1]
	v_cmp_lt_i32_e32 vcc, 10, v63
	s_waitcnt lgkmcnt(0)
	s_barrier
	s_and_saveexec_b64 s[0:1], vcc
	s_cbranch_execz .LBB102_182
; %bb.181:
	ds_read_b32 v60, v57 offset:44
	v_mul_f32_e32 v44, v64, v44
	ds_read2_b32 v[64:65], v57 offset0:12 offset1:13
	s_waitcnt lgkmcnt(1)
	v_fma_f32 v45, -v44, v60, v45
	s_waitcnt lgkmcnt(0)
	v_pk_fma_f32 v[38:39], v[44:45], v[64:65], v[38:39] op_sel_hi:[0,1,1] neg_lo:[1,0,0] neg_hi:[1,0,0]
	ds_read2_b32 v[64:65], v57 offset0:14 offset1:15
	s_waitcnt lgkmcnt(0)
	v_pk_fma_f32 v[30:31], v[44:45], v[64:65], v[30:31] op_sel_hi:[0,1,1] neg_lo:[1,0,0] neg_hi:[1,0,0]
	ds_read2_b32 v[64:65], v57 offset0:16 offset1:17
	;; [unrolled: 3-line block ×19, first 2 shown]
	s_waitcnt lgkmcnt(0)
	v_pk_fma_f32 v[8:9], v[44:45], v[64:65], v[8:9] op_sel_hi:[0,1,1] neg_lo:[1,0,0] neg_hi:[1,0,0]
.LBB102_182:
	s_or_b64 exec, exec, s[0:1]
	v_lshl_add_u32 v60, v63, 2, v57
	s_barrier
	ds_write_b32 v60, v45
	s_waitcnt lgkmcnt(0)
	s_barrier
	ds_read_b32 v64, v57 offset:44
	s_cmp_lt_i32 s22, 13
	v_mov_b32_e32 v60, 11
	s_cbranch_scc1 .LBB102_185
; %bb.183:
	v_add3_u32 v65, v62, 0, 48
	v_mov_b32_e32 v60, 11
	s_mov_b32 s0, 12
.LBB102_184:                            ; =>This Inner Loop Header: Depth=1
	ds_read_b32 v66, v65
	v_mov_b32_e32 v67, s0
	s_add_i32 s0, s0, 1
	v_add_u32_e32 v65, 4, v65
	s_cmp_lg_u32 s22, s0
	s_waitcnt lgkmcnt(0)
	v_cmp_lt_f32_e64 vcc, |v64|, |v66|
	s_nop 1
	v_cndmask_b32_e32 v64, v64, v66, vcc
	v_cndmask_b32_e32 v60, v60, v67, vcc
	s_cbranch_scc1 .LBB102_184
.LBB102_185:
	s_waitcnt lgkmcnt(0)
	v_cmp_eq_f32_e32 vcc, 0, v64
	s_and_saveexec_b64 s[0:1], vcc
	s_xor_b64 s[0:1], exec, s[0:1]
; %bb.186:
	v_cmp_ne_u32_e32 vcc, 0, v59
	s_nop 1
	v_cndmask_b32_e32 v59, 12, v59, vcc
; %bb.187:
	s_andn2_saveexec_b64 s[0:1], s[0:1]
	s_cbranch_execz .LBB102_189
; %bb.188:
	v_div_scale_f32 v65, s[2:3], v64, v64, 1.0
	v_rcp_f32_e32 v66, v65
	v_div_scale_f32 v67, vcc, 1.0, v64, 1.0
	v_fma_f32 v68, -v65, v66, 1.0
	v_fmac_f32_e32 v66, v68, v66
	v_mul_f32_e32 v68, v67, v66
	v_fma_f32 v69, -v65, v68, v67
	v_fmac_f32_e32 v68, v69, v66
	v_fma_f32 v65, -v65, v68, v67
	v_div_fmas_f32 v65, v65, v66, v68
	v_div_fixup_f32 v64, v65, v64, 1.0
.LBB102_189:
	s_or_b64 exec, exec, s[0:1]
	v_cmp_ne_u32_e32 vcc, v63, v60
	s_and_saveexec_b64 s[0:1], vcc
	s_xor_b64 s[0:1], exec, s[0:1]
	s_cbranch_execz .LBB102_195
; %bb.190:
	v_cmp_eq_u32_e32 vcc, 11, v63
	s_and_saveexec_b64 s[2:3], vcc
	s_cbranch_execz .LBB102_194
; %bb.191:
	v_cmp_ne_u32_e32 vcc, 11, v60
	s_xor_b64 s[12:13], s[20:21], -1
	s_and_b64 s[14:15], s[12:13], vcc
	s_and_saveexec_b64 s[12:13], s[14:15]
	s_cbranch_execz .LBB102_193
; %bb.192:
	v_ashrrev_i32_e32 v61, 31, v60
	v_lshl_add_u64 v[66:67], v[60:61], 2, v[4:5]
	global_load_dword v61, v[66:67], off
	global_load_dword v63, v[4:5], off offset:44
	s_waitcnt vmcnt(1)
	global_store_dword v[4:5], v61, off offset:44
	s_waitcnt vmcnt(1)
	global_store_dword v[66:67], v63, off
.LBB102_193:
	s_or_b64 exec, exec, s[12:13]
	v_mov_b32_e32 v61, v60
	v_mov_b32_e32 v63, v60
.LBB102_194:
	s_or_b64 exec, exec, s[2:3]
.LBB102_195:
	s_andn2_saveexec_b64 s[0:1], s[0:1]
	s_cbranch_execz .LBB102_197
; %bb.196:
	v_mov_b32_e32 v63, 11
	ds_write2_b32 v57, v38, v39 offset0:12 offset1:13
	ds_write2_b32 v57, v30, v31 offset0:14 offset1:15
	;; [unrolled: 1-line block ×20, first 2 shown]
.LBB102_197:
	s_or_b64 exec, exec, s[0:1]
	v_cmp_lt_i32_e32 vcc, 11, v63
	s_waitcnt lgkmcnt(0)
	s_barrier
	s_and_saveexec_b64 s[0:1], vcc
	s_cbranch_execz .LBB102_199
; %bb.198:
	v_mul_f32_e32 v60, v64, v45
	ds_read2_b32 v[64:65], v57 offset0:12 offset1:13
	v_mov_b32_e32 v45, v60
	s_waitcnt lgkmcnt(0)
	v_pk_fma_f32 v[38:39], v[60:61], v[64:65], v[38:39] op_sel_hi:[0,1,1] neg_lo:[1,0,0] neg_hi:[1,0,0]
	ds_read2_b32 v[64:65], v57 offset0:14 offset1:15
	s_waitcnt lgkmcnt(0)
	v_pk_fma_f32 v[30:31], v[60:61], v[64:65], v[30:31] op_sel_hi:[0,1,1] neg_lo:[1,0,0] neg_hi:[1,0,0]
	ds_read2_b32 v[64:65], v57 offset0:16 offset1:17
	;; [unrolled: 3-line block ×19, first 2 shown]
	s_waitcnt lgkmcnt(0)
	v_pk_fma_f32 v[8:9], v[60:61], v[64:65], v[8:9] op_sel_hi:[0,1,1] neg_lo:[1,0,0] neg_hi:[1,0,0]
.LBB102_199:
	s_or_b64 exec, exec, s[0:1]
	v_lshl_add_u32 v60, v63, 2, v57
	s_barrier
	ds_write_b32 v60, v38
	s_waitcnt lgkmcnt(0)
	s_barrier
	ds_read_b32 v64, v57 offset:48
	s_cmp_lt_i32 s22, 14
	v_mov_b32_e32 v60, 12
	s_cbranch_scc1 .LBB102_202
; %bb.200:
	v_add3_u32 v65, v62, 0, 52
	v_mov_b32_e32 v60, 12
	s_mov_b32 s0, 13
.LBB102_201:                            ; =>This Inner Loop Header: Depth=1
	ds_read_b32 v66, v65
	v_mov_b32_e32 v67, s0
	s_add_i32 s0, s0, 1
	v_add_u32_e32 v65, 4, v65
	s_cmp_lg_u32 s22, s0
	s_waitcnt lgkmcnt(0)
	v_cmp_lt_f32_e64 vcc, |v64|, |v66|
	s_nop 1
	v_cndmask_b32_e32 v64, v64, v66, vcc
	v_cndmask_b32_e32 v60, v60, v67, vcc
	s_cbranch_scc1 .LBB102_201
.LBB102_202:
	s_waitcnt lgkmcnt(0)
	v_cmp_eq_f32_e32 vcc, 0, v64
	s_and_saveexec_b64 s[0:1], vcc
	s_xor_b64 s[0:1], exec, s[0:1]
; %bb.203:
	v_cmp_ne_u32_e32 vcc, 0, v59
	s_nop 1
	v_cndmask_b32_e32 v59, 13, v59, vcc
; %bb.204:
	s_andn2_saveexec_b64 s[0:1], s[0:1]
	s_cbranch_execz .LBB102_206
; %bb.205:
	v_div_scale_f32 v65, s[2:3], v64, v64, 1.0
	v_rcp_f32_e32 v66, v65
	v_div_scale_f32 v67, vcc, 1.0, v64, 1.0
	v_fma_f32 v68, -v65, v66, 1.0
	v_fmac_f32_e32 v66, v68, v66
	v_mul_f32_e32 v68, v67, v66
	v_fma_f32 v69, -v65, v68, v67
	v_fmac_f32_e32 v68, v69, v66
	v_fma_f32 v65, -v65, v68, v67
	v_div_fmas_f32 v65, v65, v66, v68
	v_div_fixup_f32 v64, v65, v64, 1.0
.LBB102_206:
	s_or_b64 exec, exec, s[0:1]
	v_cmp_ne_u32_e32 vcc, v63, v60
	s_and_saveexec_b64 s[0:1], vcc
	s_xor_b64 s[0:1], exec, s[0:1]
	s_cbranch_execz .LBB102_212
; %bb.207:
	v_cmp_eq_u32_e32 vcc, 12, v63
	s_and_saveexec_b64 s[2:3], vcc
	s_cbranch_execz .LBB102_211
; %bb.208:
	v_cmp_ne_u32_e32 vcc, 12, v60
	s_xor_b64 s[12:13], s[20:21], -1
	s_and_b64 s[14:15], s[12:13], vcc
	s_and_saveexec_b64 s[12:13], s[14:15]
	s_cbranch_execz .LBB102_210
; %bb.209:
	v_ashrrev_i32_e32 v61, 31, v60
	v_lshl_add_u64 v[66:67], v[60:61], 2, v[4:5]
	global_load_dword v61, v[66:67], off
	global_load_dword v63, v[4:5], off offset:48
	s_waitcnt vmcnt(1)
	global_store_dword v[4:5], v61, off offset:48
	s_waitcnt vmcnt(1)
	global_store_dword v[66:67], v63, off
.LBB102_210:
	s_or_b64 exec, exec, s[12:13]
	v_mov_b32_e32 v61, v60
	v_mov_b32_e32 v63, v60
.LBB102_211:
	s_or_b64 exec, exec, s[2:3]
.LBB102_212:
	s_andn2_saveexec_b64 s[0:1], s[0:1]
	s_cbranch_execz .LBB102_214
; %bb.213:
	v_pk_mov_b32 v[66:67], v[38:39], v[30:31] op_sel:[1,0]
	ds_write2_b32 v57, v66, v67 offset0:13 offset1:14
	v_pk_mov_b32 v[66:67], v[30:31], v[46:47] op_sel:[1,0]
	ds_write2_b32 v57, v66, v67 offset0:15 offset1:16
	;; [unrolled: 2-line block ×18, first 2 shown]
	v_pk_mov_b32 v[66:67], v[12:13], v[8:9] op_sel:[1,0]
	v_mov_b32_e32 v63, 12
	ds_write2_b32 v57, v66, v67 offset0:49 offset1:50
	ds_write_b32 v57, v9 offset:204
.LBB102_214:
	s_or_b64 exec, exec, s[0:1]
	v_cmp_lt_i32_e32 vcc, 12, v63
	s_waitcnt lgkmcnt(0)
	s_barrier
	s_and_saveexec_b64 s[0:1], vcc
	s_cbranch_execz .LBB102_216
; %bb.215:
	ds_read_b32 v60, v57 offset:52
	v_mul_f32_e32 v38, v64, v38
	ds_read2_b32 v[64:65], v57 offset0:14 offset1:15
	s_waitcnt lgkmcnt(1)
	v_fma_f32 v39, -v38, v60, v39
	s_waitcnt lgkmcnt(0)
	v_pk_fma_f32 v[30:31], v[38:39], v[64:65], v[30:31] op_sel_hi:[0,1,1] neg_lo:[1,0,0] neg_hi:[1,0,0]
	ds_read2_b32 v[64:65], v57 offset0:16 offset1:17
	s_waitcnt lgkmcnt(0)
	v_pk_fma_f32 v[46:47], v[38:39], v[64:65], v[46:47] op_sel_hi:[0,1,1] neg_lo:[1,0,0] neg_hi:[1,0,0]
	ds_read2_b32 v[64:65], v57 offset0:18 offset1:19
	;; [unrolled: 3-line block ×18, first 2 shown]
	s_waitcnt lgkmcnt(0)
	v_pk_fma_f32 v[8:9], v[38:39], v[64:65], v[8:9] op_sel_hi:[0,1,1] neg_lo:[1,0,0] neg_hi:[1,0,0]
.LBB102_216:
	s_or_b64 exec, exec, s[0:1]
	v_lshl_add_u32 v60, v63, 2, v57
	s_barrier
	ds_write_b32 v60, v39
	s_waitcnt lgkmcnt(0)
	s_barrier
	ds_read_b32 v64, v57 offset:52
	s_cmp_lt_i32 s22, 15
	v_mov_b32_e32 v60, 13
	s_cbranch_scc1 .LBB102_219
; %bb.217:
	v_add3_u32 v65, v62, 0, 56
	v_mov_b32_e32 v60, 13
	s_mov_b32 s0, 14
.LBB102_218:                            ; =>This Inner Loop Header: Depth=1
	ds_read_b32 v66, v65
	v_mov_b32_e32 v67, s0
	s_add_i32 s0, s0, 1
	v_add_u32_e32 v65, 4, v65
	s_cmp_lg_u32 s22, s0
	s_waitcnt lgkmcnt(0)
	v_cmp_lt_f32_e64 vcc, |v64|, |v66|
	s_nop 1
	v_cndmask_b32_e32 v64, v64, v66, vcc
	v_cndmask_b32_e32 v60, v60, v67, vcc
	s_cbranch_scc1 .LBB102_218
.LBB102_219:
	s_waitcnt lgkmcnt(0)
	v_cmp_eq_f32_e32 vcc, 0, v64
	s_and_saveexec_b64 s[0:1], vcc
	s_xor_b64 s[0:1], exec, s[0:1]
; %bb.220:
	v_cmp_ne_u32_e32 vcc, 0, v59
	s_nop 1
	v_cndmask_b32_e32 v59, 14, v59, vcc
; %bb.221:
	s_andn2_saveexec_b64 s[0:1], s[0:1]
	s_cbranch_execz .LBB102_223
; %bb.222:
	v_div_scale_f32 v65, s[2:3], v64, v64, 1.0
	v_rcp_f32_e32 v66, v65
	v_div_scale_f32 v67, vcc, 1.0, v64, 1.0
	v_fma_f32 v68, -v65, v66, 1.0
	v_fmac_f32_e32 v66, v68, v66
	v_mul_f32_e32 v68, v67, v66
	v_fma_f32 v69, -v65, v68, v67
	v_fmac_f32_e32 v68, v69, v66
	v_fma_f32 v65, -v65, v68, v67
	v_div_fmas_f32 v65, v65, v66, v68
	v_div_fixup_f32 v64, v65, v64, 1.0
.LBB102_223:
	s_or_b64 exec, exec, s[0:1]
	v_cmp_ne_u32_e32 vcc, v63, v60
	s_and_saveexec_b64 s[0:1], vcc
	s_xor_b64 s[0:1], exec, s[0:1]
	s_cbranch_execz .LBB102_229
; %bb.224:
	v_cmp_eq_u32_e32 vcc, 13, v63
	s_and_saveexec_b64 s[2:3], vcc
	s_cbranch_execz .LBB102_228
; %bb.225:
	v_cmp_ne_u32_e32 vcc, 13, v60
	s_xor_b64 s[12:13], s[20:21], -1
	s_and_b64 s[14:15], s[12:13], vcc
	s_and_saveexec_b64 s[12:13], s[14:15]
	s_cbranch_execz .LBB102_227
; %bb.226:
	v_ashrrev_i32_e32 v61, 31, v60
	v_lshl_add_u64 v[66:67], v[60:61], 2, v[4:5]
	global_load_dword v61, v[66:67], off
	global_load_dword v63, v[4:5], off offset:52
	s_waitcnt vmcnt(1)
	global_store_dword v[4:5], v61, off offset:52
	s_waitcnt vmcnt(1)
	global_store_dword v[66:67], v63, off
.LBB102_227:
	s_or_b64 exec, exec, s[12:13]
	v_mov_b32_e32 v61, v60
	v_mov_b32_e32 v63, v60
.LBB102_228:
	s_or_b64 exec, exec, s[2:3]
.LBB102_229:
	s_andn2_saveexec_b64 s[0:1], s[0:1]
	s_cbranch_execz .LBB102_231
; %bb.230:
	v_mov_b32_e32 v63, 13
	ds_write2_b32 v57, v30, v31 offset0:14 offset1:15
	ds_write2_b32 v57, v46, v47 offset0:16 offset1:17
	;; [unrolled: 1-line block ×19, first 2 shown]
.LBB102_231:
	s_or_b64 exec, exec, s[0:1]
	v_cmp_lt_i32_e32 vcc, 13, v63
	s_waitcnt lgkmcnt(0)
	s_barrier
	s_and_saveexec_b64 s[0:1], vcc
	s_cbranch_execz .LBB102_233
; %bb.232:
	v_mul_f32_e32 v60, v64, v39
	ds_read2_b32 v[64:65], v57 offset0:14 offset1:15
	v_mov_b32_e32 v39, v60
	s_waitcnt lgkmcnt(0)
	v_pk_fma_f32 v[30:31], v[60:61], v[64:65], v[30:31] op_sel_hi:[0,1,1] neg_lo:[1,0,0] neg_hi:[1,0,0]
	ds_read2_b32 v[64:65], v57 offset0:16 offset1:17
	s_waitcnt lgkmcnt(0)
	v_pk_fma_f32 v[46:47], v[60:61], v[64:65], v[46:47] op_sel_hi:[0,1,1] neg_lo:[1,0,0] neg_hi:[1,0,0]
	ds_read2_b32 v[64:65], v57 offset0:18 offset1:19
	;; [unrolled: 3-line block ×18, first 2 shown]
	s_waitcnt lgkmcnt(0)
	v_pk_fma_f32 v[8:9], v[60:61], v[64:65], v[8:9] op_sel_hi:[0,1,1] neg_lo:[1,0,0] neg_hi:[1,0,0]
.LBB102_233:
	s_or_b64 exec, exec, s[0:1]
	v_lshl_add_u32 v60, v63, 2, v57
	s_barrier
	ds_write_b32 v60, v30
	s_waitcnt lgkmcnt(0)
	s_barrier
	ds_read_b32 v64, v57 offset:56
	s_cmp_lt_i32 s22, 16
	v_mov_b32_e32 v60, 14
	s_cbranch_scc1 .LBB102_236
; %bb.234:
	v_add3_u32 v65, v62, 0, 60
	v_mov_b32_e32 v60, 14
	s_mov_b32 s0, 15
.LBB102_235:                            ; =>This Inner Loop Header: Depth=1
	ds_read_b32 v66, v65
	v_mov_b32_e32 v67, s0
	s_add_i32 s0, s0, 1
	v_add_u32_e32 v65, 4, v65
	s_cmp_lg_u32 s22, s0
	s_waitcnt lgkmcnt(0)
	v_cmp_lt_f32_e64 vcc, |v64|, |v66|
	s_nop 1
	v_cndmask_b32_e32 v64, v64, v66, vcc
	v_cndmask_b32_e32 v60, v60, v67, vcc
	s_cbranch_scc1 .LBB102_235
.LBB102_236:
	s_waitcnt lgkmcnt(0)
	v_cmp_eq_f32_e32 vcc, 0, v64
	s_and_saveexec_b64 s[0:1], vcc
	s_xor_b64 s[0:1], exec, s[0:1]
; %bb.237:
	v_cmp_ne_u32_e32 vcc, 0, v59
	s_nop 1
	v_cndmask_b32_e32 v59, 15, v59, vcc
; %bb.238:
	s_andn2_saveexec_b64 s[0:1], s[0:1]
	s_cbranch_execz .LBB102_240
; %bb.239:
	v_div_scale_f32 v65, s[2:3], v64, v64, 1.0
	v_rcp_f32_e32 v66, v65
	v_div_scale_f32 v67, vcc, 1.0, v64, 1.0
	v_fma_f32 v68, -v65, v66, 1.0
	v_fmac_f32_e32 v66, v68, v66
	v_mul_f32_e32 v68, v67, v66
	v_fma_f32 v69, -v65, v68, v67
	v_fmac_f32_e32 v68, v69, v66
	v_fma_f32 v65, -v65, v68, v67
	v_div_fmas_f32 v65, v65, v66, v68
	v_div_fixup_f32 v64, v65, v64, 1.0
.LBB102_240:
	s_or_b64 exec, exec, s[0:1]
	v_cmp_ne_u32_e32 vcc, v63, v60
	s_and_saveexec_b64 s[0:1], vcc
	s_xor_b64 s[0:1], exec, s[0:1]
	s_cbranch_execz .LBB102_246
; %bb.241:
	v_cmp_eq_u32_e32 vcc, 14, v63
	s_and_saveexec_b64 s[2:3], vcc
	s_cbranch_execz .LBB102_245
; %bb.242:
	v_cmp_ne_u32_e32 vcc, 14, v60
	s_xor_b64 s[12:13], s[20:21], -1
	s_and_b64 s[14:15], s[12:13], vcc
	s_and_saveexec_b64 s[12:13], s[14:15]
	s_cbranch_execz .LBB102_244
; %bb.243:
	v_ashrrev_i32_e32 v61, 31, v60
	v_lshl_add_u64 v[66:67], v[60:61], 2, v[4:5]
	global_load_dword v61, v[66:67], off
	global_load_dword v63, v[4:5], off offset:56
	s_waitcnt vmcnt(1)
	global_store_dword v[4:5], v61, off offset:56
	s_waitcnt vmcnt(1)
	global_store_dword v[66:67], v63, off
.LBB102_244:
	s_or_b64 exec, exec, s[12:13]
	v_mov_b32_e32 v61, v60
	v_mov_b32_e32 v63, v60
.LBB102_245:
	s_or_b64 exec, exec, s[2:3]
.LBB102_246:
	s_andn2_saveexec_b64 s[0:1], s[0:1]
	s_cbranch_execz .LBB102_248
; %bb.247:
	v_pk_mov_b32 v[66:67], v[30:31], v[46:47] op_sel:[1,0]
	ds_write2_b32 v57, v66, v67 offset0:15 offset1:16
	v_pk_mov_b32 v[66:67], v[46:47], v[40:41] op_sel:[1,0]
	ds_write2_b32 v57, v66, v67 offset0:17 offset1:18
	;; [unrolled: 2-line block ×17, first 2 shown]
	v_pk_mov_b32 v[66:67], v[12:13], v[8:9] op_sel:[1,0]
	v_mov_b32_e32 v63, 14
	ds_write2_b32 v57, v66, v67 offset0:49 offset1:50
	ds_write_b32 v57, v9 offset:204
.LBB102_248:
	s_or_b64 exec, exec, s[0:1]
	v_cmp_lt_i32_e32 vcc, 14, v63
	s_waitcnt lgkmcnt(0)
	s_barrier
	s_and_saveexec_b64 s[0:1], vcc
	s_cbranch_execz .LBB102_250
; %bb.249:
	ds_read_b32 v60, v57 offset:60
	v_mul_f32_e32 v30, v64, v30
	ds_read2_b32 v[64:65], v57 offset0:16 offset1:17
	s_waitcnt lgkmcnt(1)
	v_fma_f32 v31, -v30, v60, v31
	s_waitcnt lgkmcnt(0)
	v_pk_fma_f32 v[46:47], v[30:31], v[64:65], v[46:47] op_sel_hi:[0,1,1] neg_lo:[1,0,0] neg_hi:[1,0,0]
	ds_read2_b32 v[64:65], v57 offset0:18 offset1:19
	s_waitcnt lgkmcnt(0)
	v_pk_fma_f32 v[40:41], v[30:31], v[64:65], v[40:41] op_sel_hi:[0,1,1] neg_lo:[1,0,0] neg_hi:[1,0,0]
	ds_read2_b32 v[64:65], v57 offset0:20 offset1:21
	;; [unrolled: 3-line block ×17, first 2 shown]
	s_waitcnt lgkmcnt(0)
	v_pk_fma_f32 v[8:9], v[30:31], v[64:65], v[8:9] op_sel_hi:[0,1,1] neg_lo:[1,0,0] neg_hi:[1,0,0]
.LBB102_250:
	s_or_b64 exec, exec, s[0:1]
	v_lshl_add_u32 v60, v63, 2, v57
	s_barrier
	ds_write_b32 v60, v31
	s_waitcnt lgkmcnt(0)
	s_barrier
	ds_read_b32 v64, v57 offset:60
	s_cmp_lt_i32 s22, 17
	v_mov_b32_e32 v60, 15
	s_cbranch_scc1 .LBB102_253
; %bb.251:
	v_add3_u32 v62, v62, 0, 64
	v_mov_b32_e32 v60, 15
	s_mov_b32 s0, 16
.LBB102_252:                            ; =>This Inner Loop Header: Depth=1
	ds_read_b32 v65, v62
	v_mov_b32_e32 v66, s0
	s_add_i32 s0, s0, 1
	v_add_u32_e32 v62, 4, v62
	s_cmp_lg_u32 s22, s0
	s_waitcnt lgkmcnt(0)
	v_cmp_lt_f32_e64 vcc, |v64|, |v65|
	s_nop 1
	v_cndmask_b32_e32 v64, v64, v65, vcc
	v_cndmask_b32_e32 v60, v60, v66, vcc
	s_cbranch_scc1 .LBB102_252
.LBB102_253:
	s_waitcnt lgkmcnt(0)
	v_cmp_eq_f32_e32 vcc, 0, v64
	s_and_saveexec_b64 s[0:1], vcc
	s_xor_b64 s[0:1], exec, s[0:1]
; %bb.254:
	v_cmp_ne_u32_e32 vcc, 0, v59
	s_nop 1
	v_cndmask_b32_e32 v59, 16, v59, vcc
; %bb.255:
	s_andn2_saveexec_b64 s[0:1], s[0:1]
	s_cbranch_execz .LBB102_257
; %bb.256:
	v_div_scale_f32 v62, s[2:3], v64, v64, 1.0
	v_rcp_f32_e32 v65, v62
	v_div_scale_f32 v66, vcc, 1.0, v64, 1.0
	v_fma_f32 v67, -v62, v65, 1.0
	v_fmac_f32_e32 v65, v67, v65
	v_mul_f32_e32 v67, v66, v65
	v_fma_f32 v68, -v62, v67, v66
	v_fmac_f32_e32 v67, v68, v65
	v_fma_f32 v62, -v62, v67, v66
	v_div_fmas_f32 v62, v62, v65, v67
	v_div_fixup_f32 v64, v62, v64, 1.0
.LBB102_257:
	s_or_b64 exec, exec, s[0:1]
	v_cmp_ne_u32_e32 vcc, v63, v60
	s_and_saveexec_b64 s[0:1], vcc
	s_xor_b64 s[0:1], exec, s[0:1]
	s_cbranch_execz .LBB102_263
; %bb.258:
	v_cmp_eq_u32_e32 vcc, 15, v63
	s_and_saveexec_b64 s[2:3], vcc
	s_cbranch_execz .LBB102_262
; %bb.259:
	v_cmp_ne_u32_e32 vcc, 15, v60
	s_xor_b64 s[12:13], s[20:21], -1
	s_and_b64 s[14:15], s[12:13], vcc
	s_and_saveexec_b64 s[12:13], s[14:15]
	s_cbranch_execz .LBB102_261
; %bb.260:
	v_ashrrev_i32_e32 v61, 31, v60
	v_lshl_add_u64 v[62:63], v[60:61], 2, v[4:5]
	global_load_dword v61, v[62:63], off
	global_load_dword v65, v[4:5], off offset:60
	s_waitcnt vmcnt(1)
	global_store_dword v[4:5], v61, off offset:60
	s_waitcnt vmcnt(1)
	global_store_dword v[62:63], v65, off
.LBB102_261:
	s_or_b64 exec, exec, s[12:13]
	v_mov_b32_e32 v61, v60
	v_mov_b32_e32 v63, v60
.LBB102_262:
	s_or_b64 exec, exec, s[2:3]
.LBB102_263:
	s_andn2_saveexec_b64 s[0:1], s[0:1]
	s_cbranch_execz .LBB102_265
; %bb.264:
	v_mov_b32_e32 v63, 15
	ds_write2_b32 v57, v46, v47 offset0:16 offset1:17
	ds_write2_b32 v57, v40, v41 offset0:18 offset1:19
	;; [unrolled: 1-line block ×18, first 2 shown]
.LBB102_265:
	s_or_b64 exec, exec, s[0:1]
	v_cmp_lt_i32_e32 vcc, 15, v63
	s_waitcnt lgkmcnt(0)
	s_barrier
	s_and_saveexec_b64 s[0:1], vcc
	s_cbranch_execz .LBB102_267
; %bb.266:
	ds_read2_b32 v[66:67], v57 offset0:16 offset1:17
	ds_read2_b32 v[68:69], v57 offset0:18 offset1:19
	;; [unrolled: 1-line block ×3, first 2 shown]
	v_mul_f32_e32 v60, v64, v31
	ds_read2_b32 v[64:65], v57 offset0:22 offset1:23
	s_waitcnt lgkmcnt(3)
	v_pk_fma_f32 v[46:47], v[60:61], v[66:67], v[46:47] op_sel_hi:[0,1,1] neg_lo:[1,0,0] neg_hi:[1,0,0]
	s_waitcnt lgkmcnt(2)
	v_pk_fma_f32 v[40:41], v[60:61], v[68:69], v[40:41] op_sel_hi:[0,1,1] neg_lo:[1,0,0] neg_hi:[1,0,0]
	;; [unrolled: 2-line block ×3, first 2 shown]
	ds_read2_b32 v[66:67], v57 offset0:24 offset1:25
	ds_read2_b32 v[68:69], v57 offset0:26 offset1:27
	;; [unrolled: 1-line block ×3, first 2 shown]
	s_waitcnt lgkmcnt(3)
	v_pk_fma_f32 v[22:23], v[60:61], v[64:65], v[22:23] op_sel_hi:[0,1,1] neg_lo:[1,0,0] neg_hi:[1,0,0]
	ds_read2_b32 v[64:65], v57 offset0:30 offset1:31
	s_waitcnt lgkmcnt(3)
	v_pk_fma_f32 v[42:43], v[60:61], v[66:67], v[42:43] op_sel_hi:[0,1,1] neg_lo:[1,0,0] neg_hi:[1,0,0]
	s_waitcnt lgkmcnt(2)
	v_pk_fma_f32 v[34:35], v[60:61], v[68:69], v[34:35] op_sel_hi:[0,1,1] neg_lo:[1,0,0] neg_hi:[1,0,0]
	;; [unrolled: 2-line block ×3, first 2 shown]
	ds_read2_b32 v[66:67], v57 offset0:32 offset1:33
	ds_read2_b32 v[68:69], v57 offset0:34 offset1:35
	;; [unrolled: 1-line block ×3, first 2 shown]
	s_waitcnt lgkmcnt(3)
	v_pk_fma_f32 v[16:17], v[60:61], v[64:65], v[16:17] op_sel_hi:[0,1,1] neg_lo:[1,0,0] neg_hi:[1,0,0]
	ds_read2_b32 v[64:65], v57 offset0:38 offset1:39
	s_waitcnt lgkmcnt(3)
	v_pk_fma_f32 v[36:37], v[60:61], v[66:67], v[36:37] op_sel_hi:[0,1,1] neg_lo:[1,0,0] neg_hi:[1,0,0]
	ds_read2_b32 v[66:67], v57 offset0:40 offset1:41
	s_waitcnt lgkmcnt(3)
	v_pk_fma_f32 v[26:27], v[60:61], v[68:69], v[26:27] op_sel_hi:[0,1,1] neg_lo:[1,0,0] neg_hi:[1,0,0]
	s_waitcnt lgkmcnt(2)
	v_pk_fma_f32 v[18:19], v[60:61], v[70:71], v[18:19] op_sel_hi:[0,1,1] neg_lo:[1,0,0] neg_hi:[1,0,0]
	;; [unrolled: 2-line block ×3, first 2 shown]
	ds_read2_b32 v[64:65], v57 offset0:42 offset1:43
	ds_read2_b32 v[68:69], v57 offset0:44 offset1:45
	;; [unrolled: 1-line block ×3, first 2 shown]
	s_waitcnt lgkmcnt(3)
	v_pk_fma_f32 v[28:29], v[60:61], v[66:67], v[28:29] op_sel_hi:[0,1,1] neg_lo:[1,0,0] neg_hi:[1,0,0]
	ds_read2_b32 v[66:67], v57 offset0:48 offset1:49
	ds_read2_b32 v[72:73], v57 offset0:50 offset1:51
	s_waitcnt lgkmcnt(4)
	v_pk_fma_f32 v[20:21], v[60:61], v[64:65], v[20:21] op_sel_hi:[0,1,1] neg_lo:[1,0,0] neg_hi:[1,0,0]
	s_waitcnt lgkmcnt(3)
	v_pk_fma_f32 v[14:15], v[60:61], v[68:69], v[14:15] op_sel_hi:[0,1,1] neg_lo:[1,0,0] neg_hi:[1,0,0]
	;; [unrolled: 2-line block ×5, first 2 shown]
	v_mov_b32_e32 v31, v60
.LBB102_267:
	s_or_b64 exec, exec, s[0:1]
	v_lshl_add_u32 v60, v63, 2, v57
	s_barrier
	ds_write_b32 v60, v46
	s_waitcnt lgkmcnt(0)
	s_barrier
	ds_read_b32 v62, v57 offset:64
	s_cmp_lt_i32 s22, 18
	v_mov_b32_e32 v60, 16
	s_cbranch_scc1 .LBB102_270
; %bb.268:
	v_add_u32_e32 v64, 0x44, v57
	v_mov_b32_e32 v60, 16
	s_mov_b32 s0, 17
.LBB102_269:                            ; =>This Inner Loop Header: Depth=1
	ds_read_b32 v65, v64
	v_mov_b32_e32 v66, s0
	s_add_i32 s0, s0, 1
	v_add_u32_e32 v64, 4, v64
	s_cmp_lg_u32 s22, s0
	s_waitcnt lgkmcnt(0)
	v_cmp_lt_f32_e64 vcc, |v62|, |v65|
	s_nop 1
	v_cndmask_b32_e32 v62, v62, v65, vcc
	v_cndmask_b32_e32 v60, v60, v66, vcc
	s_cbranch_scc1 .LBB102_269
.LBB102_270:
	s_waitcnt lgkmcnt(0)
	v_cmp_eq_f32_e32 vcc, 0, v62
	s_and_saveexec_b64 s[0:1], vcc
	s_xor_b64 s[0:1], exec, s[0:1]
; %bb.271:
	v_cmp_ne_u32_e32 vcc, 0, v59
	s_nop 1
	v_cndmask_b32_e32 v59, 17, v59, vcc
; %bb.272:
	s_andn2_saveexec_b64 s[0:1], s[0:1]
	s_cbranch_execz .LBB102_274
; %bb.273:
	v_div_scale_f32 v64, s[2:3], v62, v62, 1.0
	v_rcp_f32_e32 v65, v64
	v_div_scale_f32 v66, vcc, 1.0, v62, 1.0
	v_fma_f32 v67, -v64, v65, 1.0
	v_fmac_f32_e32 v65, v67, v65
	v_mul_f32_e32 v67, v66, v65
	v_fma_f32 v68, -v64, v67, v66
	v_fmac_f32_e32 v67, v68, v65
	v_fma_f32 v64, -v64, v67, v66
	v_div_fmas_f32 v64, v64, v65, v67
	v_div_fixup_f32 v62, v64, v62, 1.0
.LBB102_274:
	s_or_b64 exec, exec, s[0:1]
	v_cmp_ne_u32_e32 vcc, v63, v60
	s_and_saveexec_b64 s[0:1], vcc
	s_xor_b64 s[0:1], exec, s[0:1]
	s_cbranch_execz .LBB102_280
; %bb.275:
	v_cmp_eq_u32_e32 vcc, 16, v63
	s_and_saveexec_b64 s[2:3], vcc
	s_cbranch_execz .LBB102_279
; %bb.276:
	v_cmp_ne_u32_e32 vcc, 16, v60
	s_xor_b64 s[12:13], s[20:21], -1
	s_and_b64 s[14:15], s[12:13], vcc
	s_and_saveexec_b64 s[12:13], s[14:15]
	s_cbranch_execz .LBB102_278
; %bb.277:
	v_ashrrev_i32_e32 v61, 31, v60
	v_lshl_add_u64 v[64:65], v[60:61], 2, v[4:5]
	global_load_dword v61, v[64:65], off
	global_load_dword v63, v[4:5], off offset:64
	s_waitcnt vmcnt(1)
	global_store_dword v[4:5], v61, off offset:64
	s_waitcnt vmcnt(1)
	global_store_dword v[64:65], v63, off
.LBB102_278:
	s_or_b64 exec, exec, s[12:13]
	v_mov_b32_e32 v61, v60
	v_mov_b32_e32 v63, v60
.LBB102_279:
	s_or_b64 exec, exec, s[2:3]
.LBB102_280:
	s_andn2_saveexec_b64 s[0:1], s[0:1]
	s_cbranch_execz .LBB102_282
; %bb.281:
	v_pk_mov_b32 v[64:65], v[46:47], v[40:41] op_sel:[1,0]
	ds_write2_b32 v57, v64, v65 offset0:17 offset1:18
	v_pk_mov_b32 v[64:65], v[40:41], v[32:33] op_sel:[1,0]
	ds_write2_b32 v57, v64, v65 offset0:19 offset1:20
	;; [unrolled: 2-line block ×16, first 2 shown]
	v_pk_mov_b32 v[64:65], v[12:13], v[8:9] op_sel:[1,0]
	v_mov_b32_e32 v63, 16
	ds_write2_b32 v57, v64, v65 offset0:49 offset1:50
	ds_write_b32 v57, v9 offset:204
.LBB102_282:
	s_or_b64 exec, exec, s[0:1]
	v_cmp_lt_i32_e32 vcc, 16, v63
	s_waitcnt lgkmcnt(0)
	s_barrier
	s_and_saveexec_b64 s[0:1], vcc
	s_cbranch_execz .LBB102_284
; %bb.283:
	ds_read_b32 v60, v57 offset:68
	ds_read2_b32 v[64:65], v57 offset0:18 offset1:19
	ds_read2_b32 v[66:67], v57 offset0:20 offset1:21
	v_mul_f32_e32 v46, v62, v46
	ds_read2_b32 v[68:69], v57 offset0:22 offset1:23
	s_waitcnt lgkmcnt(3)
	v_fma_f32 v47, -v46, v60, v47
	s_waitcnt lgkmcnt(2)
	v_pk_fma_f32 v[40:41], v[46:47], v[64:65], v[40:41] op_sel_hi:[0,1,1] neg_lo:[1,0,0] neg_hi:[1,0,0]
	s_waitcnt lgkmcnt(1)
	v_pk_fma_f32 v[32:33], v[46:47], v[66:67], v[32:33] op_sel_hi:[0,1,1] neg_lo:[1,0,0] neg_hi:[1,0,0]
	ds_read2_b32 v[64:65], v57 offset0:24 offset1:25
	ds_read2_b32 v[66:67], v57 offset0:26 offset1:27
	;; [unrolled: 1-line block ×3, first 2 shown]
	s_waitcnt lgkmcnt(3)
	v_pk_fma_f32 v[22:23], v[46:47], v[68:69], v[22:23] op_sel_hi:[0,1,1] neg_lo:[1,0,0] neg_hi:[1,0,0]
	ds_read2_b32 v[68:69], v57 offset0:30 offset1:31
	s_waitcnt lgkmcnt(3)
	v_pk_fma_f32 v[42:43], v[46:47], v[64:65], v[42:43] op_sel_hi:[0,1,1] neg_lo:[1,0,0] neg_hi:[1,0,0]
	s_waitcnt lgkmcnt(2)
	v_pk_fma_f32 v[34:35], v[46:47], v[66:67], v[34:35] op_sel_hi:[0,1,1] neg_lo:[1,0,0] neg_hi:[1,0,0]
	;; [unrolled: 2-line block ×3, first 2 shown]
	ds_read2_b32 v[64:65], v57 offset0:32 offset1:33
	ds_read2_b32 v[66:67], v57 offset0:34 offset1:35
	;; [unrolled: 1-line block ×3, first 2 shown]
	s_waitcnt lgkmcnt(3)
	v_pk_fma_f32 v[16:17], v[46:47], v[68:69], v[16:17] op_sel_hi:[0,1,1] neg_lo:[1,0,0] neg_hi:[1,0,0]
	ds_read2_b32 v[68:69], v57 offset0:38 offset1:39
	s_waitcnt lgkmcnt(3)
	v_pk_fma_f32 v[36:37], v[46:47], v[64:65], v[36:37] op_sel_hi:[0,1,1] neg_lo:[1,0,0] neg_hi:[1,0,0]
	ds_read2_b32 v[64:65], v57 offset0:40 offset1:41
	s_waitcnt lgkmcnt(3)
	v_pk_fma_f32 v[26:27], v[46:47], v[66:67], v[26:27] op_sel_hi:[0,1,1] neg_lo:[1,0,0] neg_hi:[1,0,0]
	s_waitcnt lgkmcnt(2)
	v_pk_fma_f32 v[18:19], v[46:47], v[70:71], v[18:19] op_sel_hi:[0,1,1] neg_lo:[1,0,0] neg_hi:[1,0,0]
	;; [unrolled: 2-line block ×3, first 2 shown]
	ds_read2_b32 v[66:67], v57 offset0:42 offset1:43
	ds_read2_b32 v[68:69], v57 offset0:44 offset1:45
	;; [unrolled: 1-line block ×3, first 2 shown]
	s_waitcnt lgkmcnt(3)
	v_pk_fma_f32 v[28:29], v[46:47], v[64:65], v[28:29] op_sel_hi:[0,1,1] neg_lo:[1,0,0] neg_hi:[1,0,0]
	ds_read2_b32 v[64:65], v57 offset0:48 offset1:49
	ds_read2_b32 v[72:73], v57 offset0:50 offset1:51
	s_waitcnt lgkmcnt(4)
	v_pk_fma_f32 v[20:21], v[46:47], v[66:67], v[20:21] op_sel_hi:[0,1,1] neg_lo:[1,0,0] neg_hi:[1,0,0]
	s_waitcnt lgkmcnt(3)
	v_pk_fma_f32 v[14:15], v[46:47], v[68:69], v[14:15] op_sel_hi:[0,1,1] neg_lo:[1,0,0] neg_hi:[1,0,0]
	;; [unrolled: 2-line block ×5, first 2 shown]
.LBB102_284:
	s_or_b64 exec, exec, s[0:1]
	v_lshl_add_u32 v60, v63, 2, v57
	s_barrier
	ds_write_b32 v60, v47
	s_waitcnt lgkmcnt(0)
	s_barrier
	ds_read_b32 v62, v57 offset:68
	s_cmp_lt_i32 s22, 19
	v_mov_b32_e32 v60, 17
	s_cbranch_scc1 .LBB102_287
; %bb.285:
	v_add_u32_e32 v64, 0x48, v57
	v_mov_b32_e32 v60, 17
	s_mov_b32 s0, 18
.LBB102_286:                            ; =>This Inner Loop Header: Depth=1
	ds_read_b32 v65, v64
	v_mov_b32_e32 v66, s0
	s_add_i32 s0, s0, 1
	v_add_u32_e32 v64, 4, v64
	s_cmp_lg_u32 s22, s0
	s_waitcnt lgkmcnt(0)
	v_cmp_lt_f32_e64 vcc, |v62|, |v65|
	s_nop 1
	v_cndmask_b32_e32 v62, v62, v65, vcc
	v_cndmask_b32_e32 v60, v60, v66, vcc
	s_cbranch_scc1 .LBB102_286
.LBB102_287:
	s_waitcnt lgkmcnt(0)
	v_cmp_eq_f32_e32 vcc, 0, v62
	s_and_saveexec_b64 s[0:1], vcc
	s_xor_b64 s[0:1], exec, s[0:1]
; %bb.288:
	v_cmp_ne_u32_e32 vcc, 0, v59
	s_nop 1
	v_cndmask_b32_e32 v59, 18, v59, vcc
; %bb.289:
	s_andn2_saveexec_b64 s[0:1], s[0:1]
	s_cbranch_execz .LBB102_291
; %bb.290:
	v_div_scale_f32 v64, s[2:3], v62, v62, 1.0
	v_rcp_f32_e32 v65, v64
	v_div_scale_f32 v66, vcc, 1.0, v62, 1.0
	v_fma_f32 v67, -v64, v65, 1.0
	v_fmac_f32_e32 v65, v67, v65
	v_mul_f32_e32 v67, v66, v65
	v_fma_f32 v68, -v64, v67, v66
	v_fmac_f32_e32 v67, v68, v65
	v_fma_f32 v64, -v64, v67, v66
	v_div_fmas_f32 v64, v64, v65, v67
	v_div_fixup_f32 v62, v64, v62, 1.0
.LBB102_291:
	s_or_b64 exec, exec, s[0:1]
	v_cmp_ne_u32_e32 vcc, v63, v60
	s_and_saveexec_b64 s[0:1], vcc
	s_xor_b64 s[0:1], exec, s[0:1]
	s_cbranch_execz .LBB102_297
; %bb.292:
	v_cmp_eq_u32_e32 vcc, 17, v63
	s_and_saveexec_b64 s[2:3], vcc
	s_cbranch_execz .LBB102_296
; %bb.293:
	v_cmp_ne_u32_e32 vcc, 17, v60
	s_xor_b64 s[12:13], s[20:21], -1
	s_and_b64 s[14:15], s[12:13], vcc
	s_and_saveexec_b64 s[12:13], s[14:15]
	s_cbranch_execz .LBB102_295
; %bb.294:
	v_ashrrev_i32_e32 v61, 31, v60
	v_lshl_add_u64 v[64:65], v[60:61], 2, v[4:5]
	global_load_dword v61, v[64:65], off
	global_load_dword v63, v[4:5], off offset:68
	s_waitcnt vmcnt(1)
	global_store_dword v[4:5], v61, off offset:68
	s_waitcnt vmcnt(1)
	global_store_dword v[64:65], v63, off
.LBB102_295:
	s_or_b64 exec, exec, s[12:13]
	v_mov_b32_e32 v61, v60
	v_mov_b32_e32 v63, v60
.LBB102_296:
	s_or_b64 exec, exec, s[2:3]
.LBB102_297:
	s_andn2_saveexec_b64 s[0:1], s[0:1]
	s_cbranch_execz .LBB102_299
; %bb.298:
	v_mov_b32_e32 v63, 17
	ds_write2_b32 v57, v40, v41 offset0:18 offset1:19
	ds_write2_b32 v57, v32, v33 offset0:20 offset1:21
	;; [unrolled: 1-line block ×17, first 2 shown]
.LBB102_299:
	s_or_b64 exec, exec, s[0:1]
	v_cmp_lt_i32_e32 vcc, 17, v63
	s_waitcnt lgkmcnt(0)
	s_barrier
	s_and_saveexec_b64 s[0:1], vcc
	s_cbranch_execz .LBB102_301
; %bb.300:
	ds_read2_b32 v[64:65], v57 offset0:18 offset1:19
	ds_read2_b32 v[66:67], v57 offset0:20 offset1:21
	;; [unrolled: 1-line block ×3, first 2 shown]
	v_mul_f32_e32 v60, v62, v47
	ds_read2_b32 v[70:71], v57 offset0:24 offset1:25
	s_waitcnt lgkmcnt(3)
	v_pk_fma_f32 v[40:41], v[60:61], v[64:65], v[40:41] op_sel_hi:[0,1,1] neg_lo:[1,0,0] neg_hi:[1,0,0]
	s_waitcnt lgkmcnt(2)
	v_pk_fma_f32 v[32:33], v[60:61], v[66:67], v[32:33] op_sel_hi:[0,1,1] neg_lo:[1,0,0] neg_hi:[1,0,0]
	;; [unrolled: 2-line block ×3, first 2 shown]
	ds_read2_b32 v[64:65], v57 offset0:26 offset1:27
	ds_read2_b32 v[66:67], v57 offset0:28 offset1:29
	ds_read2_b32 v[68:69], v57 offset0:30 offset1:31
	s_waitcnt lgkmcnt(3)
	v_pk_fma_f32 v[42:43], v[60:61], v[70:71], v[42:43] op_sel_hi:[0,1,1] neg_lo:[1,0,0] neg_hi:[1,0,0]
	ds_read2_b32 v[70:71], v57 offset0:32 offset1:33
	s_waitcnt lgkmcnt(3)
	v_pk_fma_f32 v[34:35], v[60:61], v[64:65], v[34:35] op_sel_hi:[0,1,1] neg_lo:[1,0,0] neg_hi:[1,0,0]
	s_waitcnt lgkmcnt(2)
	v_pk_fma_f32 v[24:25], v[60:61], v[66:67], v[24:25] op_sel_hi:[0,1,1] neg_lo:[1,0,0] neg_hi:[1,0,0]
	;; [unrolled: 2-line block ×3, first 2 shown]
	ds_read2_b32 v[64:65], v57 offset0:34 offset1:35
	ds_read2_b32 v[66:67], v57 offset0:36 offset1:37
	;; [unrolled: 1-line block ×4, first 2 shown]
	s_waitcnt lgkmcnt(4)
	v_pk_fma_f32 v[36:37], v[60:61], v[70:71], v[36:37] op_sel_hi:[0,1,1] neg_lo:[1,0,0] neg_hi:[1,0,0]
	s_waitcnt lgkmcnt(3)
	v_pk_fma_f32 v[26:27], v[60:61], v[64:65], v[26:27] op_sel_hi:[0,1,1] neg_lo:[1,0,0] neg_hi:[1,0,0]
	s_waitcnt lgkmcnt(2)
	v_pk_fma_f32 v[18:19], v[60:61], v[66:67], v[18:19] op_sel_hi:[0,1,1] neg_lo:[1,0,0] neg_hi:[1,0,0]
	s_waitcnt lgkmcnt(1)
	v_pk_fma_f32 v[10:11], v[60:61], v[68:69], v[10:11] op_sel_hi:[0,1,1] neg_lo:[1,0,0] neg_hi:[1,0,0]
	s_waitcnt lgkmcnt(0)
	v_pk_fma_f32 v[28:29], v[60:61], v[72:73], v[28:29] op_sel_hi:[0,1,1] neg_lo:[1,0,0] neg_hi:[1,0,0]
	ds_read2_b32 v[64:65], v57 offset0:42 offset1:43
	ds_read2_b32 v[66:67], v57 offset0:44 offset1:45
	;; [unrolled: 1-line block ×5, first 2 shown]
	s_waitcnt lgkmcnt(4)
	v_pk_fma_f32 v[20:21], v[60:61], v[64:65], v[20:21] op_sel_hi:[0,1,1] neg_lo:[1,0,0] neg_hi:[1,0,0]
	s_waitcnt lgkmcnt(3)
	v_pk_fma_f32 v[14:15], v[60:61], v[66:67], v[14:15] op_sel_hi:[0,1,1] neg_lo:[1,0,0] neg_hi:[1,0,0]
	;; [unrolled: 2-line block ×5, first 2 shown]
	v_mov_b32_e32 v47, v60
.LBB102_301:
	s_or_b64 exec, exec, s[0:1]
	v_lshl_add_u32 v60, v63, 2, v57
	s_barrier
	ds_write_b32 v60, v40
	s_waitcnt lgkmcnt(0)
	s_barrier
	ds_read_b32 v62, v57 offset:72
	s_cmp_lt_i32 s22, 20
	v_mov_b32_e32 v60, 18
	s_cbranch_scc1 .LBB102_304
; %bb.302:
	v_add_u32_e32 v64, 0x4c, v57
	v_mov_b32_e32 v60, 18
	s_mov_b32 s0, 19
.LBB102_303:                            ; =>This Inner Loop Header: Depth=1
	ds_read_b32 v65, v64
	v_mov_b32_e32 v66, s0
	s_add_i32 s0, s0, 1
	v_add_u32_e32 v64, 4, v64
	s_cmp_lg_u32 s22, s0
	s_waitcnt lgkmcnt(0)
	v_cmp_lt_f32_e64 vcc, |v62|, |v65|
	s_nop 1
	v_cndmask_b32_e32 v62, v62, v65, vcc
	v_cndmask_b32_e32 v60, v60, v66, vcc
	s_cbranch_scc1 .LBB102_303
.LBB102_304:
	s_waitcnt lgkmcnt(0)
	v_cmp_eq_f32_e32 vcc, 0, v62
	s_and_saveexec_b64 s[0:1], vcc
	s_xor_b64 s[0:1], exec, s[0:1]
; %bb.305:
	v_cmp_ne_u32_e32 vcc, 0, v59
	s_nop 1
	v_cndmask_b32_e32 v59, 19, v59, vcc
; %bb.306:
	s_andn2_saveexec_b64 s[0:1], s[0:1]
	s_cbranch_execz .LBB102_308
; %bb.307:
	v_div_scale_f32 v64, s[2:3], v62, v62, 1.0
	v_rcp_f32_e32 v65, v64
	v_div_scale_f32 v66, vcc, 1.0, v62, 1.0
	v_fma_f32 v67, -v64, v65, 1.0
	v_fmac_f32_e32 v65, v67, v65
	v_mul_f32_e32 v67, v66, v65
	v_fma_f32 v68, -v64, v67, v66
	v_fmac_f32_e32 v67, v68, v65
	v_fma_f32 v64, -v64, v67, v66
	v_div_fmas_f32 v64, v64, v65, v67
	v_div_fixup_f32 v62, v64, v62, 1.0
.LBB102_308:
	s_or_b64 exec, exec, s[0:1]
	v_cmp_ne_u32_e32 vcc, v63, v60
	s_and_saveexec_b64 s[0:1], vcc
	s_xor_b64 s[0:1], exec, s[0:1]
	s_cbranch_execz .LBB102_314
; %bb.309:
	v_cmp_eq_u32_e32 vcc, 18, v63
	s_and_saveexec_b64 s[2:3], vcc
	s_cbranch_execz .LBB102_313
; %bb.310:
	v_cmp_ne_u32_e32 vcc, 18, v60
	s_xor_b64 s[12:13], s[20:21], -1
	s_and_b64 s[14:15], s[12:13], vcc
	s_and_saveexec_b64 s[12:13], s[14:15]
	s_cbranch_execz .LBB102_312
; %bb.311:
	v_ashrrev_i32_e32 v61, 31, v60
	v_lshl_add_u64 v[64:65], v[60:61], 2, v[4:5]
	global_load_dword v61, v[64:65], off
	global_load_dword v63, v[4:5], off offset:72
	s_waitcnt vmcnt(1)
	global_store_dword v[4:5], v61, off offset:72
	s_waitcnt vmcnt(1)
	global_store_dword v[64:65], v63, off
.LBB102_312:
	s_or_b64 exec, exec, s[12:13]
	v_mov_b32_e32 v61, v60
	v_mov_b32_e32 v63, v60
.LBB102_313:
	s_or_b64 exec, exec, s[2:3]
.LBB102_314:
	s_andn2_saveexec_b64 s[0:1], s[0:1]
	s_cbranch_execz .LBB102_316
; %bb.315:
	v_pk_mov_b32 v[64:65], v[40:41], v[32:33] op_sel:[1,0]
	ds_write2_b32 v57, v64, v65 offset0:19 offset1:20
	v_pk_mov_b32 v[64:65], v[32:33], v[22:23] op_sel:[1,0]
	ds_write2_b32 v57, v64, v65 offset0:21 offset1:22
	;; [unrolled: 2-line block ×15, first 2 shown]
	v_pk_mov_b32 v[64:65], v[12:13], v[8:9] op_sel:[1,0]
	v_mov_b32_e32 v63, 18
	ds_write2_b32 v57, v64, v65 offset0:49 offset1:50
	ds_write_b32 v57, v9 offset:204
.LBB102_316:
	s_or_b64 exec, exec, s[0:1]
	v_cmp_lt_i32_e32 vcc, 18, v63
	s_waitcnt lgkmcnt(0)
	s_barrier
	s_and_saveexec_b64 s[0:1], vcc
	s_cbranch_execz .LBB102_318
; %bb.317:
	ds_read_b32 v60, v57 offset:76
	ds_read2_b32 v[64:65], v57 offset0:20 offset1:21
	ds_read2_b32 v[66:67], v57 offset0:22 offset1:23
	v_mul_f32_e32 v40, v62, v40
	ds_read2_b32 v[68:69], v57 offset0:24 offset1:25
	s_waitcnt lgkmcnt(3)
	v_fma_f32 v41, -v40, v60, v41
	s_waitcnt lgkmcnt(2)
	v_pk_fma_f32 v[32:33], v[40:41], v[64:65], v[32:33] op_sel_hi:[0,1,1] neg_lo:[1,0,0] neg_hi:[1,0,0]
	s_waitcnt lgkmcnt(1)
	v_pk_fma_f32 v[22:23], v[40:41], v[66:67], v[22:23] op_sel_hi:[0,1,1] neg_lo:[1,0,0] neg_hi:[1,0,0]
	ds_read2_b32 v[64:65], v57 offset0:26 offset1:27
	ds_read2_b32 v[66:67], v57 offset0:28 offset1:29
	;; [unrolled: 1-line block ×3, first 2 shown]
	s_waitcnt lgkmcnt(3)
	v_pk_fma_f32 v[42:43], v[40:41], v[68:69], v[42:43] op_sel_hi:[0,1,1] neg_lo:[1,0,0] neg_hi:[1,0,0]
	ds_read2_b32 v[68:69], v57 offset0:32 offset1:33
	s_waitcnt lgkmcnt(3)
	v_pk_fma_f32 v[34:35], v[40:41], v[64:65], v[34:35] op_sel_hi:[0,1,1] neg_lo:[1,0,0] neg_hi:[1,0,0]
	s_waitcnt lgkmcnt(2)
	v_pk_fma_f32 v[24:25], v[40:41], v[66:67], v[24:25] op_sel_hi:[0,1,1] neg_lo:[1,0,0] neg_hi:[1,0,0]
	;; [unrolled: 2-line block ×3, first 2 shown]
	ds_read2_b32 v[64:65], v57 offset0:34 offset1:35
	ds_read2_b32 v[66:67], v57 offset0:36 offset1:37
	;; [unrolled: 1-line block ×4, first 2 shown]
	s_waitcnt lgkmcnt(4)
	v_pk_fma_f32 v[36:37], v[40:41], v[68:69], v[36:37] op_sel_hi:[0,1,1] neg_lo:[1,0,0] neg_hi:[1,0,0]
	s_waitcnt lgkmcnt(3)
	v_pk_fma_f32 v[26:27], v[40:41], v[64:65], v[26:27] op_sel_hi:[0,1,1] neg_lo:[1,0,0] neg_hi:[1,0,0]
	;; [unrolled: 2-line block ×5, first 2 shown]
	ds_read2_b32 v[64:65], v57 offset0:42 offset1:43
	ds_read2_b32 v[66:67], v57 offset0:44 offset1:45
	ds_read2_b32 v[68:69], v57 offset0:46 offset1:47
	ds_read2_b32 v[70:71], v57 offset0:48 offset1:49
	ds_read2_b32 v[72:73], v57 offset0:50 offset1:51
	s_waitcnt lgkmcnt(4)
	v_pk_fma_f32 v[20:21], v[40:41], v[64:65], v[20:21] op_sel_hi:[0,1,1] neg_lo:[1,0,0] neg_hi:[1,0,0]
	s_waitcnt lgkmcnt(3)
	v_pk_fma_f32 v[14:15], v[40:41], v[66:67], v[14:15] op_sel_hi:[0,1,1] neg_lo:[1,0,0] neg_hi:[1,0,0]
	;; [unrolled: 2-line block ×5, first 2 shown]
.LBB102_318:
	s_or_b64 exec, exec, s[0:1]
	v_lshl_add_u32 v60, v63, 2, v57
	s_barrier
	ds_write_b32 v60, v41
	s_waitcnt lgkmcnt(0)
	s_barrier
	ds_read_b32 v62, v57 offset:76
	s_cmp_lt_i32 s22, 21
	v_mov_b32_e32 v60, 19
	s_cbranch_scc1 .LBB102_321
; %bb.319:
	v_add_u32_e32 v64, 0x50, v57
	v_mov_b32_e32 v60, 19
	s_mov_b32 s0, 20
.LBB102_320:                            ; =>This Inner Loop Header: Depth=1
	ds_read_b32 v65, v64
	v_mov_b32_e32 v66, s0
	s_add_i32 s0, s0, 1
	v_add_u32_e32 v64, 4, v64
	s_cmp_lg_u32 s22, s0
	s_waitcnt lgkmcnt(0)
	v_cmp_lt_f32_e64 vcc, |v62|, |v65|
	s_nop 1
	v_cndmask_b32_e32 v62, v62, v65, vcc
	v_cndmask_b32_e32 v60, v60, v66, vcc
	s_cbranch_scc1 .LBB102_320
.LBB102_321:
	s_waitcnt lgkmcnt(0)
	v_cmp_eq_f32_e32 vcc, 0, v62
	s_and_saveexec_b64 s[0:1], vcc
	s_xor_b64 s[0:1], exec, s[0:1]
; %bb.322:
	v_cmp_ne_u32_e32 vcc, 0, v59
	s_nop 1
	v_cndmask_b32_e32 v59, 20, v59, vcc
; %bb.323:
	s_andn2_saveexec_b64 s[0:1], s[0:1]
	s_cbranch_execz .LBB102_325
; %bb.324:
	v_div_scale_f32 v64, s[2:3], v62, v62, 1.0
	v_rcp_f32_e32 v65, v64
	v_div_scale_f32 v66, vcc, 1.0, v62, 1.0
	v_fma_f32 v67, -v64, v65, 1.0
	v_fmac_f32_e32 v65, v67, v65
	v_mul_f32_e32 v67, v66, v65
	v_fma_f32 v68, -v64, v67, v66
	v_fmac_f32_e32 v67, v68, v65
	v_fma_f32 v64, -v64, v67, v66
	v_div_fmas_f32 v64, v64, v65, v67
	v_div_fixup_f32 v62, v64, v62, 1.0
.LBB102_325:
	s_or_b64 exec, exec, s[0:1]
	v_cmp_ne_u32_e32 vcc, v63, v60
	s_and_saveexec_b64 s[0:1], vcc
	s_xor_b64 s[0:1], exec, s[0:1]
	s_cbranch_execz .LBB102_331
; %bb.326:
	v_cmp_eq_u32_e32 vcc, 19, v63
	s_and_saveexec_b64 s[2:3], vcc
	s_cbranch_execz .LBB102_330
; %bb.327:
	v_cmp_ne_u32_e32 vcc, 19, v60
	s_xor_b64 s[12:13], s[20:21], -1
	s_and_b64 s[14:15], s[12:13], vcc
	s_and_saveexec_b64 s[12:13], s[14:15]
	s_cbranch_execz .LBB102_329
; %bb.328:
	v_ashrrev_i32_e32 v61, 31, v60
	v_lshl_add_u64 v[64:65], v[60:61], 2, v[4:5]
	global_load_dword v61, v[64:65], off
	global_load_dword v63, v[4:5], off offset:76
	s_waitcnt vmcnt(1)
	global_store_dword v[4:5], v61, off offset:76
	s_waitcnt vmcnt(1)
	global_store_dword v[64:65], v63, off
.LBB102_329:
	s_or_b64 exec, exec, s[12:13]
	v_mov_b32_e32 v61, v60
	v_mov_b32_e32 v63, v60
.LBB102_330:
	s_or_b64 exec, exec, s[2:3]
.LBB102_331:
	s_andn2_saveexec_b64 s[0:1], s[0:1]
	s_cbranch_execz .LBB102_333
; %bb.332:
	v_mov_b32_e32 v63, 19
	ds_write2_b32 v57, v32, v33 offset0:20 offset1:21
	ds_write2_b32 v57, v22, v23 offset0:22 offset1:23
	;; [unrolled: 1-line block ×16, first 2 shown]
.LBB102_333:
	s_or_b64 exec, exec, s[0:1]
	v_cmp_lt_i32_e32 vcc, 19, v63
	s_waitcnt lgkmcnt(0)
	s_barrier
	s_and_saveexec_b64 s[0:1], vcc
	s_cbranch_execz .LBB102_335
; %bb.334:
	ds_read2_b32 v[64:65], v57 offset0:20 offset1:21
	ds_read2_b32 v[66:67], v57 offset0:22 offset1:23
	;; [unrolled: 1-line block ×3, first 2 shown]
	v_mul_f32_e32 v60, v62, v41
	ds_read2_b32 v[70:71], v57 offset0:26 offset1:27
	s_waitcnt lgkmcnt(3)
	v_pk_fma_f32 v[32:33], v[60:61], v[64:65], v[32:33] op_sel_hi:[0,1,1] neg_lo:[1,0,0] neg_hi:[1,0,0]
	s_waitcnt lgkmcnt(2)
	v_pk_fma_f32 v[22:23], v[60:61], v[66:67], v[22:23] op_sel_hi:[0,1,1] neg_lo:[1,0,0] neg_hi:[1,0,0]
	s_waitcnt lgkmcnt(1)
	v_pk_fma_f32 v[42:43], v[60:61], v[68:69], v[42:43] op_sel_hi:[0,1,1] neg_lo:[1,0,0] neg_hi:[1,0,0]
	ds_read2_b32 v[64:65], v57 offset0:28 offset1:29
	ds_read2_b32 v[66:67], v57 offset0:30 offset1:31
	;; [unrolled: 1-line block ×3, first 2 shown]
	s_waitcnt lgkmcnt(3)
	v_pk_fma_f32 v[34:35], v[60:61], v[70:71], v[34:35] op_sel_hi:[0,1,1] neg_lo:[1,0,0] neg_hi:[1,0,0]
	ds_read2_b32 v[70:71], v57 offset0:34 offset1:35
	s_waitcnt lgkmcnt(3)
	v_pk_fma_f32 v[24:25], v[60:61], v[64:65], v[24:25] op_sel_hi:[0,1,1] neg_lo:[1,0,0] neg_hi:[1,0,0]
	s_waitcnt lgkmcnt(2)
	v_pk_fma_f32 v[16:17], v[60:61], v[66:67], v[16:17] op_sel_hi:[0,1,1] neg_lo:[1,0,0] neg_hi:[1,0,0]
	;; [unrolled: 2-line block ×3, first 2 shown]
	ds_read2_b32 v[64:65], v57 offset0:36 offset1:37
	ds_read2_b32 v[66:67], v57 offset0:38 offset1:39
	;; [unrolled: 1-line block ×3, first 2 shown]
	s_waitcnt lgkmcnt(3)
	v_pk_fma_f32 v[26:27], v[60:61], v[70:71], v[26:27] op_sel_hi:[0,1,1] neg_lo:[1,0,0] neg_hi:[1,0,0]
	ds_read2_b32 v[70:71], v57 offset0:42 offset1:43
	s_waitcnt lgkmcnt(3)
	v_pk_fma_f32 v[18:19], v[60:61], v[64:65], v[18:19] op_sel_hi:[0,1,1] neg_lo:[1,0,0] neg_hi:[1,0,0]
	s_waitcnt lgkmcnt(2)
	v_pk_fma_f32 v[10:11], v[60:61], v[66:67], v[10:11] op_sel_hi:[0,1,1] neg_lo:[1,0,0] neg_hi:[1,0,0]
	;; [unrolled: 2-line block ×3, first 2 shown]
	ds_read2_b32 v[64:65], v57 offset0:44 offset1:45
	ds_read2_b32 v[66:67], v57 offset0:46 offset1:47
	;; [unrolled: 1-line block ×4, first 2 shown]
	s_waitcnt lgkmcnt(4)
	v_pk_fma_f32 v[20:21], v[60:61], v[70:71], v[20:21] op_sel_hi:[0,1,1] neg_lo:[1,0,0] neg_hi:[1,0,0]
	s_waitcnt lgkmcnt(3)
	v_pk_fma_f32 v[14:15], v[60:61], v[64:65], v[14:15] op_sel_hi:[0,1,1] neg_lo:[1,0,0] neg_hi:[1,0,0]
	;; [unrolled: 2-line block ×5, first 2 shown]
	v_mov_b32_e32 v41, v60
.LBB102_335:
	s_or_b64 exec, exec, s[0:1]
	v_lshl_add_u32 v60, v63, 2, v57
	s_barrier
	ds_write_b32 v60, v32
	s_waitcnt lgkmcnt(0)
	s_barrier
	ds_read_b32 v62, v57 offset:80
	s_cmp_lt_i32 s22, 22
	v_mov_b32_e32 v60, 20
	s_cbranch_scc1 .LBB102_338
; %bb.336:
	v_add_u32_e32 v64, 0x54, v57
	v_mov_b32_e32 v60, 20
	s_mov_b32 s0, 21
.LBB102_337:                            ; =>This Inner Loop Header: Depth=1
	ds_read_b32 v65, v64
	v_mov_b32_e32 v66, s0
	s_add_i32 s0, s0, 1
	v_add_u32_e32 v64, 4, v64
	s_cmp_lg_u32 s22, s0
	s_waitcnt lgkmcnt(0)
	v_cmp_lt_f32_e64 vcc, |v62|, |v65|
	s_nop 1
	v_cndmask_b32_e32 v62, v62, v65, vcc
	v_cndmask_b32_e32 v60, v60, v66, vcc
	s_cbranch_scc1 .LBB102_337
.LBB102_338:
	s_waitcnt lgkmcnt(0)
	v_cmp_eq_f32_e32 vcc, 0, v62
	s_and_saveexec_b64 s[0:1], vcc
	s_xor_b64 s[0:1], exec, s[0:1]
; %bb.339:
	v_cmp_ne_u32_e32 vcc, 0, v59
	s_nop 1
	v_cndmask_b32_e32 v59, 21, v59, vcc
; %bb.340:
	s_andn2_saveexec_b64 s[0:1], s[0:1]
	s_cbranch_execz .LBB102_342
; %bb.341:
	v_div_scale_f32 v64, s[2:3], v62, v62, 1.0
	v_rcp_f32_e32 v65, v64
	v_div_scale_f32 v66, vcc, 1.0, v62, 1.0
	v_fma_f32 v67, -v64, v65, 1.0
	v_fmac_f32_e32 v65, v67, v65
	v_mul_f32_e32 v67, v66, v65
	v_fma_f32 v68, -v64, v67, v66
	v_fmac_f32_e32 v67, v68, v65
	v_fma_f32 v64, -v64, v67, v66
	v_div_fmas_f32 v64, v64, v65, v67
	v_div_fixup_f32 v62, v64, v62, 1.0
.LBB102_342:
	s_or_b64 exec, exec, s[0:1]
	v_cmp_ne_u32_e32 vcc, v63, v60
	s_and_saveexec_b64 s[0:1], vcc
	s_xor_b64 s[0:1], exec, s[0:1]
	s_cbranch_execz .LBB102_348
; %bb.343:
	v_cmp_eq_u32_e32 vcc, 20, v63
	s_and_saveexec_b64 s[2:3], vcc
	s_cbranch_execz .LBB102_347
; %bb.344:
	v_cmp_ne_u32_e32 vcc, 20, v60
	s_xor_b64 s[12:13], s[20:21], -1
	s_and_b64 s[14:15], s[12:13], vcc
	s_and_saveexec_b64 s[12:13], s[14:15]
	s_cbranch_execz .LBB102_346
; %bb.345:
	v_ashrrev_i32_e32 v61, 31, v60
	v_lshl_add_u64 v[64:65], v[60:61], 2, v[4:5]
	global_load_dword v61, v[64:65], off
	global_load_dword v63, v[4:5], off offset:80
	s_waitcnt vmcnt(1)
	global_store_dword v[4:5], v61, off offset:80
	s_waitcnt vmcnt(1)
	global_store_dword v[64:65], v63, off
.LBB102_346:
	s_or_b64 exec, exec, s[12:13]
	v_mov_b32_e32 v61, v60
	v_mov_b32_e32 v63, v60
.LBB102_347:
	s_or_b64 exec, exec, s[2:3]
.LBB102_348:
	s_andn2_saveexec_b64 s[0:1], s[0:1]
	s_cbranch_execz .LBB102_350
; %bb.349:
	v_pk_mov_b32 v[64:65], v[32:33], v[22:23] op_sel:[1,0]
	ds_write2_b32 v57, v64, v65 offset0:21 offset1:22
	v_pk_mov_b32 v[64:65], v[22:23], v[42:43] op_sel:[1,0]
	ds_write2_b32 v57, v64, v65 offset0:23 offset1:24
	;; [unrolled: 2-line block ×14, first 2 shown]
	v_pk_mov_b32 v[64:65], v[12:13], v[8:9] op_sel:[1,0]
	v_mov_b32_e32 v63, 20
	ds_write2_b32 v57, v64, v65 offset0:49 offset1:50
	ds_write_b32 v57, v9 offset:204
.LBB102_350:
	s_or_b64 exec, exec, s[0:1]
	v_cmp_lt_i32_e32 vcc, 20, v63
	s_waitcnt lgkmcnt(0)
	s_barrier
	s_and_saveexec_b64 s[0:1], vcc
	s_cbranch_execz .LBB102_352
; %bb.351:
	ds_read_b32 v60, v57 offset:84
	ds_read2_b32 v[64:65], v57 offset0:22 offset1:23
	ds_read2_b32 v[66:67], v57 offset0:24 offset1:25
	v_mul_f32_e32 v32, v62, v32
	ds_read2_b32 v[68:69], v57 offset0:26 offset1:27
	s_waitcnt lgkmcnt(3)
	v_fma_f32 v33, -v32, v60, v33
	s_waitcnt lgkmcnt(2)
	v_pk_fma_f32 v[22:23], v[32:33], v[64:65], v[22:23] op_sel_hi:[0,1,1] neg_lo:[1,0,0] neg_hi:[1,0,0]
	s_waitcnt lgkmcnt(1)
	v_pk_fma_f32 v[42:43], v[32:33], v[66:67], v[42:43] op_sel_hi:[0,1,1] neg_lo:[1,0,0] neg_hi:[1,0,0]
	ds_read2_b32 v[64:65], v57 offset0:28 offset1:29
	ds_read2_b32 v[66:67], v57 offset0:30 offset1:31
	;; [unrolled: 1-line block ×3, first 2 shown]
	s_waitcnt lgkmcnt(3)
	v_pk_fma_f32 v[34:35], v[32:33], v[68:69], v[34:35] op_sel_hi:[0,1,1] neg_lo:[1,0,0] neg_hi:[1,0,0]
	ds_read2_b32 v[68:69], v57 offset0:34 offset1:35
	s_waitcnt lgkmcnt(3)
	v_pk_fma_f32 v[24:25], v[32:33], v[64:65], v[24:25] op_sel_hi:[0,1,1] neg_lo:[1,0,0] neg_hi:[1,0,0]
	s_waitcnt lgkmcnt(2)
	v_pk_fma_f32 v[16:17], v[32:33], v[66:67], v[16:17] op_sel_hi:[0,1,1] neg_lo:[1,0,0] neg_hi:[1,0,0]
	;; [unrolled: 2-line block ×3, first 2 shown]
	ds_read2_b32 v[64:65], v57 offset0:36 offset1:37
	ds_read2_b32 v[66:67], v57 offset0:38 offset1:39
	;; [unrolled: 1-line block ×3, first 2 shown]
	s_waitcnt lgkmcnt(3)
	v_pk_fma_f32 v[26:27], v[32:33], v[68:69], v[26:27] op_sel_hi:[0,1,1] neg_lo:[1,0,0] neg_hi:[1,0,0]
	ds_read2_b32 v[68:69], v57 offset0:42 offset1:43
	s_waitcnt lgkmcnt(3)
	v_pk_fma_f32 v[18:19], v[32:33], v[64:65], v[18:19] op_sel_hi:[0,1,1] neg_lo:[1,0,0] neg_hi:[1,0,0]
	s_waitcnt lgkmcnt(2)
	v_pk_fma_f32 v[10:11], v[32:33], v[66:67], v[10:11] op_sel_hi:[0,1,1] neg_lo:[1,0,0] neg_hi:[1,0,0]
	;; [unrolled: 2-line block ×3, first 2 shown]
	ds_read2_b32 v[64:65], v57 offset0:44 offset1:45
	ds_read2_b32 v[66:67], v57 offset0:46 offset1:47
	ds_read2_b32 v[70:71], v57 offset0:48 offset1:49
	ds_read2_b32 v[72:73], v57 offset0:50 offset1:51
	s_waitcnt lgkmcnt(4)
	v_pk_fma_f32 v[20:21], v[32:33], v[68:69], v[20:21] op_sel_hi:[0,1,1] neg_lo:[1,0,0] neg_hi:[1,0,0]
	s_waitcnt lgkmcnt(3)
	v_pk_fma_f32 v[14:15], v[32:33], v[64:65], v[14:15] op_sel_hi:[0,1,1] neg_lo:[1,0,0] neg_hi:[1,0,0]
	;; [unrolled: 2-line block ×5, first 2 shown]
.LBB102_352:
	s_or_b64 exec, exec, s[0:1]
	v_lshl_add_u32 v60, v63, 2, v57
	s_barrier
	ds_write_b32 v60, v33
	s_waitcnt lgkmcnt(0)
	s_barrier
	ds_read_b32 v62, v57 offset:84
	s_cmp_lt_i32 s22, 23
	v_mov_b32_e32 v60, 21
	s_cbranch_scc1 .LBB102_355
; %bb.353:
	v_add_u32_e32 v64, 0x58, v57
	v_mov_b32_e32 v60, 21
	s_mov_b32 s0, 22
.LBB102_354:                            ; =>This Inner Loop Header: Depth=1
	ds_read_b32 v65, v64
	v_mov_b32_e32 v66, s0
	s_add_i32 s0, s0, 1
	v_add_u32_e32 v64, 4, v64
	s_cmp_lg_u32 s22, s0
	s_waitcnt lgkmcnt(0)
	v_cmp_lt_f32_e64 vcc, |v62|, |v65|
	s_nop 1
	v_cndmask_b32_e32 v62, v62, v65, vcc
	v_cndmask_b32_e32 v60, v60, v66, vcc
	s_cbranch_scc1 .LBB102_354
.LBB102_355:
	s_waitcnt lgkmcnt(0)
	v_cmp_eq_f32_e32 vcc, 0, v62
	s_and_saveexec_b64 s[0:1], vcc
	s_xor_b64 s[0:1], exec, s[0:1]
; %bb.356:
	v_cmp_ne_u32_e32 vcc, 0, v59
	s_nop 1
	v_cndmask_b32_e32 v59, 22, v59, vcc
; %bb.357:
	s_andn2_saveexec_b64 s[0:1], s[0:1]
	s_cbranch_execz .LBB102_359
; %bb.358:
	v_div_scale_f32 v64, s[2:3], v62, v62, 1.0
	v_rcp_f32_e32 v65, v64
	v_div_scale_f32 v66, vcc, 1.0, v62, 1.0
	v_fma_f32 v67, -v64, v65, 1.0
	v_fmac_f32_e32 v65, v67, v65
	v_mul_f32_e32 v67, v66, v65
	v_fma_f32 v68, -v64, v67, v66
	v_fmac_f32_e32 v67, v68, v65
	v_fma_f32 v64, -v64, v67, v66
	v_div_fmas_f32 v64, v64, v65, v67
	v_div_fixup_f32 v62, v64, v62, 1.0
.LBB102_359:
	s_or_b64 exec, exec, s[0:1]
	v_cmp_ne_u32_e32 vcc, v63, v60
	s_and_saveexec_b64 s[0:1], vcc
	s_xor_b64 s[0:1], exec, s[0:1]
	s_cbranch_execz .LBB102_365
; %bb.360:
	v_cmp_eq_u32_e32 vcc, 21, v63
	s_and_saveexec_b64 s[2:3], vcc
	s_cbranch_execz .LBB102_364
; %bb.361:
	v_cmp_ne_u32_e32 vcc, 21, v60
	s_xor_b64 s[12:13], s[20:21], -1
	s_and_b64 s[14:15], s[12:13], vcc
	s_and_saveexec_b64 s[12:13], s[14:15]
	s_cbranch_execz .LBB102_363
; %bb.362:
	v_ashrrev_i32_e32 v61, 31, v60
	v_lshl_add_u64 v[64:65], v[60:61], 2, v[4:5]
	global_load_dword v61, v[64:65], off
	global_load_dword v63, v[4:5], off offset:84
	s_waitcnt vmcnt(1)
	global_store_dword v[4:5], v61, off offset:84
	s_waitcnt vmcnt(1)
	global_store_dword v[64:65], v63, off
.LBB102_363:
	s_or_b64 exec, exec, s[12:13]
	v_mov_b32_e32 v61, v60
	v_mov_b32_e32 v63, v60
.LBB102_364:
	s_or_b64 exec, exec, s[2:3]
.LBB102_365:
	s_andn2_saveexec_b64 s[0:1], s[0:1]
	s_cbranch_execz .LBB102_367
; %bb.366:
	v_mov_b32_e32 v63, 21
	ds_write2_b32 v57, v22, v23 offset0:22 offset1:23
	ds_write2_b32 v57, v42, v43 offset0:24 offset1:25
	ds_write2_b32 v57, v34, v35 offset0:26 offset1:27
	ds_write2_b32 v57, v24, v25 offset0:28 offset1:29
	ds_write2_b32 v57, v16, v17 offset0:30 offset1:31
	ds_write2_b32 v57, v36, v37 offset0:32 offset1:33
	ds_write2_b32 v57, v26, v27 offset0:34 offset1:35
	ds_write2_b32 v57, v18, v19 offset0:36 offset1:37
	ds_write2_b32 v57, v10, v11 offset0:38 offset1:39
	ds_write2_b32 v57, v28, v29 offset0:40 offset1:41
	ds_write2_b32 v57, v20, v21 offset0:42 offset1:43
	ds_write2_b32 v57, v14, v15 offset0:44 offset1:45
	ds_write2_b32 v57, v0, v1 offset0:46 offset1:47
	ds_write2_b32 v57, v12, v13 offset0:48 offset1:49
	ds_write2_b32 v57, v8, v9 offset0:50 offset1:51
.LBB102_367:
	s_or_b64 exec, exec, s[0:1]
	v_cmp_lt_i32_e32 vcc, 21, v63
	s_waitcnt lgkmcnt(0)
	s_barrier
	s_and_saveexec_b64 s[0:1], vcc
	s_cbranch_execz .LBB102_369
; %bb.368:
	ds_read2_b32 v[64:65], v57 offset0:22 offset1:23
	ds_read2_b32 v[66:67], v57 offset0:24 offset1:25
	;; [unrolled: 1-line block ×3, first 2 shown]
	v_mul_f32_e32 v60, v62, v33
	ds_read2_b32 v[70:71], v57 offset0:28 offset1:29
	s_waitcnt lgkmcnt(3)
	v_pk_fma_f32 v[22:23], v[60:61], v[64:65], v[22:23] op_sel_hi:[0,1,1] neg_lo:[1,0,0] neg_hi:[1,0,0]
	s_waitcnt lgkmcnt(2)
	v_pk_fma_f32 v[42:43], v[60:61], v[66:67], v[42:43] op_sel_hi:[0,1,1] neg_lo:[1,0,0] neg_hi:[1,0,0]
	;; [unrolled: 2-line block ×3, first 2 shown]
	ds_read2_b32 v[64:65], v57 offset0:30 offset1:31
	ds_read2_b32 v[66:67], v57 offset0:32 offset1:33
	;; [unrolled: 1-line block ×3, first 2 shown]
	s_waitcnt lgkmcnt(3)
	v_pk_fma_f32 v[24:25], v[60:61], v[70:71], v[24:25] op_sel_hi:[0,1,1] neg_lo:[1,0,0] neg_hi:[1,0,0]
	ds_read2_b32 v[70:71], v57 offset0:36 offset1:37
	s_waitcnt lgkmcnt(3)
	v_pk_fma_f32 v[16:17], v[60:61], v[64:65], v[16:17] op_sel_hi:[0,1,1] neg_lo:[1,0,0] neg_hi:[1,0,0]
	s_waitcnt lgkmcnt(2)
	v_pk_fma_f32 v[36:37], v[60:61], v[66:67], v[36:37] op_sel_hi:[0,1,1] neg_lo:[1,0,0] neg_hi:[1,0,0]
	ds_read2_b32 v[64:65], v57 offset0:38 offset1:39
	ds_read2_b32 v[66:67], v57 offset0:40 offset1:41
	s_waitcnt lgkmcnt(3)
	v_pk_fma_f32 v[26:27], v[60:61], v[68:69], v[26:27] op_sel_hi:[0,1,1] neg_lo:[1,0,0] neg_hi:[1,0,0]
	s_waitcnt lgkmcnt(2)
	v_pk_fma_f32 v[18:19], v[60:61], v[70:71], v[18:19] op_sel_hi:[0,1,1] neg_lo:[1,0,0] neg_hi:[1,0,0]
	ds_read2_b32 v[68:69], v57 offset0:42 offset1:43
	;; [unrolled: 6-line block ×3, first 2 shown]
	ds_read2_b32 v[66:67], v57 offset0:48 offset1:49
	ds_read2_b32 v[72:73], v57 offset0:50 offset1:51
	s_waitcnt lgkmcnt(4)
	v_pk_fma_f32 v[20:21], v[60:61], v[68:69], v[20:21] op_sel_hi:[0,1,1] neg_lo:[1,0,0] neg_hi:[1,0,0]
	s_waitcnt lgkmcnt(3)
	v_pk_fma_f32 v[14:15], v[60:61], v[70:71], v[14:15] op_sel_hi:[0,1,1] neg_lo:[1,0,0] neg_hi:[1,0,0]
	;; [unrolled: 2-line block ×5, first 2 shown]
	v_mov_b32_e32 v33, v60
.LBB102_369:
	s_or_b64 exec, exec, s[0:1]
	v_lshl_add_u32 v60, v63, 2, v57
	s_barrier
	ds_write_b32 v60, v22
	s_waitcnt lgkmcnt(0)
	s_barrier
	ds_read_b32 v62, v57 offset:88
	s_cmp_lt_i32 s22, 24
	v_mov_b32_e32 v60, 22
	s_cbranch_scc1 .LBB102_372
; %bb.370:
	v_add_u32_e32 v64, 0x5c, v57
	v_mov_b32_e32 v60, 22
	s_mov_b32 s0, 23
.LBB102_371:                            ; =>This Inner Loop Header: Depth=1
	ds_read_b32 v65, v64
	v_mov_b32_e32 v66, s0
	s_add_i32 s0, s0, 1
	v_add_u32_e32 v64, 4, v64
	s_cmp_lg_u32 s22, s0
	s_waitcnt lgkmcnt(0)
	v_cmp_lt_f32_e64 vcc, |v62|, |v65|
	s_nop 1
	v_cndmask_b32_e32 v62, v62, v65, vcc
	v_cndmask_b32_e32 v60, v60, v66, vcc
	s_cbranch_scc1 .LBB102_371
.LBB102_372:
	s_waitcnt lgkmcnt(0)
	v_cmp_eq_f32_e32 vcc, 0, v62
	s_and_saveexec_b64 s[0:1], vcc
	s_xor_b64 s[0:1], exec, s[0:1]
; %bb.373:
	v_cmp_ne_u32_e32 vcc, 0, v59
	s_nop 1
	v_cndmask_b32_e32 v59, 23, v59, vcc
; %bb.374:
	s_andn2_saveexec_b64 s[0:1], s[0:1]
	s_cbranch_execz .LBB102_376
; %bb.375:
	v_div_scale_f32 v64, s[2:3], v62, v62, 1.0
	v_rcp_f32_e32 v65, v64
	v_div_scale_f32 v66, vcc, 1.0, v62, 1.0
	v_fma_f32 v67, -v64, v65, 1.0
	v_fmac_f32_e32 v65, v67, v65
	v_mul_f32_e32 v67, v66, v65
	v_fma_f32 v68, -v64, v67, v66
	v_fmac_f32_e32 v67, v68, v65
	v_fma_f32 v64, -v64, v67, v66
	v_div_fmas_f32 v64, v64, v65, v67
	v_div_fixup_f32 v62, v64, v62, 1.0
.LBB102_376:
	s_or_b64 exec, exec, s[0:1]
	v_cmp_ne_u32_e32 vcc, v63, v60
	s_and_saveexec_b64 s[0:1], vcc
	s_xor_b64 s[0:1], exec, s[0:1]
	s_cbranch_execz .LBB102_382
; %bb.377:
	v_cmp_eq_u32_e32 vcc, 22, v63
	s_and_saveexec_b64 s[2:3], vcc
	s_cbranch_execz .LBB102_381
; %bb.378:
	v_cmp_ne_u32_e32 vcc, 22, v60
	s_xor_b64 s[12:13], s[20:21], -1
	s_and_b64 s[14:15], s[12:13], vcc
	s_and_saveexec_b64 s[12:13], s[14:15]
	s_cbranch_execz .LBB102_380
; %bb.379:
	v_ashrrev_i32_e32 v61, 31, v60
	v_lshl_add_u64 v[64:65], v[60:61], 2, v[4:5]
	global_load_dword v61, v[64:65], off
	global_load_dword v63, v[4:5], off offset:88
	s_waitcnt vmcnt(1)
	global_store_dword v[4:5], v61, off offset:88
	s_waitcnt vmcnt(1)
	global_store_dword v[64:65], v63, off
.LBB102_380:
	s_or_b64 exec, exec, s[12:13]
	v_mov_b32_e32 v61, v60
	v_mov_b32_e32 v63, v60
.LBB102_381:
	s_or_b64 exec, exec, s[2:3]
.LBB102_382:
	s_andn2_saveexec_b64 s[0:1], s[0:1]
	s_cbranch_execz .LBB102_384
; %bb.383:
	v_pk_mov_b32 v[64:65], v[22:23], v[42:43] op_sel:[1,0]
	ds_write2_b32 v57, v64, v65 offset0:23 offset1:24
	v_pk_mov_b32 v[64:65], v[42:43], v[34:35] op_sel:[1,0]
	ds_write2_b32 v57, v64, v65 offset0:25 offset1:26
	;; [unrolled: 2-line block ×13, first 2 shown]
	v_pk_mov_b32 v[64:65], v[12:13], v[8:9] op_sel:[1,0]
	v_mov_b32_e32 v63, 22
	ds_write2_b32 v57, v64, v65 offset0:49 offset1:50
	ds_write_b32 v57, v9 offset:204
.LBB102_384:
	s_or_b64 exec, exec, s[0:1]
	v_cmp_lt_i32_e32 vcc, 22, v63
	s_waitcnt lgkmcnt(0)
	s_barrier
	s_and_saveexec_b64 s[0:1], vcc
	s_cbranch_execz .LBB102_386
; %bb.385:
	ds_read_b32 v60, v57 offset:92
	ds_read2_b32 v[64:65], v57 offset0:24 offset1:25
	ds_read2_b32 v[66:67], v57 offset0:26 offset1:27
	v_mul_f32_e32 v22, v62, v22
	ds_read2_b32 v[68:69], v57 offset0:28 offset1:29
	s_waitcnt lgkmcnt(3)
	v_fma_f32 v23, -v22, v60, v23
	s_waitcnt lgkmcnt(2)
	v_pk_fma_f32 v[42:43], v[22:23], v[64:65], v[42:43] op_sel_hi:[0,1,1] neg_lo:[1,0,0] neg_hi:[1,0,0]
	s_waitcnt lgkmcnt(1)
	v_pk_fma_f32 v[34:35], v[22:23], v[66:67], v[34:35] op_sel_hi:[0,1,1] neg_lo:[1,0,0] neg_hi:[1,0,0]
	ds_read2_b32 v[64:65], v57 offset0:30 offset1:31
	ds_read2_b32 v[66:67], v57 offset0:32 offset1:33
	;; [unrolled: 1-line block ×3, first 2 shown]
	s_waitcnt lgkmcnt(3)
	v_pk_fma_f32 v[24:25], v[22:23], v[68:69], v[24:25] op_sel_hi:[0,1,1] neg_lo:[1,0,0] neg_hi:[1,0,0]
	ds_read2_b32 v[68:69], v57 offset0:36 offset1:37
	s_waitcnt lgkmcnt(3)
	v_pk_fma_f32 v[16:17], v[22:23], v[64:65], v[16:17] op_sel_hi:[0,1,1] neg_lo:[1,0,0] neg_hi:[1,0,0]
	s_waitcnt lgkmcnt(2)
	v_pk_fma_f32 v[36:37], v[22:23], v[66:67], v[36:37] op_sel_hi:[0,1,1] neg_lo:[1,0,0] neg_hi:[1,0,0]
	ds_read2_b32 v[64:65], v57 offset0:38 offset1:39
	ds_read2_b32 v[66:67], v57 offset0:40 offset1:41
	s_waitcnt lgkmcnt(3)
	v_pk_fma_f32 v[26:27], v[22:23], v[70:71], v[26:27] op_sel_hi:[0,1,1] neg_lo:[1,0,0] neg_hi:[1,0,0]
	s_waitcnt lgkmcnt(2)
	v_pk_fma_f32 v[18:19], v[22:23], v[68:69], v[18:19] op_sel_hi:[0,1,1] neg_lo:[1,0,0] neg_hi:[1,0,0]
	ds_read2_b32 v[68:69], v57 offset0:42 offset1:43
	;; [unrolled: 6-line block ×3, first 2 shown]
	ds_read2_b32 v[66:67], v57 offset0:48 offset1:49
	ds_read2_b32 v[72:73], v57 offset0:50 offset1:51
	s_waitcnt lgkmcnt(4)
	v_pk_fma_f32 v[20:21], v[22:23], v[68:69], v[20:21] op_sel_hi:[0,1,1] neg_lo:[1,0,0] neg_hi:[1,0,0]
	s_waitcnt lgkmcnt(3)
	v_pk_fma_f32 v[14:15], v[22:23], v[70:71], v[14:15] op_sel_hi:[0,1,1] neg_lo:[1,0,0] neg_hi:[1,0,0]
	;; [unrolled: 2-line block ×5, first 2 shown]
.LBB102_386:
	s_or_b64 exec, exec, s[0:1]
	v_lshl_add_u32 v60, v63, 2, v57
	s_barrier
	ds_write_b32 v60, v23
	s_waitcnt lgkmcnt(0)
	s_barrier
	ds_read_b32 v62, v57 offset:92
	s_cmp_lt_i32 s22, 25
	v_mov_b32_e32 v60, 23
	s_cbranch_scc1 .LBB102_389
; %bb.387:
	v_add_u32_e32 v64, 0x60, v57
	v_mov_b32_e32 v60, 23
	s_mov_b32 s0, 24
.LBB102_388:                            ; =>This Inner Loop Header: Depth=1
	ds_read_b32 v65, v64
	v_mov_b32_e32 v66, s0
	s_add_i32 s0, s0, 1
	v_add_u32_e32 v64, 4, v64
	s_cmp_lg_u32 s22, s0
	s_waitcnt lgkmcnt(0)
	v_cmp_lt_f32_e64 vcc, |v62|, |v65|
	s_nop 1
	v_cndmask_b32_e32 v62, v62, v65, vcc
	v_cndmask_b32_e32 v60, v60, v66, vcc
	s_cbranch_scc1 .LBB102_388
.LBB102_389:
	s_waitcnt lgkmcnt(0)
	v_cmp_eq_f32_e32 vcc, 0, v62
	s_and_saveexec_b64 s[0:1], vcc
	s_xor_b64 s[0:1], exec, s[0:1]
; %bb.390:
	v_cmp_ne_u32_e32 vcc, 0, v59
	s_nop 1
	v_cndmask_b32_e32 v59, 24, v59, vcc
; %bb.391:
	s_andn2_saveexec_b64 s[0:1], s[0:1]
	s_cbranch_execz .LBB102_393
; %bb.392:
	v_div_scale_f32 v64, s[2:3], v62, v62, 1.0
	v_rcp_f32_e32 v65, v64
	v_div_scale_f32 v66, vcc, 1.0, v62, 1.0
	v_fma_f32 v67, -v64, v65, 1.0
	v_fmac_f32_e32 v65, v67, v65
	v_mul_f32_e32 v67, v66, v65
	v_fma_f32 v68, -v64, v67, v66
	v_fmac_f32_e32 v67, v68, v65
	v_fma_f32 v64, -v64, v67, v66
	v_div_fmas_f32 v64, v64, v65, v67
	v_div_fixup_f32 v62, v64, v62, 1.0
.LBB102_393:
	s_or_b64 exec, exec, s[0:1]
	v_cmp_ne_u32_e32 vcc, v63, v60
	s_and_saveexec_b64 s[0:1], vcc
	s_xor_b64 s[0:1], exec, s[0:1]
	s_cbranch_execz .LBB102_399
; %bb.394:
	v_cmp_eq_u32_e32 vcc, 23, v63
	s_and_saveexec_b64 s[2:3], vcc
	s_cbranch_execz .LBB102_398
; %bb.395:
	v_cmp_ne_u32_e32 vcc, 23, v60
	s_xor_b64 s[12:13], s[20:21], -1
	s_and_b64 s[14:15], s[12:13], vcc
	s_and_saveexec_b64 s[12:13], s[14:15]
	s_cbranch_execz .LBB102_397
; %bb.396:
	v_ashrrev_i32_e32 v61, 31, v60
	v_lshl_add_u64 v[64:65], v[60:61], 2, v[4:5]
	global_load_dword v61, v[64:65], off
	global_load_dword v63, v[4:5], off offset:92
	s_waitcnt vmcnt(1)
	global_store_dword v[4:5], v61, off offset:92
	s_waitcnt vmcnt(1)
	global_store_dword v[64:65], v63, off
.LBB102_397:
	s_or_b64 exec, exec, s[12:13]
	v_mov_b32_e32 v61, v60
	v_mov_b32_e32 v63, v60
.LBB102_398:
	s_or_b64 exec, exec, s[2:3]
.LBB102_399:
	s_andn2_saveexec_b64 s[0:1], s[0:1]
	s_cbranch_execz .LBB102_401
; %bb.400:
	v_mov_b32_e32 v63, 23
	ds_write2_b32 v57, v42, v43 offset0:24 offset1:25
	ds_write2_b32 v57, v34, v35 offset0:26 offset1:27
	;; [unrolled: 1-line block ×14, first 2 shown]
.LBB102_401:
	s_or_b64 exec, exec, s[0:1]
	v_cmp_lt_i32_e32 vcc, 23, v63
	s_waitcnt lgkmcnt(0)
	s_barrier
	s_and_saveexec_b64 s[0:1], vcc
	s_cbranch_execz .LBB102_403
; %bb.402:
	ds_read2_b32 v[64:65], v57 offset0:24 offset1:25
	ds_read2_b32 v[66:67], v57 offset0:26 offset1:27
	ds_read2_b32 v[68:69], v57 offset0:28 offset1:29
	ds_read2_b32 v[70:71], v57 offset0:30 offset1:31
	v_mul_f32_e32 v60, v62, v23
	s_waitcnt lgkmcnt(3)
	v_pk_fma_f32 v[42:43], v[60:61], v[64:65], v[42:43] op_sel_hi:[0,1,1] neg_lo:[1,0,0] neg_hi:[1,0,0]
	s_waitcnt lgkmcnt(2)
	v_pk_fma_f32 v[34:35], v[60:61], v[66:67], v[34:35] op_sel_hi:[0,1,1] neg_lo:[1,0,0] neg_hi:[1,0,0]
	;; [unrolled: 2-line block ×3, first 2 shown]
	ds_read2_b32 v[64:65], v57 offset0:32 offset1:33
	ds_read2_b32 v[66:67], v57 offset0:34 offset1:35
	;; [unrolled: 1-line block ×3, first 2 shown]
	s_waitcnt lgkmcnt(3)
	v_pk_fma_f32 v[16:17], v[60:61], v[70:71], v[16:17] op_sel_hi:[0,1,1] neg_lo:[1,0,0] neg_hi:[1,0,0]
	ds_read2_b32 v[70:71], v57 offset0:38 offset1:39
	s_waitcnt lgkmcnt(3)
	v_pk_fma_f32 v[36:37], v[60:61], v[64:65], v[36:37] op_sel_hi:[0,1,1] neg_lo:[1,0,0] neg_hi:[1,0,0]
	ds_read2_b32 v[64:65], v57 offset0:40 offset1:41
	s_waitcnt lgkmcnt(3)
	v_pk_fma_f32 v[26:27], v[60:61], v[66:67], v[26:27] op_sel_hi:[0,1,1] neg_lo:[1,0,0] neg_hi:[1,0,0]
	s_waitcnt lgkmcnt(2)
	v_pk_fma_f32 v[18:19], v[60:61], v[68:69], v[18:19] op_sel_hi:[0,1,1] neg_lo:[1,0,0] neg_hi:[1,0,0]
	;; [unrolled: 2-line block ×3, first 2 shown]
	ds_read2_b32 v[66:67], v57 offset0:42 offset1:43
	ds_read2_b32 v[68:69], v57 offset0:44 offset1:45
	;; [unrolled: 1-line block ×3, first 2 shown]
	s_waitcnt lgkmcnt(3)
	v_pk_fma_f32 v[28:29], v[60:61], v[64:65], v[28:29] op_sel_hi:[0,1,1] neg_lo:[1,0,0] neg_hi:[1,0,0]
	ds_read2_b32 v[64:65], v57 offset0:48 offset1:49
	ds_read2_b32 v[72:73], v57 offset0:50 offset1:51
	s_waitcnt lgkmcnt(4)
	v_pk_fma_f32 v[20:21], v[60:61], v[66:67], v[20:21] op_sel_hi:[0,1,1] neg_lo:[1,0,0] neg_hi:[1,0,0]
	s_waitcnt lgkmcnt(3)
	v_pk_fma_f32 v[14:15], v[60:61], v[68:69], v[14:15] op_sel_hi:[0,1,1] neg_lo:[1,0,0] neg_hi:[1,0,0]
	;; [unrolled: 2-line block ×5, first 2 shown]
	v_mov_b32_e32 v23, v60
.LBB102_403:
	s_or_b64 exec, exec, s[0:1]
	v_lshl_add_u32 v60, v63, 2, v57
	s_barrier
	ds_write_b32 v60, v42
	s_waitcnt lgkmcnt(0)
	s_barrier
	ds_read_b32 v62, v57 offset:96
	s_cmp_lt_i32 s22, 26
	v_mov_b32_e32 v60, 24
	s_cbranch_scc1 .LBB102_406
; %bb.404:
	v_add_u32_e32 v64, 0x64, v57
	v_mov_b32_e32 v60, 24
	s_mov_b32 s0, 25
.LBB102_405:                            ; =>This Inner Loop Header: Depth=1
	ds_read_b32 v65, v64
	v_mov_b32_e32 v66, s0
	s_add_i32 s0, s0, 1
	v_add_u32_e32 v64, 4, v64
	s_cmp_lg_u32 s22, s0
	s_waitcnt lgkmcnt(0)
	v_cmp_lt_f32_e64 vcc, |v62|, |v65|
	s_nop 1
	v_cndmask_b32_e32 v62, v62, v65, vcc
	v_cndmask_b32_e32 v60, v60, v66, vcc
	s_cbranch_scc1 .LBB102_405
.LBB102_406:
	s_waitcnt lgkmcnt(0)
	v_cmp_eq_f32_e32 vcc, 0, v62
	s_and_saveexec_b64 s[0:1], vcc
	s_xor_b64 s[0:1], exec, s[0:1]
; %bb.407:
	v_cmp_ne_u32_e32 vcc, 0, v59
	s_nop 1
	v_cndmask_b32_e32 v59, 25, v59, vcc
; %bb.408:
	s_andn2_saveexec_b64 s[0:1], s[0:1]
	s_cbranch_execz .LBB102_410
; %bb.409:
	v_div_scale_f32 v64, s[2:3], v62, v62, 1.0
	v_rcp_f32_e32 v65, v64
	v_div_scale_f32 v66, vcc, 1.0, v62, 1.0
	v_fma_f32 v67, -v64, v65, 1.0
	v_fmac_f32_e32 v65, v67, v65
	v_mul_f32_e32 v67, v66, v65
	v_fma_f32 v68, -v64, v67, v66
	v_fmac_f32_e32 v67, v68, v65
	v_fma_f32 v64, -v64, v67, v66
	v_div_fmas_f32 v64, v64, v65, v67
	v_div_fixup_f32 v62, v64, v62, 1.0
.LBB102_410:
	s_or_b64 exec, exec, s[0:1]
	v_cmp_ne_u32_e32 vcc, v63, v60
	s_and_saveexec_b64 s[0:1], vcc
	s_xor_b64 s[0:1], exec, s[0:1]
	s_cbranch_execz .LBB102_416
; %bb.411:
	v_cmp_eq_u32_e32 vcc, 24, v63
	s_and_saveexec_b64 s[2:3], vcc
	s_cbranch_execz .LBB102_415
; %bb.412:
	v_cmp_ne_u32_e32 vcc, 24, v60
	s_xor_b64 s[12:13], s[20:21], -1
	s_and_b64 s[14:15], s[12:13], vcc
	s_and_saveexec_b64 s[12:13], s[14:15]
	s_cbranch_execz .LBB102_414
; %bb.413:
	v_ashrrev_i32_e32 v61, 31, v60
	v_lshl_add_u64 v[64:65], v[60:61], 2, v[4:5]
	global_load_dword v61, v[64:65], off
	global_load_dword v63, v[4:5], off offset:96
	s_waitcnt vmcnt(1)
	global_store_dword v[4:5], v61, off offset:96
	s_waitcnt vmcnt(1)
	global_store_dword v[64:65], v63, off
.LBB102_414:
	s_or_b64 exec, exec, s[12:13]
	v_mov_b32_e32 v61, v60
	v_mov_b32_e32 v63, v60
.LBB102_415:
	s_or_b64 exec, exec, s[2:3]
.LBB102_416:
	s_andn2_saveexec_b64 s[0:1], s[0:1]
	s_cbranch_execz .LBB102_418
; %bb.417:
	v_pk_mov_b32 v[64:65], v[42:43], v[34:35] op_sel:[1,0]
	ds_write2_b32 v57, v64, v65 offset0:25 offset1:26
	v_pk_mov_b32 v[64:65], v[34:35], v[24:25] op_sel:[1,0]
	ds_write2_b32 v57, v64, v65 offset0:27 offset1:28
	;; [unrolled: 2-line block ×12, first 2 shown]
	v_pk_mov_b32 v[64:65], v[12:13], v[8:9] op_sel:[1,0]
	v_mov_b32_e32 v63, 24
	ds_write2_b32 v57, v64, v65 offset0:49 offset1:50
	ds_write_b32 v57, v9 offset:204
.LBB102_418:
	s_or_b64 exec, exec, s[0:1]
	v_cmp_lt_i32_e32 vcc, 24, v63
	s_waitcnt lgkmcnt(0)
	s_barrier
	s_and_saveexec_b64 s[0:1], vcc
	s_cbranch_execz .LBB102_420
; %bb.419:
	ds_read_b32 v60, v57 offset:100
	ds_read2_b32 v[64:65], v57 offset0:26 offset1:27
	ds_read2_b32 v[66:67], v57 offset0:28 offset1:29
	v_mul_f32_e32 v42, v62, v42
	ds_read2_b32 v[68:69], v57 offset0:30 offset1:31
	s_waitcnt lgkmcnt(3)
	v_fma_f32 v43, -v42, v60, v43
	s_waitcnt lgkmcnt(2)
	v_pk_fma_f32 v[34:35], v[42:43], v[64:65], v[34:35] op_sel_hi:[0,1,1] neg_lo:[1,0,0] neg_hi:[1,0,0]
	s_waitcnt lgkmcnt(1)
	v_pk_fma_f32 v[24:25], v[42:43], v[66:67], v[24:25] op_sel_hi:[0,1,1] neg_lo:[1,0,0] neg_hi:[1,0,0]
	ds_read2_b32 v[64:65], v57 offset0:32 offset1:33
	ds_read2_b32 v[66:67], v57 offset0:34 offset1:35
	;; [unrolled: 1-line block ×3, first 2 shown]
	s_waitcnt lgkmcnt(3)
	v_pk_fma_f32 v[16:17], v[42:43], v[68:69], v[16:17] op_sel_hi:[0,1,1] neg_lo:[1,0,0] neg_hi:[1,0,0]
	ds_read2_b32 v[68:69], v57 offset0:38 offset1:39
	s_waitcnt lgkmcnt(3)
	v_pk_fma_f32 v[36:37], v[42:43], v[64:65], v[36:37] op_sel_hi:[0,1,1] neg_lo:[1,0,0] neg_hi:[1,0,0]
	ds_read2_b32 v[64:65], v57 offset0:40 offset1:41
	s_waitcnt lgkmcnt(3)
	v_pk_fma_f32 v[26:27], v[42:43], v[66:67], v[26:27] op_sel_hi:[0,1,1] neg_lo:[1,0,0] neg_hi:[1,0,0]
	s_waitcnt lgkmcnt(2)
	v_pk_fma_f32 v[18:19], v[42:43], v[70:71], v[18:19] op_sel_hi:[0,1,1] neg_lo:[1,0,0] neg_hi:[1,0,0]
	;; [unrolled: 2-line block ×3, first 2 shown]
	ds_read2_b32 v[66:67], v57 offset0:42 offset1:43
	ds_read2_b32 v[68:69], v57 offset0:44 offset1:45
	;; [unrolled: 1-line block ×3, first 2 shown]
	s_waitcnt lgkmcnt(3)
	v_pk_fma_f32 v[28:29], v[42:43], v[64:65], v[28:29] op_sel_hi:[0,1,1] neg_lo:[1,0,0] neg_hi:[1,0,0]
	ds_read2_b32 v[64:65], v57 offset0:48 offset1:49
	ds_read2_b32 v[72:73], v57 offset0:50 offset1:51
	s_waitcnt lgkmcnt(4)
	v_pk_fma_f32 v[20:21], v[42:43], v[66:67], v[20:21] op_sel_hi:[0,1,1] neg_lo:[1,0,0] neg_hi:[1,0,0]
	s_waitcnt lgkmcnt(3)
	v_pk_fma_f32 v[14:15], v[42:43], v[68:69], v[14:15] op_sel_hi:[0,1,1] neg_lo:[1,0,0] neg_hi:[1,0,0]
	;; [unrolled: 2-line block ×5, first 2 shown]
.LBB102_420:
	s_or_b64 exec, exec, s[0:1]
	v_lshl_add_u32 v60, v63, 2, v57
	s_barrier
	ds_write_b32 v60, v43
	s_waitcnt lgkmcnt(0)
	s_barrier
	ds_read_b32 v62, v57 offset:100
	s_cmp_lt_i32 s22, 27
	v_mov_b32_e32 v60, 25
	s_cbranch_scc1 .LBB102_423
; %bb.421:
	v_add_u32_e32 v64, 0x68, v57
	v_mov_b32_e32 v60, 25
	s_mov_b32 s0, 26
.LBB102_422:                            ; =>This Inner Loop Header: Depth=1
	ds_read_b32 v65, v64
	v_mov_b32_e32 v66, s0
	s_add_i32 s0, s0, 1
	v_add_u32_e32 v64, 4, v64
	s_cmp_lg_u32 s22, s0
	s_waitcnt lgkmcnt(0)
	v_cmp_lt_f32_e64 vcc, |v62|, |v65|
	s_nop 1
	v_cndmask_b32_e32 v62, v62, v65, vcc
	v_cndmask_b32_e32 v60, v60, v66, vcc
	s_cbranch_scc1 .LBB102_422
.LBB102_423:
	s_waitcnt lgkmcnt(0)
	v_cmp_eq_f32_e32 vcc, 0, v62
	s_and_saveexec_b64 s[0:1], vcc
	s_xor_b64 s[0:1], exec, s[0:1]
; %bb.424:
	v_cmp_ne_u32_e32 vcc, 0, v59
	s_nop 1
	v_cndmask_b32_e32 v59, 26, v59, vcc
; %bb.425:
	s_andn2_saveexec_b64 s[0:1], s[0:1]
	s_cbranch_execz .LBB102_427
; %bb.426:
	v_div_scale_f32 v64, s[2:3], v62, v62, 1.0
	v_rcp_f32_e32 v65, v64
	v_div_scale_f32 v66, vcc, 1.0, v62, 1.0
	v_fma_f32 v67, -v64, v65, 1.0
	v_fmac_f32_e32 v65, v67, v65
	v_mul_f32_e32 v67, v66, v65
	v_fma_f32 v68, -v64, v67, v66
	v_fmac_f32_e32 v67, v68, v65
	v_fma_f32 v64, -v64, v67, v66
	v_div_fmas_f32 v64, v64, v65, v67
	v_div_fixup_f32 v62, v64, v62, 1.0
.LBB102_427:
	s_or_b64 exec, exec, s[0:1]
	v_cmp_ne_u32_e32 vcc, v63, v60
	s_and_saveexec_b64 s[0:1], vcc
	s_xor_b64 s[0:1], exec, s[0:1]
	s_cbranch_execz .LBB102_433
; %bb.428:
	v_cmp_eq_u32_e32 vcc, 25, v63
	s_and_saveexec_b64 s[2:3], vcc
	s_cbranch_execz .LBB102_432
; %bb.429:
	v_cmp_ne_u32_e32 vcc, 25, v60
	s_xor_b64 s[12:13], s[20:21], -1
	s_and_b64 s[14:15], s[12:13], vcc
	s_and_saveexec_b64 s[12:13], s[14:15]
	s_cbranch_execz .LBB102_431
; %bb.430:
	v_ashrrev_i32_e32 v61, 31, v60
	v_lshl_add_u64 v[64:65], v[60:61], 2, v[4:5]
	global_load_dword v61, v[64:65], off
	global_load_dword v63, v[4:5], off offset:100
	s_waitcnt vmcnt(1)
	global_store_dword v[4:5], v61, off offset:100
	s_waitcnt vmcnt(1)
	global_store_dword v[64:65], v63, off
.LBB102_431:
	s_or_b64 exec, exec, s[12:13]
	v_mov_b32_e32 v61, v60
	v_mov_b32_e32 v63, v60
.LBB102_432:
	s_or_b64 exec, exec, s[2:3]
.LBB102_433:
	s_andn2_saveexec_b64 s[0:1], s[0:1]
	s_cbranch_execz .LBB102_435
; %bb.434:
	v_mov_b32_e32 v63, 25
	ds_write2_b32 v57, v34, v35 offset0:26 offset1:27
	ds_write2_b32 v57, v24, v25 offset0:28 offset1:29
	;; [unrolled: 1-line block ×13, first 2 shown]
.LBB102_435:
	s_or_b64 exec, exec, s[0:1]
	v_cmp_lt_i32_e32 vcc, 25, v63
	s_waitcnt lgkmcnt(0)
	s_barrier
	s_and_saveexec_b64 s[0:1], vcc
	s_cbranch_execz .LBB102_437
; %bb.436:
	ds_read2_b32 v[64:65], v57 offset0:26 offset1:27
	ds_read2_b32 v[66:67], v57 offset0:28 offset1:29
	;; [unrolled: 1-line block ×3, first 2 shown]
	v_mul_f32_e32 v60, v62, v43
	ds_read2_b32 v[70:71], v57 offset0:32 offset1:33
	s_waitcnt lgkmcnt(3)
	v_pk_fma_f32 v[34:35], v[60:61], v[64:65], v[34:35] op_sel_hi:[0,1,1] neg_lo:[1,0,0] neg_hi:[1,0,0]
	s_waitcnt lgkmcnt(2)
	v_pk_fma_f32 v[24:25], v[60:61], v[66:67], v[24:25] op_sel_hi:[0,1,1] neg_lo:[1,0,0] neg_hi:[1,0,0]
	;; [unrolled: 2-line block ×3, first 2 shown]
	ds_read2_b32 v[64:65], v57 offset0:34 offset1:35
	ds_read2_b32 v[66:67], v57 offset0:36 offset1:37
	;; [unrolled: 1-line block ×4, first 2 shown]
	s_waitcnt lgkmcnt(4)
	v_pk_fma_f32 v[36:37], v[60:61], v[70:71], v[36:37] op_sel_hi:[0,1,1] neg_lo:[1,0,0] neg_hi:[1,0,0]
	s_waitcnt lgkmcnt(3)
	v_pk_fma_f32 v[26:27], v[60:61], v[64:65], v[26:27] op_sel_hi:[0,1,1] neg_lo:[1,0,0] neg_hi:[1,0,0]
	;; [unrolled: 2-line block ×5, first 2 shown]
	ds_read2_b32 v[64:65], v57 offset0:42 offset1:43
	ds_read2_b32 v[66:67], v57 offset0:44 offset1:45
	;; [unrolled: 1-line block ×5, first 2 shown]
	s_waitcnt lgkmcnt(4)
	v_pk_fma_f32 v[20:21], v[60:61], v[64:65], v[20:21] op_sel_hi:[0,1,1] neg_lo:[1,0,0] neg_hi:[1,0,0]
	s_waitcnt lgkmcnt(3)
	v_pk_fma_f32 v[14:15], v[60:61], v[66:67], v[14:15] op_sel_hi:[0,1,1] neg_lo:[1,0,0] neg_hi:[1,0,0]
	;; [unrolled: 2-line block ×5, first 2 shown]
	v_mov_b32_e32 v43, v60
.LBB102_437:
	s_or_b64 exec, exec, s[0:1]
	v_lshl_add_u32 v60, v63, 2, v57
	s_barrier
	ds_write_b32 v60, v34
	s_waitcnt lgkmcnt(0)
	s_barrier
	ds_read_b32 v62, v57 offset:104
	s_cmp_lt_i32 s22, 28
	v_mov_b32_e32 v60, 26
	s_cbranch_scc1 .LBB102_440
; %bb.438:
	v_add_u32_e32 v64, 0x6c, v57
	v_mov_b32_e32 v60, 26
	s_mov_b32 s0, 27
.LBB102_439:                            ; =>This Inner Loop Header: Depth=1
	ds_read_b32 v65, v64
	v_mov_b32_e32 v66, s0
	s_add_i32 s0, s0, 1
	v_add_u32_e32 v64, 4, v64
	s_cmp_lg_u32 s22, s0
	s_waitcnt lgkmcnt(0)
	v_cmp_lt_f32_e64 vcc, |v62|, |v65|
	s_nop 1
	v_cndmask_b32_e32 v62, v62, v65, vcc
	v_cndmask_b32_e32 v60, v60, v66, vcc
	s_cbranch_scc1 .LBB102_439
.LBB102_440:
	s_waitcnt lgkmcnt(0)
	v_cmp_eq_f32_e32 vcc, 0, v62
	s_and_saveexec_b64 s[0:1], vcc
	s_xor_b64 s[0:1], exec, s[0:1]
; %bb.441:
	v_cmp_ne_u32_e32 vcc, 0, v59
	s_nop 1
	v_cndmask_b32_e32 v59, 27, v59, vcc
; %bb.442:
	s_andn2_saveexec_b64 s[0:1], s[0:1]
	s_cbranch_execz .LBB102_444
; %bb.443:
	v_div_scale_f32 v64, s[2:3], v62, v62, 1.0
	v_rcp_f32_e32 v65, v64
	v_div_scale_f32 v66, vcc, 1.0, v62, 1.0
	v_fma_f32 v67, -v64, v65, 1.0
	v_fmac_f32_e32 v65, v67, v65
	v_mul_f32_e32 v67, v66, v65
	v_fma_f32 v68, -v64, v67, v66
	v_fmac_f32_e32 v67, v68, v65
	v_fma_f32 v64, -v64, v67, v66
	v_div_fmas_f32 v64, v64, v65, v67
	v_div_fixup_f32 v62, v64, v62, 1.0
.LBB102_444:
	s_or_b64 exec, exec, s[0:1]
	v_cmp_ne_u32_e32 vcc, v63, v60
	s_and_saveexec_b64 s[0:1], vcc
	s_xor_b64 s[0:1], exec, s[0:1]
	s_cbranch_execz .LBB102_450
; %bb.445:
	v_cmp_eq_u32_e32 vcc, 26, v63
	s_and_saveexec_b64 s[2:3], vcc
	s_cbranch_execz .LBB102_449
; %bb.446:
	v_cmp_ne_u32_e32 vcc, 26, v60
	s_xor_b64 s[12:13], s[20:21], -1
	s_and_b64 s[14:15], s[12:13], vcc
	s_and_saveexec_b64 s[12:13], s[14:15]
	s_cbranch_execz .LBB102_448
; %bb.447:
	v_ashrrev_i32_e32 v61, 31, v60
	v_lshl_add_u64 v[64:65], v[60:61], 2, v[4:5]
	global_load_dword v61, v[64:65], off
	global_load_dword v63, v[4:5], off offset:104
	s_waitcnt vmcnt(1)
	global_store_dword v[4:5], v61, off offset:104
	s_waitcnt vmcnt(1)
	global_store_dword v[64:65], v63, off
.LBB102_448:
	s_or_b64 exec, exec, s[12:13]
	v_mov_b32_e32 v61, v60
	v_mov_b32_e32 v63, v60
.LBB102_449:
	s_or_b64 exec, exec, s[2:3]
.LBB102_450:
	s_andn2_saveexec_b64 s[0:1], s[0:1]
	s_cbranch_execz .LBB102_452
; %bb.451:
	v_pk_mov_b32 v[64:65], v[34:35], v[24:25] op_sel:[1,0]
	ds_write2_b32 v57, v64, v65 offset0:27 offset1:28
	v_pk_mov_b32 v[64:65], v[24:25], v[16:17] op_sel:[1,0]
	ds_write2_b32 v57, v64, v65 offset0:29 offset1:30
	;; [unrolled: 2-line block ×11, first 2 shown]
	v_pk_mov_b32 v[64:65], v[12:13], v[8:9] op_sel:[1,0]
	v_mov_b32_e32 v63, 26
	ds_write2_b32 v57, v64, v65 offset0:49 offset1:50
	ds_write_b32 v57, v9 offset:204
.LBB102_452:
	s_or_b64 exec, exec, s[0:1]
	v_cmp_lt_i32_e32 vcc, 26, v63
	s_waitcnt lgkmcnt(0)
	s_barrier
	s_and_saveexec_b64 s[0:1], vcc
	s_cbranch_execz .LBB102_454
; %bb.453:
	ds_read_b32 v60, v57 offset:108
	ds_read2_b32 v[64:65], v57 offset0:28 offset1:29
	ds_read2_b32 v[66:67], v57 offset0:30 offset1:31
	v_mul_f32_e32 v34, v62, v34
	ds_read2_b32 v[68:69], v57 offset0:32 offset1:33
	s_waitcnt lgkmcnt(3)
	v_fma_f32 v35, -v34, v60, v35
	s_waitcnt lgkmcnt(2)
	v_pk_fma_f32 v[24:25], v[34:35], v[64:65], v[24:25] op_sel_hi:[0,1,1] neg_lo:[1,0,0] neg_hi:[1,0,0]
	s_waitcnt lgkmcnt(1)
	v_pk_fma_f32 v[16:17], v[34:35], v[66:67], v[16:17] op_sel_hi:[0,1,1] neg_lo:[1,0,0] neg_hi:[1,0,0]
	ds_read2_b32 v[64:65], v57 offset0:34 offset1:35
	ds_read2_b32 v[66:67], v57 offset0:36 offset1:37
	;; [unrolled: 1-line block ×4, first 2 shown]
	s_waitcnt lgkmcnt(4)
	v_pk_fma_f32 v[36:37], v[34:35], v[68:69], v[36:37] op_sel_hi:[0,1,1] neg_lo:[1,0,0] neg_hi:[1,0,0]
	s_waitcnt lgkmcnt(3)
	v_pk_fma_f32 v[26:27], v[34:35], v[64:65], v[26:27] op_sel_hi:[0,1,1] neg_lo:[1,0,0] neg_hi:[1,0,0]
	;; [unrolled: 2-line block ×5, first 2 shown]
	ds_read2_b32 v[64:65], v57 offset0:42 offset1:43
	ds_read2_b32 v[66:67], v57 offset0:44 offset1:45
	;; [unrolled: 1-line block ×5, first 2 shown]
	s_waitcnt lgkmcnt(4)
	v_pk_fma_f32 v[20:21], v[34:35], v[64:65], v[20:21] op_sel_hi:[0,1,1] neg_lo:[1,0,0] neg_hi:[1,0,0]
	s_waitcnt lgkmcnt(3)
	v_pk_fma_f32 v[14:15], v[34:35], v[66:67], v[14:15] op_sel_hi:[0,1,1] neg_lo:[1,0,0] neg_hi:[1,0,0]
	;; [unrolled: 2-line block ×5, first 2 shown]
.LBB102_454:
	s_or_b64 exec, exec, s[0:1]
	v_lshl_add_u32 v60, v63, 2, v57
	s_barrier
	ds_write_b32 v60, v35
	s_waitcnt lgkmcnt(0)
	s_barrier
	ds_read_b32 v62, v57 offset:108
	s_cmp_lt_i32 s22, 29
	v_mov_b32_e32 v60, 27
	s_cbranch_scc1 .LBB102_457
; %bb.455:
	v_add_u32_e32 v64, 0x70, v57
	v_mov_b32_e32 v60, 27
	s_mov_b32 s0, 28
.LBB102_456:                            ; =>This Inner Loop Header: Depth=1
	ds_read_b32 v65, v64
	v_mov_b32_e32 v66, s0
	s_add_i32 s0, s0, 1
	v_add_u32_e32 v64, 4, v64
	s_cmp_lg_u32 s22, s0
	s_waitcnt lgkmcnt(0)
	v_cmp_lt_f32_e64 vcc, |v62|, |v65|
	s_nop 1
	v_cndmask_b32_e32 v62, v62, v65, vcc
	v_cndmask_b32_e32 v60, v60, v66, vcc
	s_cbranch_scc1 .LBB102_456
.LBB102_457:
	s_waitcnt lgkmcnt(0)
	v_cmp_eq_f32_e32 vcc, 0, v62
	s_and_saveexec_b64 s[0:1], vcc
	s_xor_b64 s[0:1], exec, s[0:1]
; %bb.458:
	v_cmp_ne_u32_e32 vcc, 0, v59
	s_nop 1
	v_cndmask_b32_e32 v59, 28, v59, vcc
; %bb.459:
	s_andn2_saveexec_b64 s[0:1], s[0:1]
	s_cbranch_execz .LBB102_461
; %bb.460:
	v_div_scale_f32 v64, s[2:3], v62, v62, 1.0
	v_rcp_f32_e32 v65, v64
	v_div_scale_f32 v66, vcc, 1.0, v62, 1.0
	v_fma_f32 v67, -v64, v65, 1.0
	v_fmac_f32_e32 v65, v67, v65
	v_mul_f32_e32 v67, v66, v65
	v_fma_f32 v68, -v64, v67, v66
	v_fmac_f32_e32 v67, v68, v65
	v_fma_f32 v64, -v64, v67, v66
	v_div_fmas_f32 v64, v64, v65, v67
	v_div_fixup_f32 v62, v64, v62, 1.0
.LBB102_461:
	s_or_b64 exec, exec, s[0:1]
	v_cmp_ne_u32_e32 vcc, v63, v60
	s_and_saveexec_b64 s[0:1], vcc
	s_xor_b64 s[0:1], exec, s[0:1]
	s_cbranch_execz .LBB102_467
; %bb.462:
	v_cmp_eq_u32_e32 vcc, 27, v63
	s_and_saveexec_b64 s[2:3], vcc
	s_cbranch_execz .LBB102_466
; %bb.463:
	v_cmp_ne_u32_e32 vcc, 27, v60
	s_xor_b64 s[12:13], s[20:21], -1
	s_and_b64 s[14:15], s[12:13], vcc
	s_and_saveexec_b64 s[12:13], s[14:15]
	s_cbranch_execz .LBB102_465
; %bb.464:
	v_ashrrev_i32_e32 v61, 31, v60
	v_lshl_add_u64 v[64:65], v[60:61], 2, v[4:5]
	global_load_dword v61, v[64:65], off
	global_load_dword v63, v[4:5], off offset:108
	s_waitcnt vmcnt(1)
	global_store_dword v[4:5], v61, off offset:108
	s_waitcnt vmcnt(1)
	global_store_dword v[64:65], v63, off
.LBB102_465:
	s_or_b64 exec, exec, s[12:13]
	v_mov_b32_e32 v61, v60
	v_mov_b32_e32 v63, v60
.LBB102_466:
	s_or_b64 exec, exec, s[2:3]
.LBB102_467:
	s_andn2_saveexec_b64 s[0:1], s[0:1]
	s_cbranch_execz .LBB102_469
; %bb.468:
	v_mov_b32_e32 v63, 27
	ds_write2_b32 v57, v24, v25 offset0:28 offset1:29
	ds_write2_b32 v57, v16, v17 offset0:30 offset1:31
	;; [unrolled: 1-line block ×12, first 2 shown]
.LBB102_469:
	s_or_b64 exec, exec, s[0:1]
	v_cmp_lt_i32_e32 vcc, 27, v63
	s_waitcnt lgkmcnt(0)
	s_barrier
	s_and_saveexec_b64 s[0:1], vcc
	s_cbranch_execz .LBB102_471
; %bb.470:
	ds_read2_b32 v[64:65], v57 offset0:28 offset1:29
	ds_read2_b32 v[66:67], v57 offset0:30 offset1:31
	;; [unrolled: 1-line block ×3, first 2 shown]
	v_mul_f32_e32 v60, v62, v35
	ds_read2_b32 v[70:71], v57 offset0:34 offset1:35
	s_waitcnt lgkmcnt(3)
	v_pk_fma_f32 v[24:25], v[60:61], v[64:65], v[24:25] op_sel_hi:[0,1,1] neg_lo:[1,0,0] neg_hi:[1,0,0]
	s_waitcnt lgkmcnt(2)
	v_pk_fma_f32 v[16:17], v[60:61], v[66:67], v[16:17] op_sel_hi:[0,1,1] neg_lo:[1,0,0] neg_hi:[1,0,0]
	;; [unrolled: 2-line block ×3, first 2 shown]
	ds_read2_b32 v[64:65], v57 offset0:36 offset1:37
	ds_read2_b32 v[66:67], v57 offset0:38 offset1:39
	;; [unrolled: 1-line block ×3, first 2 shown]
	s_waitcnt lgkmcnt(3)
	v_pk_fma_f32 v[26:27], v[60:61], v[70:71], v[26:27] op_sel_hi:[0,1,1] neg_lo:[1,0,0] neg_hi:[1,0,0]
	ds_read2_b32 v[70:71], v57 offset0:42 offset1:43
	s_waitcnt lgkmcnt(3)
	v_pk_fma_f32 v[18:19], v[60:61], v[64:65], v[18:19] op_sel_hi:[0,1,1] neg_lo:[1,0,0] neg_hi:[1,0,0]
	s_waitcnt lgkmcnt(2)
	v_pk_fma_f32 v[10:11], v[60:61], v[66:67], v[10:11] op_sel_hi:[0,1,1] neg_lo:[1,0,0] neg_hi:[1,0,0]
	;; [unrolled: 2-line block ×3, first 2 shown]
	ds_read2_b32 v[64:65], v57 offset0:44 offset1:45
	ds_read2_b32 v[66:67], v57 offset0:46 offset1:47
	;; [unrolled: 1-line block ×4, first 2 shown]
	s_waitcnt lgkmcnt(4)
	v_pk_fma_f32 v[20:21], v[60:61], v[70:71], v[20:21] op_sel_hi:[0,1,1] neg_lo:[1,0,0] neg_hi:[1,0,0]
	s_waitcnt lgkmcnt(3)
	v_pk_fma_f32 v[14:15], v[60:61], v[64:65], v[14:15] op_sel_hi:[0,1,1] neg_lo:[1,0,0] neg_hi:[1,0,0]
	;; [unrolled: 2-line block ×5, first 2 shown]
	v_mov_b32_e32 v35, v60
.LBB102_471:
	s_or_b64 exec, exec, s[0:1]
	v_lshl_add_u32 v60, v63, 2, v57
	s_barrier
	ds_write_b32 v60, v24
	s_waitcnt lgkmcnt(0)
	s_barrier
	ds_read_b32 v62, v57 offset:112
	s_cmp_lt_i32 s22, 30
	v_mov_b32_e32 v60, 28
	s_cbranch_scc1 .LBB102_474
; %bb.472:
	v_add_u32_e32 v64, 0x74, v57
	v_mov_b32_e32 v60, 28
	s_mov_b32 s0, 29
.LBB102_473:                            ; =>This Inner Loop Header: Depth=1
	ds_read_b32 v65, v64
	v_mov_b32_e32 v66, s0
	s_add_i32 s0, s0, 1
	v_add_u32_e32 v64, 4, v64
	s_cmp_lg_u32 s22, s0
	s_waitcnt lgkmcnt(0)
	v_cmp_lt_f32_e64 vcc, |v62|, |v65|
	s_nop 1
	v_cndmask_b32_e32 v62, v62, v65, vcc
	v_cndmask_b32_e32 v60, v60, v66, vcc
	s_cbranch_scc1 .LBB102_473
.LBB102_474:
	s_waitcnt lgkmcnt(0)
	v_cmp_eq_f32_e32 vcc, 0, v62
	s_and_saveexec_b64 s[0:1], vcc
	s_xor_b64 s[0:1], exec, s[0:1]
; %bb.475:
	v_cmp_ne_u32_e32 vcc, 0, v59
	s_nop 1
	v_cndmask_b32_e32 v59, 29, v59, vcc
; %bb.476:
	s_andn2_saveexec_b64 s[0:1], s[0:1]
	s_cbranch_execz .LBB102_478
; %bb.477:
	v_div_scale_f32 v64, s[2:3], v62, v62, 1.0
	v_rcp_f32_e32 v65, v64
	v_div_scale_f32 v66, vcc, 1.0, v62, 1.0
	v_fma_f32 v67, -v64, v65, 1.0
	v_fmac_f32_e32 v65, v67, v65
	v_mul_f32_e32 v67, v66, v65
	v_fma_f32 v68, -v64, v67, v66
	v_fmac_f32_e32 v67, v68, v65
	v_fma_f32 v64, -v64, v67, v66
	v_div_fmas_f32 v64, v64, v65, v67
	v_div_fixup_f32 v62, v64, v62, 1.0
.LBB102_478:
	s_or_b64 exec, exec, s[0:1]
	v_cmp_ne_u32_e32 vcc, v63, v60
	s_and_saveexec_b64 s[0:1], vcc
	s_xor_b64 s[0:1], exec, s[0:1]
	s_cbranch_execz .LBB102_484
; %bb.479:
	v_cmp_eq_u32_e32 vcc, 28, v63
	s_and_saveexec_b64 s[2:3], vcc
	s_cbranch_execz .LBB102_483
; %bb.480:
	v_cmp_ne_u32_e32 vcc, 28, v60
	s_xor_b64 s[12:13], s[20:21], -1
	s_and_b64 s[14:15], s[12:13], vcc
	s_and_saveexec_b64 s[12:13], s[14:15]
	s_cbranch_execz .LBB102_482
; %bb.481:
	v_ashrrev_i32_e32 v61, 31, v60
	v_lshl_add_u64 v[64:65], v[60:61], 2, v[4:5]
	global_load_dword v61, v[64:65], off
	global_load_dword v63, v[4:5], off offset:112
	s_waitcnt vmcnt(1)
	global_store_dword v[4:5], v61, off offset:112
	s_waitcnt vmcnt(1)
	global_store_dword v[64:65], v63, off
.LBB102_482:
	s_or_b64 exec, exec, s[12:13]
	v_mov_b32_e32 v61, v60
	v_mov_b32_e32 v63, v60
.LBB102_483:
	s_or_b64 exec, exec, s[2:3]
.LBB102_484:
	s_andn2_saveexec_b64 s[0:1], s[0:1]
	s_cbranch_execz .LBB102_486
; %bb.485:
	v_pk_mov_b32 v[64:65], v[24:25], v[16:17] op_sel:[1,0]
	ds_write2_b32 v57, v64, v65 offset0:29 offset1:30
	v_pk_mov_b32 v[64:65], v[16:17], v[36:37] op_sel:[1,0]
	ds_write2_b32 v57, v64, v65 offset0:31 offset1:32
	;; [unrolled: 2-line block ×10, first 2 shown]
	v_pk_mov_b32 v[64:65], v[12:13], v[8:9] op_sel:[1,0]
	v_mov_b32_e32 v63, 28
	ds_write2_b32 v57, v64, v65 offset0:49 offset1:50
	ds_write_b32 v57, v9 offset:204
.LBB102_486:
	s_or_b64 exec, exec, s[0:1]
	v_cmp_lt_i32_e32 vcc, 28, v63
	s_waitcnt lgkmcnt(0)
	s_barrier
	s_and_saveexec_b64 s[0:1], vcc
	s_cbranch_execz .LBB102_488
; %bb.487:
	ds_read_b32 v60, v57 offset:116
	ds_read2_b32 v[64:65], v57 offset0:30 offset1:31
	ds_read2_b32 v[66:67], v57 offset0:32 offset1:33
	v_mul_f32_e32 v24, v62, v24
	ds_read2_b32 v[68:69], v57 offset0:34 offset1:35
	s_waitcnt lgkmcnt(3)
	v_fma_f32 v25, -v24, v60, v25
	s_waitcnt lgkmcnt(2)
	v_pk_fma_f32 v[16:17], v[24:25], v[64:65], v[16:17] op_sel_hi:[0,1,1] neg_lo:[1,0,0] neg_hi:[1,0,0]
	s_waitcnt lgkmcnt(1)
	v_pk_fma_f32 v[36:37], v[24:25], v[66:67], v[36:37] op_sel_hi:[0,1,1] neg_lo:[1,0,0] neg_hi:[1,0,0]
	ds_read2_b32 v[64:65], v57 offset0:36 offset1:37
	ds_read2_b32 v[66:67], v57 offset0:38 offset1:39
	;; [unrolled: 1-line block ×3, first 2 shown]
	s_waitcnt lgkmcnt(3)
	v_pk_fma_f32 v[26:27], v[24:25], v[68:69], v[26:27] op_sel_hi:[0,1,1] neg_lo:[1,0,0] neg_hi:[1,0,0]
	ds_read2_b32 v[68:69], v57 offset0:42 offset1:43
	s_waitcnt lgkmcnt(3)
	v_pk_fma_f32 v[18:19], v[24:25], v[64:65], v[18:19] op_sel_hi:[0,1,1] neg_lo:[1,0,0] neg_hi:[1,0,0]
	s_waitcnt lgkmcnt(2)
	v_pk_fma_f32 v[10:11], v[24:25], v[66:67], v[10:11] op_sel_hi:[0,1,1] neg_lo:[1,0,0] neg_hi:[1,0,0]
	;; [unrolled: 2-line block ×3, first 2 shown]
	ds_read2_b32 v[64:65], v57 offset0:44 offset1:45
	ds_read2_b32 v[66:67], v57 offset0:46 offset1:47
	;; [unrolled: 1-line block ×4, first 2 shown]
	s_waitcnt lgkmcnt(4)
	v_pk_fma_f32 v[20:21], v[24:25], v[68:69], v[20:21] op_sel_hi:[0,1,1] neg_lo:[1,0,0] neg_hi:[1,0,0]
	s_waitcnt lgkmcnt(3)
	v_pk_fma_f32 v[14:15], v[24:25], v[64:65], v[14:15] op_sel_hi:[0,1,1] neg_lo:[1,0,0] neg_hi:[1,0,0]
	;; [unrolled: 2-line block ×5, first 2 shown]
.LBB102_488:
	s_or_b64 exec, exec, s[0:1]
	v_lshl_add_u32 v60, v63, 2, v57
	s_barrier
	ds_write_b32 v60, v25
	s_waitcnt lgkmcnt(0)
	s_barrier
	ds_read_b32 v62, v57 offset:116
	s_cmp_lt_i32 s22, 31
	v_mov_b32_e32 v60, 29
	s_cbranch_scc1 .LBB102_491
; %bb.489:
	v_add_u32_e32 v64, 0x78, v57
	v_mov_b32_e32 v60, 29
	s_mov_b32 s0, 30
.LBB102_490:                            ; =>This Inner Loop Header: Depth=1
	ds_read_b32 v65, v64
	v_mov_b32_e32 v66, s0
	s_add_i32 s0, s0, 1
	v_add_u32_e32 v64, 4, v64
	s_cmp_lg_u32 s22, s0
	s_waitcnt lgkmcnt(0)
	v_cmp_lt_f32_e64 vcc, |v62|, |v65|
	s_nop 1
	v_cndmask_b32_e32 v62, v62, v65, vcc
	v_cndmask_b32_e32 v60, v60, v66, vcc
	s_cbranch_scc1 .LBB102_490
.LBB102_491:
	s_waitcnt lgkmcnt(0)
	v_cmp_eq_f32_e32 vcc, 0, v62
	s_and_saveexec_b64 s[0:1], vcc
	s_xor_b64 s[0:1], exec, s[0:1]
; %bb.492:
	v_cmp_ne_u32_e32 vcc, 0, v59
	s_nop 1
	v_cndmask_b32_e32 v59, 30, v59, vcc
; %bb.493:
	s_andn2_saveexec_b64 s[0:1], s[0:1]
	s_cbranch_execz .LBB102_495
; %bb.494:
	v_div_scale_f32 v64, s[2:3], v62, v62, 1.0
	v_rcp_f32_e32 v65, v64
	v_div_scale_f32 v66, vcc, 1.0, v62, 1.0
	v_fma_f32 v67, -v64, v65, 1.0
	v_fmac_f32_e32 v65, v67, v65
	v_mul_f32_e32 v67, v66, v65
	v_fma_f32 v68, -v64, v67, v66
	v_fmac_f32_e32 v67, v68, v65
	v_fma_f32 v64, -v64, v67, v66
	v_div_fmas_f32 v64, v64, v65, v67
	v_div_fixup_f32 v62, v64, v62, 1.0
.LBB102_495:
	s_or_b64 exec, exec, s[0:1]
	v_cmp_ne_u32_e32 vcc, v63, v60
	s_and_saveexec_b64 s[0:1], vcc
	s_xor_b64 s[0:1], exec, s[0:1]
	s_cbranch_execz .LBB102_501
; %bb.496:
	v_cmp_eq_u32_e32 vcc, 29, v63
	s_and_saveexec_b64 s[2:3], vcc
	s_cbranch_execz .LBB102_500
; %bb.497:
	v_cmp_ne_u32_e32 vcc, 29, v60
	s_xor_b64 s[12:13], s[20:21], -1
	s_and_b64 s[14:15], s[12:13], vcc
	s_and_saveexec_b64 s[12:13], s[14:15]
	s_cbranch_execz .LBB102_499
; %bb.498:
	v_ashrrev_i32_e32 v61, 31, v60
	v_lshl_add_u64 v[64:65], v[60:61], 2, v[4:5]
	global_load_dword v61, v[64:65], off
	global_load_dword v63, v[4:5], off offset:116
	s_waitcnt vmcnt(1)
	global_store_dword v[4:5], v61, off offset:116
	s_waitcnt vmcnt(1)
	global_store_dword v[64:65], v63, off
.LBB102_499:
	s_or_b64 exec, exec, s[12:13]
	v_mov_b32_e32 v61, v60
	v_mov_b32_e32 v63, v60
.LBB102_500:
	s_or_b64 exec, exec, s[2:3]
.LBB102_501:
	s_andn2_saveexec_b64 s[0:1], s[0:1]
	s_cbranch_execz .LBB102_503
; %bb.502:
	v_mov_b32_e32 v63, 29
	ds_write2_b32 v57, v16, v17 offset0:30 offset1:31
	ds_write2_b32 v57, v36, v37 offset0:32 offset1:33
	ds_write2_b32 v57, v26, v27 offset0:34 offset1:35
	ds_write2_b32 v57, v18, v19 offset0:36 offset1:37
	ds_write2_b32 v57, v10, v11 offset0:38 offset1:39
	ds_write2_b32 v57, v28, v29 offset0:40 offset1:41
	ds_write2_b32 v57, v20, v21 offset0:42 offset1:43
	ds_write2_b32 v57, v14, v15 offset0:44 offset1:45
	ds_write2_b32 v57, v0, v1 offset0:46 offset1:47
	ds_write2_b32 v57, v12, v13 offset0:48 offset1:49
	ds_write2_b32 v57, v8, v9 offset0:50 offset1:51
.LBB102_503:
	s_or_b64 exec, exec, s[0:1]
	v_cmp_lt_i32_e32 vcc, 29, v63
	s_waitcnt lgkmcnt(0)
	s_barrier
	s_and_saveexec_b64 s[0:1], vcc
	s_cbranch_execz .LBB102_505
; %bb.504:
	ds_read2_b32 v[64:65], v57 offset0:30 offset1:31
	ds_read2_b32 v[66:67], v57 offset0:32 offset1:33
	;; [unrolled: 1-line block ×3, first 2 shown]
	v_mul_f32_e32 v60, v62, v25
	ds_read2_b32 v[70:71], v57 offset0:36 offset1:37
	s_waitcnt lgkmcnt(3)
	v_pk_fma_f32 v[16:17], v[60:61], v[64:65], v[16:17] op_sel_hi:[0,1,1] neg_lo:[1,0,0] neg_hi:[1,0,0]
	s_waitcnt lgkmcnt(2)
	v_pk_fma_f32 v[36:37], v[60:61], v[66:67], v[36:37] op_sel_hi:[0,1,1] neg_lo:[1,0,0] neg_hi:[1,0,0]
	ds_read2_b32 v[64:65], v57 offset0:38 offset1:39
	ds_read2_b32 v[66:67], v57 offset0:40 offset1:41
	s_waitcnt lgkmcnt(3)
	v_pk_fma_f32 v[26:27], v[60:61], v[68:69], v[26:27] op_sel_hi:[0,1,1] neg_lo:[1,0,0] neg_hi:[1,0,0]
	s_waitcnt lgkmcnt(2)
	v_pk_fma_f32 v[18:19], v[60:61], v[70:71], v[18:19] op_sel_hi:[0,1,1] neg_lo:[1,0,0] neg_hi:[1,0,0]
	ds_read2_b32 v[68:69], v57 offset0:42 offset1:43
	;; [unrolled: 6-line block ×3, first 2 shown]
	ds_read2_b32 v[66:67], v57 offset0:48 offset1:49
	ds_read2_b32 v[72:73], v57 offset0:50 offset1:51
	s_waitcnt lgkmcnt(4)
	v_pk_fma_f32 v[20:21], v[60:61], v[68:69], v[20:21] op_sel_hi:[0,1,1] neg_lo:[1,0,0] neg_hi:[1,0,0]
	s_waitcnt lgkmcnt(3)
	v_pk_fma_f32 v[14:15], v[60:61], v[70:71], v[14:15] op_sel_hi:[0,1,1] neg_lo:[1,0,0] neg_hi:[1,0,0]
	;; [unrolled: 2-line block ×5, first 2 shown]
	v_mov_b32_e32 v25, v60
.LBB102_505:
	s_or_b64 exec, exec, s[0:1]
	v_lshl_add_u32 v60, v63, 2, v57
	s_barrier
	ds_write_b32 v60, v16
	s_waitcnt lgkmcnt(0)
	s_barrier
	ds_read_b32 v62, v57 offset:120
	s_cmp_lt_i32 s22, 32
	v_mov_b32_e32 v60, 30
	s_cbranch_scc1 .LBB102_508
; %bb.506:
	v_add_u32_e32 v64, 0x7c, v57
	v_mov_b32_e32 v60, 30
	s_mov_b32 s0, 31
.LBB102_507:                            ; =>This Inner Loop Header: Depth=1
	ds_read_b32 v65, v64
	v_mov_b32_e32 v66, s0
	s_add_i32 s0, s0, 1
	v_add_u32_e32 v64, 4, v64
	s_cmp_lg_u32 s22, s0
	s_waitcnt lgkmcnt(0)
	v_cmp_lt_f32_e64 vcc, |v62|, |v65|
	s_nop 1
	v_cndmask_b32_e32 v62, v62, v65, vcc
	v_cndmask_b32_e32 v60, v60, v66, vcc
	s_cbranch_scc1 .LBB102_507
.LBB102_508:
	s_waitcnt lgkmcnt(0)
	v_cmp_eq_f32_e32 vcc, 0, v62
	s_and_saveexec_b64 s[0:1], vcc
	s_xor_b64 s[0:1], exec, s[0:1]
; %bb.509:
	v_cmp_ne_u32_e32 vcc, 0, v59
	s_nop 1
	v_cndmask_b32_e32 v59, 31, v59, vcc
; %bb.510:
	s_andn2_saveexec_b64 s[0:1], s[0:1]
	s_cbranch_execz .LBB102_512
; %bb.511:
	v_div_scale_f32 v64, s[2:3], v62, v62, 1.0
	v_rcp_f32_e32 v65, v64
	v_div_scale_f32 v66, vcc, 1.0, v62, 1.0
	v_fma_f32 v67, -v64, v65, 1.0
	v_fmac_f32_e32 v65, v67, v65
	v_mul_f32_e32 v67, v66, v65
	v_fma_f32 v68, -v64, v67, v66
	v_fmac_f32_e32 v67, v68, v65
	v_fma_f32 v64, -v64, v67, v66
	v_div_fmas_f32 v64, v64, v65, v67
	v_div_fixup_f32 v62, v64, v62, 1.0
.LBB102_512:
	s_or_b64 exec, exec, s[0:1]
	v_cmp_ne_u32_e32 vcc, v63, v60
	s_and_saveexec_b64 s[0:1], vcc
	s_xor_b64 s[0:1], exec, s[0:1]
	s_cbranch_execz .LBB102_518
; %bb.513:
	v_cmp_eq_u32_e32 vcc, 30, v63
	s_and_saveexec_b64 s[2:3], vcc
	s_cbranch_execz .LBB102_517
; %bb.514:
	v_cmp_ne_u32_e32 vcc, 30, v60
	s_xor_b64 s[12:13], s[20:21], -1
	s_and_b64 s[14:15], s[12:13], vcc
	s_and_saveexec_b64 s[12:13], s[14:15]
	s_cbranch_execz .LBB102_516
; %bb.515:
	v_ashrrev_i32_e32 v61, 31, v60
	v_lshl_add_u64 v[64:65], v[60:61], 2, v[4:5]
	global_load_dword v61, v[64:65], off
	global_load_dword v63, v[4:5], off offset:120
	s_waitcnt vmcnt(1)
	global_store_dword v[4:5], v61, off offset:120
	s_waitcnt vmcnt(1)
	global_store_dword v[64:65], v63, off
.LBB102_516:
	s_or_b64 exec, exec, s[12:13]
	v_mov_b32_e32 v61, v60
	v_mov_b32_e32 v63, v60
.LBB102_517:
	s_or_b64 exec, exec, s[2:3]
.LBB102_518:
	s_andn2_saveexec_b64 s[0:1], s[0:1]
	s_cbranch_execz .LBB102_520
; %bb.519:
	v_pk_mov_b32 v[64:65], v[16:17], v[36:37] op_sel:[1,0]
	ds_write2_b32 v57, v64, v65 offset0:31 offset1:32
	v_pk_mov_b32 v[64:65], v[36:37], v[26:27] op_sel:[1,0]
	ds_write2_b32 v57, v64, v65 offset0:33 offset1:34
	;; [unrolled: 2-line block ×9, first 2 shown]
	v_pk_mov_b32 v[64:65], v[12:13], v[8:9] op_sel:[1,0]
	v_mov_b32_e32 v63, 30
	ds_write2_b32 v57, v64, v65 offset0:49 offset1:50
	ds_write_b32 v57, v9 offset:204
.LBB102_520:
	s_or_b64 exec, exec, s[0:1]
	v_cmp_lt_i32_e32 vcc, 30, v63
	s_waitcnt lgkmcnt(0)
	s_barrier
	s_and_saveexec_b64 s[0:1], vcc
	s_cbranch_execz .LBB102_522
; %bb.521:
	ds_read_b32 v60, v57 offset:124
	ds_read2_b32 v[64:65], v57 offset0:32 offset1:33
	ds_read2_b32 v[66:67], v57 offset0:34 offset1:35
	v_mul_f32_e32 v16, v62, v16
	ds_read2_b32 v[68:69], v57 offset0:36 offset1:37
	s_waitcnt lgkmcnt(3)
	v_fma_f32 v17, -v16, v60, v17
	s_waitcnt lgkmcnt(2)
	v_pk_fma_f32 v[36:37], v[16:17], v[64:65], v[36:37] op_sel_hi:[0,1,1] neg_lo:[1,0,0] neg_hi:[1,0,0]
	s_waitcnt lgkmcnt(1)
	v_pk_fma_f32 v[26:27], v[16:17], v[66:67], v[26:27] op_sel_hi:[0,1,1] neg_lo:[1,0,0] neg_hi:[1,0,0]
	ds_read2_b32 v[64:65], v57 offset0:38 offset1:39
	ds_read2_b32 v[66:67], v57 offset0:40 offset1:41
	s_waitcnt lgkmcnt(2)
	v_pk_fma_f32 v[18:19], v[16:17], v[68:69], v[18:19] op_sel_hi:[0,1,1] neg_lo:[1,0,0] neg_hi:[1,0,0]
	ds_read2_b32 v[68:69], v57 offset0:42 offset1:43
	ds_read2_b32 v[70:71], v57 offset0:44 offset1:45
	s_waitcnt lgkmcnt(3)
	v_pk_fma_f32 v[10:11], v[16:17], v[64:65], v[10:11] op_sel_hi:[0,1,1] neg_lo:[1,0,0] neg_hi:[1,0,0]
	s_waitcnt lgkmcnt(2)
	v_pk_fma_f32 v[28:29], v[16:17], v[66:67], v[28:29] op_sel_hi:[0,1,1] neg_lo:[1,0,0] neg_hi:[1,0,0]
	ds_read2_b32 v[64:65], v57 offset0:46 offset1:47
	ds_read2_b32 v[66:67], v57 offset0:48 offset1:49
	;; [unrolled: 1-line block ×3, first 2 shown]
	s_waitcnt lgkmcnt(4)
	v_pk_fma_f32 v[20:21], v[16:17], v[68:69], v[20:21] op_sel_hi:[0,1,1] neg_lo:[1,0,0] neg_hi:[1,0,0]
	s_waitcnt lgkmcnt(3)
	v_pk_fma_f32 v[14:15], v[16:17], v[70:71], v[14:15] op_sel_hi:[0,1,1] neg_lo:[1,0,0] neg_hi:[1,0,0]
	;; [unrolled: 2-line block ×5, first 2 shown]
.LBB102_522:
	s_or_b64 exec, exec, s[0:1]
	v_lshl_add_u32 v60, v63, 2, v57
	s_barrier
	ds_write_b32 v60, v17
	s_waitcnt lgkmcnt(0)
	s_barrier
	ds_read_b32 v62, v57 offset:124
	s_cmp_lt_i32 s22, 33
	v_mov_b32_e32 v60, 31
	s_cbranch_scc1 .LBB102_525
; %bb.523:
	v_add_u32_e32 v64, 0x80, v57
	v_mov_b32_e32 v60, 31
	s_mov_b32 s0, 32
.LBB102_524:                            ; =>This Inner Loop Header: Depth=1
	ds_read_b32 v65, v64
	v_mov_b32_e32 v66, s0
	s_add_i32 s0, s0, 1
	v_add_u32_e32 v64, 4, v64
	s_cmp_lg_u32 s22, s0
	s_waitcnt lgkmcnt(0)
	v_cmp_lt_f32_e64 vcc, |v62|, |v65|
	s_nop 1
	v_cndmask_b32_e32 v62, v62, v65, vcc
	v_cndmask_b32_e32 v60, v60, v66, vcc
	s_cbranch_scc1 .LBB102_524
.LBB102_525:
	s_waitcnt lgkmcnt(0)
	v_cmp_eq_f32_e32 vcc, 0, v62
	s_and_saveexec_b64 s[0:1], vcc
	s_xor_b64 s[0:1], exec, s[0:1]
; %bb.526:
	v_cmp_ne_u32_e32 vcc, 0, v59
	s_nop 1
	v_cndmask_b32_e32 v59, 32, v59, vcc
; %bb.527:
	s_andn2_saveexec_b64 s[0:1], s[0:1]
	s_cbranch_execz .LBB102_529
; %bb.528:
	v_div_scale_f32 v64, s[2:3], v62, v62, 1.0
	v_rcp_f32_e32 v65, v64
	v_div_scale_f32 v66, vcc, 1.0, v62, 1.0
	v_fma_f32 v67, -v64, v65, 1.0
	v_fmac_f32_e32 v65, v67, v65
	v_mul_f32_e32 v67, v66, v65
	v_fma_f32 v68, -v64, v67, v66
	v_fmac_f32_e32 v67, v68, v65
	v_fma_f32 v64, -v64, v67, v66
	v_div_fmas_f32 v64, v64, v65, v67
	v_div_fixup_f32 v62, v64, v62, 1.0
.LBB102_529:
	s_or_b64 exec, exec, s[0:1]
	v_cmp_ne_u32_e32 vcc, v63, v60
	s_and_saveexec_b64 s[0:1], vcc
	s_xor_b64 s[0:1], exec, s[0:1]
	s_cbranch_execz .LBB102_535
; %bb.530:
	v_cmp_eq_u32_e32 vcc, 31, v63
	s_and_saveexec_b64 s[2:3], vcc
	s_cbranch_execz .LBB102_534
; %bb.531:
	v_cmp_ne_u32_e32 vcc, 31, v60
	s_xor_b64 s[12:13], s[20:21], -1
	s_and_b64 s[14:15], s[12:13], vcc
	s_and_saveexec_b64 s[12:13], s[14:15]
	s_cbranch_execz .LBB102_533
; %bb.532:
	v_ashrrev_i32_e32 v61, 31, v60
	v_lshl_add_u64 v[64:65], v[60:61], 2, v[4:5]
	global_load_dword v61, v[64:65], off
	global_load_dword v63, v[4:5], off offset:124
	s_waitcnt vmcnt(1)
	global_store_dword v[4:5], v61, off offset:124
	s_waitcnt vmcnt(1)
	global_store_dword v[64:65], v63, off
.LBB102_533:
	s_or_b64 exec, exec, s[12:13]
	v_mov_b32_e32 v61, v60
	v_mov_b32_e32 v63, v60
.LBB102_534:
	s_or_b64 exec, exec, s[2:3]
.LBB102_535:
	s_andn2_saveexec_b64 s[0:1], s[0:1]
	s_cbranch_execz .LBB102_537
; %bb.536:
	v_mov_b32_e32 v63, 31
	ds_write2_b32 v57, v36, v37 offset0:32 offset1:33
	ds_write2_b32 v57, v26, v27 offset0:34 offset1:35
	;; [unrolled: 1-line block ×10, first 2 shown]
.LBB102_537:
	s_or_b64 exec, exec, s[0:1]
	v_cmp_lt_i32_e32 vcc, 31, v63
	s_waitcnt lgkmcnt(0)
	s_barrier
	s_and_saveexec_b64 s[0:1], vcc
	s_cbranch_execz .LBB102_539
; %bb.538:
	ds_read2_b32 v[64:65], v57 offset0:32 offset1:33
	ds_read2_b32 v[66:67], v57 offset0:34 offset1:35
	;; [unrolled: 1-line block ×3, first 2 shown]
	v_mul_f32_e32 v60, v62, v17
	ds_read2_b32 v[70:71], v57 offset0:38 offset1:39
	s_waitcnt lgkmcnt(3)
	v_pk_fma_f32 v[36:37], v[60:61], v[64:65], v[36:37] op_sel_hi:[0,1,1] neg_lo:[1,0,0] neg_hi:[1,0,0]
	ds_read2_b32 v[64:65], v57 offset0:40 offset1:41
	s_waitcnt lgkmcnt(3)
	v_pk_fma_f32 v[26:27], v[60:61], v[66:67], v[26:27] op_sel_hi:[0,1,1] neg_lo:[1,0,0] neg_hi:[1,0,0]
	s_waitcnt lgkmcnt(2)
	v_pk_fma_f32 v[18:19], v[60:61], v[68:69], v[18:19] op_sel_hi:[0,1,1] neg_lo:[1,0,0] neg_hi:[1,0,0]
	;; [unrolled: 2-line block ×3, first 2 shown]
	ds_read2_b32 v[66:67], v57 offset0:42 offset1:43
	ds_read2_b32 v[68:69], v57 offset0:44 offset1:45
	;; [unrolled: 1-line block ×3, first 2 shown]
	s_waitcnt lgkmcnt(3)
	v_pk_fma_f32 v[28:29], v[60:61], v[64:65], v[28:29] op_sel_hi:[0,1,1] neg_lo:[1,0,0] neg_hi:[1,0,0]
	ds_read2_b32 v[64:65], v57 offset0:48 offset1:49
	ds_read2_b32 v[72:73], v57 offset0:50 offset1:51
	s_waitcnt lgkmcnt(4)
	v_pk_fma_f32 v[20:21], v[60:61], v[66:67], v[20:21] op_sel_hi:[0,1,1] neg_lo:[1,0,0] neg_hi:[1,0,0]
	s_waitcnt lgkmcnt(3)
	v_pk_fma_f32 v[14:15], v[60:61], v[68:69], v[14:15] op_sel_hi:[0,1,1] neg_lo:[1,0,0] neg_hi:[1,0,0]
	;; [unrolled: 2-line block ×5, first 2 shown]
	v_mov_b32_e32 v17, v60
.LBB102_539:
	s_or_b64 exec, exec, s[0:1]
	v_lshl_add_u32 v60, v63, 2, v57
	s_barrier
	ds_write_b32 v60, v36
	s_waitcnt lgkmcnt(0)
	s_barrier
	ds_read_b32 v62, v57 offset:128
	s_cmp_lt_i32 s22, 34
	v_mov_b32_e32 v60, 32
	s_cbranch_scc1 .LBB102_542
; %bb.540:
	v_add_u32_e32 v64, 0x84, v57
	v_mov_b32_e32 v60, 32
	s_mov_b32 s0, 33
.LBB102_541:                            ; =>This Inner Loop Header: Depth=1
	ds_read_b32 v65, v64
	v_mov_b32_e32 v66, s0
	s_add_i32 s0, s0, 1
	v_add_u32_e32 v64, 4, v64
	s_cmp_lg_u32 s22, s0
	s_waitcnt lgkmcnt(0)
	v_cmp_lt_f32_e64 vcc, |v62|, |v65|
	s_nop 1
	v_cndmask_b32_e32 v62, v62, v65, vcc
	v_cndmask_b32_e32 v60, v60, v66, vcc
	s_cbranch_scc1 .LBB102_541
.LBB102_542:
	s_waitcnt lgkmcnt(0)
	v_cmp_eq_f32_e32 vcc, 0, v62
	s_and_saveexec_b64 s[0:1], vcc
	s_xor_b64 s[0:1], exec, s[0:1]
; %bb.543:
	v_cmp_ne_u32_e32 vcc, 0, v59
	s_nop 1
	v_cndmask_b32_e32 v59, 33, v59, vcc
; %bb.544:
	s_andn2_saveexec_b64 s[0:1], s[0:1]
	s_cbranch_execz .LBB102_546
; %bb.545:
	v_div_scale_f32 v64, s[2:3], v62, v62, 1.0
	v_rcp_f32_e32 v65, v64
	v_div_scale_f32 v66, vcc, 1.0, v62, 1.0
	v_fma_f32 v67, -v64, v65, 1.0
	v_fmac_f32_e32 v65, v67, v65
	v_mul_f32_e32 v67, v66, v65
	v_fma_f32 v68, -v64, v67, v66
	v_fmac_f32_e32 v67, v68, v65
	v_fma_f32 v64, -v64, v67, v66
	v_div_fmas_f32 v64, v64, v65, v67
	v_div_fixup_f32 v62, v64, v62, 1.0
.LBB102_546:
	s_or_b64 exec, exec, s[0:1]
	v_cmp_ne_u32_e32 vcc, v63, v60
	s_and_saveexec_b64 s[0:1], vcc
	s_xor_b64 s[0:1], exec, s[0:1]
	s_cbranch_execz .LBB102_552
; %bb.547:
	v_cmp_eq_u32_e32 vcc, 32, v63
	s_and_saveexec_b64 s[2:3], vcc
	s_cbranch_execz .LBB102_551
; %bb.548:
	v_cmp_ne_u32_e32 vcc, 32, v60
	s_xor_b64 s[12:13], s[20:21], -1
	s_and_b64 s[14:15], s[12:13], vcc
	s_and_saveexec_b64 s[12:13], s[14:15]
	s_cbranch_execz .LBB102_550
; %bb.549:
	v_ashrrev_i32_e32 v61, 31, v60
	v_lshl_add_u64 v[64:65], v[60:61], 2, v[4:5]
	global_load_dword v61, v[64:65], off
	global_load_dword v63, v[4:5], off offset:128
	s_waitcnt vmcnt(1)
	global_store_dword v[4:5], v61, off offset:128
	s_waitcnt vmcnt(1)
	global_store_dword v[64:65], v63, off
.LBB102_550:
	s_or_b64 exec, exec, s[12:13]
	v_mov_b32_e32 v61, v60
	v_mov_b32_e32 v63, v60
.LBB102_551:
	s_or_b64 exec, exec, s[2:3]
.LBB102_552:
	s_andn2_saveexec_b64 s[0:1], s[0:1]
	s_cbranch_execz .LBB102_554
; %bb.553:
	v_pk_mov_b32 v[64:65], v[36:37], v[26:27] op_sel:[1,0]
	ds_write2_b32 v57, v64, v65 offset0:33 offset1:34
	v_pk_mov_b32 v[64:65], v[26:27], v[18:19] op_sel:[1,0]
	ds_write2_b32 v57, v64, v65 offset0:35 offset1:36
	;; [unrolled: 2-line block ×8, first 2 shown]
	v_pk_mov_b32 v[64:65], v[12:13], v[8:9] op_sel:[1,0]
	v_mov_b32_e32 v63, 32
	ds_write2_b32 v57, v64, v65 offset0:49 offset1:50
	ds_write_b32 v57, v9 offset:204
.LBB102_554:
	s_or_b64 exec, exec, s[0:1]
	v_cmp_lt_i32_e32 vcc, 32, v63
	s_waitcnt lgkmcnt(0)
	s_barrier
	s_and_saveexec_b64 s[0:1], vcc
	s_cbranch_execz .LBB102_556
; %bb.555:
	ds_read_b32 v60, v57 offset:132
	ds_read2_b32 v[64:65], v57 offset0:34 offset1:35
	ds_read2_b32 v[66:67], v57 offset0:36 offset1:37
	v_mul_f32_e32 v36, v62, v36
	ds_read2_b32 v[68:69], v57 offset0:38 offset1:39
	s_waitcnt lgkmcnt(3)
	v_fma_f32 v37, -v36, v60, v37
	s_waitcnt lgkmcnt(2)
	v_pk_fma_f32 v[26:27], v[36:37], v[64:65], v[26:27] op_sel_hi:[0,1,1] neg_lo:[1,0,0] neg_hi:[1,0,0]
	ds_read2_b32 v[64:65], v57 offset0:40 offset1:41
	s_waitcnt lgkmcnt(2)
	v_pk_fma_f32 v[18:19], v[36:37], v[66:67], v[18:19] op_sel_hi:[0,1,1] neg_lo:[1,0,0] neg_hi:[1,0,0]
	s_waitcnt lgkmcnt(1)
	v_pk_fma_f32 v[10:11], v[36:37], v[68:69], v[10:11] op_sel_hi:[0,1,1] neg_lo:[1,0,0] neg_hi:[1,0,0]
	ds_read2_b32 v[66:67], v57 offset0:42 offset1:43
	ds_read2_b32 v[68:69], v57 offset0:44 offset1:45
	;; [unrolled: 1-line block ×3, first 2 shown]
	s_waitcnt lgkmcnt(3)
	v_pk_fma_f32 v[28:29], v[36:37], v[64:65], v[28:29] op_sel_hi:[0,1,1] neg_lo:[1,0,0] neg_hi:[1,0,0]
	ds_read2_b32 v[64:65], v57 offset0:48 offset1:49
	ds_read2_b32 v[72:73], v57 offset0:50 offset1:51
	s_waitcnt lgkmcnt(4)
	v_pk_fma_f32 v[20:21], v[36:37], v[66:67], v[20:21] op_sel_hi:[0,1,1] neg_lo:[1,0,0] neg_hi:[1,0,0]
	s_waitcnt lgkmcnt(3)
	v_pk_fma_f32 v[14:15], v[36:37], v[68:69], v[14:15] op_sel_hi:[0,1,1] neg_lo:[1,0,0] neg_hi:[1,0,0]
	;; [unrolled: 2-line block ×5, first 2 shown]
.LBB102_556:
	s_or_b64 exec, exec, s[0:1]
	v_lshl_add_u32 v60, v63, 2, v57
	s_barrier
	ds_write_b32 v60, v37
	s_waitcnt lgkmcnt(0)
	s_barrier
	ds_read_b32 v62, v57 offset:132
	s_cmp_lt_i32 s22, 35
	v_mov_b32_e32 v60, 33
	s_cbranch_scc1 .LBB102_559
; %bb.557:
	v_add_u32_e32 v64, 0x88, v57
	v_mov_b32_e32 v60, 33
	s_mov_b32 s0, 34
.LBB102_558:                            ; =>This Inner Loop Header: Depth=1
	ds_read_b32 v65, v64
	v_mov_b32_e32 v66, s0
	s_add_i32 s0, s0, 1
	v_add_u32_e32 v64, 4, v64
	s_cmp_lg_u32 s22, s0
	s_waitcnt lgkmcnt(0)
	v_cmp_lt_f32_e64 vcc, |v62|, |v65|
	s_nop 1
	v_cndmask_b32_e32 v62, v62, v65, vcc
	v_cndmask_b32_e32 v60, v60, v66, vcc
	s_cbranch_scc1 .LBB102_558
.LBB102_559:
	s_waitcnt lgkmcnt(0)
	v_cmp_eq_f32_e32 vcc, 0, v62
	s_and_saveexec_b64 s[0:1], vcc
	s_xor_b64 s[0:1], exec, s[0:1]
; %bb.560:
	v_cmp_ne_u32_e32 vcc, 0, v59
	s_nop 1
	v_cndmask_b32_e32 v59, 34, v59, vcc
; %bb.561:
	s_andn2_saveexec_b64 s[0:1], s[0:1]
	s_cbranch_execz .LBB102_563
; %bb.562:
	v_div_scale_f32 v64, s[2:3], v62, v62, 1.0
	v_rcp_f32_e32 v65, v64
	v_div_scale_f32 v66, vcc, 1.0, v62, 1.0
	v_fma_f32 v67, -v64, v65, 1.0
	v_fmac_f32_e32 v65, v67, v65
	v_mul_f32_e32 v67, v66, v65
	v_fma_f32 v68, -v64, v67, v66
	v_fmac_f32_e32 v67, v68, v65
	v_fma_f32 v64, -v64, v67, v66
	v_div_fmas_f32 v64, v64, v65, v67
	v_div_fixup_f32 v62, v64, v62, 1.0
.LBB102_563:
	s_or_b64 exec, exec, s[0:1]
	v_cmp_ne_u32_e32 vcc, v63, v60
	s_and_saveexec_b64 s[0:1], vcc
	s_xor_b64 s[0:1], exec, s[0:1]
	s_cbranch_execz .LBB102_569
; %bb.564:
	v_cmp_eq_u32_e32 vcc, 33, v63
	s_and_saveexec_b64 s[2:3], vcc
	s_cbranch_execz .LBB102_568
; %bb.565:
	v_cmp_ne_u32_e32 vcc, 33, v60
	s_xor_b64 s[12:13], s[20:21], -1
	s_and_b64 s[14:15], s[12:13], vcc
	s_and_saveexec_b64 s[12:13], s[14:15]
	s_cbranch_execz .LBB102_567
; %bb.566:
	v_ashrrev_i32_e32 v61, 31, v60
	v_lshl_add_u64 v[64:65], v[60:61], 2, v[4:5]
	global_load_dword v61, v[64:65], off
	global_load_dword v63, v[4:5], off offset:132
	s_waitcnt vmcnt(1)
	global_store_dword v[4:5], v61, off offset:132
	s_waitcnt vmcnt(1)
	global_store_dword v[64:65], v63, off
.LBB102_567:
	s_or_b64 exec, exec, s[12:13]
	v_mov_b32_e32 v61, v60
	v_mov_b32_e32 v63, v60
.LBB102_568:
	s_or_b64 exec, exec, s[2:3]
.LBB102_569:
	s_andn2_saveexec_b64 s[0:1], s[0:1]
	s_cbranch_execz .LBB102_571
; %bb.570:
	v_mov_b32_e32 v63, 33
	ds_write2_b32 v57, v26, v27 offset0:34 offset1:35
	ds_write2_b32 v57, v18, v19 offset0:36 offset1:37
	;; [unrolled: 1-line block ×9, first 2 shown]
.LBB102_571:
	s_or_b64 exec, exec, s[0:1]
	v_cmp_lt_i32_e32 vcc, 33, v63
	s_waitcnt lgkmcnt(0)
	s_barrier
	s_and_saveexec_b64 s[0:1], vcc
	s_cbranch_execz .LBB102_573
; %bb.572:
	ds_read2_b32 v[64:65], v57 offset0:34 offset1:35
	ds_read2_b32 v[66:67], v57 offset0:36 offset1:37
	;; [unrolled: 1-line block ×4, first 2 shown]
	v_mul_f32_e32 v60, v62, v37
	s_waitcnt lgkmcnt(3)
	v_pk_fma_f32 v[26:27], v[60:61], v[64:65], v[26:27] op_sel_hi:[0,1,1] neg_lo:[1,0,0] neg_hi:[1,0,0]
	s_waitcnt lgkmcnt(2)
	v_pk_fma_f32 v[18:19], v[60:61], v[66:67], v[18:19] op_sel_hi:[0,1,1] neg_lo:[1,0,0] neg_hi:[1,0,0]
	;; [unrolled: 2-line block ×4, first 2 shown]
	ds_read2_b32 v[64:65], v57 offset0:42 offset1:43
	ds_read2_b32 v[66:67], v57 offset0:44 offset1:45
	;; [unrolled: 1-line block ×5, first 2 shown]
	s_waitcnt lgkmcnt(4)
	v_pk_fma_f32 v[20:21], v[60:61], v[64:65], v[20:21] op_sel_hi:[0,1,1] neg_lo:[1,0,0] neg_hi:[1,0,0]
	s_waitcnt lgkmcnt(3)
	v_pk_fma_f32 v[14:15], v[60:61], v[66:67], v[14:15] op_sel_hi:[0,1,1] neg_lo:[1,0,0] neg_hi:[1,0,0]
	;; [unrolled: 2-line block ×5, first 2 shown]
	v_mov_b32_e32 v37, v60
.LBB102_573:
	s_or_b64 exec, exec, s[0:1]
	v_lshl_add_u32 v60, v63, 2, v57
	s_barrier
	ds_write_b32 v60, v26
	s_waitcnt lgkmcnt(0)
	s_barrier
	ds_read_b32 v62, v57 offset:136
	s_cmp_lt_i32 s22, 36
	v_mov_b32_e32 v60, 34
	s_cbranch_scc1 .LBB102_576
; %bb.574:
	v_add_u32_e32 v64, 0x8c, v57
	v_mov_b32_e32 v60, 34
	s_mov_b32 s0, 35
.LBB102_575:                            ; =>This Inner Loop Header: Depth=1
	ds_read_b32 v65, v64
	v_mov_b32_e32 v66, s0
	s_add_i32 s0, s0, 1
	v_add_u32_e32 v64, 4, v64
	s_cmp_lg_u32 s22, s0
	s_waitcnt lgkmcnt(0)
	v_cmp_lt_f32_e64 vcc, |v62|, |v65|
	s_nop 1
	v_cndmask_b32_e32 v62, v62, v65, vcc
	v_cndmask_b32_e32 v60, v60, v66, vcc
	s_cbranch_scc1 .LBB102_575
.LBB102_576:
	s_waitcnt lgkmcnt(0)
	v_cmp_eq_f32_e32 vcc, 0, v62
	s_and_saveexec_b64 s[0:1], vcc
	s_xor_b64 s[0:1], exec, s[0:1]
; %bb.577:
	v_cmp_ne_u32_e32 vcc, 0, v59
	s_nop 1
	v_cndmask_b32_e32 v59, 35, v59, vcc
; %bb.578:
	s_andn2_saveexec_b64 s[0:1], s[0:1]
	s_cbranch_execz .LBB102_580
; %bb.579:
	v_div_scale_f32 v64, s[2:3], v62, v62, 1.0
	v_rcp_f32_e32 v65, v64
	v_div_scale_f32 v66, vcc, 1.0, v62, 1.0
	v_fma_f32 v67, -v64, v65, 1.0
	v_fmac_f32_e32 v65, v67, v65
	v_mul_f32_e32 v67, v66, v65
	v_fma_f32 v68, -v64, v67, v66
	v_fmac_f32_e32 v67, v68, v65
	v_fma_f32 v64, -v64, v67, v66
	v_div_fmas_f32 v64, v64, v65, v67
	v_div_fixup_f32 v62, v64, v62, 1.0
.LBB102_580:
	s_or_b64 exec, exec, s[0:1]
	v_cmp_ne_u32_e32 vcc, v63, v60
	s_and_saveexec_b64 s[0:1], vcc
	s_xor_b64 s[0:1], exec, s[0:1]
	s_cbranch_execz .LBB102_586
; %bb.581:
	v_cmp_eq_u32_e32 vcc, 34, v63
	s_and_saveexec_b64 s[2:3], vcc
	s_cbranch_execz .LBB102_585
; %bb.582:
	v_cmp_ne_u32_e32 vcc, 34, v60
	s_xor_b64 s[12:13], s[20:21], -1
	s_and_b64 s[14:15], s[12:13], vcc
	s_and_saveexec_b64 s[12:13], s[14:15]
	s_cbranch_execz .LBB102_584
; %bb.583:
	v_ashrrev_i32_e32 v61, 31, v60
	v_lshl_add_u64 v[64:65], v[60:61], 2, v[4:5]
	global_load_dword v61, v[64:65], off
	global_load_dword v63, v[4:5], off offset:136
	s_waitcnt vmcnt(1)
	global_store_dword v[4:5], v61, off offset:136
	s_waitcnt vmcnt(1)
	global_store_dword v[64:65], v63, off
.LBB102_584:
	s_or_b64 exec, exec, s[12:13]
	v_mov_b32_e32 v61, v60
	v_mov_b32_e32 v63, v60
.LBB102_585:
	s_or_b64 exec, exec, s[2:3]
.LBB102_586:
	s_andn2_saveexec_b64 s[0:1], s[0:1]
	s_cbranch_execz .LBB102_588
; %bb.587:
	v_pk_mov_b32 v[64:65], v[26:27], v[18:19] op_sel:[1,0]
	ds_write2_b32 v57, v64, v65 offset0:35 offset1:36
	v_pk_mov_b32 v[64:65], v[18:19], v[10:11] op_sel:[1,0]
	ds_write2_b32 v57, v64, v65 offset0:37 offset1:38
	;; [unrolled: 2-line block ×7, first 2 shown]
	v_pk_mov_b32 v[64:65], v[12:13], v[8:9] op_sel:[1,0]
	v_mov_b32_e32 v63, 34
	ds_write2_b32 v57, v64, v65 offset0:49 offset1:50
	ds_write_b32 v57, v9 offset:204
.LBB102_588:
	s_or_b64 exec, exec, s[0:1]
	v_cmp_lt_i32_e32 vcc, 34, v63
	s_waitcnt lgkmcnt(0)
	s_barrier
	s_and_saveexec_b64 s[0:1], vcc
	s_cbranch_execz .LBB102_590
; %bb.589:
	ds_read_b32 v60, v57 offset:140
	ds_read2_b32 v[64:65], v57 offset0:36 offset1:37
	ds_read2_b32 v[66:67], v57 offset0:38 offset1:39
	;; [unrolled: 1-line block ×3, first 2 shown]
	v_mul_f32_e32 v26, v62, v26
	s_waitcnt lgkmcnt(3)
	v_fma_f32 v27, -v26, v60, v27
	s_waitcnt lgkmcnt(2)
	v_pk_fma_f32 v[18:19], v[26:27], v[64:65], v[18:19] op_sel_hi:[0,1,1] neg_lo:[1,0,0] neg_hi:[1,0,0]
	s_waitcnt lgkmcnt(1)
	v_pk_fma_f32 v[10:11], v[26:27], v[66:67], v[10:11] op_sel_hi:[0,1,1] neg_lo:[1,0,0] neg_hi:[1,0,0]
	;; [unrolled: 2-line block ×3, first 2 shown]
	ds_read2_b32 v[64:65], v57 offset0:42 offset1:43
	ds_read2_b32 v[66:67], v57 offset0:44 offset1:45
	;; [unrolled: 1-line block ×5, first 2 shown]
	s_waitcnt lgkmcnt(4)
	v_pk_fma_f32 v[20:21], v[26:27], v[64:65], v[20:21] op_sel_hi:[0,1,1] neg_lo:[1,0,0] neg_hi:[1,0,0]
	s_waitcnt lgkmcnt(3)
	v_pk_fma_f32 v[14:15], v[26:27], v[66:67], v[14:15] op_sel_hi:[0,1,1] neg_lo:[1,0,0] neg_hi:[1,0,0]
	;; [unrolled: 2-line block ×5, first 2 shown]
.LBB102_590:
	s_or_b64 exec, exec, s[0:1]
	v_lshl_add_u32 v60, v63, 2, v57
	s_barrier
	ds_write_b32 v60, v27
	s_waitcnt lgkmcnt(0)
	s_barrier
	ds_read_b32 v62, v57 offset:140
	s_cmp_lt_i32 s22, 37
	v_mov_b32_e32 v60, 35
	s_cbranch_scc1 .LBB102_593
; %bb.591:
	v_add_u32_e32 v64, 0x90, v57
	v_mov_b32_e32 v60, 35
	s_mov_b32 s0, 36
.LBB102_592:                            ; =>This Inner Loop Header: Depth=1
	ds_read_b32 v65, v64
	v_mov_b32_e32 v66, s0
	s_add_i32 s0, s0, 1
	v_add_u32_e32 v64, 4, v64
	s_cmp_lg_u32 s22, s0
	s_waitcnt lgkmcnt(0)
	v_cmp_lt_f32_e64 vcc, |v62|, |v65|
	s_nop 1
	v_cndmask_b32_e32 v62, v62, v65, vcc
	v_cndmask_b32_e32 v60, v60, v66, vcc
	s_cbranch_scc1 .LBB102_592
.LBB102_593:
	s_waitcnt lgkmcnt(0)
	v_cmp_eq_f32_e32 vcc, 0, v62
	s_and_saveexec_b64 s[0:1], vcc
	s_xor_b64 s[0:1], exec, s[0:1]
; %bb.594:
	v_cmp_ne_u32_e32 vcc, 0, v59
	s_nop 1
	v_cndmask_b32_e32 v59, 36, v59, vcc
; %bb.595:
	s_andn2_saveexec_b64 s[0:1], s[0:1]
	s_cbranch_execz .LBB102_597
; %bb.596:
	v_div_scale_f32 v64, s[2:3], v62, v62, 1.0
	v_rcp_f32_e32 v65, v64
	v_div_scale_f32 v66, vcc, 1.0, v62, 1.0
	v_fma_f32 v67, -v64, v65, 1.0
	v_fmac_f32_e32 v65, v67, v65
	v_mul_f32_e32 v67, v66, v65
	v_fma_f32 v68, -v64, v67, v66
	v_fmac_f32_e32 v67, v68, v65
	v_fma_f32 v64, -v64, v67, v66
	v_div_fmas_f32 v64, v64, v65, v67
	v_div_fixup_f32 v62, v64, v62, 1.0
.LBB102_597:
	s_or_b64 exec, exec, s[0:1]
	v_cmp_ne_u32_e32 vcc, v63, v60
	s_and_saveexec_b64 s[0:1], vcc
	s_xor_b64 s[0:1], exec, s[0:1]
	s_cbranch_execz .LBB102_603
; %bb.598:
	v_cmp_eq_u32_e32 vcc, 35, v63
	s_and_saveexec_b64 s[2:3], vcc
	s_cbranch_execz .LBB102_602
; %bb.599:
	v_cmp_ne_u32_e32 vcc, 35, v60
	s_xor_b64 s[12:13], s[20:21], -1
	s_and_b64 s[14:15], s[12:13], vcc
	s_and_saveexec_b64 s[12:13], s[14:15]
	s_cbranch_execz .LBB102_601
; %bb.600:
	v_ashrrev_i32_e32 v61, 31, v60
	v_lshl_add_u64 v[64:65], v[60:61], 2, v[4:5]
	global_load_dword v61, v[64:65], off
	global_load_dword v63, v[4:5], off offset:140
	s_waitcnt vmcnt(1)
	global_store_dword v[4:5], v61, off offset:140
	s_waitcnt vmcnt(1)
	global_store_dword v[64:65], v63, off
.LBB102_601:
	s_or_b64 exec, exec, s[12:13]
	v_mov_b32_e32 v61, v60
	v_mov_b32_e32 v63, v60
.LBB102_602:
	s_or_b64 exec, exec, s[2:3]
.LBB102_603:
	s_andn2_saveexec_b64 s[0:1], s[0:1]
	s_cbranch_execz .LBB102_605
; %bb.604:
	v_mov_b32_e32 v63, 35
	ds_write2_b32 v57, v18, v19 offset0:36 offset1:37
	ds_write2_b32 v57, v10, v11 offset0:38 offset1:39
	;; [unrolled: 1-line block ×8, first 2 shown]
.LBB102_605:
	s_or_b64 exec, exec, s[0:1]
	v_cmp_lt_i32_e32 vcc, 35, v63
	s_waitcnt lgkmcnt(0)
	s_barrier
	s_and_saveexec_b64 s[0:1], vcc
	s_cbranch_execz .LBB102_607
; %bb.606:
	ds_read2_b32 v[64:65], v57 offset0:36 offset1:37
	ds_read2_b32 v[66:67], v57 offset0:38 offset1:39
	;; [unrolled: 1-line block ×3, first 2 shown]
	v_mul_f32_e32 v60, v62, v27
	ds_read2_b32 v[70:71], v57 offset0:42 offset1:43
	s_waitcnt lgkmcnt(3)
	v_pk_fma_f32 v[18:19], v[60:61], v[64:65], v[18:19] op_sel_hi:[0,1,1] neg_lo:[1,0,0] neg_hi:[1,0,0]
	s_waitcnt lgkmcnt(2)
	v_pk_fma_f32 v[10:11], v[60:61], v[66:67], v[10:11] op_sel_hi:[0,1,1] neg_lo:[1,0,0] neg_hi:[1,0,0]
	;; [unrolled: 2-line block ×3, first 2 shown]
	ds_read2_b32 v[64:65], v57 offset0:44 offset1:45
	ds_read2_b32 v[66:67], v57 offset0:46 offset1:47
	ds_read2_b32 v[68:69], v57 offset0:48 offset1:49
	ds_read2_b32 v[72:73], v57 offset0:50 offset1:51
	s_waitcnt lgkmcnt(4)
	v_pk_fma_f32 v[20:21], v[60:61], v[70:71], v[20:21] op_sel_hi:[0,1,1] neg_lo:[1,0,0] neg_hi:[1,0,0]
	s_waitcnt lgkmcnt(3)
	v_pk_fma_f32 v[14:15], v[60:61], v[64:65], v[14:15] op_sel_hi:[0,1,1] neg_lo:[1,0,0] neg_hi:[1,0,0]
	s_waitcnt lgkmcnt(2)
	v_pk_fma_f32 v[0:1], v[60:61], v[66:67], v[0:1] op_sel_hi:[0,1,1] neg_lo:[1,0,0] neg_hi:[1,0,0]
	s_waitcnt lgkmcnt(1)
	v_pk_fma_f32 v[12:13], v[60:61], v[68:69], v[12:13] op_sel_hi:[0,1,1] neg_lo:[1,0,0] neg_hi:[1,0,0]
	s_waitcnt lgkmcnt(0)
	v_pk_fma_f32 v[8:9], v[60:61], v[72:73], v[8:9] op_sel_hi:[0,1,1] neg_lo:[1,0,0] neg_hi:[1,0,0]
	v_mov_b32_e32 v27, v60
.LBB102_607:
	s_or_b64 exec, exec, s[0:1]
	v_lshl_add_u32 v60, v63, 2, v57
	s_barrier
	ds_write_b32 v60, v18
	s_waitcnt lgkmcnt(0)
	s_barrier
	ds_read_b32 v62, v57 offset:144
	s_cmp_lt_i32 s22, 38
	v_mov_b32_e32 v60, 36
	s_cbranch_scc1 .LBB102_610
; %bb.608:
	v_add_u32_e32 v64, 0x94, v57
	v_mov_b32_e32 v60, 36
	s_mov_b32 s0, 37
.LBB102_609:                            ; =>This Inner Loop Header: Depth=1
	ds_read_b32 v65, v64
	v_mov_b32_e32 v66, s0
	s_add_i32 s0, s0, 1
	v_add_u32_e32 v64, 4, v64
	s_cmp_lg_u32 s22, s0
	s_waitcnt lgkmcnt(0)
	v_cmp_lt_f32_e64 vcc, |v62|, |v65|
	s_nop 1
	v_cndmask_b32_e32 v62, v62, v65, vcc
	v_cndmask_b32_e32 v60, v60, v66, vcc
	s_cbranch_scc1 .LBB102_609
.LBB102_610:
	s_waitcnt lgkmcnt(0)
	v_cmp_eq_f32_e32 vcc, 0, v62
	s_and_saveexec_b64 s[0:1], vcc
	s_xor_b64 s[0:1], exec, s[0:1]
; %bb.611:
	v_cmp_ne_u32_e32 vcc, 0, v59
	s_nop 1
	v_cndmask_b32_e32 v59, 37, v59, vcc
; %bb.612:
	s_andn2_saveexec_b64 s[0:1], s[0:1]
	s_cbranch_execz .LBB102_614
; %bb.613:
	v_div_scale_f32 v64, s[2:3], v62, v62, 1.0
	v_rcp_f32_e32 v65, v64
	v_div_scale_f32 v66, vcc, 1.0, v62, 1.0
	v_fma_f32 v67, -v64, v65, 1.0
	v_fmac_f32_e32 v65, v67, v65
	v_mul_f32_e32 v67, v66, v65
	v_fma_f32 v68, -v64, v67, v66
	v_fmac_f32_e32 v67, v68, v65
	v_fma_f32 v64, -v64, v67, v66
	v_div_fmas_f32 v64, v64, v65, v67
	v_div_fixup_f32 v62, v64, v62, 1.0
.LBB102_614:
	s_or_b64 exec, exec, s[0:1]
	v_cmp_ne_u32_e32 vcc, v63, v60
	s_and_saveexec_b64 s[0:1], vcc
	s_xor_b64 s[0:1], exec, s[0:1]
	s_cbranch_execz .LBB102_620
; %bb.615:
	v_cmp_eq_u32_e32 vcc, 36, v63
	s_and_saveexec_b64 s[2:3], vcc
	s_cbranch_execz .LBB102_619
; %bb.616:
	v_cmp_ne_u32_e32 vcc, 36, v60
	s_xor_b64 s[12:13], s[20:21], -1
	s_and_b64 s[14:15], s[12:13], vcc
	s_and_saveexec_b64 s[12:13], s[14:15]
	s_cbranch_execz .LBB102_618
; %bb.617:
	v_ashrrev_i32_e32 v61, 31, v60
	v_lshl_add_u64 v[64:65], v[60:61], 2, v[4:5]
	global_load_dword v61, v[64:65], off
	global_load_dword v63, v[4:5], off offset:144
	s_waitcnt vmcnt(1)
	global_store_dword v[4:5], v61, off offset:144
	s_waitcnt vmcnt(1)
	global_store_dword v[64:65], v63, off
.LBB102_618:
	s_or_b64 exec, exec, s[12:13]
	v_mov_b32_e32 v61, v60
	v_mov_b32_e32 v63, v60
.LBB102_619:
	s_or_b64 exec, exec, s[2:3]
.LBB102_620:
	s_andn2_saveexec_b64 s[0:1], s[0:1]
	s_cbranch_execz .LBB102_622
; %bb.621:
	v_pk_mov_b32 v[64:65], v[18:19], v[10:11] op_sel:[1,0]
	ds_write2_b32 v57, v64, v65 offset0:37 offset1:38
	v_pk_mov_b32 v[64:65], v[10:11], v[28:29] op_sel:[1,0]
	ds_write2_b32 v57, v64, v65 offset0:39 offset1:40
	;; [unrolled: 2-line block ×6, first 2 shown]
	v_pk_mov_b32 v[64:65], v[12:13], v[8:9] op_sel:[1,0]
	v_mov_b32_e32 v63, 36
	ds_write2_b32 v57, v64, v65 offset0:49 offset1:50
	ds_write_b32 v57, v9 offset:204
.LBB102_622:
	s_or_b64 exec, exec, s[0:1]
	v_cmp_lt_i32_e32 vcc, 36, v63
	s_waitcnt lgkmcnt(0)
	s_barrier
	s_and_saveexec_b64 s[0:1], vcc
	s_cbranch_execz .LBB102_624
; %bb.623:
	ds_read_b32 v60, v57 offset:148
	ds_read2_b32 v[64:65], v57 offset0:38 offset1:39
	ds_read2_b32 v[66:67], v57 offset0:40 offset1:41
	v_mul_f32_e32 v18, v62, v18
	ds_read2_b32 v[68:69], v57 offset0:42 offset1:43
	s_waitcnt lgkmcnt(3)
	v_fma_f32 v19, -v18, v60, v19
	s_waitcnt lgkmcnt(2)
	v_pk_fma_f32 v[10:11], v[18:19], v[64:65], v[10:11] op_sel_hi:[0,1,1] neg_lo:[1,0,0] neg_hi:[1,0,0]
	s_waitcnt lgkmcnt(1)
	v_pk_fma_f32 v[28:29], v[18:19], v[66:67], v[28:29] op_sel_hi:[0,1,1] neg_lo:[1,0,0] neg_hi:[1,0,0]
	ds_read2_b32 v[64:65], v57 offset0:44 offset1:45
	ds_read2_b32 v[66:67], v57 offset0:46 offset1:47
	;; [unrolled: 1-line block ×4, first 2 shown]
	s_waitcnt lgkmcnt(4)
	v_pk_fma_f32 v[20:21], v[18:19], v[68:69], v[20:21] op_sel_hi:[0,1,1] neg_lo:[1,0,0] neg_hi:[1,0,0]
	s_waitcnt lgkmcnt(3)
	v_pk_fma_f32 v[14:15], v[18:19], v[64:65], v[14:15] op_sel_hi:[0,1,1] neg_lo:[1,0,0] neg_hi:[1,0,0]
	;; [unrolled: 2-line block ×5, first 2 shown]
.LBB102_624:
	s_or_b64 exec, exec, s[0:1]
	v_lshl_add_u32 v60, v63, 2, v57
	s_barrier
	ds_write_b32 v60, v19
	s_waitcnt lgkmcnt(0)
	s_barrier
	ds_read_b32 v62, v57 offset:148
	s_cmp_lt_i32 s22, 39
	v_mov_b32_e32 v60, 37
	s_cbranch_scc1 .LBB102_627
; %bb.625:
	v_add_u32_e32 v64, 0x98, v57
	v_mov_b32_e32 v60, 37
	s_mov_b32 s0, 38
.LBB102_626:                            ; =>This Inner Loop Header: Depth=1
	ds_read_b32 v65, v64
	v_mov_b32_e32 v66, s0
	s_add_i32 s0, s0, 1
	v_add_u32_e32 v64, 4, v64
	s_cmp_lg_u32 s22, s0
	s_waitcnt lgkmcnt(0)
	v_cmp_lt_f32_e64 vcc, |v62|, |v65|
	s_nop 1
	v_cndmask_b32_e32 v62, v62, v65, vcc
	v_cndmask_b32_e32 v60, v60, v66, vcc
	s_cbranch_scc1 .LBB102_626
.LBB102_627:
	s_waitcnt lgkmcnt(0)
	v_cmp_eq_f32_e32 vcc, 0, v62
	s_and_saveexec_b64 s[0:1], vcc
	s_xor_b64 s[0:1], exec, s[0:1]
; %bb.628:
	v_cmp_ne_u32_e32 vcc, 0, v59
	s_nop 1
	v_cndmask_b32_e32 v59, 38, v59, vcc
; %bb.629:
	s_andn2_saveexec_b64 s[0:1], s[0:1]
	s_cbranch_execz .LBB102_631
; %bb.630:
	v_div_scale_f32 v64, s[2:3], v62, v62, 1.0
	v_rcp_f32_e32 v65, v64
	v_div_scale_f32 v66, vcc, 1.0, v62, 1.0
	v_fma_f32 v67, -v64, v65, 1.0
	v_fmac_f32_e32 v65, v67, v65
	v_mul_f32_e32 v67, v66, v65
	v_fma_f32 v68, -v64, v67, v66
	v_fmac_f32_e32 v67, v68, v65
	v_fma_f32 v64, -v64, v67, v66
	v_div_fmas_f32 v64, v64, v65, v67
	v_div_fixup_f32 v62, v64, v62, 1.0
.LBB102_631:
	s_or_b64 exec, exec, s[0:1]
	v_cmp_ne_u32_e32 vcc, v63, v60
	s_and_saveexec_b64 s[0:1], vcc
	s_xor_b64 s[0:1], exec, s[0:1]
	s_cbranch_execz .LBB102_637
; %bb.632:
	v_cmp_eq_u32_e32 vcc, 37, v63
	s_and_saveexec_b64 s[2:3], vcc
	s_cbranch_execz .LBB102_636
; %bb.633:
	v_cmp_ne_u32_e32 vcc, 37, v60
	s_xor_b64 s[12:13], s[20:21], -1
	s_and_b64 s[14:15], s[12:13], vcc
	s_and_saveexec_b64 s[12:13], s[14:15]
	s_cbranch_execz .LBB102_635
; %bb.634:
	v_ashrrev_i32_e32 v61, 31, v60
	v_lshl_add_u64 v[64:65], v[60:61], 2, v[4:5]
	global_load_dword v61, v[64:65], off
	global_load_dword v63, v[4:5], off offset:148
	s_waitcnt vmcnt(1)
	global_store_dword v[4:5], v61, off offset:148
	s_waitcnt vmcnt(1)
	global_store_dword v[64:65], v63, off
.LBB102_635:
	s_or_b64 exec, exec, s[12:13]
	v_mov_b32_e32 v61, v60
	v_mov_b32_e32 v63, v60
.LBB102_636:
	s_or_b64 exec, exec, s[2:3]
.LBB102_637:
	s_andn2_saveexec_b64 s[0:1], s[0:1]
	s_cbranch_execz .LBB102_639
; %bb.638:
	v_mov_b32_e32 v63, 37
	ds_write2_b32 v57, v10, v11 offset0:38 offset1:39
	ds_write2_b32 v57, v28, v29 offset0:40 offset1:41
	;; [unrolled: 1-line block ×7, first 2 shown]
.LBB102_639:
	s_or_b64 exec, exec, s[0:1]
	v_cmp_lt_i32_e32 vcc, 37, v63
	s_waitcnt lgkmcnt(0)
	s_barrier
	s_and_saveexec_b64 s[0:1], vcc
	s_cbranch_execz .LBB102_641
; %bb.640:
	ds_read2_b32 v[64:65], v57 offset0:38 offset1:39
	ds_read2_b32 v[66:67], v57 offset0:40 offset1:41
	v_mul_f32_e32 v60, v62, v19
	ds_read2_b32 v[68:69], v57 offset0:42 offset1:43
	ds_read2_b32 v[70:71], v57 offset0:44 offset1:45
	v_mov_b32_e32 v19, v60
	s_waitcnt lgkmcnt(3)
	v_pk_fma_f32 v[10:11], v[60:61], v[64:65], v[10:11] op_sel_hi:[0,1,1] neg_lo:[1,0,0] neg_hi:[1,0,0]
	s_waitcnt lgkmcnt(2)
	v_pk_fma_f32 v[28:29], v[60:61], v[66:67], v[28:29] op_sel_hi:[0,1,1] neg_lo:[1,0,0] neg_hi:[1,0,0]
	ds_read2_b32 v[64:65], v57 offset0:46 offset1:47
	ds_read2_b32 v[66:67], v57 offset0:48 offset1:49
	;; [unrolled: 1-line block ×3, first 2 shown]
	s_waitcnt lgkmcnt(4)
	v_pk_fma_f32 v[20:21], v[60:61], v[68:69], v[20:21] op_sel_hi:[0,1,1] neg_lo:[1,0,0] neg_hi:[1,0,0]
	s_waitcnt lgkmcnt(3)
	v_pk_fma_f32 v[14:15], v[60:61], v[70:71], v[14:15] op_sel_hi:[0,1,1] neg_lo:[1,0,0] neg_hi:[1,0,0]
	;; [unrolled: 2-line block ×5, first 2 shown]
.LBB102_641:
	s_or_b64 exec, exec, s[0:1]
	v_lshl_add_u32 v60, v63, 2, v57
	s_barrier
	ds_write_b32 v60, v10
	s_waitcnt lgkmcnt(0)
	s_barrier
	ds_read_b32 v62, v57 offset:152
	s_cmp_lt_i32 s22, 40
	v_mov_b32_e32 v60, 38
	s_cbranch_scc1 .LBB102_644
; %bb.642:
	v_add_u32_e32 v64, 0x9c, v57
	v_mov_b32_e32 v60, 38
	s_mov_b32 s0, 39
.LBB102_643:                            ; =>This Inner Loop Header: Depth=1
	ds_read_b32 v65, v64
	v_mov_b32_e32 v66, s0
	s_add_i32 s0, s0, 1
	v_add_u32_e32 v64, 4, v64
	s_cmp_lg_u32 s22, s0
	s_waitcnt lgkmcnt(0)
	v_cmp_lt_f32_e64 vcc, |v62|, |v65|
	s_nop 1
	v_cndmask_b32_e32 v62, v62, v65, vcc
	v_cndmask_b32_e32 v60, v60, v66, vcc
	s_cbranch_scc1 .LBB102_643
.LBB102_644:
	s_waitcnt lgkmcnt(0)
	v_cmp_eq_f32_e32 vcc, 0, v62
	s_and_saveexec_b64 s[0:1], vcc
	s_xor_b64 s[0:1], exec, s[0:1]
; %bb.645:
	v_cmp_ne_u32_e32 vcc, 0, v59
	s_nop 1
	v_cndmask_b32_e32 v59, 39, v59, vcc
; %bb.646:
	s_andn2_saveexec_b64 s[0:1], s[0:1]
	s_cbranch_execz .LBB102_648
; %bb.647:
	v_div_scale_f32 v64, s[2:3], v62, v62, 1.0
	v_rcp_f32_e32 v65, v64
	v_div_scale_f32 v66, vcc, 1.0, v62, 1.0
	v_fma_f32 v67, -v64, v65, 1.0
	v_fmac_f32_e32 v65, v67, v65
	v_mul_f32_e32 v67, v66, v65
	v_fma_f32 v68, -v64, v67, v66
	v_fmac_f32_e32 v67, v68, v65
	v_fma_f32 v64, -v64, v67, v66
	v_div_fmas_f32 v64, v64, v65, v67
	v_div_fixup_f32 v62, v64, v62, 1.0
.LBB102_648:
	s_or_b64 exec, exec, s[0:1]
	v_cmp_ne_u32_e32 vcc, v63, v60
	s_and_saveexec_b64 s[0:1], vcc
	s_xor_b64 s[0:1], exec, s[0:1]
	s_cbranch_execz .LBB102_654
; %bb.649:
	v_cmp_eq_u32_e32 vcc, 38, v63
	s_and_saveexec_b64 s[2:3], vcc
	s_cbranch_execz .LBB102_653
; %bb.650:
	v_cmp_ne_u32_e32 vcc, 38, v60
	s_xor_b64 s[12:13], s[20:21], -1
	s_and_b64 s[14:15], s[12:13], vcc
	s_and_saveexec_b64 s[12:13], s[14:15]
	s_cbranch_execz .LBB102_652
; %bb.651:
	v_ashrrev_i32_e32 v61, 31, v60
	v_lshl_add_u64 v[64:65], v[60:61], 2, v[4:5]
	global_load_dword v61, v[64:65], off
	global_load_dword v63, v[4:5], off offset:152
	s_waitcnt vmcnt(1)
	global_store_dword v[4:5], v61, off offset:152
	s_waitcnt vmcnt(1)
	global_store_dword v[64:65], v63, off
.LBB102_652:
	s_or_b64 exec, exec, s[12:13]
	v_mov_b32_e32 v61, v60
	v_mov_b32_e32 v63, v60
.LBB102_653:
	s_or_b64 exec, exec, s[2:3]
.LBB102_654:
	s_andn2_saveexec_b64 s[0:1], s[0:1]
	s_cbranch_execz .LBB102_656
; %bb.655:
	v_pk_mov_b32 v[64:65], v[10:11], v[28:29] op_sel:[1,0]
	ds_write2_b32 v57, v64, v65 offset0:39 offset1:40
	v_pk_mov_b32 v[64:65], v[28:29], v[20:21] op_sel:[1,0]
	ds_write2_b32 v57, v64, v65 offset0:41 offset1:42
	;; [unrolled: 2-line block ×5, first 2 shown]
	v_pk_mov_b32 v[64:65], v[12:13], v[8:9] op_sel:[1,0]
	v_mov_b32_e32 v63, 38
	ds_write2_b32 v57, v64, v65 offset0:49 offset1:50
	ds_write_b32 v57, v9 offset:204
.LBB102_656:
	s_or_b64 exec, exec, s[0:1]
	v_cmp_lt_i32_e32 vcc, 38, v63
	s_waitcnt lgkmcnt(0)
	s_barrier
	s_and_saveexec_b64 s[0:1], vcc
	s_cbranch_execz .LBB102_658
; %bb.657:
	ds_read_b32 v60, v57 offset:156
	ds_read2_b32 v[64:65], v57 offset0:40 offset1:41
	v_mul_f32_e32 v10, v62, v10
	ds_read2_b32 v[66:67], v57 offset0:42 offset1:43
	ds_read2_b32 v[68:69], v57 offset0:44 offset1:45
	s_waitcnt lgkmcnt(3)
	v_fma_f32 v11, -v10, v60, v11
	s_waitcnt lgkmcnt(2)
	v_pk_fma_f32 v[28:29], v[10:11], v[64:65], v[28:29] op_sel_hi:[0,1,1] neg_lo:[1,0,0] neg_hi:[1,0,0]
	ds_read2_b32 v[64:65], v57 offset0:46 offset1:47
	ds_read2_b32 v[70:71], v57 offset0:48 offset1:49
	;; [unrolled: 1-line block ×3, first 2 shown]
	s_waitcnt lgkmcnt(4)
	v_pk_fma_f32 v[20:21], v[10:11], v[66:67], v[20:21] op_sel_hi:[0,1,1] neg_lo:[1,0,0] neg_hi:[1,0,0]
	s_waitcnt lgkmcnt(3)
	v_pk_fma_f32 v[14:15], v[10:11], v[68:69], v[14:15] op_sel_hi:[0,1,1] neg_lo:[1,0,0] neg_hi:[1,0,0]
	;; [unrolled: 2-line block ×5, first 2 shown]
.LBB102_658:
	s_or_b64 exec, exec, s[0:1]
	v_lshl_add_u32 v60, v63, 2, v57
	s_barrier
	ds_write_b32 v60, v11
	s_waitcnt lgkmcnt(0)
	s_barrier
	ds_read_b32 v62, v57 offset:156
	s_cmp_lt_i32 s22, 41
	v_mov_b32_e32 v60, 39
	s_cbranch_scc1 .LBB102_661
; %bb.659:
	v_add_u32_e32 v64, 0xa0, v57
	v_mov_b32_e32 v60, 39
	s_mov_b32 s0, 40
.LBB102_660:                            ; =>This Inner Loop Header: Depth=1
	ds_read_b32 v65, v64
	v_mov_b32_e32 v66, s0
	s_add_i32 s0, s0, 1
	v_add_u32_e32 v64, 4, v64
	s_cmp_lg_u32 s22, s0
	s_waitcnt lgkmcnt(0)
	v_cmp_lt_f32_e64 vcc, |v62|, |v65|
	s_nop 1
	v_cndmask_b32_e32 v62, v62, v65, vcc
	v_cndmask_b32_e32 v60, v60, v66, vcc
	s_cbranch_scc1 .LBB102_660
.LBB102_661:
	s_waitcnt lgkmcnt(0)
	v_cmp_eq_f32_e32 vcc, 0, v62
	s_and_saveexec_b64 s[0:1], vcc
	s_xor_b64 s[0:1], exec, s[0:1]
; %bb.662:
	v_cmp_ne_u32_e32 vcc, 0, v59
	s_nop 1
	v_cndmask_b32_e32 v59, 40, v59, vcc
; %bb.663:
	s_andn2_saveexec_b64 s[0:1], s[0:1]
	s_cbranch_execz .LBB102_665
; %bb.664:
	v_div_scale_f32 v64, s[2:3], v62, v62, 1.0
	v_rcp_f32_e32 v65, v64
	v_div_scale_f32 v66, vcc, 1.0, v62, 1.0
	v_fma_f32 v67, -v64, v65, 1.0
	v_fmac_f32_e32 v65, v67, v65
	v_mul_f32_e32 v67, v66, v65
	v_fma_f32 v68, -v64, v67, v66
	v_fmac_f32_e32 v67, v68, v65
	v_fma_f32 v64, -v64, v67, v66
	v_div_fmas_f32 v64, v64, v65, v67
	v_div_fixup_f32 v62, v64, v62, 1.0
.LBB102_665:
	s_or_b64 exec, exec, s[0:1]
	v_cmp_ne_u32_e32 vcc, v63, v60
	s_and_saveexec_b64 s[0:1], vcc
	s_xor_b64 s[0:1], exec, s[0:1]
	s_cbranch_execz .LBB102_671
; %bb.666:
	v_cmp_eq_u32_e32 vcc, 39, v63
	s_and_saveexec_b64 s[2:3], vcc
	s_cbranch_execz .LBB102_670
; %bb.667:
	v_cmp_ne_u32_e32 vcc, 39, v60
	s_xor_b64 s[12:13], s[20:21], -1
	s_and_b64 s[14:15], s[12:13], vcc
	s_and_saveexec_b64 s[12:13], s[14:15]
	s_cbranch_execz .LBB102_669
; %bb.668:
	v_ashrrev_i32_e32 v61, 31, v60
	v_lshl_add_u64 v[64:65], v[60:61], 2, v[4:5]
	global_load_dword v61, v[64:65], off
	global_load_dword v63, v[4:5], off offset:156
	s_waitcnt vmcnt(1)
	global_store_dword v[4:5], v61, off offset:156
	s_waitcnt vmcnt(1)
	global_store_dword v[64:65], v63, off
.LBB102_669:
	s_or_b64 exec, exec, s[12:13]
	v_mov_b32_e32 v61, v60
	v_mov_b32_e32 v63, v60
.LBB102_670:
	s_or_b64 exec, exec, s[2:3]
.LBB102_671:
	s_andn2_saveexec_b64 s[0:1], s[0:1]
	s_cbranch_execz .LBB102_673
; %bb.672:
	v_mov_b32_e32 v63, 39
	ds_write2_b32 v57, v28, v29 offset0:40 offset1:41
	ds_write2_b32 v57, v20, v21 offset0:42 offset1:43
	;; [unrolled: 1-line block ×6, first 2 shown]
.LBB102_673:
	s_or_b64 exec, exec, s[0:1]
	v_cmp_lt_i32_e32 vcc, 39, v63
	s_waitcnt lgkmcnt(0)
	s_barrier
	s_and_saveexec_b64 s[0:1], vcc
	s_cbranch_execz .LBB102_675
; %bb.674:
	ds_read2_b32 v[64:65], v57 offset0:40 offset1:41
	v_mul_f32_e32 v60, v62, v11
	ds_read2_b32 v[66:67], v57 offset0:42 offset1:43
	ds_read2_b32 v[68:69], v57 offset0:44 offset1:45
	;; [unrolled: 1-line block ×3, first 2 shown]
	v_mov_b32_e32 v11, v60
	s_waitcnt lgkmcnt(2)
	v_pk_fma_f32 v[20:21], v[60:61], v[66:67], v[20:21] op_sel_hi:[0,1,1] neg_lo:[1,0,0] neg_hi:[1,0,0]
	v_pk_fma_f32 v[28:29], v[60:61], v[64:65], v[28:29] op_sel_hi:[0,1,1] neg_lo:[1,0,0] neg_hi:[1,0,0]
	ds_read2_b32 v[64:65], v57 offset0:48 offset1:49
	ds_read2_b32 v[72:73], v57 offset0:50 offset1:51
	s_waitcnt lgkmcnt(3)
	v_pk_fma_f32 v[14:15], v[60:61], v[68:69], v[14:15] op_sel_hi:[0,1,1] neg_lo:[1,0,0] neg_hi:[1,0,0]
	s_waitcnt lgkmcnt(2)
	v_pk_fma_f32 v[0:1], v[60:61], v[70:71], v[0:1] op_sel_hi:[0,1,1] neg_lo:[1,0,0] neg_hi:[1,0,0]
	;; [unrolled: 2-line block ×4, first 2 shown]
.LBB102_675:
	s_or_b64 exec, exec, s[0:1]
	v_lshl_add_u32 v60, v63, 2, v57
	s_barrier
	ds_write_b32 v60, v28
	s_waitcnt lgkmcnt(0)
	s_barrier
	ds_read_b32 v62, v57 offset:160
	s_cmp_lt_i32 s22, 42
	v_mov_b32_e32 v60, 40
	s_cbranch_scc1 .LBB102_678
; %bb.676:
	v_add_u32_e32 v64, 0xa4, v57
	v_mov_b32_e32 v60, 40
	s_mov_b32 s0, 41
.LBB102_677:                            ; =>This Inner Loop Header: Depth=1
	ds_read_b32 v65, v64
	v_mov_b32_e32 v66, s0
	s_add_i32 s0, s0, 1
	v_add_u32_e32 v64, 4, v64
	s_cmp_lg_u32 s22, s0
	s_waitcnt lgkmcnt(0)
	v_cmp_lt_f32_e64 vcc, |v62|, |v65|
	s_nop 1
	v_cndmask_b32_e32 v62, v62, v65, vcc
	v_cndmask_b32_e32 v60, v60, v66, vcc
	s_cbranch_scc1 .LBB102_677
.LBB102_678:
	s_waitcnt lgkmcnt(0)
	v_cmp_eq_f32_e32 vcc, 0, v62
	s_and_saveexec_b64 s[0:1], vcc
	s_xor_b64 s[0:1], exec, s[0:1]
; %bb.679:
	v_cmp_ne_u32_e32 vcc, 0, v59
	s_nop 1
	v_cndmask_b32_e32 v59, 41, v59, vcc
; %bb.680:
	s_andn2_saveexec_b64 s[0:1], s[0:1]
	s_cbranch_execz .LBB102_682
; %bb.681:
	v_div_scale_f32 v64, s[2:3], v62, v62, 1.0
	v_rcp_f32_e32 v65, v64
	v_div_scale_f32 v66, vcc, 1.0, v62, 1.0
	v_fma_f32 v67, -v64, v65, 1.0
	v_fmac_f32_e32 v65, v67, v65
	v_mul_f32_e32 v67, v66, v65
	v_fma_f32 v68, -v64, v67, v66
	v_fmac_f32_e32 v67, v68, v65
	v_fma_f32 v64, -v64, v67, v66
	v_div_fmas_f32 v64, v64, v65, v67
	v_div_fixup_f32 v62, v64, v62, 1.0
.LBB102_682:
	s_or_b64 exec, exec, s[0:1]
	v_cmp_ne_u32_e32 vcc, v63, v60
	s_and_saveexec_b64 s[0:1], vcc
	s_xor_b64 s[0:1], exec, s[0:1]
	s_cbranch_execz .LBB102_688
; %bb.683:
	v_cmp_eq_u32_e32 vcc, 40, v63
	s_and_saveexec_b64 s[2:3], vcc
	s_cbranch_execz .LBB102_687
; %bb.684:
	v_cmp_ne_u32_e32 vcc, 40, v60
	s_xor_b64 s[12:13], s[20:21], -1
	s_and_b64 s[14:15], s[12:13], vcc
	s_and_saveexec_b64 s[12:13], s[14:15]
	s_cbranch_execz .LBB102_686
; %bb.685:
	v_ashrrev_i32_e32 v61, 31, v60
	v_lshl_add_u64 v[64:65], v[60:61], 2, v[4:5]
	global_load_dword v61, v[64:65], off
	global_load_dword v63, v[4:5], off offset:160
	s_waitcnt vmcnt(1)
	global_store_dword v[4:5], v61, off offset:160
	s_waitcnt vmcnt(1)
	global_store_dword v[64:65], v63, off
.LBB102_686:
	s_or_b64 exec, exec, s[12:13]
	v_mov_b32_e32 v61, v60
	v_mov_b32_e32 v63, v60
.LBB102_687:
	s_or_b64 exec, exec, s[2:3]
.LBB102_688:
	s_andn2_saveexec_b64 s[0:1], s[0:1]
	s_cbranch_execz .LBB102_690
; %bb.689:
	v_pk_mov_b32 v[64:65], v[28:29], v[20:21] op_sel:[1,0]
	ds_write2_b32 v57, v64, v65 offset0:41 offset1:42
	v_pk_mov_b32 v[64:65], v[20:21], v[14:15] op_sel:[1,0]
	ds_write2_b32 v57, v64, v65 offset0:43 offset1:44
	;; [unrolled: 2-line block ×4, first 2 shown]
	v_pk_mov_b32 v[64:65], v[12:13], v[8:9] op_sel:[1,0]
	v_mov_b32_e32 v63, 40
	ds_write2_b32 v57, v64, v65 offset0:49 offset1:50
	ds_write_b32 v57, v9 offset:204
.LBB102_690:
	s_or_b64 exec, exec, s[0:1]
	v_cmp_lt_i32_e32 vcc, 40, v63
	s_waitcnt lgkmcnt(0)
	s_barrier
	s_and_saveexec_b64 s[0:1], vcc
	s_cbranch_execz .LBB102_692
; %bb.691:
	ds_read_b32 v60, v57 offset:164
	ds_read2_b32 v[64:65], v57 offset0:42 offset1:43
	ds_read2_b32 v[66:67], v57 offset0:44 offset1:45
	;; [unrolled: 1-line block ×5, first 2 shown]
	v_mul_f32_e32 v28, v62, v28
	s_waitcnt lgkmcnt(5)
	v_fma_f32 v29, -v28, v60, v29
	s_waitcnt lgkmcnt(4)
	v_pk_fma_f32 v[20:21], v[28:29], v[64:65], v[20:21] op_sel_hi:[0,1,1] neg_lo:[1,0,0] neg_hi:[1,0,0]
	s_waitcnt lgkmcnt(3)
	v_pk_fma_f32 v[14:15], v[28:29], v[66:67], v[14:15] op_sel_hi:[0,1,1] neg_lo:[1,0,0] neg_hi:[1,0,0]
	;; [unrolled: 2-line block ×5, first 2 shown]
.LBB102_692:
	s_or_b64 exec, exec, s[0:1]
	v_lshl_add_u32 v60, v63, 2, v57
	s_barrier
	ds_write_b32 v60, v29
	s_waitcnt lgkmcnt(0)
	s_barrier
	ds_read_b32 v62, v57 offset:164
	s_cmp_lt_i32 s22, 43
	v_mov_b32_e32 v60, 41
	s_cbranch_scc1 .LBB102_695
; %bb.693:
	v_add_u32_e32 v64, 0xa8, v57
	v_mov_b32_e32 v60, 41
	s_mov_b32 s0, 42
.LBB102_694:                            ; =>This Inner Loop Header: Depth=1
	ds_read_b32 v65, v64
	v_mov_b32_e32 v66, s0
	s_add_i32 s0, s0, 1
	v_add_u32_e32 v64, 4, v64
	s_cmp_lg_u32 s22, s0
	s_waitcnt lgkmcnt(0)
	v_cmp_lt_f32_e64 vcc, |v62|, |v65|
	s_nop 1
	v_cndmask_b32_e32 v62, v62, v65, vcc
	v_cndmask_b32_e32 v60, v60, v66, vcc
	s_cbranch_scc1 .LBB102_694
.LBB102_695:
	s_waitcnt lgkmcnt(0)
	v_cmp_eq_f32_e32 vcc, 0, v62
	s_and_saveexec_b64 s[0:1], vcc
	s_xor_b64 s[0:1], exec, s[0:1]
; %bb.696:
	v_cmp_ne_u32_e32 vcc, 0, v59
	s_nop 1
	v_cndmask_b32_e32 v59, 42, v59, vcc
; %bb.697:
	s_andn2_saveexec_b64 s[0:1], s[0:1]
	s_cbranch_execz .LBB102_699
; %bb.698:
	v_div_scale_f32 v64, s[2:3], v62, v62, 1.0
	v_rcp_f32_e32 v65, v64
	v_div_scale_f32 v66, vcc, 1.0, v62, 1.0
	v_fma_f32 v67, -v64, v65, 1.0
	v_fmac_f32_e32 v65, v67, v65
	v_mul_f32_e32 v67, v66, v65
	v_fma_f32 v68, -v64, v67, v66
	v_fmac_f32_e32 v67, v68, v65
	v_fma_f32 v64, -v64, v67, v66
	v_div_fmas_f32 v64, v64, v65, v67
	v_div_fixup_f32 v62, v64, v62, 1.0
.LBB102_699:
	s_or_b64 exec, exec, s[0:1]
	v_cmp_ne_u32_e32 vcc, v63, v60
	s_and_saveexec_b64 s[0:1], vcc
	s_xor_b64 s[0:1], exec, s[0:1]
	s_cbranch_execz .LBB102_705
; %bb.700:
	v_cmp_eq_u32_e32 vcc, 41, v63
	s_and_saveexec_b64 s[2:3], vcc
	s_cbranch_execz .LBB102_704
; %bb.701:
	v_cmp_ne_u32_e32 vcc, 41, v60
	s_xor_b64 s[12:13], s[20:21], -1
	s_and_b64 s[14:15], s[12:13], vcc
	s_and_saveexec_b64 s[12:13], s[14:15]
	s_cbranch_execz .LBB102_703
; %bb.702:
	v_ashrrev_i32_e32 v61, 31, v60
	v_lshl_add_u64 v[64:65], v[60:61], 2, v[4:5]
	global_load_dword v61, v[64:65], off
	global_load_dword v63, v[4:5], off offset:164
	s_waitcnt vmcnt(1)
	global_store_dword v[4:5], v61, off offset:164
	s_waitcnt vmcnt(1)
	global_store_dword v[64:65], v63, off
.LBB102_703:
	s_or_b64 exec, exec, s[12:13]
	v_mov_b32_e32 v61, v60
	v_mov_b32_e32 v63, v60
.LBB102_704:
	s_or_b64 exec, exec, s[2:3]
.LBB102_705:
	s_andn2_saveexec_b64 s[0:1], s[0:1]
	s_cbranch_execz .LBB102_707
; %bb.706:
	v_mov_b32_e32 v63, 41
	ds_write2_b32 v57, v20, v21 offset0:42 offset1:43
	ds_write2_b32 v57, v14, v15 offset0:44 offset1:45
	;; [unrolled: 1-line block ×5, first 2 shown]
.LBB102_707:
	s_or_b64 exec, exec, s[0:1]
	v_cmp_lt_i32_e32 vcc, 41, v63
	s_waitcnt lgkmcnt(0)
	s_barrier
	s_and_saveexec_b64 s[0:1], vcc
	s_cbranch_execz .LBB102_709
; %bb.708:
	ds_read2_b32 v[64:65], v57 offset0:42 offset1:43
	ds_read2_b32 v[66:67], v57 offset0:44 offset1:45
	;; [unrolled: 1-line block ×5, first 2 shown]
	v_mul_f32_e32 v60, v62, v29
	s_waitcnt lgkmcnt(4)
	v_pk_fma_f32 v[20:21], v[60:61], v[64:65], v[20:21] op_sel_hi:[0,1,1] neg_lo:[1,0,0] neg_hi:[1,0,0]
	s_waitcnt lgkmcnt(3)
	v_pk_fma_f32 v[14:15], v[60:61], v[66:67], v[14:15] op_sel_hi:[0,1,1] neg_lo:[1,0,0] neg_hi:[1,0,0]
	;; [unrolled: 2-line block ×5, first 2 shown]
	v_mov_b32_e32 v29, v60
.LBB102_709:
	s_or_b64 exec, exec, s[0:1]
	v_lshl_add_u32 v60, v63, 2, v57
	s_barrier
	ds_write_b32 v60, v20
	s_waitcnt lgkmcnt(0)
	s_barrier
	ds_read_b32 v62, v57 offset:168
	s_cmp_lt_i32 s22, 44
	v_mov_b32_e32 v60, 42
	s_cbranch_scc1 .LBB102_712
; %bb.710:
	v_add_u32_e32 v64, 0xac, v57
	v_mov_b32_e32 v60, 42
	s_mov_b32 s0, 43
.LBB102_711:                            ; =>This Inner Loop Header: Depth=1
	ds_read_b32 v65, v64
	v_mov_b32_e32 v66, s0
	s_add_i32 s0, s0, 1
	v_add_u32_e32 v64, 4, v64
	s_cmp_lg_u32 s22, s0
	s_waitcnt lgkmcnt(0)
	v_cmp_lt_f32_e64 vcc, |v62|, |v65|
	s_nop 1
	v_cndmask_b32_e32 v62, v62, v65, vcc
	v_cndmask_b32_e32 v60, v60, v66, vcc
	s_cbranch_scc1 .LBB102_711
.LBB102_712:
	s_waitcnt lgkmcnt(0)
	v_cmp_eq_f32_e32 vcc, 0, v62
	s_and_saveexec_b64 s[0:1], vcc
	s_xor_b64 s[0:1], exec, s[0:1]
; %bb.713:
	v_cmp_ne_u32_e32 vcc, 0, v59
	s_nop 1
	v_cndmask_b32_e32 v59, 43, v59, vcc
; %bb.714:
	s_andn2_saveexec_b64 s[0:1], s[0:1]
	s_cbranch_execz .LBB102_716
; %bb.715:
	v_div_scale_f32 v64, s[2:3], v62, v62, 1.0
	v_rcp_f32_e32 v65, v64
	v_div_scale_f32 v66, vcc, 1.0, v62, 1.0
	v_fma_f32 v67, -v64, v65, 1.0
	v_fmac_f32_e32 v65, v67, v65
	v_mul_f32_e32 v67, v66, v65
	v_fma_f32 v68, -v64, v67, v66
	v_fmac_f32_e32 v67, v68, v65
	v_fma_f32 v64, -v64, v67, v66
	v_div_fmas_f32 v64, v64, v65, v67
	v_div_fixup_f32 v62, v64, v62, 1.0
.LBB102_716:
	s_or_b64 exec, exec, s[0:1]
	v_cmp_ne_u32_e32 vcc, v63, v60
	s_and_saveexec_b64 s[0:1], vcc
	s_xor_b64 s[0:1], exec, s[0:1]
	s_cbranch_execz .LBB102_722
; %bb.717:
	v_cmp_eq_u32_e32 vcc, 42, v63
	s_and_saveexec_b64 s[2:3], vcc
	s_cbranch_execz .LBB102_721
; %bb.718:
	v_cmp_ne_u32_e32 vcc, 42, v60
	s_xor_b64 s[12:13], s[20:21], -1
	s_and_b64 s[14:15], s[12:13], vcc
	s_and_saveexec_b64 s[12:13], s[14:15]
	s_cbranch_execz .LBB102_720
; %bb.719:
	v_ashrrev_i32_e32 v61, 31, v60
	v_lshl_add_u64 v[64:65], v[60:61], 2, v[4:5]
	global_load_dword v61, v[64:65], off
	global_load_dword v63, v[4:5], off offset:168
	s_waitcnt vmcnt(1)
	global_store_dword v[4:5], v61, off offset:168
	s_waitcnt vmcnt(1)
	global_store_dword v[64:65], v63, off
.LBB102_720:
	s_or_b64 exec, exec, s[12:13]
	v_mov_b32_e32 v61, v60
	v_mov_b32_e32 v63, v60
.LBB102_721:
	s_or_b64 exec, exec, s[2:3]
.LBB102_722:
	s_andn2_saveexec_b64 s[0:1], s[0:1]
	s_cbranch_execz .LBB102_724
; %bb.723:
	v_pk_mov_b32 v[64:65], v[20:21], v[14:15] op_sel:[1,0]
	ds_write2_b32 v57, v64, v65 offset0:43 offset1:44
	v_pk_mov_b32 v[64:65], v[14:15], v[0:1] op_sel:[1,0]
	ds_write2_b32 v57, v64, v65 offset0:45 offset1:46
	v_pk_mov_b32 v[64:65], v[0:1], v[12:13] op_sel:[1,0]
	ds_write2_b32 v57, v64, v65 offset0:47 offset1:48
	v_pk_mov_b32 v[64:65], v[12:13], v[8:9] op_sel:[1,0]
	v_mov_b32_e32 v63, 42
	ds_write2_b32 v57, v64, v65 offset0:49 offset1:50
	ds_write_b32 v57, v9 offset:204
.LBB102_724:
	s_or_b64 exec, exec, s[0:1]
	v_cmp_lt_i32_e32 vcc, 42, v63
	s_waitcnt lgkmcnt(0)
	s_barrier
	s_and_saveexec_b64 s[0:1], vcc
	s_cbranch_execz .LBB102_726
; %bb.725:
	ds_read_b32 v60, v57 offset:172
	ds_read2_b32 v[64:65], v57 offset0:44 offset1:45
	ds_read2_b32 v[66:67], v57 offset0:46 offset1:47
	;; [unrolled: 1-line block ×4, first 2 shown]
	v_mul_f32_e32 v20, v62, v20
	s_waitcnt lgkmcnt(4)
	v_fma_f32 v21, -v20, v60, v21
	s_waitcnt lgkmcnt(3)
	v_pk_fma_f32 v[14:15], v[20:21], v[64:65], v[14:15] op_sel_hi:[0,1,1] neg_lo:[1,0,0] neg_hi:[1,0,0]
	s_waitcnt lgkmcnt(2)
	v_pk_fma_f32 v[0:1], v[20:21], v[66:67], v[0:1] op_sel_hi:[0,1,1] neg_lo:[1,0,0] neg_hi:[1,0,0]
	;; [unrolled: 2-line block ×4, first 2 shown]
.LBB102_726:
	s_or_b64 exec, exec, s[0:1]
	v_lshl_add_u32 v60, v63, 2, v57
	s_barrier
	ds_write_b32 v60, v21
	s_waitcnt lgkmcnt(0)
	s_barrier
	ds_read_b32 v62, v57 offset:172
	s_cmp_lt_i32 s22, 45
	v_mov_b32_e32 v60, 43
	s_cbranch_scc1 .LBB102_729
; %bb.727:
	v_add_u32_e32 v64, 0xb0, v57
	v_mov_b32_e32 v60, 43
	s_mov_b32 s0, 44
.LBB102_728:                            ; =>This Inner Loop Header: Depth=1
	ds_read_b32 v65, v64
	v_mov_b32_e32 v66, s0
	s_add_i32 s0, s0, 1
	v_add_u32_e32 v64, 4, v64
	s_cmp_lg_u32 s22, s0
	s_waitcnt lgkmcnt(0)
	v_cmp_lt_f32_e64 vcc, |v62|, |v65|
	s_nop 1
	v_cndmask_b32_e32 v62, v62, v65, vcc
	v_cndmask_b32_e32 v60, v60, v66, vcc
	s_cbranch_scc1 .LBB102_728
.LBB102_729:
	s_waitcnt lgkmcnt(0)
	v_cmp_eq_f32_e32 vcc, 0, v62
	s_and_saveexec_b64 s[0:1], vcc
	s_xor_b64 s[0:1], exec, s[0:1]
; %bb.730:
	v_cmp_ne_u32_e32 vcc, 0, v59
	s_nop 1
	v_cndmask_b32_e32 v59, 44, v59, vcc
; %bb.731:
	s_andn2_saveexec_b64 s[0:1], s[0:1]
	s_cbranch_execz .LBB102_733
; %bb.732:
	v_div_scale_f32 v64, s[2:3], v62, v62, 1.0
	v_rcp_f32_e32 v65, v64
	v_div_scale_f32 v66, vcc, 1.0, v62, 1.0
	v_fma_f32 v67, -v64, v65, 1.0
	v_fmac_f32_e32 v65, v67, v65
	v_mul_f32_e32 v67, v66, v65
	v_fma_f32 v68, -v64, v67, v66
	v_fmac_f32_e32 v67, v68, v65
	v_fma_f32 v64, -v64, v67, v66
	v_div_fmas_f32 v64, v64, v65, v67
	v_div_fixup_f32 v62, v64, v62, 1.0
.LBB102_733:
	s_or_b64 exec, exec, s[0:1]
	v_cmp_ne_u32_e32 vcc, v63, v60
	s_and_saveexec_b64 s[0:1], vcc
	s_xor_b64 s[0:1], exec, s[0:1]
	s_cbranch_execz .LBB102_739
; %bb.734:
	v_cmp_eq_u32_e32 vcc, 43, v63
	s_and_saveexec_b64 s[2:3], vcc
	s_cbranch_execz .LBB102_738
; %bb.735:
	v_cmp_ne_u32_e32 vcc, 43, v60
	s_xor_b64 s[12:13], s[20:21], -1
	s_and_b64 s[14:15], s[12:13], vcc
	s_and_saveexec_b64 s[12:13], s[14:15]
	s_cbranch_execz .LBB102_737
; %bb.736:
	v_ashrrev_i32_e32 v61, 31, v60
	v_lshl_add_u64 v[64:65], v[60:61], 2, v[4:5]
	global_load_dword v61, v[64:65], off
	global_load_dword v63, v[4:5], off offset:172
	s_waitcnt vmcnt(1)
	global_store_dword v[4:5], v61, off offset:172
	s_waitcnt vmcnt(1)
	global_store_dword v[64:65], v63, off
.LBB102_737:
	s_or_b64 exec, exec, s[12:13]
	v_mov_b32_e32 v61, v60
	v_mov_b32_e32 v63, v60
.LBB102_738:
	s_or_b64 exec, exec, s[2:3]
.LBB102_739:
	s_andn2_saveexec_b64 s[0:1], s[0:1]
	s_cbranch_execz .LBB102_741
; %bb.740:
	v_mov_b32_e32 v63, 43
	ds_write2_b32 v57, v14, v15 offset0:44 offset1:45
	ds_write2_b32 v57, v0, v1 offset0:46 offset1:47
	;; [unrolled: 1-line block ×4, first 2 shown]
.LBB102_741:
	s_or_b64 exec, exec, s[0:1]
	v_cmp_lt_i32_e32 vcc, 43, v63
	s_waitcnt lgkmcnt(0)
	s_barrier
	s_and_saveexec_b64 s[0:1], vcc
	s_cbranch_execz .LBB102_743
; %bb.742:
	ds_read2_b32 v[64:65], v57 offset0:44 offset1:45
	ds_read2_b32 v[66:67], v57 offset0:46 offset1:47
	;; [unrolled: 1-line block ×4, first 2 shown]
	v_mul_f32_e32 v60, v62, v21
	s_waitcnt lgkmcnt(3)
	v_pk_fma_f32 v[14:15], v[60:61], v[64:65], v[14:15] op_sel_hi:[0,1,1] neg_lo:[1,0,0] neg_hi:[1,0,0]
	s_waitcnt lgkmcnt(2)
	v_pk_fma_f32 v[0:1], v[60:61], v[66:67], v[0:1] op_sel_hi:[0,1,1] neg_lo:[1,0,0] neg_hi:[1,0,0]
	;; [unrolled: 2-line block ×4, first 2 shown]
	v_mov_b32_e32 v21, v60
.LBB102_743:
	s_or_b64 exec, exec, s[0:1]
	v_lshl_add_u32 v60, v63, 2, v57
	s_barrier
	ds_write_b32 v60, v14
	s_waitcnt lgkmcnt(0)
	s_barrier
	ds_read_b32 v62, v57 offset:176
	s_cmp_lt_i32 s22, 46
	v_mov_b32_e32 v60, 44
	s_cbranch_scc1 .LBB102_746
; %bb.744:
	v_add_u32_e32 v64, 0xb4, v57
	v_mov_b32_e32 v60, 44
	s_mov_b32 s0, 45
.LBB102_745:                            ; =>This Inner Loop Header: Depth=1
	ds_read_b32 v65, v64
	v_mov_b32_e32 v66, s0
	s_add_i32 s0, s0, 1
	v_add_u32_e32 v64, 4, v64
	s_cmp_lg_u32 s22, s0
	s_waitcnt lgkmcnt(0)
	v_cmp_lt_f32_e64 vcc, |v62|, |v65|
	s_nop 1
	v_cndmask_b32_e32 v62, v62, v65, vcc
	v_cndmask_b32_e32 v60, v60, v66, vcc
	s_cbranch_scc1 .LBB102_745
.LBB102_746:
	s_waitcnt lgkmcnt(0)
	v_cmp_eq_f32_e32 vcc, 0, v62
	s_and_saveexec_b64 s[0:1], vcc
	s_xor_b64 s[0:1], exec, s[0:1]
; %bb.747:
	v_cmp_ne_u32_e32 vcc, 0, v59
	s_nop 1
	v_cndmask_b32_e32 v59, 45, v59, vcc
; %bb.748:
	s_andn2_saveexec_b64 s[0:1], s[0:1]
	s_cbranch_execz .LBB102_750
; %bb.749:
	v_div_scale_f32 v64, s[2:3], v62, v62, 1.0
	v_rcp_f32_e32 v65, v64
	v_div_scale_f32 v66, vcc, 1.0, v62, 1.0
	v_fma_f32 v67, -v64, v65, 1.0
	v_fmac_f32_e32 v65, v67, v65
	v_mul_f32_e32 v67, v66, v65
	v_fma_f32 v68, -v64, v67, v66
	v_fmac_f32_e32 v67, v68, v65
	v_fma_f32 v64, -v64, v67, v66
	v_div_fmas_f32 v64, v64, v65, v67
	v_div_fixup_f32 v62, v64, v62, 1.0
.LBB102_750:
	s_or_b64 exec, exec, s[0:1]
	v_cmp_ne_u32_e32 vcc, v63, v60
	s_and_saveexec_b64 s[0:1], vcc
	s_xor_b64 s[0:1], exec, s[0:1]
	s_cbranch_execz .LBB102_756
; %bb.751:
	v_cmp_eq_u32_e32 vcc, 44, v63
	s_and_saveexec_b64 s[2:3], vcc
	s_cbranch_execz .LBB102_755
; %bb.752:
	v_cmp_ne_u32_e32 vcc, 44, v60
	s_xor_b64 s[12:13], s[20:21], -1
	s_and_b64 s[14:15], s[12:13], vcc
	s_and_saveexec_b64 s[12:13], s[14:15]
	s_cbranch_execz .LBB102_754
; %bb.753:
	v_ashrrev_i32_e32 v61, 31, v60
	v_lshl_add_u64 v[64:65], v[60:61], 2, v[4:5]
	global_load_dword v61, v[64:65], off
	global_load_dword v63, v[4:5], off offset:176
	s_waitcnt vmcnt(1)
	global_store_dword v[4:5], v61, off offset:176
	s_waitcnt vmcnt(1)
	global_store_dword v[64:65], v63, off
.LBB102_754:
	s_or_b64 exec, exec, s[12:13]
	v_mov_b32_e32 v61, v60
	v_mov_b32_e32 v63, v60
.LBB102_755:
	s_or_b64 exec, exec, s[2:3]
.LBB102_756:
	s_andn2_saveexec_b64 s[0:1], s[0:1]
	s_cbranch_execz .LBB102_758
; %bb.757:
	v_pk_mov_b32 v[64:65], v[14:15], v[0:1] op_sel:[1,0]
	ds_write2_b32 v57, v64, v65 offset0:45 offset1:46
	v_pk_mov_b32 v[64:65], v[0:1], v[12:13] op_sel:[1,0]
	ds_write2_b32 v57, v64, v65 offset0:47 offset1:48
	v_pk_mov_b32 v[64:65], v[12:13], v[8:9] op_sel:[1,0]
	v_mov_b32_e32 v63, 44
	ds_write2_b32 v57, v64, v65 offset0:49 offset1:50
	ds_write_b32 v57, v9 offset:204
.LBB102_758:
	s_or_b64 exec, exec, s[0:1]
	v_cmp_lt_i32_e32 vcc, 44, v63
	s_waitcnt lgkmcnt(0)
	s_barrier
	s_and_saveexec_b64 s[0:1], vcc
	s_cbranch_execz .LBB102_760
; %bb.759:
	ds_read_b32 v60, v57 offset:180
	ds_read2_b32 v[64:65], v57 offset0:46 offset1:47
	ds_read2_b32 v[66:67], v57 offset0:48 offset1:49
	;; [unrolled: 1-line block ×3, first 2 shown]
	v_mul_f32_e32 v14, v62, v14
	s_waitcnt lgkmcnt(3)
	v_fma_f32 v15, -v14, v60, v15
	s_waitcnt lgkmcnt(2)
	v_pk_fma_f32 v[0:1], v[14:15], v[64:65], v[0:1] op_sel_hi:[0,1,1] neg_lo:[1,0,0] neg_hi:[1,0,0]
	s_waitcnt lgkmcnt(1)
	v_pk_fma_f32 v[12:13], v[14:15], v[66:67], v[12:13] op_sel_hi:[0,1,1] neg_lo:[1,0,0] neg_hi:[1,0,0]
	;; [unrolled: 2-line block ×3, first 2 shown]
.LBB102_760:
	s_or_b64 exec, exec, s[0:1]
	v_lshl_add_u32 v60, v63, 2, v57
	s_barrier
	ds_write_b32 v60, v15
	s_waitcnt lgkmcnt(0)
	s_barrier
	ds_read_b32 v62, v57 offset:180
	s_cmp_lt_i32 s22, 47
	v_mov_b32_e32 v60, 45
	s_cbranch_scc1 .LBB102_763
; %bb.761:
	v_add_u32_e32 v64, 0xb8, v57
	v_mov_b32_e32 v60, 45
	s_mov_b32 s0, 46
.LBB102_762:                            ; =>This Inner Loop Header: Depth=1
	ds_read_b32 v65, v64
	v_mov_b32_e32 v66, s0
	s_add_i32 s0, s0, 1
	v_add_u32_e32 v64, 4, v64
	s_cmp_lg_u32 s22, s0
	s_waitcnt lgkmcnt(0)
	v_cmp_lt_f32_e64 vcc, |v62|, |v65|
	s_nop 1
	v_cndmask_b32_e32 v62, v62, v65, vcc
	v_cndmask_b32_e32 v60, v60, v66, vcc
	s_cbranch_scc1 .LBB102_762
.LBB102_763:
	s_waitcnt lgkmcnt(0)
	v_cmp_eq_f32_e32 vcc, 0, v62
	s_and_saveexec_b64 s[0:1], vcc
	s_xor_b64 s[0:1], exec, s[0:1]
; %bb.764:
	v_cmp_ne_u32_e32 vcc, 0, v59
	s_nop 1
	v_cndmask_b32_e32 v59, 46, v59, vcc
; %bb.765:
	s_andn2_saveexec_b64 s[0:1], s[0:1]
	s_cbranch_execz .LBB102_767
; %bb.766:
	v_div_scale_f32 v64, s[2:3], v62, v62, 1.0
	v_rcp_f32_e32 v65, v64
	v_div_scale_f32 v66, vcc, 1.0, v62, 1.0
	v_fma_f32 v67, -v64, v65, 1.0
	v_fmac_f32_e32 v65, v67, v65
	v_mul_f32_e32 v67, v66, v65
	v_fma_f32 v68, -v64, v67, v66
	v_fmac_f32_e32 v67, v68, v65
	v_fma_f32 v64, -v64, v67, v66
	v_div_fmas_f32 v64, v64, v65, v67
	v_div_fixup_f32 v62, v64, v62, 1.0
.LBB102_767:
	s_or_b64 exec, exec, s[0:1]
	v_cmp_ne_u32_e32 vcc, v63, v60
	s_and_saveexec_b64 s[0:1], vcc
	s_xor_b64 s[0:1], exec, s[0:1]
	s_cbranch_execz .LBB102_773
; %bb.768:
	v_cmp_eq_u32_e32 vcc, 45, v63
	s_and_saveexec_b64 s[2:3], vcc
	s_cbranch_execz .LBB102_772
; %bb.769:
	v_cmp_ne_u32_e32 vcc, 45, v60
	s_xor_b64 s[12:13], s[20:21], -1
	s_and_b64 s[14:15], s[12:13], vcc
	s_and_saveexec_b64 s[12:13], s[14:15]
	s_cbranch_execz .LBB102_771
; %bb.770:
	v_ashrrev_i32_e32 v61, 31, v60
	v_lshl_add_u64 v[64:65], v[60:61], 2, v[4:5]
	global_load_dword v61, v[64:65], off
	global_load_dword v63, v[4:5], off offset:180
	s_waitcnt vmcnt(1)
	global_store_dword v[4:5], v61, off offset:180
	s_waitcnt vmcnt(1)
	global_store_dword v[64:65], v63, off
.LBB102_771:
	s_or_b64 exec, exec, s[12:13]
	v_mov_b32_e32 v61, v60
	v_mov_b32_e32 v63, v60
.LBB102_772:
	s_or_b64 exec, exec, s[2:3]
.LBB102_773:
	s_andn2_saveexec_b64 s[0:1], s[0:1]
	s_cbranch_execz .LBB102_775
; %bb.774:
	v_mov_b32_e32 v63, 45
	ds_write2_b32 v57, v0, v1 offset0:46 offset1:47
	ds_write2_b32 v57, v12, v13 offset0:48 offset1:49
	;; [unrolled: 1-line block ×3, first 2 shown]
.LBB102_775:
	s_or_b64 exec, exec, s[0:1]
	v_cmp_lt_i32_e32 vcc, 45, v63
	s_waitcnt lgkmcnt(0)
	s_barrier
	s_and_saveexec_b64 s[0:1], vcc
	s_cbranch_execz .LBB102_777
; %bb.776:
	ds_read2_b32 v[64:65], v57 offset0:46 offset1:47
	ds_read2_b32 v[66:67], v57 offset0:48 offset1:49
	;; [unrolled: 1-line block ×3, first 2 shown]
	v_mul_f32_e32 v60, v62, v15
	v_mov_b32_e32 v15, v60
	s_waitcnt lgkmcnt(2)
	v_pk_fma_f32 v[0:1], v[60:61], v[64:65], v[0:1] op_sel_hi:[0,1,1] neg_lo:[1,0,0] neg_hi:[1,0,0]
	s_waitcnt lgkmcnt(1)
	v_pk_fma_f32 v[12:13], v[60:61], v[66:67], v[12:13] op_sel_hi:[0,1,1] neg_lo:[1,0,0] neg_hi:[1,0,0]
	;; [unrolled: 2-line block ×3, first 2 shown]
.LBB102_777:
	s_or_b64 exec, exec, s[0:1]
	v_lshl_add_u32 v60, v63, 2, v57
	s_barrier
	ds_write_b32 v60, v0
	s_waitcnt lgkmcnt(0)
	s_barrier
	ds_read_b32 v62, v57 offset:184
	s_cmp_lt_i32 s22, 48
	v_mov_b32_e32 v60, 46
	s_cbranch_scc1 .LBB102_780
; %bb.778:
	v_add_u32_e32 v64, 0xbc, v57
	v_mov_b32_e32 v60, 46
	s_mov_b32 s0, 47
.LBB102_779:                            ; =>This Inner Loop Header: Depth=1
	ds_read_b32 v65, v64
	v_mov_b32_e32 v66, s0
	s_add_i32 s0, s0, 1
	v_add_u32_e32 v64, 4, v64
	s_cmp_lg_u32 s22, s0
	s_waitcnt lgkmcnt(0)
	v_cmp_lt_f32_e64 vcc, |v62|, |v65|
	s_nop 1
	v_cndmask_b32_e32 v62, v62, v65, vcc
	v_cndmask_b32_e32 v60, v60, v66, vcc
	s_cbranch_scc1 .LBB102_779
.LBB102_780:
	s_waitcnt lgkmcnt(0)
	v_cmp_eq_f32_e32 vcc, 0, v62
	s_and_saveexec_b64 s[0:1], vcc
	s_xor_b64 s[0:1], exec, s[0:1]
; %bb.781:
	v_cmp_ne_u32_e32 vcc, 0, v59
	s_nop 1
	v_cndmask_b32_e32 v59, 47, v59, vcc
; %bb.782:
	s_andn2_saveexec_b64 s[0:1], s[0:1]
	s_cbranch_execz .LBB102_784
; %bb.783:
	v_div_scale_f32 v64, s[2:3], v62, v62, 1.0
	v_rcp_f32_e32 v65, v64
	v_div_scale_f32 v66, vcc, 1.0, v62, 1.0
	v_fma_f32 v67, -v64, v65, 1.0
	v_fmac_f32_e32 v65, v67, v65
	v_mul_f32_e32 v67, v66, v65
	v_fma_f32 v68, -v64, v67, v66
	v_fmac_f32_e32 v67, v68, v65
	v_fma_f32 v64, -v64, v67, v66
	v_div_fmas_f32 v64, v64, v65, v67
	v_div_fixup_f32 v62, v64, v62, 1.0
.LBB102_784:
	s_or_b64 exec, exec, s[0:1]
	v_cmp_ne_u32_e32 vcc, v63, v60
	s_and_saveexec_b64 s[0:1], vcc
	s_xor_b64 s[0:1], exec, s[0:1]
	s_cbranch_execz .LBB102_790
; %bb.785:
	v_cmp_eq_u32_e32 vcc, 46, v63
	s_and_saveexec_b64 s[2:3], vcc
	s_cbranch_execz .LBB102_789
; %bb.786:
	v_cmp_ne_u32_e32 vcc, 46, v60
	s_xor_b64 s[12:13], s[20:21], -1
	s_and_b64 s[14:15], s[12:13], vcc
	s_and_saveexec_b64 s[12:13], s[14:15]
	s_cbranch_execz .LBB102_788
; %bb.787:
	v_ashrrev_i32_e32 v61, 31, v60
	v_lshl_add_u64 v[64:65], v[60:61], 2, v[4:5]
	global_load_dword v61, v[64:65], off
	global_load_dword v63, v[4:5], off offset:184
	s_waitcnt vmcnt(1)
	global_store_dword v[4:5], v61, off offset:184
	s_waitcnt vmcnt(1)
	global_store_dword v[64:65], v63, off
.LBB102_788:
	s_or_b64 exec, exec, s[12:13]
	v_mov_b32_e32 v61, v60
	v_mov_b32_e32 v63, v60
.LBB102_789:
	s_or_b64 exec, exec, s[2:3]
.LBB102_790:
	s_andn2_saveexec_b64 s[0:1], s[0:1]
	s_cbranch_execz .LBB102_792
; %bb.791:
	v_pk_mov_b32 v[64:65], v[0:1], v[12:13] op_sel:[1,0]
	ds_write2_b32 v57, v64, v65 offset0:47 offset1:48
	v_pk_mov_b32 v[64:65], v[12:13], v[8:9] op_sel:[1,0]
	v_mov_b32_e32 v63, 46
	ds_write2_b32 v57, v64, v65 offset0:49 offset1:50
	ds_write_b32 v57, v9 offset:204
.LBB102_792:
	s_or_b64 exec, exec, s[0:1]
	v_cmp_lt_i32_e32 vcc, 46, v63
	s_waitcnt lgkmcnt(0)
	s_barrier
	s_and_saveexec_b64 s[0:1], vcc
	s_cbranch_execz .LBB102_794
; %bb.793:
	ds_read_b32 v60, v57 offset:188
	ds_read2_b32 v[64:65], v57 offset0:48 offset1:49
	ds_read2_b32 v[66:67], v57 offset0:50 offset1:51
	v_mul_f32_e32 v0, v62, v0
	s_waitcnt lgkmcnt(2)
	v_fma_f32 v1, -v0, v60, v1
	s_waitcnt lgkmcnt(1)
	v_pk_fma_f32 v[12:13], v[0:1], v[64:65], v[12:13] op_sel_hi:[0,1,1] neg_lo:[1,0,0] neg_hi:[1,0,0]
	s_waitcnt lgkmcnt(0)
	v_pk_fma_f32 v[8:9], v[0:1], v[66:67], v[8:9] op_sel_hi:[0,1,1] neg_lo:[1,0,0] neg_hi:[1,0,0]
.LBB102_794:
	s_or_b64 exec, exec, s[0:1]
	v_lshl_add_u32 v60, v63, 2, v57
	s_barrier
	ds_write_b32 v60, v1
	s_waitcnt lgkmcnt(0)
	s_barrier
	ds_read_b32 v62, v57 offset:188
	s_cmp_lt_i32 s22, 49
	v_mov_b32_e32 v60, 47
	s_cbranch_scc1 .LBB102_797
; %bb.795:
	v_add_u32_e32 v64, 0xc0, v57
	v_mov_b32_e32 v60, 47
	s_mov_b32 s0, 48
.LBB102_796:                            ; =>This Inner Loop Header: Depth=1
	ds_read_b32 v65, v64
	v_mov_b32_e32 v66, s0
	s_add_i32 s0, s0, 1
	v_add_u32_e32 v64, 4, v64
	s_cmp_lg_u32 s22, s0
	s_waitcnt lgkmcnt(0)
	v_cmp_lt_f32_e64 vcc, |v62|, |v65|
	s_nop 1
	v_cndmask_b32_e32 v62, v62, v65, vcc
	v_cndmask_b32_e32 v60, v60, v66, vcc
	s_cbranch_scc1 .LBB102_796
.LBB102_797:
	s_waitcnt lgkmcnt(0)
	v_cmp_eq_f32_e32 vcc, 0, v62
	s_and_saveexec_b64 s[0:1], vcc
	s_xor_b64 s[0:1], exec, s[0:1]
; %bb.798:
	v_cmp_ne_u32_e32 vcc, 0, v59
	s_nop 1
	v_cndmask_b32_e32 v59, 48, v59, vcc
; %bb.799:
	s_andn2_saveexec_b64 s[0:1], s[0:1]
	s_cbranch_execz .LBB102_801
; %bb.800:
	v_div_scale_f32 v64, s[2:3], v62, v62, 1.0
	v_rcp_f32_e32 v65, v64
	v_div_scale_f32 v66, vcc, 1.0, v62, 1.0
	v_fma_f32 v67, -v64, v65, 1.0
	v_fmac_f32_e32 v65, v67, v65
	v_mul_f32_e32 v67, v66, v65
	v_fma_f32 v68, -v64, v67, v66
	v_fmac_f32_e32 v67, v68, v65
	v_fma_f32 v64, -v64, v67, v66
	v_div_fmas_f32 v64, v64, v65, v67
	v_div_fixup_f32 v62, v64, v62, 1.0
.LBB102_801:
	s_or_b64 exec, exec, s[0:1]
	v_cmp_ne_u32_e32 vcc, v63, v60
	s_and_saveexec_b64 s[0:1], vcc
	s_xor_b64 s[0:1], exec, s[0:1]
	s_cbranch_execz .LBB102_807
; %bb.802:
	v_cmp_eq_u32_e32 vcc, 47, v63
	s_and_saveexec_b64 s[2:3], vcc
	s_cbranch_execz .LBB102_806
; %bb.803:
	v_cmp_ne_u32_e32 vcc, 47, v60
	s_xor_b64 s[12:13], s[20:21], -1
	s_and_b64 s[14:15], s[12:13], vcc
	s_and_saveexec_b64 s[12:13], s[14:15]
	s_cbranch_execz .LBB102_805
; %bb.804:
	v_ashrrev_i32_e32 v61, 31, v60
	v_lshl_add_u64 v[64:65], v[60:61], 2, v[4:5]
	global_load_dword v61, v[64:65], off
	global_load_dword v63, v[4:5], off offset:188
	s_waitcnt vmcnt(1)
	global_store_dword v[4:5], v61, off offset:188
	s_waitcnt vmcnt(1)
	global_store_dword v[64:65], v63, off
.LBB102_805:
	s_or_b64 exec, exec, s[12:13]
	v_mov_b32_e32 v61, v60
	v_mov_b32_e32 v63, v60
.LBB102_806:
	s_or_b64 exec, exec, s[2:3]
.LBB102_807:
	s_andn2_saveexec_b64 s[0:1], s[0:1]
	s_cbranch_execz .LBB102_809
; %bb.808:
	v_mov_b32_e32 v63, 47
	ds_write2_b32 v57, v12, v13 offset0:48 offset1:49
	ds_write2_b32 v57, v8, v9 offset0:50 offset1:51
.LBB102_809:
	s_or_b64 exec, exec, s[0:1]
	v_cmp_lt_i32_e32 vcc, 47, v63
	s_waitcnt lgkmcnt(0)
	s_barrier
	s_and_saveexec_b64 s[0:1], vcc
	s_cbranch_execz .LBB102_811
; %bb.810:
	ds_read2_b32 v[64:65], v57 offset0:48 offset1:49
	ds_read2_b32 v[66:67], v57 offset0:50 offset1:51
	v_mul_f32_e32 v60, v62, v1
	v_mov_b32_e32 v1, v60
	s_waitcnt lgkmcnt(1)
	v_pk_fma_f32 v[12:13], v[60:61], v[64:65], v[12:13] op_sel_hi:[0,1,1] neg_lo:[1,0,0] neg_hi:[1,0,0]
	s_waitcnt lgkmcnt(0)
	v_pk_fma_f32 v[8:9], v[60:61], v[66:67], v[8:9] op_sel_hi:[0,1,1] neg_lo:[1,0,0] neg_hi:[1,0,0]
.LBB102_811:
	s_or_b64 exec, exec, s[0:1]
	v_lshl_add_u32 v60, v63, 2, v57
	s_barrier
	ds_write_b32 v60, v12
	s_waitcnt lgkmcnt(0)
	s_barrier
	ds_read_b32 v62, v57 offset:192
	s_cmp_lt_i32 s22, 50
	v_mov_b32_e32 v60, 48
	s_cbranch_scc1 .LBB102_814
; %bb.812:
	v_add_u32_e32 v64, 0xc4, v57
	v_mov_b32_e32 v60, 48
	s_mov_b32 s0, 49
.LBB102_813:                            ; =>This Inner Loop Header: Depth=1
	ds_read_b32 v65, v64
	v_mov_b32_e32 v66, s0
	s_add_i32 s0, s0, 1
	v_add_u32_e32 v64, 4, v64
	s_cmp_lg_u32 s22, s0
	s_waitcnt lgkmcnt(0)
	v_cmp_lt_f32_e64 vcc, |v62|, |v65|
	s_nop 1
	v_cndmask_b32_e32 v62, v62, v65, vcc
	v_cndmask_b32_e32 v60, v60, v66, vcc
	s_cbranch_scc1 .LBB102_813
.LBB102_814:
	s_waitcnt lgkmcnt(0)
	v_cmp_eq_f32_e32 vcc, 0, v62
	s_and_saveexec_b64 s[0:1], vcc
	s_xor_b64 s[0:1], exec, s[0:1]
; %bb.815:
	v_cmp_ne_u32_e32 vcc, 0, v59
	s_nop 1
	v_cndmask_b32_e32 v59, 49, v59, vcc
; %bb.816:
	s_andn2_saveexec_b64 s[0:1], s[0:1]
	s_cbranch_execz .LBB102_818
; %bb.817:
	v_div_scale_f32 v64, s[2:3], v62, v62, 1.0
	v_rcp_f32_e32 v65, v64
	v_div_scale_f32 v66, vcc, 1.0, v62, 1.0
	v_fma_f32 v67, -v64, v65, 1.0
	v_fmac_f32_e32 v65, v67, v65
	v_mul_f32_e32 v67, v66, v65
	v_fma_f32 v68, -v64, v67, v66
	v_fmac_f32_e32 v67, v68, v65
	v_fma_f32 v64, -v64, v67, v66
	v_div_fmas_f32 v64, v64, v65, v67
	v_div_fixup_f32 v62, v64, v62, 1.0
.LBB102_818:
	s_or_b64 exec, exec, s[0:1]
	v_cmp_ne_u32_e32 vcc, v63, v60
	s_and_saveexec_b64 s[0:1], vcc
	s_xor_b64 s[0:1], exec, s[0:1]
	s_cbranch_execz .LBB102_824
; %bb.819:
	v_cmp_eq_u32_e32 vcc, 48, v63
	s_and_saveexec_b64 s[2:3], vcc
	s_cbranch_execz .LBB102_823
; %bb.820:
	v_cmp_ne_u32_e32 vcc, 48, v60
	s_xor_b64 s[12:13], s[20:21], -1
	s_and_b64 s[14:15], s[12:13], vcc
	s_and_saveexec_b64 s[12:13], s[14:15]
	s_cbranch_execz .LBB102_822
; %bb.821:
	v_ashrrev_i32_e32 v61, 31, v60
	v_lshl_add_u64 v[64:65], v[60:61], 2, v[4:5]
	global_load_dword v61, v[64:65], off
	global_load_dword v63, v[4:5], off offset:192
	s_waitcnt vmcnt(1)
	global_store_dword v[4:5], v61, off offset:192
	s_waitcnt vmcnt(1)
	global_store_dword v[64:65], v63, off
.LBB102_822:
	s_or_b64 exec, exec, s[12:13]
	v_mov_b32_e32 v61, v60
	v_mov_b32_e32 v63, v60
.LBB102_823:
	s_or_b64 exec, exec, s[2:3]
.LBB102_824:
	s_andn2_saveexec_b64 s[0:1], s[0:1]
	s_cbranch_execz .LBB102_826
; %bb.825:
	v_pk_mov_b32 v[64:65], v[12:13], v[8:9] op_sel:[1,0]
	v_mov_b32_e32 v63, 48
	ds_write2_b32 v57, v64, v65 offset0:49 offset1:50
	ds_write_b32 v57, v9 offset:204
.LBB102_826:
	s_or_b64 exec, exec, s[0:1]
	v_cmp_lt_i32_e32 vcc, 48, v63
	s_waitcnt lgkmcnt(0)
	s_barrier
	s_and_saveexec_b64 s[0:1], vcc
	s_cbranch_execz .LBB102_828
; %bb.827:
	ds_read_b32 v60, v57 offset:196
	ds_read2_b32 v[64:65], v57 offset0:50 offset1:51
	v_mul_f32_e32 v12, v62, v12
	s_waitcnt lgkmcnt(1)
	v_fma_f32 v13, -v12, v60, v13
	s_waitcnt lgkmcnt(0)
	v_pk_fma_f32 v[8:9], v[12:13], v[64:65], v[8:9] op_sel_hi:[0,1,1] neg_lo:[1,0,0] neg_hi:[1,0,0]
.LBB102_828:
	s_or_b64 exec, exec, s[0:1]
	v_lshl_add_u32 v60, v63, 2, v57
	s_barrier
	ds_write_b32 v60, v13
	s_waitcnt lgkmcnt(0)
	s_barrier
	ds_read_b32 v62, v57 offset:196
	s_cmp_lt_i32 s22, 51
	v_mov_b32_e32 v60, 49
	s_cbranch_scc1 .LBB102_831
; %bb.829:
	v_add_u32_e32 v64, 0xc8, v57
	v_mov_b32_e32 v60, 49
	s_mov_b32 s0, 50
.LBB102_830:                            ; =>This Inner Loop Header: Depth=1
	ds_read_b32 v65, v64
	v_mov_b32_e32 v66, s0
	s_add_i32 s0, s0, 1
	v_add_u32_e32 v64, 4, v64
	s_cmp_lg_u32 s22, s0
	s_waitcnt lgkmcnt(0)
	v_cmp_lt_f32_e64 vcc, |v62|, |v65|
	s_nop 1
	v_cndmask_b32_e32 v62, v62, v65, vcc
	v_cndmask_b32_e32 v60, v60, v66, vcc
	s_cbranch_scc1 .LBB102_830
.LBB102_831:
	s_waitcnt lgkmcnt(0)
	v_cmp_eq_f32_e32 vcc, 0, v62
	s_and_saveexec_b64 s[0:1], vcc
	s_xor_b64 s[0:1], exec, s[0:1]
; %bb.832:
	v_cmp_ne_u32_e32 vcc, 0, v59
	s_nop 1
	v_cndmask_b32_e32 v59, 50, v59, vcc
; %bb.833:
	s_andn2_saveexec_b64 s[0:1], s[0:1]
	s_cbranch_execz .LBB102_835
; %bb.834:
	v_div_scale_f32 v64, s[2:3], v62, v62, 1.0
	v_rcp_f32_e32 v65, v64
	v_div_scale_f32 v66, vcc, 1.0, v62, 1.0
	v_fma_f32 v67, -v64, v65, 1.0
	v_fmac_f32_e32 v65, v67, v65
	v_mul_f32_e32 v67, v66, v65
	v_fma_f32 v68, -v64, v67, v66
	v_fmac_f32_e32 v67, v68, v65
	v_fma_f32 v64, -v64, v67, v66
	v_div_fmas_f32 v64, v64, v65, v67
	v_div_fixup_f32 v62, v64, v62, 1.0
.LBB102_835:
	s_or_b64 exec, exec, s[0:1]
	v_cmp_ne_u32_e32 vcc, v63, v60
	s_and_saveexec_b64 s[0:1], vcc
	s_xor_b64 s[0:1], exec, s[0:1]
	s_cbranch_execz .LBB102_841
; %bb.836:
	v_cmp_eq_u32_e32 vcc, 49, v63
	s_and_saveexec_b64 s[2:3], vcc
	s_cbranch_execz .LBB102_840
; %bb.837:
	v_cmp_ne_u32_e32 vcc, 49, v60
	s_xor_b64 s[12:13], s[20:21], -1
	s_and_b64 s[14:15], s[12:13], vcc
	s_and_saveexec_b64 s[12:13], s[14:15]
	s_cbranch_execz .LBB102_839
; %bb.838:
	v_ashrrev_i32_e32 v61, 31, v60
	v_lshl_add_u64 v[64:65], v[60:61], 2, v[4:5]
	global_load_dword v61, v[64:65], off
	global_load_dword v63, v[4:5], off offset:196
	s_waitcnt vmcnt(1)
	global_store_dword v[4:5], v61, off offset:196
	s_waitcnt vmcnt(1)
	global_store_dword v[64:65], v63, off
.LBB102_839:
	s_or_b64 exec, exec, s[12:13]
	v_mov_b32_e32 v61, v60
	v_mov_b32_e32 v63, v60
.LBB102_840:
	s_or_b64 exec, exec, s[2:3]
.LBB102_841:
	s_andn2_saveexec_b64 s[0:1], s[0:1]
; %bb.842:
	v_mov_b32_e32 v63, 49
	ds_write2_b32 v57, v8, v9 offset0:50 offset1:51
; %bb.843:
	s_or_b64 exec, exec, s[0:1]
	v_cmp_lt_i32_e32 vcc, 49, v63
	s_waitcnt lgkmcnt(0)
	s_barrier
	s_and_saveexec_b64 s[0:1], vcc
	s_cbranch_execz .LBB102_845
; %bb.844:
	ds_read2_b32 v[64:65], v57 offset0:50 offset1:51
	v_mul_f32_e32 v60, v62, v13
	v_mov_b32_e32 v13, v60
	s_waitcnt lgkmcnt(0)
	v_pk_fma_f32 v[8:9], v[60:61], v[64:65], v[8:9] op_sel_hi:[0,1,1] neg_lo:[1,0,0] neg_hi:[1,0,0]
.LBB102_845:
	s_or_b64 exec, exec, s[0:1]
	v_lshl_add_u32 v60, v63, 2, v57
	s_barrier
	ds_write_b32 v60, v8
	s_waitcnt lgkmcnt(0)
	s_barrier
	ds_read_b32 v62, v57 offset:200
	s_cmp_lt_i32 s22, 52
	v_mov_b32_e32 v60, 50
	s_cbranch_scc1 .LBB102_848
; %bb.846:
	v_add_u32_e32 v64, 0xcc, v57
	v_mov_b32_e32 v60, 50
	s_mov_b32 s0, 51
.LBB102_847:                            ; =>This Inner Loop Header: Depth=1
	ds_read_b32 v65, v64
	v_mov_b32_e32 v66, s0
	s_add_i32 s0, s0, 1
	v_add_u32_e32 v64, 4, v64
	s_cmp_lg_u32 s22, s0
	s_waitcnt lgkmcnt(0)
	v_cmp_lt_f32_e64 vcc, |v62|, |v65|
	s_nop 1
	v_cndmask_b32_e32 v62, v62, v65, vcc
	v_cndmask_b32_e32 v60, v60, v66, vcc
	s_cbranch_scc1 .LBB102_847
.LBB102_848:
	s_waitcnt lgkmcnt(0)
	v_cmp_eq_f32_e32 vcc, 0, v62
	s_and_saveexec_b64 s[0:1], vcc
	s_xor_b64 s[0:1], exec, s[0:1]
; %bb.849:
	v_cmp_ne_u32_e32 vcc, 0, v59
	s_nop 1
	v_cndmask_b32_e32 v59, 51, v59, vcc
; %bb.850:
	s_andn2_saveexec_b64 s[0:1], s[0:1]
	s_cbranch_execz .LBB102_852
; %bb.851:
	v_div_scale_f32 v64, s[2:3], v62, v62, 1.0
	v_rcp_f32_e32 v65, v64
	v_div_scale_f32 v66, vcc, 1.0, v62, 1.0
	v_fma_f32 v67, -v64, v65, 1.0
	v_fmac_f32_e32 v65, v67, v65
	v_mul_f32_e32 v67, v66, v65
	v_fma_f32 v68, -v64, v67, v66
	v_fmac_f32_e32 v67, v68, v65
	v_fma_f32 v64, -v64, v67, v66
	v_div_fmas_f32 v64, v64, v65, v67
	v_div_fixup_f32 v62, v64, v62, 1.0
.LBB102_852:
	s_or_b64 exec, exec, s[0:1]
	v_cmp_ne_u32_e32 vcc, v63, v60
	s_and_saveexec_b64 s[0:1], vcc
	s_xor_b64 s[0:1], exec, s[0:1]
	s_cbranch_execz .LBB102_858
; %bb.853:
	v_cmp_eq_u32_e32 vcc, 50, v63
	s_and_saveexec_b64 s[2:3], vcc
	s_cbranch_execz .LBB102_857
; %bb.854:
	v_cmp_ne_u32_e32 vcc, 50, v60
	s_xor_b64 s[12:13], s[20:21], -1
	s_and_b64 s[14:15], s[12:13], vcc
	s_and_saveexec_b64 s[12:13], s[14:15]
	s_cbranch_execz .LBB102_856
; %bb.855:
	v_ashrrev_i32_e32 v61, 31, v60
	v_lshl_add_u64 v[64:65], v[60:61], 2, v[4:5]
	global_load_dword v61, v[64:65], off
	global_load_dword v63, v[4:5], off offset:200
	s_waitcnt vmcnt(1)
	global_store_dword v[4:5], v61, off offset:200
	s_waitcnt vmcnt(1)
	global_store_dword v[64:65], v63, off
.LBB102_856:
	s_or_b64 exec, exec, s[12:13]
	v_mov_b32_e32 v61, v60
	v_mov_b32_e32 v63, v60
.LBB102_857:
	s_or_b64 exec, exec, s[2:3]
.LBB102_858:
	s_andn2_saveexec_b64 s[0:1], s[0:1]
; %bb.859:
	v_mov_b32_e32 v63, 50
	ds_write_b32 v57, v9 offset:204
; %bb.860:
	s_or_b64 exec, exec, s[0:1]
	v_cmp_lt_i32_e32 vcc, 50, v63
	s_waitcnt lgkmcnt(0)
	s_barrier
	s_and_saveexec_b64 s[0:1], vcc
	s_cbranch_execz .LBB102_862
; %bb.861:
	ds_read_b32 v60, v57 offset:204
	v_mul_f32_e32 v8, v62, v8
	s_waitcnt lgkmcnt(0)
	v_fma_f32 v9, -v8, v60, v9
.LBB102_862:
	s_or_b64 exec, exec, s[0:1]
	v_lshl_add_u32 v60, v63, 2, v57
	s_barrier
	ds_write_b32 v60, v9
	s_waitcnt lgkmcnt(0)
	s_barrier
	ds_read_b32 v64, v57 offset:204
	s_cmp_lt_i32 s22, 53
	v_mov_b32_e32 v60, 51
	s_cbranch_scc1 .LBB102_865
; %bb.863:
	v_add_u32_e32 v57, 0xd0, v57
	v_mov_b32_e32 v60, 51
	s_mov_b32 s0, 52
.LBB102_864:                            ; =>This Inner Loop Header: Depth=1
	ds_read_b32 v62, v57
	v_mov_b32_e32 v65, s0
	s_add_i32 s0, s0, 1
	v_add_u32_e32 v57, 4, v57
	s_cmp_lg_u32 s22, s0
	s_waitcnt lgkmcnt(0)
	v_cmp_lt_f32_e64 vcc, |v64|, |v62|
	s_nop 1
	v_cndmask_b32_e32 v64, v64, v62, vcc
	v_cndmask_b32_e32 v60, v60, v65, vcc
	s_cbranch_scc1 .LBB102_864
.LBB102_865:
	s_waitcnt lgkmcnt(0)
	v_cmp_eq_f32_e32 vcc, 0, v64
	s_and_saveexec_b64 s[0:1], vcc
	s_xor_b64 s[0:1], exec, s[0:1]
; %bb.866:
	v_cmp_ne_u32_e32 vcc, 0, v59
	s_nop 1
	v_cndmask_b32_e32 v59, 52, v59, vcc
; %bb.867:
	s_andn2_saveexec_b64 s[0:1], s[0:1]
	s_cbranch_execz .LBB102_869
; %bb.868:
	v_div_scale_f32 v57, s[2:3], v64, v64, 1.0
	v_rcp_f32_e32 v62, v57
	v_div_scale_f32 v65, vcc, 1.0, v64, 1.0
	v_fma_f32 v66, -v57, v62, 1.0
	v_fmac_f32_e32 v62, v66, v62
	v_mul_f32_e32 v66, v65, v62
	v_fma_f32 v67, -v57, v66, v65
	v_fmac_f32_e32 v66, v67, v62
	v_fma_f32 v57, -v57, v66, v65
	v_div_fmas_f32 v57, v57, v62, v66
	v_div_fixup_f32 v64, v57, v64, 1.0
.LBB102_869:
	s_or_b64 exec, exec, s[0:1]
	v_cmp_ne_u32_e32 vcc, v63, v60
	v_mov_b32_e32 v62, 51
	s_and_saveexec_b64 s[0:1], vcc
	s_cbranch_execz .LBB102_875
; %bb.870:
	v_cmp_eq_u32_e32 vcc, 51, v63
	s_and_saveexec_b64 s[2:3], vcc
	s_cbranch_execz .LBB102_874
; %bb.871:
	v_cmp_ne_u32_e32 vcc, 51, v60
	s_xor_b64 s[12:13], s[20:21], -1
	s_and_b64 s[14:15], s[12:13], vcc
	s_and_saveexec_b64 s[12:13], s[14:15]
	s_cbranch_execz .LBB102_873
; %bb.872:
	v_ashrrev_i32_e32 v61, 31, v60
	v_lshl_add_u64 v[62:63], v[60:61], 2, v[4:5]
	global_load_dword v57, v[62:63], off
	global_load_dword v61, v[4:5], off offset:204
	s_waitcnt vmcnt(1)
	global_store_dword v[4:5], v57, off offset:204
	s_waitcnt vmcnt(1)
	global_store_dword v[62:63], v61, off
.LBB102_873:
	s_or_b64 exec, exec, s[12:13]
	v_mov_b32_e32 v61, v60
	v_mov_b32_e32 v63, v60
.LBB102_874:
	s_or_b64 exec, exec, s[2:3]
	v_mov_b32_e32 v62, v63
.LBB102_875:
	s_or_b64 exec, exec, s[0:1]
	v_cmp_gt_i32_e32 vcc, 52, v62
	v_ashrrev_i32_e32 v63, 31, v62
	s_barrier
	s_barrier
	s_and_saveexec_b64 s[0:1], vcc
	s_cbranch_execz .LBB102_877
; %bb.876:
	v_mul_lo_u32 v57, s11, v2
	v_mul_lo_u32 v60, s10, v3
	v_mad_u64_u32 v[66:67], s[2:3], s10, v2, 0
	v_mov_b32_e32 v4, s6
	v_mov_b32_e32 v5, s7
	v_add3_u32 v67, v67, v60, v57
	v_lshl_add_u64 v[4:5], v[66:67], 2, v[4:5]
	v_lshl_add_u64 v[4:5], s[8:9], 2, v[4:5]
	v_lshl_add_u64 v[4:5], v[62:63], 2, v[4:5]
	v_add3_u32 v57, v61, s19, 1
	global_store_dword v[4:5], v57, off
.LBB102_877:
	s_or_b64 exec, exec, s[0:1]
	v_cmp_eq_u32_e32 vcc, 0, v62
	s_and_saveexec_b64 s[2:3], vcc
	s_cbranch_execz .LBB102_880
; %bb.878:
	v_mov_b32_e32 v4, s4
	v_mov_b32_e32 v5, s5
	v_lshl_add_u64 v[2:3], v[2:3], 2, v[4:5]
	global_load_dword v4, v[2:3], off
	v_cmp_ne_u32_e64 s[0:1], 0, v59
	s_waitcnt vmcnt(0)
	v_cmp_eq_u32_e32 vcc, 0, v4
	s_and_b64 s[0:1], vcc, s[0:1]
	s_and_b64 exec, exec, s[0:1]
	s_cbranch_execz .LBB102_880
; %bb.879:
	v_add_u32_e32 v4, s19, v59
	global_store_dword v[2:3], v4, off
.LBB102_880:
	s_or_b64 exec, exec, s[2:3]
	v_mul_f32_e32 v2, v64, v9
	v_cmp_lt_i32_e32 vcc, 51, v62
	s_nop 1
	v_cndmask_b32_e32 v9, v9, v2, vcc
	v_lshl_add_u64 v[2:3], v[62:63], 2, v[6:7]
	global_store_dword v[2:3], v56, off
	v_lshl_add_u64 v[2:3], s[16:17], 2, v[2:3]
	global_store_dword v[2:3], v58, off
	v_add_u32_e32 v2, s18, v62
	v_ashrrev_i32_e32 v3, 31, v2
	v_lshl_add_u64 v[4:5], v[2:3], 2, v[6:7]
	v_add_u32_e32 v2, s16, v2
	v_ashrrev_i32_e32 v3, 31, v2
	global_store_dword v[4:5], v54, off
	v_lshl_add_u64 v[4:5], v[2:3], 2, v[6:7]
	v_add_u32_e32 v2, s16, v2
	v_ashrrev_i32_e32 v3, 31, v2
	global_store_dword v[4:5], v55, off
	;; [unrolled: 4-line block ×45, first 2 shown]
	v_lshl_add_u64 v[4:5], v[2:3], 2, v[6:7]
	v_add_u32_e32 v0, s16, v2
	global_store_dword v[4:5], v1, off
	v_ashrrev_i32_e32 v1, 31, v0
	v_lshl_add_u64 v[2:3], v[0:1], 2, v[6:7]
	v_add_u32_e32 v0, s16, v0
	v_ashrrev_i32_e32 v1, 31, v0
	global_store_dword v[2:3], v12, off
	v_lshl_add_u64 v[2:3], v[0:1], 2, v[6:7]
	v_add_u32_e32 v0, s16, v0
	v_ashrrev_i32_e32 v1, 31, v0
	global_store_dword v[2:3], v13, off
	v_lshl_add_u64 v[2:3], v[0:1], 2, v[6:7]
	v_add_u32_e32 v0, s16, v0
	v_ashrrev_i32_e32 v1, 31, v0
	v_lshl_add_u64 v[0:1], v[0:1], 2, v[6:7]
	global_store_dword v[2:3], v8, off
	global_store_dword v[0:1], v9, off
.LBB102_881:
	s_endpgm
	.section	.rodata,"a",@progbits
	.p2align	6, 0x0
	.amdhsa_kernel _ZN9rocsolver6v33100L18getf2_small_kernelILi52EfiiPfEEvT1_T3_lS3_lPS3_llPT2_S3_S3_S5_l
		.amdhsa_group_segment_fixed_size 0
		.amdhsa_private_segment_fixed_size 0
		.amdhsa_kernarg_size 352
		.amdhsa_user_sgpr_count 2
		.amdhsa_user_sgpr_dispatch_ptr 0
		.amdhsa_user_sgpr_queue_ptr 0
		.amdhsa_user_sgpr_kernarg_segment_ptr 1
		.amdhsa_user_sgpr_dispatch_id 0
		.amdhsa_user_sgpr_kernarg_preload_length 0
		.amdhsa_user_sgpr_kernarg_preload_offset 0
		.amdhsa_user_sgpr_private_segment_size 0
		.amdhsa_uses_dynamic_stack 0
		.amdhsa_enable_private_segment 0
		.amdhsa_system_sgpr_workgroup_id_x 1
		.amdhsa_system_sgpr_workgroup_id_y 1
		.amdhsa_system_sgpr_workgroup_id_z 0
		.amdhsa_system_sgpr_workgroup_info 0
		.amdhsa_system_vgpr_workitem_id 1
		.amdhsa_next_free_vgpr 78
		.amdhsa_next_free_sgpr 26
		.amdhsa_accum_offset 80
		.amdhsa_reserve_vcc 1
		.amdhsa_float_round_mode_32 0
		.amdhsa_float_round_mode_16_64 0
		.amdhsa_float_denorm_mode_32 3
		.amdhsa_float_denorm_mode_16_64 3
		.amdhsa_dx10_clamp 1
		.amdhsa_ieee_mode 1
		.amdhsa_fp16_overflow 0
		.amdhsa_tg_split 0
		.amdhsa_exception_fp_ieee_invalid_op 0
		.amdhsa_exception_fp_denorm_src 0
		.amdhsa_exception_fp_ieee_div_zero 0
		.amdhsa_exception_fp_ieee_overflow 0
		.amdhsa_exception_fp_ieee_underflow 0
		.amdhsa_exception_fp_ieee_inexact 0
		.amdhsa_exception_int_div_zero 0
	.end_amdhsa_kernel
	.section	.text._ZN9rocsolver6v33100L18getf2_small_kernelILi52EfiiPfEEvT1_T3_lS3_lPS3_llPT2_S3_S3_S5_l,"axG",@progbits,_ZN9rocsolver6v33100L18getf2_small_kernelILi52EfiiPfEEvT1_T3_lS3_lPS3_llPT2_S3_S3_S5_l,comdat
.Lfunc_end102:
	.size	_ZN9rocsolver6v33100L18getf2_small_kernelILi52EfiiPfEEvT1_T3_lS3_lPS3_llPT2_S3_S3_S5_l, .Lfunc_end102-_ZN9rocsolver6v33100L18getf2_small_kernelILi52EfiiPfEEvT1_T3_lS3_lPS3_llPT2_S3_S3_S5_l
                                        ; -- End function
	.set _ZN9rocsolver6v33100L18getf2_small_kernelILi52EfiiPfEEvT1_T3_lS3_lPS3_llPT2_S3_S3_S5_l.num_vgpr, 78
	.set _ZN9rocsolver6v33100L18getf2_small_kernelILi52EfiiPfEEvT1_T3_lS3_lPS3_llPT2_S3_S3_S5_l.num_agpr, 0
	.set _ZN9rocsolver6v33100L18getf2_small_kernelILi52EfiiPfEEvT1_T3_lS3_lPS3_llPT2_S3_S3_S5_l.numbered_sgpr, 26
	.set _ZN9rocsolver6v33100L18getf2_small_kernelILi52EfiiPfEEvT1_T3_lS3_lPS3_llPT2_S3_S3_S5_l.num_named_barrier, 0
	.set _ZN9rocsolver6v33100L18getf2_small_kernelILi52EfiiPfEEvT1_T3_lS3_lPS3_llPT2_S3_S3_S5_l.private_seg_size, 0
	.set _ZN9rocsolver6v33100L18getf2_small_kernelILi52EfiiPfEEvT1_T3_lS3_lPS3_llPT2_S3_S3_S5_l.uses_vcc, 1
	.set _ZN9rocsolver6v33100L18getf2_small_kernelILi52EfiiPfEEvT1_T3_lS3_lPS3_llPT2_S3_S3_S5_l.uses_flat_scratch, 0
	.set _ZN9rocsolver6v33100L18getf2_small_kernelILi52EfiiPfEEvT1_T3_lS3_lPS3_llPT2_S3_S3_S5_l.has_dyn_sized_stack, 0
	.set _ZN9rocsolver6v33100L18getf2_small_kernelILi52EfiiPfEEvT1_T3_lS3_lPS3_llPT2_S3_S3_S5_l.has_recursion, 0
	.set _ZN9rocsolver6v33100L18getf2_small_kernelILi52EfiiPfEEvT1_T3_lS3_lPS3_llPT2_S3_S3_S5_l.has_indirect_call, 0
	.section	.AMDGPU.csdata,"",@progbits
; Kernel info:
; codeLenInByte = 44500
; TotalNumSgprs: 32
; NumVgprs: 78
; NumAgprs: 0
; TotalNumVgprs: 78
; ScratchSize: 0
; MemoryBound: 0
; FloatMode: 240
; IeeeMode: 1
; LDSByteSize: 0 bytes/workgroup (compile time only)
; SGPRBlocks: 3
; VGPRBlocks: 9
; NumSGPRsForWavesPerEU: 32
; NumVGPRsForWavesPerEU: 78
; AccumOffset: 80
; Occupancy: 6
; WaveLimiterHint : 0
; COMPUTE_PGM_RSRC2:SCRATCH_EN: 0
; COMPUTE_PGM_RSRC2:USER_SGPR: 2
; COMPUTE_PGM_RSRC2:TRAP_HANDLER: 0
; COMPUTE_PGM_RSRC2:TGID_X_EN: 1
; COMPUTE_PGM_RSRC2:TGID_Y_EN: 1
; COMPUTE_PGM_RSRC2:TGID_Z_EN: 0
; COMPUTE_PGM_RSRC2:TIDIG_COMP_CNT: 1
; COMPUTE_PGM_RSRC3_GFX90A:ACCUM_OFFSET: 19
; COMPUTE_PGM_RSRC3_GFX90A:TG_SPLIT: 0
	.section	.text._ZN9rocsolver6v33100L23getf2_npvt_small_kernelILi52EfiiPfEEvT1_T3_lS3_lPT2_S3_S3_,"axG",@progbits,_ZN9rocsolver6v33100L23getf2_npvt_small_kernelILi52EfiiPfEEvT1_T3_lS3_lPT2_S3_S3_,comdat
	.globl	_ZN9rocsolver6v33100L23getf2_npvt_small_kernelILi52EfiiPfEEvT1_T3_lS3_lPT2_S3_S3_ ; -- Begin function _ZN9rocsolver6v33100L23getf2_npvt_small_kernelILi52EfiiPfEEvT1_T3_lS3_lPT2_S3_S3_
	.p2align	8
	.type	_ZN9rocsolver6v33100L23getf2_npvt_small_kernelILi52EfiiPfEEvT1_T3_lS3_lPT2_S3_S3_,@function
_ZN9rocsolver6v33100L23getf2_npvt_small_kernelILi52EfiiPfEEvT1_T3_lS3_lPT2_S3_S3_: ; @_ZN9rocsolver6v33100L23getf2_npvt_small_kernelILi52EfiiPfEEvT1_T3_lS3_lPT2_S3_S3_
; %bb.0:
	s_load_dword s2, s[0:1], 0x44
	s_load_dwordx2 s[8:9], s[0:1], 0x30
	v_bfe_u32 v159, v0, 10, 10
	s_waitcnt lgkmcnt(0)
	s_lshr_b32 s10, s2, 16
	s_mul_i32 s3, s3, s10
	v_add_u32_e32 v24, s3, v159
	v_cmp_gt_i32_e32 vcc, s8, v24
	s_and_saveexec_b64 s[2:3], vcc
	s_cbranch_execz .LBB103_287
; %bb.1:
	s_load_dwordx4 s[12:15], s[0:1], 0x8
	s_load_dword s2, s[0:1], 0x18
	s_load_dwordx4 s[4:7], s[0:1], 0x20
	v_ashrrev_i32_e32 v25, 31, v24
	v_and_b32_e32 v157, 0x3ff, v0
	s_waitcnt lgkmcnt(0)
	v_mov_b32_e32 v0, s12
	v_mov_b32_e32 v1, s13
	v_mad_u64_u32 v[2:3], s[0:1], s4, v24, 0
	v_mul_lo_u32 v4, s5, v24
	v_mul_lo_u32 v5, s4, v25
	s_add_i32 s0, s2, s2
	v_add3_u32 v3, v3, v5, v4
	v_add_u32_e32 v4, s0, v157
	v_add_u32_e32 v6, s2, v4
	;; [unrolled: 1-line block ×48, first 2 shown]
	v_lshl_add_u64 v[0:1], v[2:3], 2, v[0:1]
	v_add_u32_e32 v104, s2, v100
	v_lshl_add_u64 v[102:103], s[14:15], 2, v[0:1]
	v_ashrrev_i32_e32 v5, 31, v4
	v_ashrrev_i32_e32 v7, 31, v6
	;; [unrolled: 1-line block ×49, first 2 shown]
	v_lshl_add_u64 v[2:3], v[4:5], 2, v[102:103]
	v_lshl_add_u64 v[4:5], v[6:7], 2, v[102:103]
	;; [unrolled: 1-line block ×49, first 2 shown]
	v_add_u32_e32 v104, s2, v104
	v_lshlrev_b32_e32 v0, 2, v157
	v_mov_b32_e32 v1, 0
	v_ashrrev_i32_e32 v105, 31, v104
	v_lshl_add_u64 v[0:1], v[102:103], 0, v[0:1]
	v_lshl_add_u64 v[102:103], v[104:105], 2, v[102:103]
	global_load_dword v144, v[14:15], off
	global_load_dword v145, v[16:17], off
	;; [unrolled: 1-line block ×44, first 2 shown]
	s_ashr_i32 s3, s2, 31
	v_lshl_add_u64 v[154:155], s[2:3], 2, v[0:1]
	global_load_dword v150, v[2:3], off
	global_load_dword v151, v[4:5], off
	;; [unrolled: 1-line block ×8, first 2 shown]
	s_mulk_i32 s10, 0xd0
	s_movk_i32 s0, 0xd0
	s_add_i32 s1, s10, 0
	v_mad_u32_u24 v161, v159, s0, 0
	v_lshl_add_u32 v159, v159, 2, s1
	v_cmp_ne_u32_e64 s[2:3], 0, v157
	v_cmp_eq_u32_e64 s[0:1], 0, v157
	s_and_saveexec_b64 s[4:5], s[0:1]
	s_cbranch_execz .LBB103_4
; %bb.2:
	s_waitcnt vmcnt(1)
	ds_write_b32 v159, v156
	s_waitcnt vmcnt(0)
	ds_write2_b32 v161, v158, v150 offset0:1 offset1:2
	ds_write2_b32 v161, v151, v152 offset0:3 offset1:4
	;; [unrolled: 1-line block ×25, first 2 shown]
	ds_write_b32 v161, v147 offset:204
	ds_read_b32 v160, v159
	s_waitcnt lgkmcnt(0)
	v_cmp_neq_f32_e32 vcc, 0, v160
	s_and_b64 exec, exec, vcc
	s_cbranch_execz .LBB103_4
; %bb.3:
	v_div_scale_f32 v162, s[10:11], v160, v160, 1.0
	v_rcp_f32_e32 v163, v162
	v_div_scale_f32 v164, vcc, 1.0, v160, 1.0
	v_fma_f32 v165, -v162, v163, 1.0
	v_fmac_f32_e32 v163, v165, v163
	v_mul_f32_e32 v165, v164, v163
	v_fma_f32 v166, -v162, v165, v164
	v_fmac_f32_e32 v165, v166, v163
	v_fma_f32 v162, -v162, v165, v164
	v_div_fmas_f32 v162, v162, v163, v165
	v_div_fixup_f32 v160, v162, v160, 1.0
	ds_write_b32 v159, v160
.LBB103_4:
	s_or_b64 exec, exec, s[4:5]
	s_waitcnt lgkmcnt(0)
	s_barrier
	ds_read_b32 v160, v159
	s_and_saveexec_b64 s[4:5], s[2:3]
	s_cbranch_execz .LBB103_6
; %bb.5:
	ds_read_b32 v162, v161 offset:4
	s_waitcnt vmcnt(1) lgkmcnt(1)
	v_mul_f32_e32 v156, v160, v156
	s_waitcnt vmcnt(0) lgkmcnt(0)
	v_fma_f32 v158, -v156, v162, v158
	ds_read2_b64 v[162:165], v161 offset0:1 offset1:2
	s_waitcnt lgkmcnt(0)
	v_pk_fma_f32 v[150:151], v[156:157], v[162:163], v[150:151] op_sel_hi:[0,1,1] neg_lo:[1,0,0] neg_hi:[1,0,0]
	v_pk_fma_f32 v[152:153], v[156:157], v[164:165], v[152:153] op_sel_hi:[0,1,1] neg_lo:[1,0,0] neg_hi:[1,0,0]
	ds_read2_b64 v[162:165], v161 offset0:3 offset1:4
	s_waitcnt lgkmcnt(0)
	v_pk_fma_f32 v[148:149], v[156:157], v[162:163], v[148:149] op_sel_hi:[0,1,1] neg_lo:[1,0,0] neg_hi:[1,0,0]
	v_pk_fma_f32 v[144:145], v[156:157], v[164:165], v[144:145] op_sel_hi:[0,1,1] neg_lo:[1,0,0] neg_hi:[1,0,0]
	;; [unrolled: 4-line block ×11, first 2 shown]
	ds_read2_b64 v[162:165], v161 offset0:23 offset1:24
	s_waitcnt lgkmcnt(0)
	v_pk_fma_f32 v[104:105], v[156:157], v[162:163], v[104:105] op_sel_hi:[0,1,1] neg_lo:[1,0,0] neg_hi:[1,0,0]
	ds_read_b64 v[162:163], v161 offset:200
	v_pk_fma_f32 v[124:125], v[156:157], v[164:165], v[124:125] op_sel_hi:[0,1,1] neg_lo:[1,0,0] neg_hi:[1,0,0]
	s_waitcnt lgkmcnt(0)
	v_pk_fma_f32 v[146:147], v[156:157], v[162:163], v[146:147] op_sel_hi:[0,1,1] neg_lo:[1,0,0] neg_hi:[1,0,0]
.LBB103_6:
	s_or_b64 exec, exec, s[4:5]
	v_cmp_eq_u32_e32 vcc, 1, v157
	s_waitcnt lgkmcnt(0)
	s_barrier
	s_and_saveexec_b64 s[2:3], vcc
	s_cbranch_execz .LBB103_9
; %bb.7:
	s_waitcnt vmcnt(0)
	ds_write_b32 v159, v158
	ds_write2_b64 v161, v[150:151], v[152:153] offset0:1 offset1:2
	ds_write2_b64 v161, v[148:149], v[144:145] offset0:3 offset1:4
	;; [unrolled: 1-line block ×12, first 2 shown]
	ds_write_b64 v161, v[146:147] offset:200
	ds_read_b32 v162, v159
	s_waitcnt lgkmcnt(0)
	v_cmp_neq_f32_e32 vcc, 0, v162
	s_and_b64 exec, exec, vcc
	s_cbranch_execz .LBB103_9
; %bb.8:
	v_div_scale_f32 v163, s[4:5], v162, v162, 1.0
	v_rcp_f32_e32 v164, v163
	v_div_scale_f32 v165, vcc, 1.0, v162, 1.0
	v_fma_f32 v166, -v163, v164, 1.0
	v_fmac_f32_e32 v164, v166, v164
	v_mul_f32_e32 v166, v165, v164
	v_fma_f32 v167, -v163, v166, v165
	v_fmac_f32_e32 v166, v167, v164
	v_fma_f32 v163, -v163, v166, v165
	v_div_fmas_f32 v163, v163, v164, v166
	v_div_fixup_f32 v162, v163, v162, 1.0
	ds_write_b32 v159, v162
.LBB103_9:
	s_or_b64 exec, exec, s[2:3]
	s_waitcnt lgkmcnt(0)
	s_barrier
	ds_read_b32 v162, v159
	v_cmp_lt_u32_e32 vcc, 1, v157
	s_and_saveexec_b64 s[2:3], vcc
	s_cbranch_execz .LBB103_11
; %bb.10:
	ds_read2_b64 v[164:167], v161 offset0:1 offset1:2
	s_waitcnt vmcnt(0) lgkmcnt(1)
	v_mul_f32_e32 v158, v162, v158
	s_waitcnt lgkmcnt(0)
	v_pk_fma_f32 v[150:151], v[158:159], v[164:165], v[150:151] op_sel_hi:[0,1,1] neg_lo:[1,0,0] neg_hi:[1,0,0]
	v_pk_fma_f32 v[152:153], v[158:159], v[166:167], v[152:153] op_sel_hi:[0,1,1] neg_lo:[1,0,0] neg_hi:[1,0,0]
	ds_read2_b64 v[164:167], v161 offset0:3 offset1:4
	s_waitcnt lgkmcnt(0)
	v_pk_fma_f32 v[148:149], v[158:159], v[164:165], v[148:149] op_sel_hi:[0,1,1] neg_lo:[1,0,0] neg_hi:[1,0,0]
	v_pk_fma_f32 v[144:145], v[158:159], v[166:167], v[144:145] op_sel_hi:[0,1,1] neg_lo:[1,0,0] neg_hi:[1,0,0]
	ds_read2_b64 v[164:167], v161 offset0:5 offset1:6
	;; [unrolled: 4-line block ×11, first 2 shown]
	s_waitcnt lgkmcnt(0)
	v_pk_fma_f32 v[104:105], v[158:159], v[164:165], v[104:105] op_sel_hi:[0,1,1] neg_lo:[1,0,0] neg_hi:[1,0,0]
	ds_read_b64 v[164:165], v161 offset:200
	v_pk_fma_f32 v[124:125], v[158:159], v[166:167], v[124:125] op_sel_hi:[0,1,1] neg_lo:[1,0,0] neg_hi:[1,0,0]
	s_waitcnt lgkmcnt(0)
	v_pk_fma_f32 v[146:147], v[158:159], v[164:165], v[146:147] op_sel_hi:[0,1,1] neg_lo:[1,0,0] neg_hi:[1,0,0]
.LBB103_11:
	s_or_b64 exec, exec, s[2:3]
	v_cmp_eq_u32_e32 vcc, 2, v157
	s_waitcnt lgkmcnt(0)
	s_barrier
	s_and_saveexec_b64 s[2:3], vcc
	s_cbranch_execz .LBB103_14
; %bb.12:
	s_waitcnt vmcnt(4)
	v_pk_mov_b32 v[164:165], v[150:151], v[152:153] op_sel:[1,0]
	ds_write_b32 v159, v150
	ds_write2_b32 v161, v164, v165 offset0:3 offset1:4
	s_waitcnt vmcnt(2)
	v_pk_mov_b32 v[164:165], v[152:153], v[148:149] op_sel:[1,0]
	ds_write2_b32 v161, v164, v165 offset0:5 offset1:6
	v_pk_mov_b32 v[164:165], v[148:149], v[144:145] op_sel:[1,0]
	ds_write2_b32 v161, v164, v165 offset0:7 offset1:8
	;; [unrolled: 2-line block ×23, first 2 shown]
	ds_write_b32 v161, v147 offset:204
	ds_read_b32 v163, v159
	s_waitcnt lgkmcnt(0)
	v_cmp_neq_f32_e32 vcc, 0, v163
	s_and_b64 exec, exec, vcc
	s_cbranch_execz .LBB103_14
; %bb.13:
	v_div_scale_f32 v164, s[4:5], v163, v163, 1.0
	v_rcp_f32_e32 v165, v164
	v_div_scale_f32 v166, vcc, 1.0, v163, 1.0
	v_fma_f32 v167, -v164, v165, 1.0
	v_fmac_f32_e32 v165, v167, v165
	v_mul_f32_e32 v167, v166, v165
	v_fma_f32 v168, -v164, v167, v166
	v_fmac_f32_e32 v167, v168, v165
	v_fma_f32 v164, -v164, v167, v166
	v_div_fmas_f32 v164, v164, v165, v167
	v_div_fixup_f32 v163, v164, v163, 1.0
	ds_write_b32 v159, v163
.LBB103_14:
	s_or_b64 exec, exec, s[2:3]
	s_waitcnt lgkmcnt(0)
	s_barrier
	ds_read_b32 v163, v159
	v_cmp_lt_u32_e32 vcc, 2, v157
	s_and_saveexec_b64 s[2:3], vcc
	s_cbranch_execz .LBB103_16
; %bb.15:
	ds_read_b32 v176, v161 offset:12
	ds_read2_b64 v[164:167], v161 offset0:2 offset1:3
	ds_read2_b64 v[168:171], v161 offset0:4 offset1:5
	;; [unrolled: 1-line block ×3, first 2 shown]
	s_waitcnt vmcnt(7) lgkmcnt(4)
	v_mul_f32_e32 v150, v163, v150
	s_waitcnt vmcnt(6) lgkmcnt(3)
	v_fma_f32 v151, -v150, v176, v151
	s_waitcnt vmcnt(4) lgkmcnt(2)
	v_pk_fma_f32 v[152:153], v[150:151], v[164:165], v[152:153] op_sel_hi:[0,1,1] neg_lo:[1,0,0] neg_hi:[1,0,0]
	s_waitcnt vmcnt(2)
	v_pk_fma_f32 v[148:149], v[150:151], v[166:167], v[148:149] op_sel_hi:[0,1,1] neg_lo:[1,0,0] neg_hi:[1,0,0]
	s_waitcnt lgkmcnt(1)
	v_pk_fma_f32 v[144:145], v[150:151], v[168:169], v[144:145] op_sel_hi:[0,1,1] neg_lo:[1,0,0] neg_hi:[1,0,0]
	ds_read2_b64 v[164:167], v161 offset0:8 offset1:9
	v_pk_fma_f32 v[122:123], v[150:151], v[170:171], v[122:123] op_sel_hi:[0,1,1] neg_lo:[1,0,0] neg_hi:[1,0,0]
	s_waitcnt lgkmcnt(1)
	v_pk_fma_f32 v[142:143], v[150:151], v[172:173], v[142:143] op_sel_hi:[0,1,1] neg_lo:[1,0,0] neg_hi:[1,0,0]
	ds_read2_b64 v[168:171], v161 offset0:10 offset1:11
	v_pk_fma_f32 v[120:121], v[150:151], v[174:175], v[120:121] op_sel_hi:[0,1,1] neg_lo:[1,0,0] neg_hi:[1,0,0]
	ds_read2_b64 v[172:175], v161 offset0:12 offset1:13
	s_waitcnt lgkmcnt(2)
	v_pk_fma_f32 v[140:141], v[150:151], v[164:165], v[140:141] op_sel_hi:[0,1,1] neg_lo:[1,0,0] neg_hi:[1,0,0]
	v_pk_fma_f32 v[118:119], v[150:151], v[166:167], v[118:119] op_sel_hi:[0,1,1] neg_lo:[1,0,0] neg_hi:[1,0,0]
	s_waitcnt lgkmcnt(1)
	v_pk_fma_f32 v[138:139], v[150:151], v[168:169], v[138:139] op_sel_hi:[0,1,1] neg_lo:[1,0,0] neg_hi:[1,0,0]
	ds_read2_b64 v[164:167], v161 offset0:14 offset1:15
	v_pk_fma_f32 v[116:117], v[150:151], v[170:171], v[116:117] op_sel_hi:[0,1,1] neg_lo:[1,0,0] neg_hi:[1,0,0]
	s_waitcnt lgkmcnt(1)
	v_pk_fma_f32 v[136:137], v[150:151], v[172:173], v[136:137] op_sel_hi:[0,1,1] neg_lo:[1,0,0] neg_hi:[1,0,0]
	ds_read2_b64 v[168:171], v161 offset0:16 offset1:17
	v_pk_fma_f32 v[114:115], v[150:151], v[174:175], v[114:115] op_sel_hi:[0,1,1] neg_lo:[1,0,0] neg_hi:[1,0,0]
	ds_read2_b64 v[172:175], v161 offset0:18 offset1:19
	s_waitcnt lgkmcnt(2)
	v_pk_fma_f32 v[134:135], v[150:151], v[164:165], v[134:135] op_sel_hi:[0,1,1] neg_lo:[1,0,0] neg_hi:[1,0,0]
	v_pk_fma_f32 v[112:113], v[150:151], v[166:167], v[112:113] op_sel_hi:[0,1,1] neg_lo:[1,0,0] neg_hi:[1,0,0]
	s_waitcnt lgkmcnt(1)
	v_pk_fma_f32 v[132:133], v[150:151], v[168:169], v[132:133] op_sel_hi:[0,1,1] neg_lo:[1,0,0] neg_hi:[1,0,0]
	v_pk_fma_f32 v[110:111], v[150:151], v[170:171], v[110:111] op_sel_hi:[0,1,1] neg_lo:[1,0,0] neg_hi:[1,0,0]
	ds_read2_b64 v[164:167], v161 offset0:20 offset1:21
	ds_read2_b64 v[168:171], v161 offset0:22 offset1:23
	s_waitcnt lgkmcnt(2)
	v_pk_fma_f32 v[130:131], v[150:151], v[172:173], v[130:131] op_sel_hi:[0,1,1] neg_lo:[1,0,0] neg_hi:[1,0,0]
	v_pk_fma_f32 v[108:109], v[150:151], v[174:175], v[108:109] op_sel_hi:[0,1,1] neg_lo:[1,0,0] neg_hi:[1,0,0]
	ds_read2_b64 v[172:175], v161 offset0:24 offset1:25
	s_waitcnt lgkmcnt(2)
	v_pk_fma_f32 v[128:129], v[150:151], v[164:165], v[128:129] op_sel_hi:[0,1,1] neg_lo:[1,0,0] neg_hi:[1,0,0]
	v_pk_fma_f32 v[106:107], v[150:151], v[166:167], v[106:107] op_sel_hi:[0,1,1] neg_lo:[1,0,0] neg_hi:[1,0,0]
	s_waitcnt lgkmcnt(1)
	v_pk_fma_f32 v[126:127], v[150:151], v[168:169], v[126:127] op_sel_hi:[0,1,1] neg_lo:[1,0,0] neg_hi:[1,0,0]
	v_pk_fma_f32 v[104:105], v[150:151], v[170:171], v[104:105] op_sel_hi:[0,1,1] neg_lo:[1,0,0] neg_hi:[1,0,0]
	;; [unrolled: 3-line block ×3, first 2 shown]
.LBB103_16:
	s_or_b64 exec, exec, s[2:3]
	v_cmp_eq_u32_e32 vcc, 3, v157
	s_waitcnt lgkmcnt(0)
	s_barrier
	s_and_saveexec_b64 s[2:3], vcc
	s_cbranch_execz .LBB103_19
; %bb.17:
	s_waitcnt vmcnt(5)
	v_mov_b32_e32 v164, v152
	s_waitcnt vmcnt(4)
	v_mov_b32_e32 v165, v153
	;; [unrolled: 2-line block ×4, first 2 shown]
	ds_write_b32 v159, v151
	ds_write2_b64 v161, v[164:165], v[166:167] offset0:2 offset1:3
	v_mov_b32_e32 v164, v144
	v_mov_b32_e32 v165, v145
	v_mov_b32_e32 v166, v122
	v_mov_b32_e32 v167, v123
	ds_write2_b64 v161, v[164:165], v[166:167] offset0:4 offset1:5
	v_mov_b32_e32 v164, v142
	v_mov_b32_e32 v165, v143
	v_mov_b32_e32 v166, v120
	v_mov_b32_e32 v167, v121
	;; [unrolled: 5-line block ×10, first 2 shown]
	ds_write2_b64 v161, v[164:165], v[166:167] offset0:22 offset1:23
	v_mov_b32_e32 v164, v124
	v_mov_b32_e32 v165, v125
	ds_write2_b64 v161, v[164:165], v[146:147] offset0:24 offset1:25
	ds_read_b32 v164, v159
	s_waitcnt lgkmcnt(0)
	v_cmp_neq_f32_e32 vcc, 0, v164
	s_and_b64 exec, exec, vcc
	s_cbranch_execz .LBB103_19
; %bb.18:
	v_div_scale_f32 v165, s[4:5], v164, v164, 1.0
	v_rcp_f32_e32 v166, v165
	v_div_scale_f32 v167, vcc, 1.0, v164, 1.0
	v_fma_f32 v168, -v165, v166, 1.0
	v_fmac_f32_e32 v166, v168, v166
	v_mul_f32_e32 v168, v167, v166
	v_fma_f32 v169, -v165, v168, v167
	v_fmac_f32_e32 v168, v169, v166
	v_fma_f32 v165, -v165, v168, v167
	v_div_fmas_f32 v165, v165, v166, v168
	v_div_fixup_f32 v164, v165, v164, 1.0
	ds_write_b32 v159, v164
.LBB103_19:
	s_or_b64 exec, exec, s[2:3]
	s_waitcnt lgkmcnt(0)
	s_barrier
	ds_read_b32 v164, v159
	v_cmp_lt_u32_e32 vcc, 3, v157
	s_and_saveexec_b64 s[2:3], vcc
	s_cbranch_execz .LBB103_21
; %bb.20:
	ds_read2_b64 v[166:169], v161 offset0:2 offset1:3
	ds_read2_b64 v[170:173], v161 offset0:4 offset1:5
	;; [unrolled: 1-line block ×3, first 2 shown]
	s_waitcnt vmcnt(6) lgkmcnt(3)
	v_mul_f32_e32 v178, v164, v151
	v_mov_b32_e32 v151, v178
	s_waitcnt vmcnt(4) lgkmcnt(2)
	v_pk_fma_f32 v[152:153], v[178:179], v[166:167], v[152:153] op_sel_hi:[0,1,1] neg_lo:[1,0,0] neg_hi:[1,0,0]
	s_waitcnt vmcnt(2)
	v_pk_fma_f32 v[148:149], v[178:179], v[168:169], v[148:149] op_sel_hi:[0,1,1] neg_lo:[1,0,0] neg_hi:[1,0,0]
	s_waitcnt lgkmcnt(1)
	v_pk_fma_f32 v[144:145], v[178:179], v[170:171], v[144:145] op_sel_hi:[0,1,1] neg_lo:[1,0,0] neg_hi:[1,0,0]
	ds_read2_b64 v[166:169], v161 offset0:8 offset1:9
	v_pk_fma_f32 v[122:123], v[178:179], v[172:173], v[122:123] op_sel_hi:[0,1,1] neg_lo:[1,0,0] neg_hi:[1,0,0]
	s_waitcnt lgkmcnt(1)
	v_pk_fma_f32 v[142:143], v[178:179], v[174:175], v[142:143] op_sel_hi:[0,1,1] neg_lo:[1,0,0] neg_hi:[1,0,0]
	ds_read2_b64 v[170:173], v161 offset0:10 offset1:11
	v_pk_fma_f32 v[120:121], v[178:179], v[176:177], v[120:121] op_sel_hi:[0,1,1] neg_lo:[1,0,0] neg_hi:[1,0,0]
	ds_read2_b64 v[174:177], v161 offset0:12 offset1:13
	s_waitcnt lgkmcnt(2)
	v_pk_fma_f32 v[140:141], v[178:179], v[166:167], v[140:141] op_sel_hi:[0,1,1] neg_lo:[1,0,0] neg_hi:[1,0,0]
	v_pk_fma_f32 v[118:119], v[178:179], v[168:169], v[118:119] op_sel_hi:[0,1,1] neg_lo:[1,0,0] neg_hi:[1,0,0]
	s_waitcnt lgkmcnt(1)
	v_pk_fma_f32 v[138:139], v[178:179], v[170:171], v[138:139] op_sel_hi:[0,1,1] neg_lo:[1,0,0] neg_hi:[1,0,0]
	ds_read2_b64 v[166:169], v161 offset0:14 offset1:15
	v_pk_fma_f32 v[116:117], v[178:179], v[172:173], v[116:117] op_sel_hi:[0,1,1] neg_lo:[1,0,0] neg_hi:[1,0,0]
	s_waitcnt lgkmcnt(1)
	v_pk_fma_f32 v[136:137], v[178:179], v[174:175], v[136:137] op_sel_hi:[0,1,1] neg_lo:[1,0,0] neg_hi:[1,0,0]
	ds_read2_b64 v[170:173], v161 offset0:16 offset1:17
	v_pk_fma_f32 v[114:115], v[178:179], v[176:177], v[114:115] op_sel_hi:[0,1,1] neg_lo:[1,0,0] neg_hi:[1,0,0]
	ds_read2_b64 v[174:177], v161 offset0:18 offset1:19
	s_waitcnt lgkmcnt(2)
	v_pk_fma_f32 v[134:135], v[178:179], v[166:167], v[134:135] op_sel_hi:[0,1,1] neg_lo:[1,0,0] neg_hi:[1,0,0]
	v_pk_fma_f32 v[112:113], v[178:179], v[168:169], v[112:113] op_sel_hi:[0,1,1] neg_lo:[1,0,0] neg_hi:[1,0,0]
	s_waitcnt lgkmcnt(1)
	v_pk_fma_f32 v[132:133], v[178:179], v[170:171], v[132:133] op_sel_hi:[0,1,1] neg_lo:[1,0,0] neg_hi:[1,0,0]
	v_pk_fma_f32 v[110:111], v[178:179], v[172:173], v[110:111] op_sel_hi:[0,1,1] neg_lo:[1,0,0] neg_hi:[1,0,0]
	ds_read2_b64 v[166:169], v161 offset0:20 offset1:21
	s_waitcnt lgkmcnt(1)
	v_pk_fma_f32 v[130:131], v[178:179], v[174:175], v[130:131] op_sel_hi:[0,1,1] neg_lo:[1,0,0] neg_hi:[1,0,0]
	ds_read2_b64 v[170:173], v161 offset0:22 offset1:23
	v_pk_fma_f32 v[108:109], v[178:179], v[176:177], v[108:109] op_sel_hi:[0,1,1] neg_lo:[1,0,0] neg_hi:[1,0,0]
	ds_read2_b64 v[174:177], v161 offset0:24 offset1:25
	s_waitcnt lgkmcnt(2)
	v_pk_fma_f32 v[128:129], v[178:179], v[166:167], v[128:129] op_sel_hi:[0,1,1] neg_lo:[1,0,0] neg_hi:[1,0,0]
	v_pk_fma_f32 v[106:107], v[178:179], v[168:169], v[106:107] op_sel_hi:[0,1,1] neg_lo:[1,0,0] neg_hi:[1,0,0]
	s_waitcnt lgkmcnt(1)
	v_pk_fma_f32 v[126:127], v[178:179], v[170:171], v[126:127] op_sel_hi:[0,1,1] neg_lo:[1,0,0] neg_hi:[1,0,0]
	v_pk_fma_f32 v[104:105], v[178:179], v[172:173], v[104:105] op_sel_hi:[0,1,1] neg_lo:[1,0,0] neg_hi:[1,0,0]
	;; [unrolled: 3-line block ×3, first 2 shown]
.LBB103_21:
	s_or_b64 exec, exec, s[2:3]
	v_cmp_eq_u32_e32 vcc, 4, v157
	s_waitcnt lgkmcnt(0)
	s_barrier
	s_and_saveexec_b64 s[2:3], vcc
	s_cbranch_execz .LBB103_24
; %bb.22:
	s_waitcnt vmcnt(2)
	v_pk_mov_b32 v[166:167], v[152:153], v[148:149] op_sel:[1,0]
	ds_write_b32 v159, v152
	ds_write2_b32 v161, v166, v167 offset0:5 offset1:6
	v_pk_mov_b32 v[166:167], v[148:149], v[144:145] op_sel:[1,0]
	ds_write2_b32 v161, v166, v167 offset0:7 offset1:8
	v_pk_mov_b32 v[166:167], v[144:145], v[122:123] op_sel:[1,0]
	;; [unrolled: 2-line block ×22, first 2 shown]
	ds_write2_b32 v161, v166, v167 offset0:49 offset1:50
	ds_write_b32 v161, v147 offset:204
	ds_read_b32 v165, v159
	s_waitcnt lgkmcnt(0)
	v_cmp_neq_f32_e32 vcc, 0, v165
	s_and_b64 exec, exec, vcc
	s_cbranch_execz .LBB103_24
; %bb.23:
	v_div_scale_f32 v166, s[4:5], v165, v165, 1.0
	v_rcp_f32_e32 v167, v166
	v_div_scale_f32 v168, vcc, 1.0, v165, 1.0
	v_fma_f32 v169, -v166, v167, 1.0
	v_fmac_f32_e32 v167, v169, v167
	v_mul_f32_e32 v169, v168, v167
	v_fma_f32 v170, -v166, v169, v168
	v_fmac_f32_e32 v169, v170, v167
	v_fma_f32 v166, -v166, v169, v168
	v_div_fmas_f32 v166, v166, v167, v169
	v_div_fixup_f32 v165, v166, v165, 1.0
	ds_write_b32 v159, v165
.LBB103_24:
	s_or_b64 exec, exec, s[2:3]
	s_waitcnt lgkmcnt(0)
	s_barrier
	ds_read_b32 v165, v159
	v_cmp_lt_u32_e32 vcc, 4, v157
	s_and_saveexec_b64 s[2:3], vcc
	s_cbranch_execz .LBB103_26
; %bb.25:
	ds_read_b32 v178, v161 offset:20
	ds_read2_b64 v[166:169], v161 offset0:3 offset1:4
	ds_read2_b64 v[170:173], v161 offset0:5 offset1:6
	;; [unrolled: 1-line block ×3, first 2 shown]
	s_waitcnt vmcnt(5) lgkmcnt(4)
	v_mul_f32_e32 v152, v165, v152
	s_waitcnt vmcnt(4) lgkmcnt(3)
	v_fma_f32 v153, -v152, v178, v153
	s_waitcnt vmcnt(2) lgkmcnt(2)
	v_pk_fma_f32 v[148:149], v[152:153], v[166:167], v[148:149] op_sel_hi:[0,1,1] neg_lo:[1,0,0] neg_hi:[1,0,0]
	v_pk_fma_f32 v[144:145], v[152:153], v[168:169], v[144:145] op_sel_hi:[0,1,1] neg_lo:[1,0,0] neg_hi:[1,0,0]
	s_waitcnt lgkmcnt(1)
	v_pk_fma_f32 v[122:123], v[152:153], v[170:171], v[122:123] op_sel_hi:[0,1,1] neg_lo:[1,0,0] neg_hi:[1,0,0]
	ds_read2_b64 v[166:169], v161 offset0:9 offset1:10
	v_pk_fma_f32 v[142:143], v[152:153], v[172:173], v[142:143] op_sel_hi:[0,1,1] neg_lo:[1,0,0] neg_hi:[1,0,0]
	s_waitcnt lgkmcnt(1)
	v_pk_fma_f32 v[120:121], v[152:153], v[174:175], v[120:121] op_sel_hi:[0,1,1] neg_lo:[1,0,0] neg_hi:[1,0,0]
	ds_read2_b64 v[170:173], v161 offset0:11 offset1:12
	v_pk_fma_f32 v[140:141], v[152:153], v[176:177], v[140:141] op_sel_hi:[0,1,1] neg_lo:[1,0,0] neg_hi:[1,0,0]
	ds_read2_b64 v[174:177], v161 offset0:13 offset1:14
	s_waitcnt lgkmcnt(2)
	v_pk_fma_f32 v[118:119], v[152:153], v[166:167], v[118:119] op_sel_hi:[0,1,1] neg_lo:[1,0,0] neg_hi:[1,0,0]
	v_pk_fma_f32 v[138:139], v[152:153], v[168:169], v[138:139] op_sel_hi:[0,1,1] neg_lo:[1,0,0] neg_hi:[1,0,0]
	s_waitcnt lgkmcnt(1)
	v_pk_fma_f32 v[116:117], v[152:153], v[170:171], v[116:117] op_sel_hi:[0,1,1] neg_lo:[1,0,0] neg_hi:[1,0,0]
	ds_read2_b64 v[166:169], v161 offset0:15 offset1:16
	v_pk_fma_f32 v[136:137], v[152:153], v[172:173], v[136:137] op_sel_hi:[0,1,1] neg_lo:[1,0,0] neg_hi:[1,0,0]
	s_waitcnt lgkmcnt(1)
	v_pk_fma_f32 v[114:115], v[152:153], v[174:175], v[114:115] op_sel_hi:[0,1,1] neg_lo:[1,0,0] neg_hi:[1,0,0]
	ds_read2_b64 v[170:173], v161 offset0:17 offset1:18
	v_pk_fma_f32 v[134:135], v[152:153], v[176:177], v[134:135] op_sel_hi:[0,1,1] neg_lo:[1,0,0] neg_hi:[1,0,0]
	ds_read2_b64 v[174:177], v161 offset0:19 offset1:20
	s_waitcnt lgkmcnt(2)
	v_pk_fma_f32 v[112:113], v[152:153], v[166:167], v[112:113] op_sel_hi:[0,1,1] neg_lo:[1,0,0] neg_hi:[1,0,0]
	v_pk_fma_f32 v[132:133], v[152:153], v[168:169], v[132:133] op_sel_hi:[0,1,1] neg_lo:[1,0,0] neg_hi:[1,0,0]
	s_waitcnt lgkmcnt(1)
	v_pk_fma_f32 v[110:111], v[152:153], v[170:171], v[110:111] op_sel_hi:[0,1,1] neg_lo:[1,0,0] neg_hi:[1,0,0]
	v_pk_fma_f32 v[130:131], v[152:153], v[172:173], v[130:131] op_sel_hi:[0,1,1] neg_lo:[1,0,0] neg_hi:[1,0,0]
	ds_read2_b64 v[166:169], v161 offset0:21 offset1:22
	ds_read2_b64 v[170:173], v161 offset0:23 offset1:24
	s_waitcnt lgkmcnt(2)
	v_pk_fma_f32 v[108:109], v[152:153], v[174:175], v[108:109] op_sel_hi:[0,1,1] neg_lo:[1,0,0] neg_hi:[1,0,0]
	ds_read_b64 v[174:175], v161 offset:200
	v_pk_fma_f32 v[128:129], v[152:153], v[176:177], v[128:129] op_sel_hi:[0,1,1] neg_lo:[1,0,0] neg_hi:[1,0,0]
	s_waitcnt lgkmcnt(2)
	v_pk_fma_f32 v[106:107], v[152:153], v[166:167], v[106:107] op_sel_hi:[0,1,1] neg_lo:[1,0,0] neg_hi:[1,0,0]
	v_pk_fma_f32 v[126:127], v[152:153], v[168:169], v[126:127] op_sel_hi:[0,1,1] neg_lo:[1,0,0] neg_hi:[1,0,0]
	s_waitcnt lgkmcnt(1)
	v_pk_fma_f32 v[104:105], v[152:153], v[170:171], v[104:105] op_sel_hi:[0,1,1] neg_lo:[1,0,0] neg_hi:[1,0,0]
	;; [unrolled: 3-line block ×3, first 2 shown]
.LBB103_26:
	s_or_b64 exec, exec, s[2:3]
	v_cmp_ne_u32_e32 vcc, 5, v157
	s_waitcnt lgkmcnt(0)
	s_barrier
	s_and_saveexec_b64 s[2:3], vcc
	s_xor_b64 s[2:3], exec, s[2:3]
	s_andn2_saveexec_b64 s[2:3], s[2:3]
	s_cbranch_execz .LBB103_30
; %bb.27:
	s_waitcnt vmcnt(4)
	ds_write_b32 v159, v153
	s_waitcnt vmcnt(2)
	ds_write2_b64 v161, v[148:149], v[144:145] offset0:3 offset1:4
	ds_write2_b64 v161, v[122:123], v[142:143] offset0:5 offset1:6
	;; [unrolled: 1-line block ×11, first 2 shown]
	ds_write_b64 v161, v[146:147] offset:200
	ds_read_b32 v166, v159
	s_waitcnt lgkmcnt(0)
	v_cmp_neq_f32_e32 vcc, 0, v166
	s_and_saveexec_b64 s[4:5], vcc
	s_cbranch_execz .LBB103_29
; %bb.28:
	v_div_scale_f32 v167, s[10:11], v166, v166, 1.0
	v_rcp_f32_e32 v168, v167
	v_div_scale_f32 v169, vcc, 1.0, v166, 1.0
	v_fma_f32 v170, -v167, v168, 1.0
	v_fmac_f32_e32 v168, v170, v168
	v_mul_f32_e32 v170, v169, v168
	v_fma_f32 v171, -v167, v170, v169
	v_fmac_f32_e32 v170, v171, v168
	v_fma_f32 v167, -v167, v170, v169
	v_div_fmas_f32 v167, v167, v168, v170
	v_div_fixup_f32 v166, v167, v166, 1.0
	ds_write_b32 v159, v166
.LBB103_29:
	s_or_b64 exec, exec, s[4:5]
.LBB103_30:
	s_or_b64 exec, exec, s[2:3]
	s_waitcnt lgkmcnt(0)
	s_barrier
	ds_read_b32 v166, v159
	v_cmp_lt_u32_e32 vcc, 5, v157
	s_and_saveexec_b64 s[2:3], vcc
	s_cbranch_execz .LBB103_32
; %bb.31:
	ds_read2_b64 v[168:171], v161 offset0:3 offset1:4
	ds_read2_b64 v[172:175], v161 offset0:5 offset1:6
	ds_read2_b64 v[176:179], v161 offset0:7 offset1:8
	s_waitcnt vmcnt(4) lgkmcnt(3)
	v_mul_f32_e32 v180, v166, v153
	v_mov_b32_e32 v153, v180
	s_waitcnt vmcnt(2) lgkmcnt(2)
	v_pk_fma_f32 v[148:149], v[180:181], v[168:169], v[148:149] op_sel_hi:[0,1,1] neg_lo:[1,0,0] neg_hi:[1,0,0]
	v_pk_fma_f32 v[144:145], v[180:181], v[170:171], v[144:145] op_sel_hi:[0,1,1] neg_lo:[1,0,0] neg_hi:[1,0,0]
	s_waitcnt lgkmcnt(1)
	v_pk_fma_f32 v[122:123], v[180:181], v[172:173], v[122:123] op_sel_hi:[0,1,1] neg_lo:[1,0,0] neg_hi:[1,0,0]
	ds_read2_b64 v[168:171], v161 offset0:9 offset1:10
	v_pk_fma_f32 v[142:143], v[180:181], v[174:175], v[142:143] op_sel_hi:[0,1,1] neg_lo:[1,0,0] neg_hi:[1,0,0]
	s_waitcnt lgkmcnt(1)
	v_pk_fma_f32 v[120:121], v[180:181], v[176:177], v[120:121] op_sel_hi:[0,1,1] neg_lo:[1,0,0] neg_hi:[1,0,0]
	ds_read2_b64 v[172:175], v161 offset0:11 offset1:12
	v_pk_fma_f32 v[140:141], v[180:181], v[178:179], v[140:141] op_sel_hi:[0,1,1] neg_lo:[1,0,0] neg_hi:[1,0,0]
	ds_read2_b64 v[176:179], v161 offset0:13 offset1:14
	s_waitcnt lgkmcnt(2)
	v_pk_fma_f32 v[118:119], v[180:181], v[168:169], v[118:119] op_sel_hi:[0,1,1] neg_lo:[1,0,0] neg_hi:[1,0,0]
	v_pk_fma_f32 v[138:139], v[180:181], v[170:171], v[138:139] op_sel_hi:[0,1,1] neg_lo:[1,0,0] neg_hi:[1,0,0]
	s_waitcnt lgkmcnt(1)
	v_pk_fma_f32 v[116:117], v[180:181], v[172:173], v[116:117] op_sel_hi:[0,1,1] neg_lo:[1,0,0] neg_hi:[1,0,0]
	ds_read2_b64 v[168:171], v161 offset0:15 offset1:16
	v_pk_fma_f32 v[136:137], v[180:181], v[174:175], v[136:137] op_sel_hi:[0,1,1] neg_lo:[1,0,0] neg_hi:[1,0,0]
	s_waitcnt lgkmcnt(1)
	v_pk_fma_f32 v[114:115], v[180:181], v[176:177], v[114:115] op_sel_hi:[0,1,1] neg_lo:[1,0,0] neg_hi:[1,0,0]
	ds_read2_b64 v[172:175], v161 offset0:17 offset1:18
	v_pk_fma_f32 v[134:135], v[180:181], v[178:179], v[134:135] op_sel_hi:[0,1,1] neg_lo:[1,0,0] neg_hi:[1,0,0]
	ds_read2_b64 v[176:179], v161 offset0:19 offset1:20
	s_waitcnt lgkmcnt(2)
	v_pk_fma_f32 v[112:113], v[180:181], v[168:169], v[112:113] op_sel_hi:[0,1,1] neg_lo:[1,0,0] neg_hi:[1,0,0]
	v_pk_fma_f32 v[132:133], v[180:181], v[170:171], v[132:133] op_sel_hi:[0,1,1] neg_lo:[1,0,0] neg_hi:[1,0,0]
	s_waitcnt lgkmcnt(1)
	v_pk_fma_f32 v[110:111], v[180:181], v[172:173], v[110:111] op_sel_hi:[0,1,1] neg_lo:[1,0,0] neg_hi:[1,0,0]
	v_pk_fma_f32 v[130:131], v[180:181], v[174:175], v[130:131] op_sel_hi:[0,1,1] neg_lo:[1,0,0] neg_hi:[1,0,0]
	ds_read2_b64 v[168:171], v161 offset0:21 offset1:22
	s_waitcnt lgkmcnt(1)
	v_pk_fma_f32 v[108:109], v[180:181], v[176:177], v[108:109] op_sel_hi:[0,1,1] neg_lo:[1,0,0] neg_hi:[1,0,0]
	ds_read2_b64 v[172:175], v161 offset0:23 offset1:24
	ds_read_b64 v[176:177], v161 offset:200
	v_pk_fma_f32 v[128:129], v[180:181], v[178:179], v[128:129] op_sel_hi:[0,1,1] neg_lo:[1,0,0] neg_hi:[1,0,0]
	s_waitcnt lgkmcnt(2)
	v_pk_fma_f32 v[106:107], v[180:181], v[168:169], v[106:107] op_sel_hi:[0,1,1] neg_lo:[1,0,0] neg_hi:[1,0,0]
	v_pk_fma_f32 v[126:127], v[180:181], v[170:171], v[126:127] op_sel_hi:[0,1,1] neg_lo:[1,0,0] neg_hi:[1,0,0]
	s_waitcnt lgkmcnt(1)
	v_pk_fma_f32 v[104:105], v[180:181], v[172:173], v[104:105] op_sel_hi:[0,1,1] neg_lo:[1,0,0] neg_hi:[1,0,0]
	v_pk_fma_f32 v[124:125], v[180:181], v[174:175], v[124:125] op_sel_hi:[0,1,1] neg_lo:[1,0,0] neg_hi:[1,0,0]
	s_waitcnt lgkmcnt(0)
	v_pk_fma_f32 v[146:147], v[180:181], v[176:177], v[146:147] op_sel_hi:[0,1,1] neg_lo:[1,0,0] neg_hi:[1,0,0]
.LBB103_32:
	s_or_b64 exec, exec, s[2:3]
	v_cmp_eq_u32_e32 vcc, 6, v157
	s_waitcnt lgkmcnt(0)
	s_barrier
	s_and_saveexec_b64 s[2:3], vcc
	s_cbranch_execz .LBB103_35
; %bb.33:
	s_waitcnt vmcnt(2)
	v_pk_mov_b32 v[168:169], v[148:149], v[144:145] op_sel:[1,0]
	ds_write_b32 v159, v148
	ds_write2_b32 v161, v168, v169 offset0:7 offset1:8
	v_pk_mov_b32 v[168:169], v[144:145], v[122:123] op_sel:[1,0]
	ds_write2_b32 v161, v168, v169 offset0:9 offset1:10
	v_pk_mov_b32 v[168:169], v[122:123], v[142:143] op_sel:[1,0]
	;; [unrolled: 2-line block ×21, first 2 shown]
	ds_write2_b32 v161, v168, v169 offset0:49 offset1:50
	ds_write_b32 v161, v147 offset:204
	ds_read_b32 v167, v159
	s_waitcnt lgkmcnt(0)
	v_cmp_neq_f32_e32 vcc, 0, v167
	s_and_b64 exec, exec, vcc
	s_cbranch_execz .LBB103_35
; %bb.34:
	v_div_scale_f32 v168, s[4:5], v167, v167, 1.0
	v_rcp_f32_e32 v169, v168
	v_div_scale_f32 v170, vcc, 1.0, v167, 1.0
	v_fma_f32 v171, -v168, v169, 1.0
	v_fmac_f32_e32 v169, v171, v169
	v_mul_f32_e32 v171, v170, v169
	v_fma_f32 v172, -v168, v171, v170
	v_fmac_f32_e32 v171, v172, v169
	v_fma_f32 v168, -v168, v171, v170
	v_div_fmas_f32 v168, v168, v169, v171
	v_div_fixup_f32 v167, v168, v167, 1.0
	ds_write_b32 v159, v167
.LBB103_35:
	s_or_b64 exec, exec, s[2:3]
	s_waitcnt lgkmcnt(0)
	s_barrier
	ds_read_b32 v167, v159
	v_cmp_lt_u32_e32 vcc, 6, v157
	s_and_saveexec_b64 s[2:3], vcc
	s_cbranch_execz .LBB103_37
; %bb.36:
	ds_read_b32 v180, v161 offset:28
	ds_read2_b64 v[168:171], v161 offset0:4 offset1:5
	ds_read2_b64 v[172:175], v161 offset0:6 offset1:7
	;; [unrolled: 1-line block ×3, first 2 shown]
	s_waitcnt vmcnt(3) lgkmcnt(4)
	v_mul_f32_e32 v148, v167, v148
	s_waitcnt vmcnt(2) lgkmcnt(3)
	v_fma_f32 v149, -v148, v180, v149
	s_waitcnt lgkmcnt(2)
	v_pk_fma_f32 v[144:145], v[148:149], v[168:169], v[144:145] op_sel_hi:[0,1,1] neg_lo:[1,0,0] neg_hi:[1,0,0]
	v_pk_fma_f32 v[122:123], v[148:149], v[170:171], v[122:123] op_sel_hi:[0,1,1] neg_lo:[1,0,0] neg_hi:[1,0,0]
	s_waitcnt lgkmcnt(1)
	v_pk_fma_f32 v[142:143], v[148:149], v[172:173], v[142:143] op_sel_hi:[0,1,1] neg_lo:[1,0,0] neg_hi:[1,0,0]
	ds_read2_b64 v[168:171], v161 offset0:10 offset1:11
	v_pk_fma_f32 v[120:121], v[148:149], v[174:175], v[120:121] op_sel_hi:[0,1,1] neg_lo:[1,0,0] neg_hi:[1,0,0]
	ds_read2_b64 v[172:175], v161 offset0:12 offset1:13
	s_waitcnt lgkmcnt(2)
	v_pk_fma_f32 v[140:141], v[148:149], v[176:177], v[140:141] op_sel_hi:[0,1,1] neg_lo:[1,0,0] neg_hi:[1,0,0]
	v_pk_fma_f32 v[118:119], v[148:149], v[178:179], v[118:119] op_sel_hi:[0,1,1] neg_lo:[1,0,0] neg_hi:[1,0,0]
	s_waitcnt lgkmcnt(1)
	v_pk_fma_f32 v[138:139], v[148:149], v[168:169], v[138:139] op_sel_hi:[0,1,1] neg_lo:[1,0,0] neg_hi:[1,0,0]
	ds_read2_b64 v[176:179], v161 offset0:14 offset1:15
	v_pk_fma_f32 v[116:117], v[148:149], v[170:171], v[116:117] op_sel_hi:[0,1,1] neg_lo:[1,0,0] neg_hi:[1,0,0]
	s_waitcnt lgkmcnt(1)
	v_pk_fma_f32 v[136:137], v[148:149], v[172:173], v[136:137] op_sel_hi:[0,1,1] neg_lo:[1,0,0] neg_hi:[1,0,0]
	ds_read2_b64 v[168:171], v161 offset0:16 offset1:17
	v_pk_fma_f32 v[114:115], v[148:149], v[174:175], v[114:115] op_sel_hi:[0,1,1] neg_lo:[1,0,0] neg_hi:[1,0,0]
	ds_read2_b64 v[172:175], v161 offset0:18 offset1:19
	s_waitcnt lgkmcnt(2)
	v_pk_fma_f32 v[134:135], v[148:149], v[176:177], v[134:135] op_sel_hi:[0,1,1] neg_lo:[1,0,0] neg_hi:[1,0,0]
	v_pk_fma_f32 v[112:113], v[148:149], v[178:179], v[112:113] op_sel_hi:[0,1,1] neg_lo:[1,0,0] neg_hi:[1,0,0]
	s_waitcnt lgkmcnt(1)
	v_pk_fma_f32 v[132:133], v[148:149], v[168:169], v[132:133] op_sel_hi:[0,1,1] neg_lo:[1,0,0] neg_hi:[1,0,0]
	v_pk_fma_f32 v[110:111], v[148:149], v[170:171], v[110:111] op_sel_hi:[0,1,1] neg_lo:[1,0,0] neg_hi:[1,0,0]
	ds_read2_b64 v[168:171], v161 offset0:20 offset1:21
	s_waitcnt lgkmcnt(1)
	v_pk_fma_f32 v[130:131], v[148:149], v[172:173], v[130:131] op_sel_hi:[0,1,1] neg_lo:[1,0,0] neg_hi:[1,0,0]
	ds_read2_b64 v[176:179], v161 offset0:22 offset1:23
	v_pk_fma_f32 v[108:109], v[148:149], v[174:175], v[108:109] op_sel_hi:[0,1,1] neg_lo:[1,0,0] neg_hi:[1,0,0]
	ds_read2_b64 v[172:175], v161 offset0:24 offset1:25
	s_waitcnt lgkmcnt(2)
	v_pk_fma_f32 v[128:129], v[148:149], v[168:169], v[128:129] op_sel_hi:[0,1,1] neg_lo:[1,0,0] neg_hi:[1,0,0]
	v_pk_fma_f32 v[106:107], v[148:149], v[170:171], v[106:107] op_sel_hi:[0,1,1] neg_lo:[1,0,0] neg_hi:[1,0,0]
	s_waitcnt lgkmcnt(1)
	v_pk_fma_f32 v[126:127], v[148:149], v[176:177], v[126:127] op_sel_hi:[0,1,1] neg_lo:[1,0,0] neg_hi:[1,0,0]
	v_pk_fma_f32 v[104:105], v[148:149], v[178:179], v[104:105] op_sel_hi:[0,1,1] neg_lo:[1,0,0] neg_hi:[1,0,0]
	;; [unrolled: 3-line block ×3, first 2 shown]
.LBB103_37:
	s_or_b64 exec, exec, s[2:3]
	v_cmp_ne_u32_e32 vcc, 7, v157
	s_waitcnt lgkmcnt(0)
	s_barrier
	s_and_saveexec_b64 s[2:3], vcc
	s_xor_b64 s[2:3], exec, s[2:3]
	s_andn2_saveexec_b64 s[2:3], s[2:3]
	s_cbranch_execz .LBB103_41
; %bb.38:
	s_waitcnt vmcnt(51)
	v_mov_b32_e32 v168, v144
	s_waitcnt vmcnt(50)
	v_mov_b32_e32 v169, v145
	;; [unrolled: 2-line block ×4, first 2 shown]
	s_waitcnt vmcnt(2)
	ds_write_b32 v159, v149
	ds_write2_b64 v161, v[168:169], v[170:171] offset0:4 offset1:5
	v_mov_b32_e32 v168, v142
	v_mov_b32_e32 v169, v143
	v_mov_b32_e32 v170, v120
	v_mov_b32_e32 v171, v121
	ds_write2_b64 v161, v[168:169], v[170:171] offset0:6 offset1:7
	v_mov_b32_e32 v168, v140
	v_mov_b32_e32 v169, v141
	v_mov_b32_e32 v170, v118
	v_mov_b32_e32 v171, v119
	;; [unrolled: 5-line block ×9, first 2 shown]
	ds_write2_b64 v161, v[168:169], v[170:171] offset0:22 offset1:23
	v_mov_b32_e32 v168, v124
	v_mov_b32_e32 v169, v125
	ds_write2_b64 v161, v[168:169], v[146:147] offset0:24 offset1:25
	ds_read_b32 v168, v159
	s_waitcnt lgkmcnt(0)
	v_cmp_neq_f32_e32 vcc, 0, v168
	s_and_saveexec_b64 s[4:5], vcc
	s_cbranch_execz .LBB103_40
; %bb.39:
	v_div_scale_f32 v169, s[10:11], v168, v168, 1.0
	v_rcp_f32_e32 v170, v169
	v_div_scale_f32 v171, vcc, 1.0, v168, 1.0
	v_fma_f32 v172, -v169, v170, 1.0
	v_fmac_f32_e32 v170, v172, v170
	v_mul_f32_e32 v172, v171, v170
	v_fma_f32 v173, -v169, v172, v171
	v_fmac_f32_e32 v172, v173, v170
	v_fma_f32 v169, -v169, v172, v171
	v_div_fmas_f32 v169, v169, v170, v172
	v_div_fixup_f32 v168, v169, v168, 1.0
	ds_write_b32 v159, v168
.LBB103_40:
	s_or_b64 exec, exec, s[4:5]
.LBB103_41:
	s_or_b64 exec, exec, s[2:3]
	s_waitcnt lgkmcnt(0)
	s_barrier
	ds_read_b32 v168, v159
	v_cmp_lt_u32_e32 vcc, 7, v157
	s_and_saveexec_b64 s[2:3], vcc
	s_cbranch_execz .LBB103_43
; %bb.42:
	ds_read2_b64 v[170:173], v161 offset0:4 offset1:5
	ds_read2_b64 v[174:177], v161 offset0:6 offset1:7
	s_waitcnt vmcnt(2) lgkmcnt(2)
	v_mul_f32_e32 v182, v168, v149
	ds_read2_b64 v[178:181], v161 offset0:8 offset1:9
	v_mov_b32_e32 v149, v182
	s_waitcnt lgkmcnt(2)
	v_pk_fma_f32 v[144:145], v[182:183], v[170:171], v[144:145] op_sel_hi:[0,1,1] neg_lo:[1,0,0] neg_hi:[1,0,0]
	v_pk_fma_f32 v[122:123], v[182:183], v[172:173], v[122:123] op_sel_hi:[0,1,1] neg_lo:[1,0,0] neg_hi:[1,0,0]
	s_waitcnt lgkmcnt(1)
	v_pk_fma_f32 v[142:143], v[182:183], v[174:175], v[142:143] op_sel_hi:[0,1,1] neg_lo:[1,0,0] neg_hi:[1,0,0]
	ds_read2_b64 v[170:173], v161 offset0:10 offset1:11
	v_pk_fma_f32 v[120:121], v[182:183], v[176:177], v[120:121] op_sel_hi:[0,1,1] neg_lo:[1,0,0] neg_hi:[1,0,0]
	ds_read2_b64 v[174:177], v161 offset0:12 offset1:13
	s_waitcnt lgkmcnt(2)
	v_pk_fma_f32 v[140:141], v[182:183], v[178:179], v[140:141] op_sel_hi:[0,1,1] neg_lo:[1,0,0] neg_hi:[1,0,0]
	v_pk_fma_f32 v[118:119], v[182:183], v[180:181], v[118:119] op_sel_hi:[0,1,1] neg_lo:[1,0,0] neg_hi:[1,0,0]
	s_waitcnt lgkmcnt(1)
	v_pk_fma_f32 v[138:139], v[182:183], v[170:171], v[138:139] op_sel_hi:[0,1,1] neg_lo:[1,0,0] neg_hi:[1,0,0]
	ds_read2_b64 v[178:181], v161 offset0:14 offset1:15
	v_pk_fma_f32 v[116:117], v[182:183], v[172:173], v[116:117] op_sel_hi:[0,1,1] neg_lo:[1,0,0] neg_hi:[1,0,0]
	s_waitcnt lgkmcnt(1)
	v_pk_fma_f32 v[136:137], v[182:183], v[174:175], v[136:137] op_sel_hi:[0,1,1] neg_lo:[1,0,0] neg_hi:[1,0,0]
	ds_read2_b64 v[170:173], v161 offset0:16 offset1:17
	v_pk_fma_f32 v[114:115], v[182:183], v[176:177], v[114:115] op_sel_hi:[0,1,1] neg_lo:[1,0,0] neg_hi:[1,0,0]
	ds_read2_b64 v[174:177], v161 offset0:18 offset1:19
	s_waitcnt lgkmcnt(2)
	v_pk_fma_f32 v[134:135], v[182:183], v[178:179], v[134:135] op_sel_hi:[0,1,1] neg_lo:[1,0,0] neg_hi:[1,0,0]
	v_pk_fma_f32 v[112:113], v[182:183], v[180:181], v[112:113] op_sel_hi:[0,1,1] neg_lo:[1,0,0] neg_hi:[1,0,0]
	s_waitcnt lgkmcnt(1)
	v_pk_fma_f32 v[132:133], v[182:183], v[170:171], v[132:133] op_sel_hi:[0,1,1] neg_lo:[1,0,0] neg_hi:[1,0,0]
	v_pk_fma_f32 v[110:111], v[182:183], v[172:173], v[110:111] op_sel_hi:[0,1,1] neg_lo:[1,0,0] neg_hi:[1,0,0]
	ds_read2_b64 v[170:173], v161 offset0:20 offset1:21
	ds_read2_b64 v[178:181], v161 offset0:22 offset1:23
	s_waitcnt lgkmcnt(2)
	v_pk_fma_f32 v[130:131], v[182:183], v[174:175], v[130:131] op_sel_hi:[0,1,1] neg_lo:[1,0,0] neg_hi:[1,0,0]
	v_pk_fma_f32 v[108:109], v[182:183], v[176:177], v[108:109] op_sel_hi:[0,1,1] neg_lo:[1,0,0] neg_hi:[1,0,0]
	ds_read2_b64 v[174:177], v161 offset0:24 offset1:25
	s_waitcnt lgkmcnt(2)
	v_pk_fma_f32 v[128:129], v[182:183], v[170:171], v[128:129] op_sel_hi:[0,1,1] neg_lo:[1,0,0] neg_hi:[1,0,0]
	v_pk_fma_f32 v[106:107], v[182:183], v[172:173], v[106:107] op_sel_hi:[0,1,1] neg_lo:[1,0,0] neg_hi:[1,0,0]
	s_waitcnt lgkmcnt(1)
	v_pk_fma_f32 v[126:127], v[182:183], v[178:179], v[126:127] op_sel_hi:[0,1,1] neg_lo:[1,0,0] neg_hi:[1,0,0]
	v_pk_fma_f32 v[104:105], v[182:183], v[180:181], v[104:105] op_sel_hi:[0,1,1] neg_lo:[1,0,0] neg_hi:[1,0,0]
	;; [unrolled: 3-line block ×3, first 2 shown]
.LBB103_43:
	s_or_b64 exec, exec, s[2:3]
	v_cmp_eq_u32_e32 vcc, 8, v157
	s_waitcnt lgkmcnt(0)
	s_barrier
	s_and_saveexec_b64 s[2:3], vcc
	s_cbranch_execz .LBB103_46
; %bb.44:
	s_waitcnt vmcnt(48)
	v_pk_mov_b32 v[170:171], v[144:145], v[122:123] op_sel:[1,0]
	ds_write_b32 v159, v144
	ds_write2_b32 v161, v170, v171 offset0:9 offset1:10
	s_waitcnt vmcnt(46)
	v_pk_mov_b32 v[170:171], v[122:123], v[142:143] op_sel:[1,0]
	ds_write2_b32 v161, v170, v171 offset0:11 offset1:12
	s_waitcnt vmcnt(44)
	v_pk_mov_b32 v[170:171], v[142:143], v[120:121] op_sel:[1,0]
	;; [unrolled: 3-line block ×20, first 2 shown]
	ds_write2_b32 v161, v170, v171 offset0:49 offset1:50
	ds_write_b32 v161, v147 offset:204
	ds_read_b32 v169, v159
	s_waitcnt lgkmcnt(0)
	v_cmp_neq_f32_e32 vcc, 0, v169
	s_and_b64 exec, exec, vcc
	s_cbranch_execz .LBB103_46
; %bb.45:
	v_div_scale_f32 v170, s[4:5], v169, v169, 1.0
	v_rcp_f32_e32 v171, v170
	v_div_scale_f32 v172, vcc, 1.0, v169, 1.0
	v_fma_f32 v173, -v170, v171, 1.0
	v_fmac_f32_e32 v171, v173, v171
	v_mul_f32_e32 v173, v172, v171
	v_fma_f32 v174, -v170, v173, v172
	v_fmac_f32_e32 v173, v174, v171
	v_fma_f32 v170, -v170, v173, v172
	v_div_fmas_f32 v170, v170, v171, v173
	v_div_fixup_f32 v169, v170, v169, 1.0
	ds_write_b32 v159, v169
.LBB103_46:
	s_or_b64 exec, exec, s[2:3]
	s_waitcnt lgkmcnt(0)
	s_barrier
	ds_read_b32 v169, v159
	v_cmp_lt_u32_e32 vcc, 8, v157
	s_and_saveexec_b64 s[2:3], vcc
	s_cbranch_execz .LBB103_48
; %bb.47:
	ds_read_b32 v182, v161 offset:36
	ds_read2_b64 v[170:173], v161 offset0:5 offset1:6
	ds_read2_b64 v[174:177], v161 offset0:7 offset1:8
	;; [unrolled: 1-line block ×3, first 2 shown]
	s_waitcnt vmcnt(51) lgkmcnt(4)
	v_mul_f32_e32 v144, v169, v144
	s_waitcnt vmcnt(50) lgkmcnt(3)
	v_fma_f32 v145, -v144, v182, v145
	s_waitcnt vmcnt(48) lgkmcnt(2)
	v_pk_fma_f32 v[122:123], v[144:145], v[170:171], v[122:123] op_sel_hi:[0,1,1] neg_lo:[1,0,0] neg_hi:[1,0,0]
	s_waitcnt vmcnt(46)
	v_pk_fma_f32 v[142:143], v[144:145], v[172:173], v[142:143] op_sel_hi:[0,1,1] neg_lo:[1,0,0] neg_hi:[1,0,0]
	s_waitcnt vmcnt(44) lgkmcnt(1)
	v_pk_fma_f32 v[120:121], v[144:145], v[174:175], v[120:121] op_sel_hi:[0,1,1] neg_lo:[1,0,0] neg_hi:[1,0,0]
	ds_read2_b64 v[170:173], v161 offset0:11 offset1:12
	s_waitcnt vmcnt(42)
	v_pk_fma_f32 v[140:141], v[144:145], v[176:177], v[140:141] op_sel_hi:[0,1,1] neg_lo:[1,0,0] neg_hi:[1,0,0]
	ds_read2_b64 v[174:177], v161 offset0:13 offset1:14
	s_waitcnt vmcnt(40) lgkmcnt(2)
	v_pk_fma_f32 v[118:119], v[144:145], v[178:179], v[118:119] op_sel_hi:[0,1,1] neg_lo:[1,0,0] neg_hi:[1,0,0]
	s_waitcnt vmcnt(38)
	v_pk_fma_f32 v[138:139], v[144:145], v[180:181], v[138:139] op_sel_hi:[0,1,1] neg_lo:[1,0,0] neg_hi:[1,0,0]
	s_waitcnt vmcnt(36) lgkmcnt(1)
	v_pk_fma_f32 v[116:117], v[144:145], v[170:171], v[116:117] op_sel_hi:[0,1,1] neg_lo:[1,0,0] neg_hi:[1,0,0]
	ds_read2_b64 v[178:181], v161 offset0:15 offset1:16
	s_waitcnt vmcnt(34)
	v_pk_fma_f32 v[136:137], v[144:145], v[172:173], v[136:137] op_sel_hi:[0,1,1] neg_lo:[1,0,0] neg_hi:[1,0,0]
	s_waitcnt vmcnt(32) lgkmcnt(1)
	v_pk_fma_f32 v[114:115], v[144:145], v[174:175], v[114:115] op_sel_hi:[0,1,1] neg_lo:[1,0,0] neg_hi:[1,0,0]
	ds_read2_b64 v[170:173], v161 offset0:17 offset1:18
	s_waitcnt vmcnt(30)
	v_pk_fma_f32 v[134:135], v[144:145], v[176:177], v[134:135] op_sel_hi:[0,1,1] neg_lo:[1,0,0] neg_hi:[1,0,0]
	ds_read2_b64 v[174:177], v161 offset0:19 offset1:20
	s_waitcnt vmcnt(28) lgkmcnt(2)
	v_pk_fma_f32 v[112:113], v[144:145], v[178:179], v[112:113] op_sel_hi:[0,1,1] neg_lo:[1,0,0] neg_hi:[1,0,0]
	s_waitcnt vmcnt(26)
	v_pk_fma_f32 v[132:133], v[144:145], v[180:181], v[132:133] op_sel_hi:[0,1,1] neg_lo:[1,0,0] neg_hi:[1,0,0]
	s_waitcnt vmcnt(24) lgkmcnt(1)
	v_pk_fma_f32 v[110:111], v[144:145], v[170:171], v[110:111] op_sel_hi:[0,1,1] neg_lo:[1,0,0] neg_hi:[1,0,0]
	s_waitcnt vmcnt(22)
	v_pk_fma_f32 v[130:131], v[144:145], v[172:173], v[130:131] op_sel_hi:[0,1,1] neg_lo:[1,0,0] neg_hi:[1,0,0]
	ds_read2_b64 v[170:173], v161 offset0:21 offset1:22
	s_waitcnt vmcnt(20) lgkmcnt(1)
	v_pk_fma_f32 v[108:109], v[144:145], v[174:175], v[108:109] op_sel_hi:[0,1,1] neg_lo:[1,0,0] neg_hi:[1,0,0]
	ds_read2_b64 v[178:181], v161 offset0:23 offset1:24
	ds_read_b64 v[174:175], v161 offset:200
	s_waitcnt vmcnt(18)
	v_pk_fma_f32 v[128:129], v[144:145], v[176:177], v[128:129] op_sel_hi:[0,1,1] neg_lo:[1,0,0] neg_hi:[1,0,0]
	s_waitcnt vmcnt(16) lgkmcnt(2)
	v_pk_fma_f32 v[106:107], v[144:145], v[170:171], v[106:107] op_sel_hi:[0,1,1] neg_lo:[1,0,0] neg_hi:[1,0,0]
	s_waitcnt vmcnt(14)
	v_pk_fma_f32 v[126:127], v[144:145], v[172:173], v[126:127] op_sel_hi:[0,1,1] neg_lo:[1,0,0] neg_hi:[1,0,0]
	s_waitcnt vmcnt(12) lgkmcnt(1)
	v_pk_fma_f32 v[104:105], v[144:145], v[178:179], v[104:105] op_sel_hi:[0,1,1] neg_lo:[1,0,0] neg_hi:[1,0,0]
	;; [unrolled: 4-line block ×3, first 2 shown]
.LBB103_48:
	s_or_b64 exec, exec, s[2:3]
	v_cmp_ne_u32_e32 vcc, 9, v157
	s_waitcnt lgkmcnt(0)
	s_barrier
	s_and_saveexec_b64 s[2:3], vcc
	s_xor_b64 s[2:3], exec, s[2:3]
	s_andn2_saveexec_b64 s[2:3], s[2:3]
	s_cbranch_execz .LBB103_52
; %bb.49:
	s_waitcnt vmcnt(50)
	ds_write_b32 v159, v145
	s_waitcnt vmcnt(46)
	ds_write2_b64 v161, v[122:123], v[142:143] offset0:5 offset1:6
	s_waitcnt vmcnt(42)
	ds_write2_b64 v161, v[120:121], v[140:141] offset0:7 offset1:8
	;; [unrolled: 2-line block ×10, first 2 shown]
	s_waitcnt vmcnt(8)
	ds_write_b64 v161, v[146:147] offset:200
	ds_read_b32 v170, v159
	s_waitcnt lgkmcnt(0)
	v_cmp_neq_f32_e32 vcc, 0, v170
	s_and_saveexec_b64 s[4:5], vcc
	s_cbranch_execz .LBB103_51
; %bb.50:
	v_div_scale_f32 v171, s[10:11], v170, v170, 1.0
	v_rcp_f32_e32 v172, v171
	v_div_scale_f32 v173, vcc, 1.0, v170, 1.0
	v_fma_f32 v174, -v171, v172, 1.0
	v_fmac_f32_e32 v172, v174, v172
	v_mul_f32_e32 v174, v173, v172
	v_fma_f32 v175, -v171, v174, v173
	v_fmac_f32_e32 v174, v175, v172
	v_fma_f32 v171, -v171, v174, v173
	v_div_fmas_f32 v171, v171, v172, v174
	v_div_fixup_f32 v170, v171, v170, 1.0
	ds_write_b32 v159, v170
.LBB103_51:
	s_or_b64 exec, exec, s[4:5]
.LBB103_52:
	s_or_b64 exec, exec, s[2:3]
	s_waitcnt lgkmcnt(0)
	s_barrier
	ds_read_b32 v170, v159
	v_cmp_lt_u32_e32 vcc, 9, v157
	s_and_saveexec_b64 s[2:3], vcc
	s_cbranch_execz .LBB103_54
; %bb.53:
	ds_read2_b64 v[172:175], v161 offset0:5 offset1:6
	ds_read2_b64 v[176:179], v161 offset0:7 offset1:8
	s_waitcnt vmcnt(50) lgkmcnt(2)
	v_mul_f32_e32 v184, v170, v145
	ds_read2_b64 v[180:183], v161 offset0:9 offset1:10
	v_mov_b32_e32 v145, v184
	s_waitcnt vmcnt(48) lgkmcnt(2)
	v_pk_fma_f32 v[122:123], v[184:185], v[172:173], v[122:123] op_sel_hi:[0,1,1] neg_lo:[1,0,0] neg_hi:[1,0,0]
	s_waitcnt vmcnt(46)
	v_pk_fma_f32 v[142:143], v[184:185], v[174:175], v[142:143] op_sel_hi:[0,1,1] neg_lo:[1,0,0] neg_hi:[1,0,0]
	s_waitcnt vmcnt(44) lgkmcnt(1)
	v_pk_fma_f32 v[120:121], v[184:185], v[176:177], v[120:121] op_sel_hi:[0,1,1] neg_lo:[1,0,0] neg_hi:[1,0,0]
	ds_read2_b64 v[172:175], v161 offset0:11 offset1:12
	s_waitcnt vmcnt(42)
	v_pk_fma_f32 v[140:141], v[184:185], v[178:179], v[140:141] op_sel_hi:[0,1,1] neg_lo:[1,0,0] neg_hi:[1,0,0]
	ds_read2_b64 v[176:179], v161 offset0:13 offset1:14
	s_waitcnt vmcnt(40) lgkmcnt(2)
	v_pk_fma_f32 v[118:119], v[184:185], v[180:181], v[118:119] op_sel_hi:[0,1,1] neg_lo:[1,0,0] neg_hi:[1,0,0]
	s_waitcnt vmcnt(38)
	v_pk_fma_f32 v[138:139], v[184:185], v[182:183], v[138:139] op_sel_hi:[0,1,1] neg_lo:[1,0,0] neg_hi:[1,0,0]
	s_waitcnt vmcnt(36) lgkmcnt(1)
	v_pk_fma_f32 v[116:117], v[184:185], v[172:173], v[116:117] op_sel_hi:[0,1,1] neg_lo:[1,0,0] neg_hi:[1,0,0]
	ds_read2_b64 v[180:183], v161 offset0:15 offset1:16
	s_waitcnt vmcnt(34)
	v_pk_fma_f32 v[136:137], v[184:185], v[174:175], v[136:137] op_sel_hi:[0,1,1] neg_lo:[1,0,0] neg_hi:[1,0,0]
	s_waitcnt vmcnt(32) lgkmcnt(1)
	v_pk_fma_f32 v[114:115], v[184:185], v[176:177], v[114:115] op_sel_hi:[0,1,1] neg_lo:[1,0,0] neg_hi:[1,0,0]
	ds_read2_b64 v[172:175], v161 offset0:17 offset1:18
	s_waitcnt vmcnt(30)
	v_pk_fma_f32 v[134:135], v[184:185], v[178:179], v[134:135] op_sel_hi:[0,1,1] neg_lo:[1,0,0] neg_hi:[1,0,0]
	ds_read2_b64 v[176:179], v161 offset0:19 offset1:20
	s_waitcnt vmcnt(28) lgkmcnt(2)
	v_pk_fma_f32 v[112:113], v[184:185], v[180:181], v[112:113] op_sel_hi:[0,1,1] neg_lo:[1,0,0] neg_hi:[1,0,0]
	s_waitcnt vmcnt(26)
	v_pk_fma_f32 v[132:133], v[184:185], v[182:183], v[132:133] op_sel_hi:[0,1,1] neg_lo:[1,0,0] neg_hi:[1,0,0]
	s_waitcnt vmcnt(24) lgkmcnt(1)
	v_pk_fma_f32 v[110:111], v[184:185], v[172:173], v[110:111] op_sel_hi:[0,1,1] neg_lo:[1,0,0] neg_hi:[1,0,0]
	s_waitcnt vmcnt(22)
	v_pk_fma_f32 v[130:131], v[184:185], v[174:175], v[130:131] op_sel_hi:[0,1,1] neg_lo:[1,0,0] neg_hi:[1,0,0]
	ds_read2_b64 v[172:175], v161 offset0:21 offset1:22
	ds_read2_b64 v[180:183], v161 offset0:23 offset1:24
	s_waitcnt vmcnt(20) lgkmcnt(2)
	v_pk_fma_f32 v[108:109], v[184:185], v[176:177], v[108:109] op_sel_hi:[0,1,1] neg_lo:[1,0,0] neg_hi:[1,0,0]
	ds_read_b64 v[176:177], v161 offset:200
	s_waitcnt vmcnt(18)
	v_pk_fma_f32 v[128:129], v[184:185], v[178:179], v[128:129] op_sel_hi:[0,1,1] neg_lo:[1,0,0] neg_hi:[1,0,0]
	s_waitcnt vmcnt(16) lgkmcnt(2)
	v_pk_fma_f32 v[106:107], v[184:185], v[172:173], v[106:107] op_sel_hi:[0,1,1] neg_lo:[1,0,0] neg_hi:[1,0,0]
	s_waitcnt vmcnt(14)
	v_pk_fma_f32 v[126:127], v[184:185], v[174:175], v[126:127] op_sel_hi:[0,1,1] neg_lo:[1,0,0] neg_hi:[1,0,0]
	s_waitcnt vmcnt(12) lgkmcnt(1)
	v_pk_fma_f32 v[104:105], v[184:185], v[180:181], v[104:105] op_sel_hi:[0,1,1] neg_lo:[1,0,0] neg_hi:[1,0,0]
	;; [unrolled: 4-line block ×3, first 2 shown]
.LBB103_54:
	s_or_b64 exec, exec, s[2:3]
	v_cmp_eq_u32_e32 vcc, 10, v157
	s_waitcnt lgkmcnt(0)
	s_barrier
	s_and_saveexec_b64 s[2:3], vcc
	s_cbranch_execz .LBB103_57
; %bb.55:
	s_waitcnt vmcnt(46)
	v_pk_mov_b32 v[172:173], v[122:123], v[142:143] op_sel:[1,0]
	ds_write_b32 v159, v122
	ds_write2_b32 v161, v172, v173 offset0:11 offset1:12
	s_waitcnt vmcnt(44)
	v_pk_mov_b32 v[172:173], v[142:143], v[120:121] op_sel:[1,0]
	ds_write2_b32 v161, v172, v173 offset0:13 offset1:14
	s_waitcnt vmcnt(42)
	v_pk_mov_b32 v[172:173], v[120:121], v[140:141] op_sel:[1,0]
	;; [unrolled: 3-line block ×19, first 2 shown]
	ds_write2_b32 v161, v172, v173 offset0:49 offset1:50
	ds_write_b32 v161, v147 offset:204
	ds_read_b32 v171, v159
	s_waitcnt lgkmcnt(0)
	v_cmp_neq_f32_e32 vcc, 0, v171
	s_and_b64 exec, exec, vcc
	s_cbranch_execz .LBB103_57
; %bb.56:
	v_div_scale_f32 v172, s[4:5], v171, v171, 1.0
	v_rcp_f32_e32 v173, v172
	v_div_scale_f32 v174, vcc, 1.0, v171, 1.0
	v_fma_f32 v175, -v172, v173, 1.0
	v_fmac_f32_e32 v173, v175, v173
	v_mul_f32_e32 v175, v174, v173
	v_fma_f32 v176, -v172, v175, v174
	v_fmac_f32_e32 v175, v176, v173
	v_fma_f32 v172, -v172, v175, v174
	v_div_fmas_f32 v172, v172, v173, v175
	v_div_fixup_f32 v171, v172, v171, 1.0
	ds_write_b32 v159, v171
.LBB103_57:
	s_or_b64 exec, exec, s[2:3]
	s_waitcnt lgkmcnt(0)
	s_barrier
	ds_read_b32 v171, v159
	v_cmp_lt_u32_e32 vcc, 10, v157
	s_and_saveexec_b64 s[2:3], vcc
	s_cbranch_execz .LBB103_59
; %bb.58:
	ds_read_b32 v184, v161 offset:44
	ds_read2_b64 v[172:175], v161 offset0:6 offset1:7
	s_waitcnt vmcnt(49) lgkmcnt(2)
	v_mul_f32_e32 v122, v171, v122
	ds_read2_b64 v[176:179], v161 offset0:8 offset1:9
	ds_read2_b64 v[180:183], v161 offset0:10 offset1:11
	s_waitcnt vmcnt(48) lgkmcnt(3)
	v_fma_f32 v123, -v122, v184, v123
	s_waitcnt vmcnt(46) lgkmcnt(2)
	v_pk_fma_f32 v[142:143], v[122:123], v[172:173], v[142:143] op_sel_hi:[0,1,1] neg_lo:[1,0,0] neg_hi:[1,0,0]
	s_waitcnt vmcnt(44)
	v_pk_fma_f32 v[120:121], v[122:123], v[174:175], v[120:121] op_sel_hi:[0,1,1] neg_lo:[1,0,0] neg_hi:[1,0,0]
	ds_read2_b64 v[172:175], v161 offset0:12 offset1:13
	s_waitcnt vmcnt(42) lgkmcnt(2)
	v_pk_fma_f32 v[140:141], v[122:123], v[176:177], v[140:141] op_sel_hi:[0,1,1] neg_lo:[1,0,0] neg_hi:[1,0,0]
	s_waitcnt vmcnt(40)
	v_pk_fma_f32 v[118:119], v[122:123], v[178:179], v[118:119] op_sel_hi:[0,1,1] neg_lo:[1,0,0] neg_hi:[1,0,0]
	s_waitcnt vmcnt(38) lgkmcnt(1)
	v_pk_fma_f32 v[138:139], v[122:123], v[180:181], v[138:139] op_sel_hi:[0,1,1] neg_lo:[1,0,0] neg_hi:[1,0,0]
	ds_read2_b64 v[176:179], v161 offset0:14 offset1:15
	s_waitcnt vmcnt(36)
	v_pk_fma_f32 v[116:117], v[122:123], v[182:183], v[116:117] op_sel_hi:[0,1,1] neg_lo:[1,0,0] neg_hi:[1,0,0]
	s_waitcnt vmcnt(34) lgkmcnt(1)
	v_pk_fma_f32 v[136:137], v[122:123], v[172:173], v[136:137] op_sel_hi:[0,1,1] neg_lo:[1,0,0] neg_hi:[1,0,0]
	ds_read2_b64 v[180:183], v161 offset0:16 offset1:17
	s_waitcnt vmcnt(32)
	v_pk_fma_f32 v[114:115], v[122:123], v[174:175], v[114:115] op_sel_hi:[0,1,1] neg_lo:[1,0,0] neg_hi:[1,0,0]
	ds_read2_b64 v[172:175], v161 offset0:18 offset1:19
	s_waitcnt vmcnt(30) lgkmcnt(2)
	v_pk_fma_f32 v[134:135], v[122:123], v[176:177], v[134:135] op_sel_hi:[0,1,1] neg_lo:[1,0,0] neg_hi:[1,0,0]
	s_waitcnt vmcnt(28)
	v_pk_fma_f32 v[112:113], v[122:123], v[178:179], v[112:113] op_sel_hi:[0,1,1] neg_lo:[1,0,0] neg_hi:[1,0,0]
	s_waitcnt vmcnt(26) lgkmcnt(1)
	v_pk_fma_f32 v[132:133], v[122:123], v[180:181], v[132:133] op_sel_hi:[0,1,1] neg_lo:[1,0,0] neg_hi:[1,0,0]
	s_waitcnt vmcnt(24)
	v_pk_fma_f32 v[110:111], v[122:123], v[182:183], v[110:111] op_sel_hi:[0,1,1] neg_lo:[1,0,0] neg_hi:[1,0,0]
	ds_read2_b64 v[176:179], v161 offset0:20 offset1:21
	ds_read2_b64 v[180:183], v161 offset0:22 offset1:23
	s_waitcnt vmcnt(22) lgkmcnt(2)
	v_pk_fma_f32 v[130:131], v[122:123], v[172:173], v[130:131] op_sel_hi:[0,1,1] neg_lo:[1,0,0] neg_hi:[1,0,0]
	s_waitcnt vmcnt(20)
	v_pk_fma_f32 v[108:109], v[122:123], v[174:175], v[108:109] op_sel_hi:[0,1,1] neg_lo:[1,0,0] neg_hi:[1,0,0]
	ds_read2_b64 v[172:175], v161 offset0:24 offset1:25
	s_waitcnt vmcnt(18) lgkmcnt(2)
	v_pk_fma_f32 v[128:129], v[122:123], v[176:177], v[128:129] op_sel_hi:[0,1,1] neg_lo:[1,0,0] neg_hi:[1,0,0]
	s_waitcnt vmcnt(16)
	v_pk_fma_f32 v[106:107], v[122:123], v[178:179], v[106:107] op_sel_hi:[0,1,1] neg_lo:[1,0,0] neg_hi:[1,0,0]
	s_waitcnt vmcnt(14) lgkmcnt(1)
	v_pk_fma_f32 v[126:127], v[122:123], v[180:181], v[126:127] op_sel_hi:[0,1,1] neg_lo:[1,0,0] neg_hi:[1,0,0]
	s_waitcnt vmcnt(12)
	v_pk_fma_f32 v[104:105], v[122:123], v[182:183], v[104:105] op_sel_hi:[0,1,1] neg_lo:[1,0,0] neg_hi:[1,0,0]
	s_waitcnt vmcnt(10) lgkmcnt(0)
	v_pk_fma_f32 v[124:125], v[122:123], v[172:173], v[124:125] op_sel_hi:[0,1,1] neg_lo:[1,0,0] neg_hi:[1,0,0]
	s_waitcnt vmcnt(8)
	v_pk_fma_f32 v[146:147], v[122:123], v[174:175], v[146:147] op_sel_hi:[0,1,1] neg_lo:[1,0,0] neg_hi:[1,0,0]
.LBB103_59:
	s_or_b64 exec, exec, s[2:3]
	v_cmp_ne_u32_e32 vcc, 11, v157
	s_waitcnt lgkmcnt(0)
	s_barrier
	s_and_saveexec_b64 s[2:3], vcc
	s_xor_b64 s[2:3], exec, s[2:3]
	s_andn2_saveexec_b64 s[2:3], s[2:3]
	s_cbranch_execz .LBB103_63
; %bb.60:
	s_waitcnt vmcnt(47)
	v_mov_b32_e32 v172, v142
	s_waitcnt vmcnt(46)
	v_mov_b32_e32 v173, v143
	;; [unrolled: 2-line block ×4, first 2 shown]
	ds_write_b32 v159, v123
	ds_write2_b64 v161, v[172:173], v[174:175] offset0:6 offset1:7
	s_waitcnt vmcnt(43)
	v_mov_b32_e32 v172, v140
	s_waitcnt vmcnt(42)
	v_mov_b32_e32 v173, v141
	s_waitcnt vmcnt(41)
	v_mov_b32_e32 v174, v118
	s_waitcnt vmcnt(40)
	v_mov_b32_e32 v175, v119
	ds_write2_b64 v161, v[172:173], v[174:175] offset0:8 offset1:9
	s_waitcnt vmcnt(39)
	v_mov_b32_e32 v172, v138
	s_waitcnt vmcnt(38)
	v_mov_b32_e32 v173, v139
	s_waitcnt vmcnt(37)
	v_mov_b32_e32 v174, v116
	s_waitcnt vmcnt(36)
	v_mov_b32_e32 v175, v117
	;; [unrolled: 9-line block ×8, first 2 shown]
	ds_write2_b64 v161, v[172:173], v[174:175] offset0:22 offset1:23
	s_waitcnt vmcnt(11)
	v_mov_b32_e32 v172, v124
	s_waitcnt vmcnt(10)
	v_mov_b32_e32 v173, v125
	s_waitcnt vmcnt(8)
	ds_write2_b64 v161, v[172:173], v[146:147] offset0:24 offset1:25
	ds_read_b32 v172, v159
	s_waitcnt lgkmcnt(0)
	v_cmp_neq_f32_e32 vcc, 0, v172
	s_and_saveexec_b64 s[4:5], vcc
	s_cbranch_execz .LBB103_62
; %bb.61:
	v_div_scale_f32 v173, s[10:11], v172, v172, 1.0
	v_rcp_f32_e32 v174, v173
	v_div_scale_f32 v175, vcc, 1.0, v172, 1.0
	v_fma_f32 v176, -v173, v174, 1.0
	v_fmac_f32_e32 v174, v176, v174
	v_mul_f32_e32 v176, v175, v174
	v_fma_f32 v177, -v173, v176, v175
	v_fmac_f32_e32 v176, v177, v174
	v_fma_f32 v173, -v173, v176, v175
	v_div_fmas_f32 v173, v173, v174, v176
	v_div_fixup_f32 v172, v173, v172, 1.0
	ds_write_b32 v159, v172
.LBB103_62:
	s_or_b64 exec, exec, s[4:5]
.LBB103_63:
	s_or_b64 exec, exec, s[2:3]
	s_waitcnt lgkmcnt(0)
	s_barrier
	ds_read_b32 v172, v159
	v_cmp_lt_u32_e32 vcc, 11, v157
	s_and_saveexec_b64 s[2:3], vcc
	s_cbranch_execz .LBB103_65
; %bb.64:
	ds_read2_b64 v[174:177], v161 offset0:6 offset1:7
	ds_read2_b64 v[178:181], v161 offset0:8 offset1:9
	s_waitcnt vmcnt(48) lgkmcnt(2)
	v_mul_f32_e32 v186, v172, v123
	ds_read2_b64 v[182:185], v161 offset0:10 offset1:11
	v_mov_b32_e32 v123, v186
	s_waitcnt vmcnt(46) lgkmcnt(2)
	v_pk_fma_f32 v[142:143], v[186:187], v[174:175], v[142:143] op_sel_hi:[0,1,1] neg_lo:[1,0,0] neg_hi:[1,0,0]
	s_waitcnt vmcnt(44)
	v_pk_fma_f32 v[120:121], v[186:187], v[176:177], v[120:121] op_sel_hi:[0,1,1] neg_lo:[1,0,0] neg_hi:[1,0,0]
	ds_read2_b64 v[174:177], v161 offset0:12 offset1:13
	s_waitcnt vmcnt(42) lgkmcnt(2)
	v_pk_fma_f32 v[140:141], v[186:187], v[178:179], v[140:141] op_sel_hi:[0,1,1] neg_lo:[1,0,0] neg_hi:[1,0,0]
	s_waitcnt vmcnt(40)
	v_pk_fma_f32 v[118:119], v[186:187], v[180:181], v[118:119] op_sel_hi:[0,1,1] neg_lo:[1,0,0] neg_hi:[1,0,0]
	s_waitcnt vmcnt(38) lgkmcnt(1)
	v_pk_fma_f32 v[138:139], v[186:187], v[182:183], v[138:139] op_sel_hi:[0,1,1] neg_lo:[1,0,0] neg_hi:[1,0,0]
	ds_read2_b64 v[178:181], v161 offset0:14 offset1:15
	s_waitcnt vmcnt(36)
	v_pk_fma_f32 v[116:117], v[186:187], v[184:185], v[116:117] op_sel_hi:[0,1,1] neg_lo:[1,0,0] neg_hi:[1,0,0]
	s_waitcnt vmcnt(34) lgkmcnt(1)
	v_pk_fma_f32 v[136:137], v[186:187], v[174:175], v[136:137] op_sel_hi:[0,1,1] neg_lo:[1,0,0] neg_hi:[1,0,0]
	ds_read2_b64 v[182:185], v161 offset0:16 offset1:17
	s_waitcnt vmcnt(32)
	v_pk_fma_f32 v[114:115], v[186:187], v[176:177], v[114:115] op_sel_hi:[0,1,1] neg_lo:[1,0,0] neg_hi:[1,0,0]
	ds_read2_b64 v[174:177], v161 offset0:18 offset1:19
	s_waitcnt vmcnt(30) lgkmcnt(2)
	v_pk_fma_f32 v[134:135], v[186:187], v[178:179], v[134:135] op_sel_hi:[0,1,1] neg_lo:[1,0,0] neg_hi:[1,0,0]
	s_waitcnt vmcnt(28)
	v_pk_fma_f32 v[112:113], v[186:187], v[180:181], v[112:113] op_sel_hi:[0,1,1] neg_lo:[1,0,0] neg_hi:[1,0,0]
	s_waitcnt vmcnt(26) lgkmcnt(1)
	v_pk_fma_f32 v[132:133], v[186:187], v[182:183], v[132:133] op_sel_hi:[0,1,1] neg_lo:[1,0,0] neg_hi:[1,0,0]
	s_waitcnt vmcnt(24)
	v_pk_fma_f32 v[110:111], v[186:187], v[184:185], v[110:111] op_sel_hi:[0,1,1] neg_lo:[1,0,0] neg_hi:[1,0,0]
	ds_read2_b64 v[178:181], v161 offset0:20 offset1:21
	s_waitcnt vmcnt(22) lgkmcnt(1)
	v_pk_fma_f32 v[130:131], v[186:187], v[174:175], v[130:131] op_sel_hi:[0,1,1] neg_lo:[1,0,0] neg_hi:[1,0,0]
	ds_read2_b64 v[182:185], v161 offset0:22 offset1:23
	s_waitcnt vmcnt(20)
	v_pk_fma_f32 v[108:109], v[186:187], v[176:177], v[108:109] op_sel_hi:[0,1,1] neg_lo:[1,0,0] neg_hi:[1,0,0]
	ds_read2_b64 v[174:177], v161 offset0:24 offset1:25
	s_waitcnt vmcnt(18) lgkmcnt(2)
	v_pk_fma_f32 v[128:129], v[186:187], v[178:179], v[128:129] op_sel_hi:[0,1,1] neg_lo:[1,0,0] neg_hi:[1,0,0]
	s_waitcnt vmcnt(16)
	v_pk_fma_f32 v[106:107], v[186:187], v[180:181], v[106:107] op_sel_hi:[0,1,1] neg_lo:[1,0,0] neg_hi:[1,0,0]
	s_waitcnt vmcnt(14) lgkmcnt(1)
	v_pk_fma_f32 v[126:127], v[186:187], v[182:183], v[126:127] op_sel_hi:[0,1,1] neg_lo:[1,0,0] neg_hi:[1,0,0]
	s_waitcnt vmcnt(12)
	v_pk_fma_f32 v[104:105], v[186:187], v[184:185], v[104:105] op_sel_hi:[0,1,1] neg_lo:[1,0,0] neg_hi:[1,0,0]
	s_waitcnt vmcnt(10) lgkmcnt(0)
	v_pk_fma_f32 v[124:125], v[186:187], v[174:175], v[124:125] op_sel_hi:[0,1,1] neg_lo:[1,0,0] neg_hi:[1,0,0]
	s_waitcnt vmcnt(8)
	v_pk_fma_f32 v[146:147], v[186:187], v[176:177], v[146:147] op_sel_hi:[0,1,1] neg_lo:[1,0,0] neg_hi:[1,0,0]
.LBB103_65:
	s_or_b64 exec, exec, s[2:3]
	v_cmp_eq_u32_e32 vcc, 12, v157
	s_waitcnt lgkmcnt(0)
	s_barrier
	s_and_saveexec_b64 s[2:3], vcc
	s_cbranch_execz .LBB103_68
; %bb.66:
	s_waitcnt vmcnt(44)
	v_pk_mov_b32 v[174:175], v[142:143], v[120:121] op_sel:[1,0]
	ds_write_b32 v159, v142
	ds_write2_b32 v161, v174, v175 offset0:13 offset1:14
	s_waitcnt vmcnt(42)
	v_pk_mov_b32 v[174:175], v[120:121], v[140:141] op_sel:[1,0]
	ds_write2_b32 v161, v174, v175 offset0:15 offset1:16
	s_waitcnt vmcnt(40)
	v_pk_mov_b32 v[174:175], v[140:141], v[118:119] op_sel:[1,0]
	;; [unrolled: 3-line block ×18, first 2 shown]
	ds_write2_b32 v161, v174, v175 offset0:49 offset1:50
	ds_write_b32 v161, v147 offset:204
	ds_read_b32 v173, v159
	s_waitcnt lgkmcnt(0)
	v_cmp_neq_f32_e32 vcc, 0, v173
	s_and_b64 exec, exec, vcc
	s_cbranch_execz .LBB103_68
; %bb.67:
	v_div_scale_f32 v174, s[4:5], v173, v173, 1.0
	v_rcp_f32_e32 v175, v174
	v_div_scale_f32 v176, vcc, 1.0, v173, 1.0
	v_fma_f32 v177, -v174, v175, 1.0
	v_fmac_f32_e32 v175, v177, v175
	v_mul_f32_e32 v177, v176, v175
	v_fma_f32 v178, -v174, v177, v176
	v_fmac_f32_e32 v177, v178, v175
	v_fma_f32 v174, -v174, v177, v176
	v_div_fmas_f32 v174, v174, v175, v177
	v_div_fixup_f32 v173, v174, v173, 1.0
	ds_write_b32 v159, v173
.LBB103_68:
	s_or_b64 exec, exec, s[2:3]
	s_waitcnt lgkmcnt(0)
	s_barrier
	ds_read_b32 v173, v159
	v_cmp_lt_u32_e32 vcc, 12, v157
	s_and_saveexec_b64 s[2:3], vcc
	s_cbranch_execz .LBB103_70
; %bb.69:
	ds_read_b32 v186, v161 offset:52
	ds_read2_b64 v[174:177], v161 offset0:7 offset1:8
	s_waitcnt vmcnt(47) lgkmcnt(2)
	v_mul_f32_e32 v142, v173, v142
	ds_read2_b64 v[178:181], v161 offset0:9 offset1:10
	ds_read2_b64 v[182:185], v161 offset0:11 offset1:12
	s_waitcnt vmcnt(46) lgkmcnt(3)
	v_fma_f32 v143, -v142, v186, v143
	s_waitcnt vmcnt(44) lgkmcnt(2)
	v_pk_fma_f32 v[120:121], v[142:143], v[174:175], v[120:121] op_sel_hi:[0,1,1] neg_lo:[1,0,0] neg_hi:[1,0,0]
	s_waitcnt vmcnt(42)
	v_pk_fma_f32 v[140:141], v[142:143], v[176:177], v[140:141] op_sel_hi:[0,1,1] neg_lo:[1,0,0] neg_hi:[1,0,0]
	ds_read2_b64 v[174:177], v161 offset0:13 offset1:14
	s_waitcnt vmcnt(40) lgkmcnt(2)
	v_pk_fma_f32 v[118:119], v[142:143], v[178:179], v[118:119] op_sel_hi:[0,1,1] neg_lo:[1,0,0] neg_hi:[1,0,0]
	s_waitcnt vmcnt(38)
	v_pk_fma_f32 v[138:139], v[142:143], v[180:181], v[138:139] op_sel_hi:[0,1,1] neg_lo:[1,0,0] neg_hi:[1,0,0]
	s_waitcnt vmcnt(36) lgkmcnt(1)
	v_pk_fma_f32 v[116:117], v[142:143], v[182:183], v[116:117] op_sel_hi:[0,1,1] neg_lo:[1,0,0] neg_hi:[1,0,0]
	ds_read2_b64 v[178:181], v161 offset0:15 offset1:16
	s_waitcnt vmcnt(34)
	v_pk_fma_f32 v[136:137], v[142:143], v[184:185], v[136:137] op_sel_hi:[0,1,1] neg_lo:[1,0,0] neg_hi:[1,0,0]
	s_waitcnt vmcnt(32) lgkmcnt(1)
	v_pk_fma_f32 v[114:115], v[142:143], v[174:175], v[114:115] op_sel_hi:[0,1,1] neg_lo:[1,0,0] neg_hi:[1,0,0]
	ds_read2_b64 v[182:185], v161 offset0:17 offset1:18
	s_waitcnt vmcnt(30)
	v_pk_fma_f32 v[134:135], v[142:143], v[176:177], v[134:135] op_sel_hi:[0,1,1] neg_lo:[1,0,0] neg_hi:[1,0,0]
	ds_read2_b64 v[174:177], v161 offset0:19 offset1:20
	s_waitcnt vmcnt(28) lgkmcnt(2)
	v_pk_fma_f32 v[112:113], v[142:143], v[178:179], v[112:113] op_sel_hi:[0,1,1] neg_lo:[1,0,0] neg_hi:[1,0,0]
	s_waitcnt vmcnt(26)
	v_pk_fma_f32 v[132:133], v[142:143], v[180:181], v[132:133] op_sel_hi:[0,1,1] neg_lo:[1,0,0] neg_hi:[1,0,0]
	s_waitcnt vmcnt(24) lgkmcnt(1)
	v_pk_fma_f32 v[110:111], v[142:143], v[182:183], v[110:111] op_sel_hi:[0,1,1] neg_lo:[1,0,0] neg_hi:[1,0,0]
	s_waitcnt vmcnt(22)
	v_pk_fma_f32 v[130:131], v[142:143], v[184:185], v[130:131] op_sel_hi:[0,1,1] neg_lo:[1,0,0] neg_hi:[1,0,0]
	ds_read2_b64 v[178:181], v161 offset0:21 offset1:22
	ds_read2_b64 v[182:185], v161 offset0:23 offset1:24
	s_waitcnt vmcnt(20) lgkmcnt(2)
	v_pk_fma_f32 v[108:109], v[142:143], v[174:175], v[108:109] op_sel_hi:[0,1,1] neg_lo:[1,0,0] neg_hi:[1,0,0]
	ds_read_b64 v[174:175], v161 offset:200
	s_waitcnt vmcnt(18)
	v_pk_fma_f32 v[128:129], v[142:143], v[176:177], v[128:129] op_sel_hi:[0,1,1] neg_lo:[1,0,0] neg_hi:[1,0,0]
	s_waitcnt vmcnt(16) lgkmcnt(2)
	v_pk_fma_f32 v[106:107], v[142:143], v[178:179], v[106:107] op_sel_hi:[0,1,1] neg_lo:[1,0,0] neg_hi:[1,0,0]
	s_waitcnt vmcnt(14)
	v_pk_fma_f32 v[126:127], v[142:143], v[180:181], v[126:127] op_sel_hi:[0,1,1] neg_lo:[1,0,0] neg_hi:[1,0,0]
	s_waitcnt vmcnt(12) lgkmcnt(1)
	v_pk_fma_f32 v[104:105], v[142:143], v[182:183], v[104:105] op_sel_hi:[0,1,1] neg_lo:[1,0,0] neg_hi:[1,0,0]
	;; [unrolled: 4-line block ×3, first 2 shown]
.LBB103_70:
	s_or_b64 exec, exec, s[2:3]
	v_cmp_ne_u32_e32 vcc, 13, v157
	s_waitcnt lgkmcnt(0)
	s_barrier
	s_and_saveexec_b64 s[2:3], vcc
	s_xor_b64 s[2:3], exec, s[2:3]
	s_andn2_saveexec_b64 s[2:3], s[2:3]
	s_cbranch_execz .LBB103_74
; %bb.71:
	s_waitcnt vmcnt(46)
	ds_write_b32 v159, v143
	s_waitcnt vmcnt(42)
	ds_write2_b64 v161, v[120:121], v[140:141] offset0:7 offset1:8
	s_waitcnt vmcnt(38)
	ds_write2_b64 v161, v[118:119], v[138:139] offset0:9 offset1:10
	;; [unrolled: 2-line block ×9, first 2 shown]
	s_waitcnt vmcnt(8)
	ds_write_b64 v161, v[146:147] offset:200
	ds_read_b32 v174, v159
	s_waitcnt lgkmcnt(0)
	v_cmp_neq_f32_e32 vcc, 0, v174
	s_and_saveexec_b64 s[4:5], vcc
	s_cbranch_execz .LBB103_73
; %bb.72:
	v_div_scale_f32 v175, s[10:11], v174, v174, 1.0
	v_rcp_f32_e32 v176, v175
	v_div_scale_f32 v177, vcc, 1.0, v174, 1.0
	v_fma_f32 v178, -v175, v176, 1.0
	v_fmac_f32_e32 v176, v178, v176
	v_mul_f32_e32 v178, v177, v176
	v_fma_f32 v179, -v175, v178, v177
	v_fmac_f32_e32 v178, v179, v176
	v_fma_f32 v175, -v175, v178, v177
	v_div_fmas_f32 v175, v175, v176, v178
	v_div_fixup_f32 v174, v175, v174, 1.0
	ds_write_b32 v159, v174
.LBB103_73:
	s_or_b64 exec, exec, s[4:5]
.LBB103_74:
	s_or_b64 exec, exec, s[2:3]
	s_waitcnt lgkmcnt(0)
	s_barrier
	ds_read_b32 v174, v159
	v_cmp_lt_u32_e32 vcc, 13, v157
	s_and_saveexec_b64 s[2:3], vcc
	s_cbranch_execz .LBB103_76
; %bb.75:
	ds_read2_b64 v[176:179], v161 offset0:7 offset1:8
	ds_read2_b64 v[180:183], v161 offset0:9 offset1:10
	s_waitcnt vmcnt(46) lgkmcnt(2)
	v_mul_f32_e32 v188, v174, v143
	ds_read2_b64 v[184:187], v161 offset0:11 offset1:12
	v_mov_b32_e32 v143, v188
	s_waitcnt vmcnt(44) lgkmcnt(2)
	v_pk_fma_f32 v[120:121], v[188:189], v[176:177], v[120:121] op_sel_hi:[0,1,1] neg_lo:[1,0,0] neg_hi:[1,0,0]
	s_waitcnt vmcnt(42)
	v_pk_fma_f32 v[140:141], v[188:189], v[178:179], v[140:141] op_sel_hi:[0,1,1] neg_lo:[1,0,0] neg_hi:[1,0,0]
	ds_read2_b64 v[176:179], v161 offset0:13 offset1:14
	s_waitcnt vmcnt(40) lgkmcnt(2)
	v_pk_fma_f32 v[118:119], v[188:189], v[180:181], v[118:119] op_sel_hi:[0,1,1] neg_lo:[1,0,0] neg_hi:[1,0,0]
	s_waitcnt vmcnt(38)
	v_pk_fma_f32 v[138:139], v[188:189], v[182:183], v[138:139] op_sel_hi:[0,1,1] neg_lo:[1,0,0] neg_hi:[1,0,0]
	s_waitcnt vmcnt(36) lgkmcnt(1)
	v_pk_fma_f32 v[116:117], v[188:189], v[184:185], v[116:117] op_sel_hi:[0,1,1] neg_lo:[1,0,0] neg_hi:[1,0,0]
	ds_read2_b64 v[180:183], v161 offset0:15 offset1:16
	s_waitcnt vmcnt(34)
	v_pk_fma_f32 v[136:137], v[188:189], v[186:187], v[136:137] op_sel_hi:[0,1,1] neg_lo:[1,0,0] neg_hi:[1,0,0]
	s_waitcnt vmcnt(32) lgkmcnt(1)
	v_pk_fma_f32 v[114:115], v[188:189], v[176:177], v[114:115] op_sel_hi:[0,1,1] neg_lo:[1,0,0] neg_hi:[1,0,0]
	ds_read2_b64 v[184:187], v161 offset0:17 offset1:18
	s_waitcnt vmcnt(30)
	v_pk_fma_f32 v[134:135], v[188:189], v[178:179], v[134:135] op_sel_hi:[0,1,1] neg_lo:[1,0,0] neg_hi:[1,0,0]
	ds_read2_b64 v[176:179], v161 offset0:19 offset1:20
	s_waitcnt vmcnt(28) lgkmcnt(2)
	v_pk_fma_f32 v[112:113], v[188:189], v[180:181], v[112:113] op_sel_hi:[0,1,1] neg_lo:[1,0,0] neg_hi:[1,0,0]
	s_waitcnt vmcnt(26)
	v_pk_fma_f32 v[132:133], v[188:189], v[182:183], v[132:133] op_sel_hi:[0,1,1] neg_lo:[1,0,0] neg_hi:[1,0,0]
	s_waitcnt vmcnt(24) lgkmcnt(1)
	v_pk_fma_f32 v[110:111], v[188:189], v[184:185], v[110:111] op_sel_hi:[0,1,1] neg_lo:[1,0,0] neg_hi:[1,0,0]
	s_waitcnt vmcnt(22)
	v_pk_fma_f32 v[130:131], v[188:189], v[186:187], v[130:131] op_sel_hi:[0,1,1] neg_lo:[1,0,0] neg_hi:[1,0,0]
	ds_read2_b64 v[180:183], v161 offset0:21 offset1:22
	s_waitcnt vmcnt(20) lgkmcnt(1)
	v_pk_fma_f32 v[108:109], v[188:189], v[176:177], v[108:109] op_sel_hi:[0,1,1] neg_lo:[1,0,0] neg_hi:[1,0,0]
	ds_read2_b64 v[184:187], v161 offset0:23 offset1:24
	ds_read_b64 v[176:177], v161 offset:200
	s_waitcnt vmcnt(18)
	v_pk_fma_f32 v[128:129], v[188:189], v[178:179], v[128:129] op_sel_hi:[0,1,1] neg_lo:[1,0,0] neg_hi:[1,0,0]
	s_waitcnt vmcnt(16) lgkmcnt(2)
	v_pk_fma_f32 v[106:107], v[188:189], v[180:181], v[106:107] op_sel_hi:[0,1,1] neg_lo:[1,0,0] neg_hi:[1,0,0]
	s_waitcnt vmcnt(14)
	v_pk_fma_f32 v[126:127], v[188:189], v[182:183], v[126:127] op_sel_hi:[0,1,1] neg_lo:[1,0,0] neg_hi:[1,0,0]
	s_waitcnt vmcnt(12) lgkmcnt(1)
	v_pk_fma_f32 v[104:105], v[188:189], v[184:185], v[104:105] op_sel_hi:[0,1,1] neg_lo:[1,0,0] neg_hi:[1,0,0]
	;; [unrolled: 4-line block ×3, first 2 shown]
.LBB103_76:
	s_or_b64 exec, exec, s[2:3]
	v_cmp_eq_u32_e32 vcc, 14, v157
	s_waitcnt lgkmcnt(0)
	s_barrier
	s_and_saveexec_b64 s[2:3], vcc
	s_cbranch_execz .LBB103_79
; %bb.77:
	s_waitcnt vmcnt(42)
	v_pk_mov_b32 v[176:177], v[120:121], v[140:141] op_sel:[1,0]
	ds_write_b32 v159, v120
	ds_write2_b32 v161, v176, v177 offset0:15 offset1:16
	s_waitcnt vmcnt(40)
	v_pk_mov_b32 v[176:177], v[140:141], v[118:119] op_sel:[1,0]
	ds_write2_b32 v161, v176, v177 offset0:17 offset1:18
	s_waitcnt vmcnt(38)
	v_pk_mov_b32 v[176:177], v[118:119], v[138:139] op_sel:[1,0]
	;; [unrolled: 3-line block ×17, first 2 shown]
	ds_write2_b32 v161, v176, v177 offset0:49 offset1:50
	ds_write_b32 v161, v147 offset:204
	ds_read_b32 v175, v159
	s_waitcnt lgkmcnt(0)
	v_cmp_neq_f32_e32 vcc, 0, v175
	s_and_b64 exec, exec, vcc
	s_cbranch_execz .LBB103_79
; %bb.78:
	v_div_scale_f32 v176, s[4:5], v175, v175, 1.0
	v_rcp_f32_e32 v177, v176
	v_div_scale_f32 v178, vcc, 1.0, v175, 1.0
	v_fma_f32 v179, -v176, v177, 1.0
	v_fmac_f32_e32 v177, v179, v177
	v_mul_f32_e32 v179, v178, v177
	v_fma_f32 v180, -v176, v179, v178
	v_fmac_f32_e32 v179, v180, v177
	v_fma_f32 v176, -v176, v179, v178
	v_div_fmas_f32 v176, v176, v177, v179
	v_div_fixup_f32 v175, v176, v175, 1.0
	ds_write_b32 v159, v175
.LBB103_79:
	s_or_b64 exec, exec, s[2:3]
	s_waitcnt lgkmcnt(0)
	s_barrier
	ds_read_b32 v175, v159
	v_cmp_lt_u32_e32 vcc, 14, v157
	s_and_saveexec_b64 s[2:3], vcc
	s_cbranch_execz .LBB103_81
; %bb.80:
	ds_read_b32 v188, v161 offset:60
	ds_read2_b64 v[176:179], v161 offset0:8 offset1:9
	ds_read2_b64 v[180:183], v161 offset0:10 offset1:11
	ds_read2_b64 v[184:187], v161 offset0:12 offset1:13
	s_waitcnt vmcnt(45) lgkmcnt(4)
	v_mul_f32_e32 v120, v175, v120
	s_waitcnt vmcnt(44) lgkmcnt(3)
	v_fma_f32 v121, -v120, v188, v121
	s_waitcnt vmcnt(42) lgkmcnt(2)
	v_pk_fma_f32 v[140:141], v[120:121], v[176:177], v[140:141] op_sel_hi:[0,1,1] neg_lo:[1,0,0] neg_hi:[1,0,0]
	s_waitcnt vmcnt(40)
	v_pk_fma_f32 v[118:119], v[120:121], v[178:179], v[118:119] op_sel_hi:[0,1,1] neg_lo:[1,0,0] neg_hi:[1,0,0]
	s_waitcnt vmcnt(38) lgkmcnt(1)
	v_pk_fma_f32 v[138:139], v[120:121], v[180:181], v[138:139] op_sel_hi:[0,1,1] neg_lo:[1,0,0] neg_hi:[1,0,0]
	ds_read2_b64 v[176:179], v161 offset0:14 offset1:15
	s_waitcnt vmcnt(36)
	v_pk_fma_f32 v[116:117], v[120:121], v[182:183], v[116:117] op_sel_hi:[0,1,1] neg_lo:[1,0,0] neg_hi:[1,0,0]
	s_waitcnt vmcnt(34) lgkmcnt(1)
	v_pk_fma_f32 v[136:137], v[120:121], v[184:185], v[136:137] op_sel_hi:[0,1,1] neg_lo:[1,0,0] neg_hi:[1,0,0]
	ds_read2_b64 v[180:183], v161 offset0:16 offset1:17
	s_waitcnt vmcnt(32)
	v_pk_fma_f32 v[114:115], v[120:121], v[186:187], v[114:115] op_sel_hi:[0,1,1] neg_lo:[1,0,0] neg_hi:[1,0,0]
	ds_read2_b64 v[184:187], v161 offset0:18 offset1:19
	s_waitcnt vmcnt(30) lgkmcnt(2)
	v_pk_fma_f32 v[134:135], v[120:121], v[176:177], v[134:135] op_sel_hi:[0,1,1] neg_lo:[1,0,0] neg_hi:[1,0,0]
	s_waitcnt vmcnt(28)
	v_pk_fma_f32 v[112:113], v[120:121], v[178:179], v[112:113] op_sel_hi:[0,1,1] neg_lo:[1,0,0] neg_hi:[1,0,0]
	s_waitcnt vmcnt(26) lgkmcnt(1)
	v_pk_fma_f32 v[132:133], v[120:121], v[180:181], v[132:133] op_sel_hi:[0,1,1] neg_lo:[1,0,0] neg_hi:[1,0,0]
	s_waitcnt vmcnt(24)
	v_pk_fma_f32 v[110:111], v[120:121], v[182:183], v[110:111] op_sel_hi:[0,1,1] neg_lo:[1,0,0] neg_hi:[1,0,0]
	ds_read2_b64 v[176:179], v161 offset0:20 offset1:21
	s_waitcnt vmcnt(22) lgkmcnt(1)
	v_pk_fma_f32 v[130:131], v[120:121], v[184:185], v[130:131] op_sel_hi:[0,1,1] neg_lo:[1,0,0] neg_hi:[1,0,0]
	ds_read2_b64 v[180:183], v161 offset0:22 offset1:23
	s_waitcnt vmcnt(20)
	v_pk_fma_f32 v[108:109], v[120:121], v[186:187], v[108:109] op_sel_hi:[0,1,1] neg_lo:[1,0,0] neg_hi:[1,0,0]
	ds_read2_b64 v[184:187], v161 offset0:24 offset1:25
	s_waitcnt vmcnt(18) lgkmcnt(2)
	v_pk_fma_f32 v[128:129], v[120:121], v[176:177], v[128:129] op_sel_hi:[0,1,1] neg_lo:[1,0,0] neg_hi:[1,0,0]
	s_waitcnt vmcnt(16)
	v_pk_fma_f32 v[106:107], v[120:121], v[178:179], v[106:107] op_sel_hi:[0,1,1] neg_lo:[1,0,0] neg_hi:[1,0,0]
	s_waitcnt vmcnt(14) lgkmcnt(1)
	v_pk_fma_f32 v[126:127], v[120:121], v[180:181], v[126:127] op_sel_hi:[0,1,1] neg_lo:[1,0,0] neg_hi:[1,0,0]
	s_waitcnt vmcnt(12)
	v_pk_fma_f32 v[104:105], v[120:121], v[182:183], v[104:105] op_sel_hi:[0,1,1] neg_lo:[1,0,0] neg_hi:[1,0,0]
	;; [unrolled: 4-line block ×3, first 2 shown]
.LBB103_81:
	s_or_b64 exec, exec, s[2:3]
	v_cmp_ne_u32_e32 vcc, 15, v157
	s_waitcnt lgkmcnt(0)
	s_barrier
	s_and_saveexec_b64 s[2:3], vcc
	s_xor_b64 s[2:3], exec, s[2:3]
	s_andn2_saveexec_b64 s[2:3], s[2:3]
	s_cbranch_execz .LBB103_85
; %bb.82:
	s_waitcnt vmcnt(43)
	v_mov_b32_e32 v176, v140
	s_waitcnt vmcnt(42)
	v_mov_b32_e32 v177, v141
	;; [unrolled: 2-line block ×4, first 2 shown]
	ds_write_b32 v159, v121
	ds_write2_b64 v161, v[176:177], v[178:179] offset0:8 offset1:9
	s_waitcnt vmcnt(39)
	v_mov_b32_e32 v176, v138
	s_waitcnt vmcnt(38)
	v_mov_b32_e32 v177, v139
	s_waitcnt vmcnt(37)
	v_mov_b32_e32 v178, v116
	s_waitcnt vmcnt(36)
	v_mov_b32_e32 v179, v117
	ds_write2_b64 v161, v[176:177], v[178:179] offset0:10 offset1:11
	s_waitcnt vmcnt(35)
	v_mov_b32_e32 v176, v136
	s_waitcnt vmcnt(34)
	v_mov_b32_e32 v177, v137
	s_waitcnt vmcnt(33)
	v_mov_b32_e32 v178, v114
	s_waitcnt vmcnt(32)
	v_mov_b32_e32 v179, v115
	;; [unrolled: 9-line block ×7, first 2 shown]
	ds_write2_b64 v161, v[176:177], v[178:179] offset0:22 offset1:23
	s_waitcnt vmcnt(11)
	v_mov_b32_e32 v176, v124
	s_waitcnt vmcnt(10)
	v_mov_b32_e32 v177, v125
	s_waitcnt vmcnt(8)
	ds_write2_b64 v161, v[176:177], v[146:147] offset0:24 offset1:25
	ds_read_b32 v176, v159
	s_waitcnt lgkmcnt(0)
	v_cmp_neq_f32_e32 vcc, 0, v176
	s_and_saveexec_b64 s[4:5], vcc
	s_cbranch_execz .LBB103_84
; %bb.83:
	v_div_scale_f32 v177, s[10:11], v176, v176, 1.0
	v_rcp_f32_e32 v178, v177
	v_div_scale_f32 v179, vcc, 1.0, v176, 1.0
	v_fma_f32 v180, -v177, v178, 1.0
	v_fmac_f32_e32 v178, v180, v178
	v_mul_f32_e32 v180, v179, v178
	v_fma_f32 v181, -v177, v180, v179
	v_fmac_f32_e32 v180, v181, v178
	v_fma_f32 v177, -v177, v180, v179
	v_div_fmas_f32 v177, v177, v178, v180
	v_div_fixup_f32 v176, v177, v176, 1.0
	ds_write_b32 v159, v176
.LBB103_84:
	s_or_b64 exec, exec, s[4:5]
.LBB103_85:
	s_or_b64 exec, exec, s[2:3]
	s_waitcnt lgkmcnt(0)
	s_barrier
	ds_read_b32 v176, v159
	v_cmp_lt_u32_e32 vcc, 15, v157
	s_and_saveexec_b64 s[2:3], vcc
	s_cbranch_execz .LBB103_87
; %bb.86:
	ds_read2_b64 v[178:181], v161 offset0:8 offset1:9
	ds_read2_b64 v[182:185], v161 offset0:10 offset1:11
	;; [unrolled: 1-line block ×3, first 2 shown]
	s_waitcnt vmcnt(44) lgkmcnt(3)
	v_mul_f32_e32 v190, v176, v121
	v_mov_b32_e32 v121, v190
	s_waitcnt vmcnt(42) lgkmcnt(2)
	v_pk_fma_f32 v[140:141], v[190:191], v[178:179], v[140:141] op_sel_hi:[0,1,1] neg_lo:[1,0,0] neg_hi:[1,0,0]
	s_waitcnt vmcnt(40)
	v_pk_fma_f32 v[118:119], v[190:191], v[180:181], v[118:119] op_sel_hi:[0,1,1] neg_lo:[1,0,0] neg_hi:[1,0,0]
	s_waitcnt vmcnt(38) lgkmcnt(1)
	v_pk_fma_f32 v[138:139], v[190:191], v[182:183], v[138:139] op_sel_hi:[0,1,1] neg_lo:[1,0,0] neg_hi:[1,0,0]
	ds_read2_b64 v[178:181], v161 offset0:14 offset1:15
	s_waitcnt vmcnt(36)
	v_pk_fma_f32 v[116:117], v[190:191], v[184:185], v[116:117] op_sel_hi:[0,1,1] neg_lo:[1,0,0] neg_hi:[1,0,0]
	s_waitcnt vmcnt(34) lgkmcnt(1)
	v_pk_fma_f32 v[136:137], v[190:191], v[186:187], v[136:137] op_sel_hi:[0,1,1] neg_lo:[1,0,0] neg_hi:[1,0,0]
	ds_read2_b64 v[182:185], v161 offset0:16 offset1:17
	s_waitcnt vmcnt(32)
	v_pk_fma_f32 v[114:115], v[190:191], v[188:189], v[114:115] op_sel_hi:[0,1,1] neg_lo:[1,0,0] neg_hi:[1,0,0]
	ds_read2_b64 v[186:189], v161 offset0:18 offset1:19
	s_waitcnt vmcnt(30) lgkmcnt(2)
	v_pk_fma_f32 v[134:135], v[190:191], v[178:179], v[134:135] op_sel_hi:[0,1,1] neg_lo:[1,0,0] neg_hi:[1,0,0]
	s_waitcnt vmcnt(28)
	v_pk_fma_f32 v[112:113], v[190:191], v[180:181], v[112:113] op_sel_hi:[0,1,1] neg_lo:[1,0,0] neg_hi:[1,0,0]
	s_waitcnt vmcnt(26) lgkmcnt(1)
	v_pk_fma_f32 v[132:133], v[190:191], v[182:183], v[132:133] op_sel_hi:[0,1,1] neg_lo:[1,0,0] neg_hi:[1,0,0]
	s_waitcnt vmcnt(24)
	v_pk_fma_f32 v[110:111], v[190:191], v[184:185], v[110:111] op_sel_hi:[0,1,1] neg_lo:[1,0,0] neg_hi:[1,0,0]
	ds_read2_b64 v[178:181], v161 offset0:20 offset1:21
	ds_read2_b64 v[182:185], v161 offset0:22 offset1:23
	s_waitcnt vmcnt(22) lgkmcnt(2)
	v_pk_fma_f32 v[130:131], v[190:191], v[186:187], v[130:131] op_sel_hi:[0,1,1] neg_lo:[1,0,0] neg_hi:[1,0,0]
	s_waitcnt vmcnt(20)
	v_pk_fma_f32 v[108:109], v[190:191], v[188:189], v[108:109] op_sel_hi:[0,1,1] neg_lo:[1,0,0] neg_hi:[1,0,0]
	ds_read2_b64 v[186:189], v161 offset0:24 offset1:25
	s_waitcnt vmcnt(18) lgkmcnt(2)
	v_pk_fma_f32 v[128:129], v[190:191], v[178:179], v[128:129] op_sel_hi:[0,1,1] neg_lo:[1,0,0] neg_hi:[1,0,0]
	s_waitcnt vmcnt(16)
	v_pk_fma_f32 v[106:107], v[190:191], v[180:181], v[106:107] op_sel_hi:[0,1,1] neg_lo:[1,0,0] neg_hi:[1,0,0]
	s_waitcnt vmcnt(14) lgkmcnt(1)
	v_pk_fma_f32 v[126:127], v[190:191], v[182:183], v[126:127] op_sel_hi:[0,1,1] neg_lo:[1,0,0] neg_hi:[1,0,0]
	s_waitcnt vmcnt(12)
	v_pk_fma_f32 v[104:105], v[190:191], v[184:185], v[104:105] op_sel_hi:[0,1,1] neg_lo:[1,0,0] neg_hi:[1,0,0]
	;; [unrolled: 4-line block ×3, first 2 shown]
.LBB103_87:
	s_or_b64 exec, exec, s[2:3]
	v_cmp_eq_u32_e32 vcc, 16, v157
	s_waitcnt lgkmcnt(0)
	s_barrier
	s_and_saveexec_b64 s[2:3], vcc
	s_cbranch_execz .LBB103_90
; %bb.88:
	s_waitcnt vmcnt(40)
	v_pk_mov_b32 v[178:179], v[140:141], v[118:119] op_sel:[1,0]
	ds_write_b32 v159, v140
	ds_write2_b32 v161, v178, v179 offset0:17 offset1:18
	s_waitcnt vmcnt(38)
	v_pk_mov_b32 v[178:179], v[118:119], v[138:139] op_sel:[1,0]
	ds_write2_b32 v161, v178, v179 offset0:19 offset1:20
	s_waitcnt vmcnt(36)
	v_pk_mov_b32 v[178:179], v[138:139], v[116:117] op_sel:[1,0]
	;; [unrolled: 3-line block ×16, first 2 shown]
	ds_write2_b32 v161, v178, v179 offset0:49 offset1:50
	ds_write_b32 v161, v147 offset:204
	ds_read_b32 v177, v159
	s_waitcnt lgkmcnt(0)
	v_cmp_neq_f32_e32 vcc, 0, v177
	s_and_b64 exec, exec, vcc
	s_cbranch_execz .LBB103_90
; %bb.89:
	v_div_scale_f32 v178, s[4:5], v177, v177, 1.0
	v_rcp_f32_e32 v179, v178
	v_div_scale_f32 v180, vcc, 1.0, v177, 1.0
	v_fma_f32 v181, -v178, v179, 1.0
	v_fmac_f32_e32 v179, v181, v179
	v_mul_f32_e32 v181, v180, v179
	v_fma_f32 v182, -v178, v181, v180
	v_fmac_f32_e32 v181, v182, v179
	v_fma_f32 v178, -v178, v181, v180
	v_div_fmas_f32 v178, v178, v179, v181
	v_div_fixup_f32 v177, v178, v177, 1.0
	ds_write_b32 v159, v177
.LBB103_90:
	s_or_b64 exec, exec, s[2:3]
	s_waitcnt lgkmcnt(0)
	s_barrier
	ds_read_b32 v177, v159
	v_cmp_lt_u32_e32 vcc, 16, v157
	s_and_saveexec_b64 s[2:3], vcc
	s_cbranch_execz .LBB103_92
; %bb.91:
	ds_read_b32 v190, v161 offset:68
	ds_read2_b64 v[178:181], v161 offset0:9 offset1:10
	ds_read2_b64 v[182:185], v161 offset0:11 offset1:12
	;; [unrolled: 1-line block ×3, first 2 shown]
	s_waitcnt vmcnt(43) lgkmcnt(4)
	v_mul_f32_e32 v140, v177, v140
	s_waitcnt vmcnt(42) lgkmcnt(3)
	v_fma_f32 v141, -v140, v190, v141
	s_waitcnt vmcnt(40) lgkmcnt(2)
	v_pk_fma_f32 v[118:119], v[140:141], v[178:179], v[118:119] op_sel_hi:[0,1,1] neg_lo:[1,0,0] neg_hi:[1,0,0]
	s_waitcnt vmcnt(38)
	v_pk_fma_f32 v[138:139], v[140:141], v[180:181], v[138:139] op_sel_hi:[0,1,1] neg_lo:[1,0,0] neg_hi:[1,0,0]
	s_waitcnt vmcnt(36) lgkmcnt(1)
	v_pk_fma_f32 v[116:117], v[140:141], v[182:183], v[116:117] op_sel_hi:[0,1,1] neg_lo:[1,0,0] neg_hi:[1,0,0]
	ds_read2_b64 v[178:181], v161 offset0:15 offset1:16
	s_waitcnt vmcnt(34)
	v_pk_fma_f32 v[136:137], v[140:141], v[184:185], v[136:137] op_sel_hi:[0,1,1] neg_lo:[1,0,0] neg_hi:[1,0,0]
	s_waitcnt vmcnt(32) lgkmcnt(1)
	v_pk_fma_f32 v[114:115], v[140:141], v[186:187], v[114:115] op_sel_hi:[0,1,1] neg_lo:[1,0,0] neg_hi:[1,0,0]
	ds_read2_b64 v[182:185], v161 offset0:17 offset1:18
	s_waitcnt vmcnt(30)
	v_pk_fma_f32 v[134:135], v[140:141], v[188:189], v[134:135] op_sel_hi:[0,1,1] neg_lo:[1,0,0] neg_hi:[1,0,0]
	ds_read2_b64 v[186:189], v161 offset0:19 offset1:20
	s_waitcnt vmcnt(28) lgkmcnt(2)
	v_pk_fma_f32 v[112:113], v[140:141], v[178:179], v[112:113] op_sel_hi:[0,1,1] neg_lo:[1,0,0] neg_hi:[1,0,0]
	s_waitcnt vmcnt(26)
	v_pk_fma_f32 v[132:133], v[140:141], v[180:181], v[132:133] op_sel_hi:[0,1,1] neg_lo:[1,0,0] neg_hi:[1,0,0]
	s_waitcnt vmcnt(24) lgkmcnt(1)
	v_pk_fma_f32 v[110:111], v[140:141], v[182:183], v[110:111] op_sel_hi:[0,1,1] neg_lo:[1,0,0] neg_hi:[1,0,0]
	s_waitcnt vmcnt(22)
	v_pk_fma_f32 v[130:131], v[140:141], v[184:185], v[130:131] op_sel_hi:[0,1,1] neg_lo:[1,0,0] neg_hi:[1,0,0]
	ds_read2_b64 v[178:181], v161 offset0:21 offset1:22
	s_waitcnt vmcnt(20) lgkmcnt(1)
	v_pk_fma_f32 v[108:109], v[140:141], v[186:187], v[108:109] op_sel_hi:[0,1,1] neg_lo:[1,0,0] neg_hi:[1,0,0]
	ds_read2_b64 v[182:185], v161 offset0:23 offset1:24
	ds_read_b64 v[186:187], v161 offset:200
	s_waitcnt vmcnt(18)
	v_pk_fma_f32 v[128:129], v[140:141], v[188:189], v[128:129] op_sel_hi:[0,1,1] neg_lo:[1,0,0] neg_hi:[1,0,0]
	s_waitcnt vmcnt(16) lgkmcnt(2)
	v_pk_fma_f32 v[106:107], v[140:141], v[178:179], v[106:107] op_sel_hi:[0,1,1] neg_lo:[1,0,0] neg_hi:[1,0,0]
	s_waitcnt vmcnt(14)
	v_pk_fma_f32 v[126:127], v[140:141], v[180:181], v[126:127] op_sel_hi:[0,1,1] neg_lo:[1,0,0] neg_hi:[1,0,0]
	s_waitcnt vmcnt(12) lgkmcnt(1)
	v_pk_fma_f32 v[104:105], v[140:141], v[182:183], v[104:105] op_sel_hi:[0,1,1] neg_lo:[1,0,0] neg_hi:[1,0,0]
	;; [unrolled: 4-line block ×3, first 2 shown]
.LBB103_92:
	s_or_b64 exec, exec, s[2:3]
	v_cmp_ne_u32_e32 vcc, 17, v157
	s_waitcnt lgkmcnt(0)
	s_barrier
	s_and_saveexec_b64 s[2:3], vcc
	s_xor_b64 s[2:3], exec, s[2:3]
	s_andn2_saveexec_b64 s[2:3], s[2:3]
	s_cbranch_execz .LBB103_96
; %bb.93:
	s_waitcnt vmcnt(42)
	ds_write_b32 v159, v141
	s_waitcnt vmcnt(38)
	ds_write2_b64 v161, v[118:119], v[138:139] offset0:9 offset1:10
	s_waitcnt vmcnt(34)
	ds_write2_b64 v161, v[116:117], v[136:137] offset0:11 offset1:12
	;; [unrolled: 2-line block ×8, first 2 shown]
	s_waitcnt vmcnt(8)
	ds_write_b64 v161, v[146:147] offset:200
	ds_read_b32 v178, v159
	s_waitcnt lgkmcnt(0)
	v_cmp_neq_f32_e32 vcc, 0, v178
	s_and_saveexec_b64 s[4:5], vcc
	s_cbranch_execz .LBB103_95
; %bb.94:
	v_div_scale_f32 v179, s[10:11], v178, v178, 1.0
	v_rcp_f32_e32 v180, v179
	v_div_scale_f32 v181, vcc, 1.0, v178, 1.0
	v_fma_f32 v182, -v179, v180, 1.0
	v_fmac_f32_e32 v180, v182, v180
	v_mul_f32_e32 v182, v181, v180
	v_fma_f32 v183, -v179, v182, v181
	v_fmac_f32_e32 v182, v183, v180
	v_fma_f32 v179, -v179, v182, v181
	v_div_fmas_f32 v179, v179, v180, v182
	v_div_fixup_f32 v178, v179, v178, 1.0
	ds_write_b32 v159, v178
.LBB103_95:
	s_or_b64 exec, exec, s[4:5]
.LBB103_96:
	s_or_b64 exec, exec, s[2:3]
	s_waitcnt lgkmcnt(0)
	s_barrier
	ds_read_b32 v178, v159
	v_cmp_lt_u32_e32 vcc, 17, v157
	s_and_saveexec_b64 s[2:3], vcc
	s_cbranch_execz .LBB103_98
; %bb.97:
	ds_read2_b64 v[180:183], v161 offset0:9 offset1:10
	ds_read2_b64 v[184:187], v161 offset0:11 offset1:12
	;; [unrolled: 1-line block ×3, first 2 shown]
	s_waitcnt vmcnt(42) lgkmcnt(3)
	v_mul_f32_e32 v192, v178, v141
	v_mov_b32_e32 v141, v192
	s_waitcnt vmcnt(40) lgkmcnt(2)
	v_pk_fma_f32 v[118:119], v[192:193], v[180:181], v[118:119] op_sel_hi:[0,1,1] neg_lo:[1,0,0] neg_hi:[1,0,0]
	s_waitcnt vmcnt(38)
	v_pk_fma_f32 v[138:139], v[192:193], v[182:183], v[138:139] op_sel_hi:[0,1,1] neg_lo:[1,0,0] neg_hi:[1,0,0]
	s_waitcnt vmcnt(36) lgkmcnt(1)
	v_pk_fma_f32 v[116:117], v[192:193], v[184:185], v[116:117] op_sel_hi:[0,1,1] neg_lo:[1,0,0] neg_hi:[1,0,0]
	ds_read2_b64 v[180:183], v161 offset0:15 offset1:16
	s_waitcnt vmcnt(34)
	v_pk_fma_f32 v[136:137], v[192:193], v[186:187], v[136:137] op_sel_hi:[0,1,1] neg_lo:[1,0,0] neg_hi:[1,0,0]
	s_waitcnt vmcnt(32) lgkmcnt(1)
	v_pk_fma_f32 v[114:115], v[192:193], v[188:189], v[114:115] op_sel_hi:[0,1,1] neg_lo:[1,0,0] neg_hi:[1,0,0]
	ds_read2_b64 v[184:187], v161 offset0:17 offset1:18
	s_waitcnt vmcnt(30)
	v_pk_fma_f32 v[134:135], v[192:193], v[190:191], v[134:135] op_sel_hi:[0,1,1] neg_lo:[1,0,0] neg_hi:[1,0,0]
	ds_read2_b64 v[188:191], v161 offset0:19 offset1:20
	s_waitcnt vmcnt(28) lgkmcnt(2)
	v_pk_fma_f32 v[112:113], v[192:193], v[180:181], v[112:113] op_sel_hi:[0,1,1] neg_lo:[1,0,0] neg_hi:[1,0,0]
	s_waitcnt vmcnt(26)
	v_pk_fma_f32 v[132:133], v[192:193], v[182:183], v[132:133] op_sel_hi:[0,1,1] neg_lo:[1,0,0] neg_hi:[1,0,0]
	s_waitcnt vmcnt(24) lgkmcnt(1)
	v_pk_fma_f32 v[110:111], v[192:193], v[184:185], v[110:111] op_sel_hi:[0,1,1] neg_lo:[1,0,0] neg_hi:[1,0,0]
	s_waitcnt vmcnt(22)
	v_pk_fma_f32 v[130:131], v[192:193], v[186:187], v[130:131] op_sel_hi:[0,1,1] neg_lo:[1,0,0] neg_hi:[1,0,0]
	ds_read2_b64 v[180:183], v161 offset0:21 offset1:22
	ds_read2_b64 v[184:187], v161 offset0:23 offset1:24
	s_waitcnt vmcnt(20) lgkmcnt(2)
	v_pk_fma_f32 v[108:109], v[192:193], v[188:189], v[108:109] op_sel_hi:[0,1,1] neg_lo:[1,0,0] neg_hi:[1,0,0]
	ds_read_b64 v[188:189], v161 offset:200
	s_waitcnt vmcnt(18)
	v_pk_fma_f32 v[128:129], v[192:193], v[190:191], v[128:129] op_sel_hi:[0,1,1] neg_lo:[1,0,0] neg_hi:[1,0,0]
	s_waitcnt vmcnt(16) lgkmcnt(2)
	v_pk_fma_f32 v[106:107], v[192:193], v[180:181], v[106:107] op_sel_hi:[0,1,1] neg_lo:[1,0,0] neg_hi:[1,0,0]
	s_waitcnt vmcnt(14)
	v_pk_fma_f32 v[126:127], v[192:193], v[182:183], v[126:127] op_sel_hi:[0,1,1] neg_lo:[1,0,0] neg_hi:[1,0,0]
	s_waitcnt vmcnt(12) lgkmcnt(1)
	v_pk_fma_f32 v[104:105], v[192:193], v[184:185], v[104:105] op_sel_hi:[0,1,1] neg_lo:[1,0,0] neg_hi:[1,0,0]
	;; [unrolled: 4-line block ×3, first 2 shown]
.LBB103_98:
	s_or_b64 exec, exec, s[2:3]
	v_cmp_eq_u32_e32 vcc, 18, v157
	s_waitcnt lgkmcnt(0)
	s_barrier
	s_and_saveexec_b64 s[2:3], vcc
	s_cbranch_execz .LBB103_101
; %bb.99:
	s_waitcnt vmcnt(38)
	v_pk_mov_b32 v[180:181], v[118:119], v[138:139] op_sel:[1,0]
	ds_write_b32 v159, v118
	ds_write2_b32 v161, v180, v181 offset0:19 offset1:20
	s_waitcnt vmcnt(36)
	v_pk_mov_b32 v[180:181], v[138:139], v[116:117] op_sel:[1,0]
	ds_write2_b32 v161, v180, v181 offset0:21 offset1:22
	s_waitcnt vmcnt(34)
	v_pk_mov_b32 v[180:181], v[116:117], v[136:137] op_sel:[1,0]
	;; [unrolled: 3-line block ×15, first 2 shown]
	ds_write2_b32 v161, v180, v181 offset0:49 offset1:50
	ds_write_b32 v161, v147 offset:204
	ds_read_b32 v179, v159
	s_waitcnt lgkmcnt(0)
	v_cmp_neq_f32_e32 vcc, 0, v179
	s_and_b64 exec, exec, vcc
	s_cbranch_execz .LBB103_101
; %bb.100:
	v_div_scale_f32 v180, s[4:5], v179, v179, 1.0
	v_rcp_f32_e32 v181, v180
	v_div_scale_f32 v182, vcc, 1.0, v179, 1.0
	v_fma_f32 v183, -v180, v181, 1.0
	v_fmac_f32_e32 v181, v183, v181
	v_mul_f32_e32 v183, v182, v181
	v_fma_f32 v184, -v180, v183, v182
	v_fmac_f32_e32 v183, v184, v181
	v_fma_f32 v180, -v180, v183, v182
	v_div_fmas_f32 v180, v180, v181, v183
	v_div_fixup_f32 v179, v180, v179, 1.0
	ds_write_b32 v159, v179
.LBB103_101:
	s_or_b64 exec, exec, s[2:3]
	s_waitcnt lgkmcnt(0)
	s_barrier
	ds_read_b32 v179, v159
	v_cmp_lt_u32_e32 vcc, 18, v157
	s_and_saveexec_b64 s[2:3], vcc
	s_cbranch_execz .LBB103_103
; %bb.102:
	ds_read_b32 v192, v161 offset:76
	ds_read2_b64 v[180:183], v161 offset0:10 offset1:11
	ds_read2_b64 v[184:187], v161 offset0:12 offset1:13
	;; [unrolled: 1-line block ×3, first 2 shown]
	s_waitcnt vmcnt(41) lgkmcnt(4)
	v_mul_f32_e32 v118, v179, v118
	s_waitcnt vmcnt(40) lgkmcnt(3)
	v_fma_f32 v119, -v118, v192, v119
	s_waitcnt vmcnt(38) lgkmcnt(2)
	v_pk_fma_f32 v[138:139], v[118:119], v[180:181], v[138:139] op_sel_hi:[0,1,1] neg_lo:[1,0,0] neg_hi:[1,0,0]
	s_waitcnt vmcnt(36)
	v_pk_fma_f32 v[116:117], v[118:119], v[182:183], v[116:117] op_sel_hi:[0,1,1] neg_lo:[1,0,0] neg_hi:[1,0,0]
	s_waitcnt vmcnt(34) lgkmcnt(1)
	v_pk_fma_f32 v[136:137], v[118:119], v[184:185], v[136:137] op_sel_hi:[0,1,1] neg_lo:[1,0,0] neg_hi:[1,0,0]
	ds_read2_b64 v[180:183], v161 offset0:16 offset1:17
	s_waitcnt vmcnt(32)
	v_pk_fma_f32 v[114:115], v[118:119], v[186:187], v[114:115] op_sel_hi:[0,1,1] neg_lo:[1,0,0] neg_hi:[1,0,0]
	ds_read2_b64 v[184:187], v161 offset0:18 offset1:19
	s_waitcnt vmcnt(30) lgkmcnt(2)
	v_pk_fma_f32 v[134:135], v[118:119], v[188:189], v[134:135] op_sel_hi:[0,1,1] neg_lo:[1,0,0] neg_hi:[1,0,0]
	s_waitcnt vmcnt(28)
	v_pk_fma_f32 v[112:113], v[118:119], v[190:191], v[112:113] op_sel_hi:[0,1,1] neg_lo:[1,0,0] neg_hi:[1,0,0]
	s_waitcnt vmcnt(26) lgkmcnt(1)
	v_pk_fma_f32 v[132:133], v[118:119], v[180:181], v[132:133] op_sel_hi:[0,1,1] neg_lo:[1,0,0] neg_hi:[1,0,0]
	s_waitcnt vmcnt(24)
	v_pk_fma_f32 v[110:111], v[118:119], v[182:183], v[110:111] op_sel_hi:[0,1,1] neg_lo:[1,0,0] neg_hi:[1,0,0]
	ds_read2_b64 v[180:183], v161 offset0:20 offset1:21
	ds_read2_b64 v[188:191], v161 offset0:22 offset1:23
	s_waitcnt vmcnt(22) lgkmcnt(2)
	v_pk_fma_f32 v[130:131], v[118:119], v[184:185], v[130:131] op_sel_hi:[0,1,1] neg_lo:[1,0,0] neg_hi:[1,0,0]
	s_waitcnt vmcnt(20)
	v_pk_fma_f32 v[108:109], v[118:119], v[186:187], v[108:109] op_sel_hi:[0,1,1] neg_lo:[1,0,0] neg_hi:[1,0,0]
	ds_read2_b64 v[184:187], v161 offset0:24 offset1:25
	s_waitcnt vmcnt(18) lgkmcnt(2)
	v_pk_fma_f32 v[128:129], v[118:119], v[180:181], v[128:129] op_sel_hi:[0,1,1] neg_lo:[1,0,0] neg_hi:[1,0,0]
	s_waitcnt vmcnt(16)
	v_pk_fma_f32 v[106:107], v[118:119], v[182:183], v[106:107] op_sel_hi:[0,1,1] neg_lo:[1,0,0] neg_hi:[1,0,0]
	s_waitcnt vmcnt(14) lgkmcnt(1)
	v_pk_fma_f32 v[126:127], v[118:119], v[188:189], v[126:127] op_sel_hi:[0,1,1] neg_lo:[1,0,0] neg_hi:[1,0,0]
	s_waitcnt vmcnt(12)
	v_pk_fma_f32 v[104:105], v[118:119], v[190:191], v[104:105] op_sel_hi:[0,1,1] neg_lo:[1,0,0] neg_hi:[1,0,0]
	;; [unrolled: 4-line block ×3, first 2 shown]
.LBB103_103:
	s_or_b64 exec, exec, s[2:3]
	v_cmp_ne_u32_e32 vcc, 19, v157
	s_waitcnt lgkmcnt(0)
	s_barrier
	s_and_saveexec_b64 s[2:3], vcc
	s_xor_b64 s[2:3], exec, s[2:3]
	s_andn2_saveexec_b64 s[2:3], s[2:3]
	s_cbranch_execz .LBB103_107
; %bb.104:
	s_waitcnt vmcnt(39)
	v_mov_b32_e32 v180, v138
	s_waitcnt vmcnt(38)
	v_mov_b32_e32 v181, v139
	;; [unrolled: 2-line block ×4, first 2 shown]
	ds_write_b32 v159, v119
	ds_write2_b64 v161, v[180:181], v[182:183] offset0:10 offset1:11
	s_waitcnt vmcnt(35)
	v_mov_b32_e32 v180, v136
	s_waitcnt vmcnt(34)
	v_mov_b32_e32 v181, v137
	s_waitcnt vmcnt(33)
	v_mov_b32_e32 v182, v114
	s_waitcnt vmcnt(32)
	v_mov_b32_e32 v183, v115
	ds_write2_b64 v161, v[180:181], v[182:183] offset0:12 offset1:13
	s_waitcnt vmcnt(31)
	v_mov_b32_e32 v180, v134
	s_waitcnt vmcnt(30)
	v_mov_b32_e32 v181, v135
	s_waitcnt vmcnt(29)
	v_mov_b32_e32 v182, v112
	s_waitcnt vmcnt(28)
	v_mov_b32_e32 v183, v113
	;; [unrolled: 9-line block ×6, first 2 shown]
	ds_write2_b64 v161, v[180:181], v[182:183] offset0:22 offset1:23
	s_waitcnt vmcnt(11)
	v_mov_b32_e32 v180, v124
	s_waitcnt vmcnt(10)
	v_mov_b32_e32 v181, v125
	s_waitcnt vmcnt(8)
	ds_write2_b64 v161, v[180:181], v[146:147] offset0:24 offset1:25
	ds_read_b32 v180, v159
	s_waitcnt lgkmcnt(0)
	v_cmp_neq_f32_e32 vcc, 0, v180
	s_and_saveexec_b64 s[4:5], vcc
	s_cbranch_execz .LBB103_106
; %bb.105:
	v_div_scale_f32 v181, s[10:11], v180, v180, 1.0
	v_rcp_f32_e32 v182, v181
	v_div_scale_f32 v183, vcc, 1.0, v180, 1.0
	v_fma_f32 v184, -v181, v182, 1.0
	v_fmac_f32_e32 v182, v184, v182
	v_mul_f32_e32 v184, v183, v182
	v_fma_f32 v185, -v181, v184, v183
	v_fmac_f32_e32 v184, v185, v182
	v_fma_f32 v181, -v181, v184, v183
	v_div_fmas_f32 v181, v181, v182, v184
	v_div_fixup_f32 v180, v181, v180, 1.0
	ds_write_b32 v159, v180
.LBB103_106:
	s_or_b64 exec, exec, s[4:5]
.LBB103_107:
	s_or_b64 exec, exec, s[2:3]
	s_waitcnt lgkmcnt(0)
	s_barrier
	ds_read_b32 v180, v159
	v_cmp_lt_u32_e32 vcc, 19, v157
	s_and_saveexec_b64 s[2:3], vcc
	s_cbranch_execz .LBB103_109
; %bb.108:
	ds_read2_b64 v[182:185], v161 offset0:10 offset1:11
	ds_read2_b64 v[186:189], v161 offset0:12 offset1:13
	s_waitcnt vmcnt(40) lgkmcnt(2)
	v_mul_f32_e32 v194, v180, v119
	ds_read2_b64 v[190:193], v161 offset0:14 offset1:15
	v_mov_b32_e32 v119, v194
	s_waitcnt vmcnt(38) lgkmcnt(2)
	v_pk_fma_f32 v[138:139], v[194:195], v[182:183], v[138:139] op_sel_hi:[0,1,1] neg_lo:[1,0,0] neg_hi:[1,0,0]
	s_waitcnt vmcnt(36)
	v_pk_fma_f32 v[116:117], v[194:195], v[184:185], v[116:117] op_sel_hi:[0,1,1] neg_lo:[1,0,0] neg_hi:[1,0,0]
	s_waitcnt vmcnt(34) lgkmcnt(1)
	v_pk_fma_f32 v[136:137], v[194:195], v[186:187], v[136:137] op_sel_hi:[0,1,1] neg_lo:[1,0,0] neg_hi:[1,0,0]
	ds_read2_b64 v[182:185], v161 offset0:16 offset1:17
	s_waitcnt vmcnt(32)
	v_pk_fma_f32 v[114:115], v[194:195], v[188:189], v[114:115] op_sel_hi:[0,1,1] neg_lo:[1,0,0] neg_hi:[1,0,0]
	ds_read2_b64 v[186:189], v161 offset0:18 offset1:19
	s_waitcnt vmcnt(30) lgkmcnt(2)
	v_pk_fma_f32 v[134:135], v[194:195], v[190:191], v[134:135] op_sel_hi:[0,1,1] neg_lo:[1,0,0] neg_hi:[1,0,0]
	s_waitcnt vmcnt(28)
	v_pk_fma_f32 v[112:113], v[194:195], v[192:193], v[112:113] op_sel_hi:[0,1,1] neg_lo:[1,0,0] neg_hi:[1,0,0]
	s_waitcnt vmcnt(26) lgkmcnt(1)
	v_pk_fma_f32 v[132:133], v[194:195], v[182:183], v[132:133] op_sel_hi:[0,1,1] neg_lo:[1,0,0] neg_hi:[1,0,0]
	s_waitcnt vmcnt(24)
	v_pk_fma_f32 v[110:111], v[194:195], v[184:185], v[110:111] op_sel_hi:[0,1,1] neg_lo:[1,0,0] neg_hi:[1,0,0]
	ds_read2_b64 v[182:185], v161 offset0:20 offset1:21
	s_waitcnt vmcnt(22) lgkmcnt(1)
	v_pk_fma_f32 v[130:131], v[194:195], v[186:187], v[130:131] op_sel_hi:[0,1,1] neg_lo:[1,0,0] neg_hi:[1,0,0]
	ds_read2_b64 v[190:193], v161 offset0:22 offset1:23
	s_waitcnt vmcnt(20)
	v_pk_fma_f32 v[108:109], v[194:195], v[188:189], v[108:109] op_sel_hi:[0,1,1] neg_lo:[1,0,0] neg_hi:[1,0,0]
	ds_read2_b64 v[186:189], v161 offset0:24 offset1:25
	s_waitcnt vmcnt(18) lgkmcnt(2)
	v_pk_fma_f32 v[128:129], v[194:195], v[182:183], v[128:129] op_sel_hi:[0,1,1] neg_lo:[1,0,0] neg_hi:[1,0,0]
	s_waitcnt vmcnt(16)
	v_pk_fma_f32 v[106:107], v[194:195], v[184:185], v[106:107] op_sel_hi:[0,1,1] neg_lo:[1,0,0] neg_hi:[1,0,0]
	s_waitcnt vmcnt(14) lgkmcnt(1)
	v_pk_fma_f32 v[126:127], v[194:195], v[190:191], v[126:127] op_sel_hi:[0,1,1] neg_lo:[1,0,0] neg_hi:[1,0,0]
	s_waitcnt vmcnt(12)
	v_pk_fma_f32 v[104:105], v[194:195], v[192:193], v[104:105] op_sel_hi:[0,1,1] neg_lo:[1,0,0] neg_hi:[1,0,0]
	;; [unrolled: 4-line block ×3, first 2 shown]
.LBB103_109:
	s_or_b64 exec, exec, s[2:3]
	v_cmp_eq_u32_e32 vcc, 20, v157
	s_waitcnt lgkmcnt(0)
	s_barrier
	s_and_saveexec_b64 s[2:3], vcc
	s_cbranch_execz .LBB103_112
; %bb.110:
	s_waitcnt vmcnt(36)
	v_pk_mov_b32 v[182:183], v[138:139], v[116:117] op_sel:[1,0]
	ds_write_b32 v159, v138
	ds_write2_b32 v161, v182, v183 offset0:21 offset1:22
	s_waitcnt vmcnt(34)
	v_pk_mov_b32 v[182:183], v[116:117], v[136:137] op_sel:[1,0]
	ds_write2_b32 v161, v182, v183 offset0:23 offset1:24
	s_waitcnt vmcnt(32)
	v_pk_mov_b32 v[182:183], v[136:137], v[114:115] op_sel:[1,0]
	ds_write2_b32 v161, v182, v183 offset0:25 offset1:26
	s_waitcnt vmcnt(30)
	v_pk_mov_b32 v[182:183], v[114:115], v[134:135] op_sel:[1,0]
	ds_write2_b32 v161, v182, v183 offset0:27 offset1:28
	s_waitcnt vmcnt(28)
	v_pk_mov_b32 v[182:183], v[134:135], v[112:113] op_sel:[1,0]
	ds_write2_b32 v161, v182, v183 offset0:29 offset1:30
	s_waitcnt vmcnt(26)
	v_pk_mov_b32 v[182:183], v[112:113], v[132:133] op_sel:[1,0]
	ds_write2_b32 v161, v182, v183 offset0:31 offset1:32
	s_waitcnt vmcnt(24)
	v_pk_mov_b32 v[182:183], v[132:133], v[110:111] op_sel:[1,0]
	ds_write2_b32 v161, v182, v183 offset0:33 offset1:34
	s_waitcnt vmcnt(22)
	v_pk_mov_b32 v[182:183], v[110:111], v[130:131] op_sel:[1,0]
	ds_write2_b32 v161, v182, v183 offset0:35 offset1:36
	s_waitcnt vmcnt(20)
	v_pk_mov_b32 v[182:183], v[130:131], v[108:109] op_sel:[1,0]
	ds_write2_b32 v161, v182, v183 offset0:37 offset1:38
	s_waitcnt vmcnt(18)
	v_pk_mov_b32 v[182:183], v[108:109], v[128:129] op_sel:[1,0]
	ds_write2_b32 v161, v182, v183 offset0:39 offset1:40
	s_waitcnt vmcnt(16)
	v_pk_mov_b32 v[182:183], v[128:129], v[106:107] op_sel:[1,0]
	ds_write2_b32 v161, v182, v183 offset0:41 offset1:42
	s_waitcnt vmcnt(14)
	v_pk_mov_b32 v[182:183], v[106:107], v[126:127] op_sel:[1,0]
	ds_write2_b32 v161, v182, v183 offset0:43 offset1:44
	s_waitcnt vmcnt(12)
	v_pk_mov_b32 v[182:183], v[126:127], v[104:105] op_sel:[1,0]
	ds_write2_b32 v161, v182, v183 offset0:45 offset1:46
	s_waitcnt vmcnt(10)
	v_pk_mov_b32 v[182:183], v[104:105], v[124:125] op_sel:[1,0]
	ds_write2_b32 v161, v182, v183 offset0:47 offset1:48
	s_waitcnt vmcnt(8)
	v_pk_mov_b32 v[182:183], v[124:125], v[146:147] op_sel:[1,0]
	ds_write2_b32 v161, v182, v183 offset0:49 offset1:50
	ds_write_b32 v161, v147 offset:204
	ds_read_b32 v181, v159
	s_waitcnt lgkmcnt(0)
	v_cmp_neq_f32_e32 vcc, 0, v181
	s_and_b64 exec, exec, vcc
	s_cbranch_execz .LBB103_112
; %bb.111:
	v_div_scale_f32 v182, s[4:5], v181, v181, 1.0
	v_rcp_f32_e32 v183, v182
	v_div_scale_f32 v184, vcc, 1.0, v181, 1.0
	v_fma_f32 v185, -v182, v183, 1.0
	v_fmac_f32_e32 v183, v185, v183
	v_mul_f32_e32 v185, v184, v183
	v_fma_f32 v186, -v182, v185, v184
	v_fmac_f32_e32 v185, v186, v183
	v_fma_f32 v182, -v182, v185, v184
	v_div_fmas_f32 v182, v182, v183, v185
	v_div_fixup_f32 v181, v182, v181, 1.0
	ds_write_b32 v159, v181
.LBB103_112:
	s_or_b64 exec, exec, s[2:3]
	s_waitcnt lgkmcnt(0)
	s_barrier
	ds_read_b32 v181, v159
	v_cmp_lt_u32_e32 vcc, 20, v157
	s_and_saveexec_b64 s[2:3], vcc
	s_cbranch_execz .LBB103_114
; %bb.113:
	ds_read_b32 v194, v161 offset:84
	ds_read2_b64 v[182:185], v161 offset0:11 offset1:12
	ds_read2_b64 v[186:189], v161 offset0:13 offset1:14
	;; [unrolled: 1-line block ×3, first 2 shown]
	s_waitcnt vmcnt(39) lgkmcnt(4)
	v_mul_f32_e32 v138, v181, v138
	s_waitcnt vmcnt(38) lgkmcnt(3)
	v_fma_f32 v139, -v138, v194, v139
	s_waitcnt vmcnt(36) lgkmcnt(2)
	v_pk_fma_f32 v[116:117], v[138:139], v[182:183], v[116:117] op_sel_hi:[0,1,1] neg_lo:[1,0,0] neg_hi:[1,0,0]
	s_waitcnt vmcnt(34)
	v_pk_fma_f32 v[136:137], v[138:139], v[184:185], v[136:137] op_sel_hi:[0,1,1] neg_lo:[1,0,0] neg_hi:[1,0,0]
	s_waitcnt vmcnt(32) lgkmcnt(1)
	v_pk_fma_f32 v[114:115], v[138:139], v[186:187], v[114:115] op_sel_hi:[0,1,1] neg_lo:[1,0,0] neg_hi:[1,0,0]
	ds_read2_b64 v[182:185], v161 offset0:17 offset1:18
	s_waitcnt vmcnt(30)
	v_pk_fma_f32 v[134:135], v[138:139], v[188:189], v[134:135] op_sel_hi:[0,1,1] neg_lo:[1,0,0] neg_hi:[1,0,0]
	ds_read2_b64 v[186:189], v161 offset0:19 offset1:20
	s_waitcnt vmcnt(28) lgkmcnt(2)
	v_pk_fma_f32 v[112:113], v[138:139], v[190:191], v[112:113] op_sel_hi:[0,1,1] neg_lo:[1,0,0] neg_hi:[1,0,0]
	s_waitcnt vmcnt(26)
	v_pk_fma_f32 v[132:133], v[138:139], v[192:193], v[132:133] op_sel_hi:[0,1,1] neg_lo:[1,0,0] neg_hi:[1,0,0]
	s_waitcnt vmcnt(24) lgkmcnt(1)
	v_pk_fma_f32 v[110:111], v[138:139], v[182:183], v[110:111] op_sel_hi:[0,1,1] neg_lo:[1,0,0] neg_hi:[1,0,0]
	s_waitcnt vmcnt(22)
	v_pk_fma_f32 v[130:131], v[138:139], v[184:185], v[130:131] op_sel_hi:[0,1,1] neg_lo:[1,0,0] neg_hi:[1,0,0]
	ds_read2_b64 v[182:185], v161 offset0:21 offset1:22
	ds_read2_b64 v[190:193], v161 offset0:23 offset1:24
	s_waitcnt vmcnt(20) lgkmcnt(2)
	v_pk_fma_f32 v[108:109], v[138:139], v[186:187], v[108:109] op_sel_hi:[0,1,1] neg_lo:[1,0,0] neg_hi:[1,0,0]
	ds_read_b64 v[186:187], v161 offset:200
	s_waitcnt vmcnt(18)
	v_pk_fma_f32 v[128:129], v[138:139], v[188:189], v[128:129] op_sel_hi:[0,1,1] neg_lo:[1,0,0] neg_hi:[1,0,0]
	s_waitcnt vmcnt(16) lgkmcnt(2)
	v_pk_fma_f32 v[106:107], v[138:139], v[182:183], v[106:107] op_sel_hi:[0,1,1] neg_lo:[1,0,0] neg_hi:[1,0,0]
	s_waitcnt vmcnt(14)
	v_pk_fma_f32 v[126:127], v[138:139], v[184:185], v[126:127] op_sel_hi:[0,1,1] neg_lo:[1,0,0] neg_hi:[1,0,0]
	s_waitcnt vmcnt(12) lgkmcnt(1)
	v_pk_fma_f32 v[104:105], v[138:139], v[190:191], v[104:105] op_sel_hi:[0,1,1] neg_lo:[1,0,0] neg_hi:[1,0,0]
	;; [unrolled: 4-line block ×3, first 2 shown]
.LBB103_114:
	s_or_b64 exec, exec, s[2:3]
	v_cmp_ne_u32_e32 vcc, 21, v157
	s_waitcnt lgkmcnt(0)
	s_barrier
	s_and_saveexec_b64 s[2:3], vcc
	s_xor_b64 s[2:3], exec, s[2:3]
	s_andn2_saveexec_b64 s[2:3], s[2:3]
	s_cbranch_execz .LBB103_118
; %bb.115:
	s_waitcnt vmcnt(38)
	ds_write_b32 v159, v139
	s_waitcnt vmcnt(34)
	ds_write2_b64 v161, v[116:117], v[136:137] offset0:11 offset1:12
	s_waitcnt vmcnt(30)
	ds_write2_b64 v161, v[114:115], v[134:135] offset0:13 offset1:14
	;; [unrolled: 2-line block ×7, first 2 shown]
	s_waitcnt vmcnt(8)
	ds_write_b64 v161, v[146:147] offset:200
	ds_read_b32 v182, v159
	s_waitcnt lgkmcnt(0)
	v_cmp_neq_f32_e32 vcc, 0, v182
	s_and_saveexec_b64 s[4:5], vcc
	s_cbranch_execz .LBB103_117
; %bb.116:
	v_div_scale_f32 v183, s[10:11], v182, v182, 1.0
	v_rcp_f32_e32 v184, v183
	v_div_scale_f32 v185, vcc, 1.0, v182, 1.0
	v_fma_f32 v186, -v183, v184, 1.0
	v_fmac_f32_e32 v184, v186, v184
	v_mul_f32_e32 v186, v185, v184
	v_fma_f32 v187, -v183, v186, v185
	v_fmac_f32_e32 v186, v187, v184
	v_fma_f32 v183, -v183, v186, v185
	v_div_fmas_f32 v183, v183, v184, v186
	v_div_fixup_f32 v182, v183, v182, 1.0
	ds_write_b32 v159, v182
.LBB103_117:
	s_or_b64 exec, exec, s[4:5]
.LBB103_118:
	s_or_b64 exec, exec, s[2:3]
	s_waitcnt lgkmcnt(0)
	s_barrier
	ds_read_b32 v182, v159
	v_cmp_lt_u32_e32 vcc, 21, v157
	s_and_saveexec_b64 s[2:3], vcc
	s_cbranch_execz .LBB103_120
; %bb.119:
	ds_read2_b64 v[184:187], v161 offset0:11 offset1:12
	ds_read2_b64 v[188:191], v161 offset0:13 offset1:14
	s_waitcnt vmcnt(38) lgkmcnt(2)
	v_mul_f32_e32 v196, v182, v139
	ds_read2_b64 v[192:195], v161 offset0:15 offset1:16
	v_mov_b32_e32 v139, v196
	s_waitcnt vmcnt(36) lgkmcnt(2)
	v_pk_fma_f32 v[116:117], v[196:197], v[184:185], v[116:117] op_sel_hi:[0,1,1] neg_lo:[1,0,0] neg_hi:[1,0,0]
	s_waitcnt vmcnt(34)
	v_pk_fma_f32 v[136:137], v[196:197], v[186:187], v[136:137] op_sel_hi:[0,1,1] neg_lo:[1,0,0] neg_hi:[1,0,0]
	s_waitcnt vmcnt(32) lgkmcnt(1)
	v_pk_fma_f32 v[114:115], v[196:197], v[188:189], v[114:115] op_sel_hi:[0,1,1] neg_lo:[1,0,0] neg_hi:[1,0,0]
	ds_read2_b64 v[184:187], v161 offset0:17 offset1:18
	s_waitcnt vmcnt(30)
	v_pk_fma_f32 v[134:135], v[196:197], v[190:191], v[134:135] op_sel_hi:[0,1,1] neg_lo:[1,0,0] neg_hi:[1,0,0]
	ds_read2_b64 v[188:191], v161 offset0:19 offset1:20
	s_waitcnt vmcnt(28) lgkmcnt(2)
	v_pk_fma_f32 v[112:113], v[196:197], v[192:193], v[112:113] op_sel_hi:[0,1,1] neg_lo:[1,0,0] neg_hi:[1,0,0]
	s_waitcnt vmcnt(26)
	v_pk_fma_f32 v[132:133], v[196:197], v[194:195], v[132:133] op_sel_hi:[0,1,1] neg_lo:[1,0,0] neg_hi:[1,0,0]
	s_waitcnt vmcnt(24) lgkmcnt(1)
	v_pk_fma_f32 v[110:111], v[196:197], v[184:185], v[110:111] op_sel_hi:[0,1,1] neg_lo:[1,0,0] neg_hi:[1,0,0]
	s_waitcnt vmcnt(22)
	v_pk_fma_f32 v[130:131], v[196:197], v[186:187], v[130:131] op_sel_hi:[0,1,1] neg_lo:[1,0,0] neg_hi:[1,0,0]
	ds_read2_b64 v[184:187], v161 offset0:21 offset1:22
	s_waitcnt vmcnt(20) lgkmcnt(1)
	v_pk_fma_f32 v[108:109], v[196:197], v[188:189], v[108:109] op_sel_hi:[0,1,1] neg_lo:[1,0,0] neg_hi:[1,0,0]
	ds_read2_b64 v[192:195], v161 offset0:23 offset1:24
	ds_read_b64 v[188:189], v161 offset:200
	s_waitcnt vmcnt(18)
	v_pk_fma_f32 v[128:129], v[196:197], v[190:191], v[128:129] op_sel_hi:[0,1,1] neg_lo:[1,0,0] neg_hi:[1,0,0]
	s_waitcnt vmcnt(16) lgkmcnt(2)
	v_pk_fma_f32 v[106:107], v[196:197], v[184:185], v[106:107] op_sel_hi:[0,1,1] neg_lo:[1,0,0] neg_hi:[1,0,0]
	s_waitcnt vmcnt(14)
	v_pk_fma_f32 v[126:127], v[196:197], v[186:187], v[126:127] op_sel_hi:[0,1,1] neg_lo:[1,0,0] neg_hi:[1,0,0]
	s_waitcnt vmcnt(12) lgkmcnt(1)
	v_pk_fma_f32 v[104:105], v[196:197], v[192:193], v[104:105] op_sel_hi:[0,1,1] neg_lo:[1,0,0] neg_hi:[1,0,0]
	;; [unrolled: 4-line block ×3, first 2 shown]
.LBB103_120:
	s_or_b64 exec, exec, s[2:3]
	v_cmp_eq_u32_e32 vcc, 22, v157
	s_waitcnt lgkmcnt(0)
	s_barrier
	s_and_saveexec_b64 s[2:3], vcc
	s_cbranch_execz .LBB103_123
; %bb.121:
	s_waitcnt vmcnt(34)
	v_pk_mov_b32 v[184:185], v[116:117], v[136:137] op_sel:[1,0]
	ds_write_b32 v159, v116
	ds_write2_b32 v161, v184, v185 offset0:23 offset1:24
	s_waitcnt vmcnt(32)
	v_pk_mov_b32 v[184:185], v[136:137], v[114:115] op_sel:[1,0]
	ds_write2_b32 v161, v184, v185 offset0:25 offset1:26
	s_waitcnt vmcnt(30)
	v_pk_mov_b32 v[184:185], v[114:115], v[134:135] op_sel:[1,0]
	;; [unrolled: 3-line block ×13, first 2 shown]
	ds_write2_b32 v161, v184, v185 offset0:49 offset1:50
	ds_write_b32 v161, v147 offset:204
	ds_read_b32 v183, v159
	s_waitcnt lgkmcnt(0)
	v_cmp_neq_f32_e32 vcc, 0, v183
	s_and_b64 exec, exec, vcc
	s_cbranch_execz .LBB103_123
; %bb.122:
	v_div_scale_f32 v184, s[4:5], v183, v183, 1.0
	v_rcp_f32_e32 v185, v184
	v_div_scale_f32 v186, vcc, 1.0, v183, 1.0
	v_fma_f32 v187, -v184, v185, 1.0
	v_fmac_f32_e32 v185, v187, v185
	v_mul_f32_e32 v187, v186, v185
	v_fma_f32 v188, -v184, v187, v186
	v_fmac_f32_e32 v187, v188, v185
	v_fma_f32 v184, -v184, v187, v186
	v_div_fmas_f32 v184, v184, v185, v187
	v_div_fixup_f32 v183, v184, v183, 1.0
	ds_write_b32 v159, v183
.LBB103_123:
	s_or_b64 exec, exec, s[2:3]
	s_waitcnt lgkmcnt(0)
	s_barrier
	ds_read_b32 v183, v159
	v_cmp_lt_u32_e32 vcc, 22, v157
	s_and_saveexec_b64 s[2:3], vcc
	s_cbranch_execz .LBB103_125
; %bb.124:
	ds_read_b32 v196, v161 offset:92
	ds_read2_b64 v[184:187], v161 offset0:12 offset1:13
	s_waitcnt vmcnt(37) lgkmcnt(2)
	v_mul_f32_e32 v116, v183, v116
	ds_read2_b64 v[188:191], v161 offset0:14 offset1:15
	ds_read2_b64 v[192:195], v161 offset0:16 offset1:17
	s_waitcnt vmcnt(36) lgkmcnt(3)
	v_fma_f32 v117, -v116, v196, v117
	s_waitcnt vmcnt(34) lgkmcnt(2)
	v_pk_fma_f32 v[136:137], v[116:117], v[184:185], v[136:137] op_sel_hi:[0,1,1] neg_lo:[1,0,0] neg_hi:[1,0,0]
	s_waitcnt vmcnt(32)
	v_pk_fma_f32 v[114:115], v[116:117], v[186:187], v[114:115] op_sel_hi:[0,1,1] neg_lo:[1,0,0] neg_hi:[1,0,0]
	ds_read2_b64 v[184:187], v161 offset0:18 offset1:19
	s_waitcnt vmcnt(30) lgkmcnt(2)
	v_pk_fma_f32 v[134:135], v[116:117], v[188:189], v[134:135] op_sel_hi:[0,1,1] neg_lo:[1,0,0] neg_hi:[1,0,0]
	s_waitcnt vmcnt(28)
	v_pk_fma_f32 v[112:113], v[116:117], v[190:191], v[112:113] op_sel_hi:[0,1,1] neg_lo:[1,0,0] neg_hi:[1,0,0]
	s_waitcnt vmcnt(26) lgkmcnt(1)
	v_pk_fma_f32 v[132:133], v[116:117], v[192:193], v[132:133] op_sel_hi:[0,1,1] neg_lo:[1,0,0] neg_hi:[1,0,0]
	s_waitcnt vmcnt(24)
	v_pk_fma_f32 v[110:111], v[116:117], v[194:195], v[110:111] op_sel_hi:[0,1,1] neg_lo:[1,0,0] neg_hi:[1,0,0]
	ds_read2_b64 v[188:191], v161 offset0:20 offset1:21
	s_waitcnt vmcnt(22) lgkmcnt(1)
	v_pk_fma_f32 v[130:131], v[116:117], v[184:185], v[130:131] op_sel_hi:[0,1,1] neg_lo:[1,0,0] neg_hi:[1,0,0]
	ds_read2_b64 v[192:195], v161 offset0:22 offset1:23
	s_waitcnt vmcnt(20)
	v_pk_fma_f32 v[108:109], v[116:117], v[186:187], v[108:109] op_sel_hi:[0,1,1] neg_lo:[1,0,0] neg_hi:[1,0,0]
	ds_read2_b64 v[184:187], v161 offset0:24 offset1:25
	s_waitcnt vmcnt(18) lgkmcnt(2)
	v_pk_fma_f32 v[128:129], v[116:117], v[188:189], v[128:129] op_sel_hi:[0,1,1] neg_lo:[1,0,0] neg_hi:[1,0,0]
	s_waitcnt vmcnt(16)
	v_pk_fma_f32 v[106:107], v[116:117], v[190:191], v[106:107] op_sel_hi:[0,1,1] neg_lo:[1,0,0] neg_hi:[1,0,0]
	s_waitcnt vmcnt(14) lgkmcnt(1)
	v_pk_fma_f32 v[126:127], v[116:117], v[192:193], v[126:127] op_sel_hi:[0,1,1] neg_lo:[1,0,0] neg_hi:[1,0,0]
	s_waitcnt vmcnt(12)
	v_pk_fma_f32 v[104:105], v[116:117], v[194:195], v[104:105] op_sel_hi:[0,1,1] neg_lo:[1,0,0] neg_hi:[1,0,0]
	;; [unrolled: 4-line block ×3, first 2 shown]
.LBB103_125:
	s_or_b64 exec, exec, s[2:3]
	v_cmp_ne_u32_e32 vcc, 23, v157
	s_waitcnt lgkmcnt(0)
	s_barrier
	s_and_saveexec_b64 s[2:3], vcc
	s_xor_b64 s[2:3], exec, s[2:3]
	s_andn2_saveexec_b64 s[2:3], s[2:3]
	s_cbranch_execz .LBB103_129
; %bb.126:
	s_waitcnt vmcnt(35)
	v_mov_b32_e32 v184, v136
	s_waitcnt vmcnt(34)
	v_mov_b32_e32 v185, v137
	;; [unrolled: 2-line block ×4, first 2 shown]
	ds_write_b32 v159, v117
	ds_write2_b64 v161, v[184:185], v[186:187] offset0:12 offset1:13
	s_waitcnt vmcnt(31)
	v_mov_b32_e32 v184, v134
	s_waitcnt vmcnt(30)
	v_mov_b32_e32 v185, v135
	s_waitcnt vmcnt(29)
	v_mov_b32_e32 v186, v112
	s_waitcnt vmcnt(28)
	v_mov_b32_e32 v187, v113
	ds_write2_b64 v161, v[184:185], v[186:187] offset0:14 offset1:15
	s_waitcnt vmcnt(27)
	v_mov_b32_e32 v184, v132
	s_waitcnt vmcnt(26)
	v_mov_b32_e32 v185, v133
	s_waitcnt vmcnt(25)
	v_mov_b32_e32 v186, v110
	s_waitcnt vmcnt(24)
	v_mov_b32_e32 v187, v111
	;; [unrolled: 9-line block ×5, first 2 shown]
	ds_write2_b64 v161, v[184:185], v[186:187] offset0:22 offset1:23
	s_waitcnt vmcnt(11)
	v_mov_b32_e32 v184, v124
	s_waitcnt vmcnt(10)
	v_mov_b32_e32 v185, v125
	s_waitcnt vmcnt(8)
	ds_write2_b64 v161, v[184:185], v[146:147] offset0:24 offset1:25
	ds_read_b32 v184, v159
	s_waitcnt lgkmcnt(0)
	v_cmp_neq_f32_e32 vcc, 0, v184
	s_and_saveexec_b64 s[4:5], vcc
	s_cbranch_execz .LBB103_128
; %bb.127:
	v_div_scale_f32 v185, s[10:11], v184, v184, 1.0
	v_rcp_f32_e32 v186, v185
	v_div_scale_f32 v187, vcc, 1.0, v184, 1.0
	v_fma_f32 v188, -v185, v186, 1.0
	v_fmac_f32_e32 v186, v188, v186
	v_mul_f32_e32 v188, v187, v186
	v_fma_f32 v189, -v185, v188, v187
	v_fmac_f32_e32 v188, v189, v186
	v_fma_f32 v185, -v185, v188, v187
	v_div_fmas_f32 v185, v185, v186, v188
	v_div_fixup_f32 v184, v185, v184, 1.0
	ds_write_b32 v159, v184
.LBB103_128:
	s_or_b64 exec, exec, s[4:5]
.LBB103_129:
	s_or_b64 exec, exec, s[2:3]
	s_waitcnt lgkmcnt(0)
	s_barrier
	ds_read_b32 v184, v159
	v_cmp_lt_u32_e32 vcc, 23, v157
	s_and_saveexec_b64 s[2:3], vcc
	s_cbranch_execz .LBB103_131
; %bb.130:
	ds_read2_b64 v[186:189], v161 offset0:12 offset1:13
	ds_read2_b64 v[190:193], v161 offset0:14 offset1:15
	s_waitcnt vmcnt(36) lgkmcnt(2)
	v_mul_f32_e32 v198, v184, v117
	ds_read2_b64 v[194:197], v161 offset0:16 offset1:17
	v_mov_b32_e32 v117, v198
	s_waitcnt vmcnt(34) lgkmcnt(2)
	v_pk_fma_f32 v[136:137], v[198:199], v[186:187], v[136:137] op_sel_hi:[0,1,1] neg_lo:[1,0,0] neg_hi:[1,0,0]
	s_waitcnt vmcnt(32)
	v_pk_fma_f32 v[114:115], v[198:199], v[188:189], v[114:115] op_sel_hi:[0,1,1] neg_lo:[1,0,0] neg_hi:[1,0,0]
	ds_read2_b64 v[186:189], v161 offset0:18 offset1:19
	s_waitcnt vmcnt(30) lgkmcnt(2)
	v_pk_fma_f32 v[134:135], v[198:199], v[190:191], v[134:135] op_sel_hi:[0,1,1] neg_lo:[1,0,0] neg_hi:[1,0,0]
	s_waitcnt vmcnt(28)
	v_pk_fma_f32 v[112:113], v[198:199], v[192:193], v[112:113] op_sel_hi:[0,1,1] neg_lo:[1,0,0] neg_hi:[1,0,0]
	s_waitcnt vmcnt(26) lgkmcnt(1)
	v_pk_fma_f32 v[132:133], v[198:199], v[194:195], v[132:133] op_sel_hi:[0,1,1] neg_lo:[1,0,0] neg_hi:[1,0,0]
	s_waitcnt vmcnt(24)
	v_pk_fma_f32 v[110:111], v[198:199], v[196:197], v[110:111] op_sel_hi:[0,1,1] neg_lo:[1,0,0] neg_hi:[1,0,0]
	ds_read2_b64 v[190:193], v161 offset0:20 offset1:21
	ds_read2_b64 v[194:197], v161 offset0:22 offset1:23
	s_waitcnt vmcnt(22) lgkmcnt(2)
	v_pk_fma_f32 v[130:131], v[198:199], v[186:187], v[130:131] op_sel_hi:[0,1,1] neg_lo:[1,0,0] neg_hi:[1,0,0]
	s_waitcnt vmcnt(20)
	v_pk_fma_f32 v[108:109], v[198:199], v[188:189], v[108:109] op_sel_hi:[0,1,1] neg_lo:[1,0,0] neg_hi:[1,0,0]
	ds_read2_b64 v[186:189], v161 offset0:24 offset1:25
	s_waitcnt vmcnt(18) lgkmcnt(2)
	v_pk_fma_f32 v[128:129], v[198:199], v[190:191], v[128:129] op_sel_hi:[0,1,1] neg_lo:[1,0,0] neg_hi:[1,0,0]
	s_waitcnt vmcnt(16)
	v_pk_fma_f32 v[106:107], v[198:199], v[192:193], v[106:107] op_sel_hi:[0,1,1] neg_lo:[1,0,0] neg_hi:[1,0,0]
	s_waitcnt vmcnt(14) lgkmcnt(1)
	v_pk_fma_f32 v[126:127], v[198:199], v[194:195], v[126:127] op_sel_hi:[0,1,1] neg_lo:[1,0,0] neg_hi:[1,0,0]
	s_waitcnt vmcnt(12)
	v_pk_fma_f32 v[104:105], v[198:199], v[196:197], v[104:105] op_sel_hi:[0,1,1] neg_lo:[1,0,0] neg_hi:[1,0,0]
	;; [unrolled: 4-line block ×3, first 2 shown]
.LBB103_131:
	s_or_b64 exec, exec, s[2:3]
	v_cmp_eq_u32_e32 vcc, 24, v157
	s_waitcnt lgkmcnt(0)
	s_barrier
	s_and_saveexec_b64 s[2:3], vcc
	s_cbranch_execz .LBB103_134
; %bb.132:
	s_waitcnt vmcnt(32)
	v_pk_mov_b32 v[186:187], v[136:137], v[114:115] op_sel:[1,0]
	ds_write_b32 v159, v136
	ds_write2_b32 v161, v186, v187 offset0:25 offset1:26
	s_waitcnt vmcnt(30)
	v_pk_mov_b32 v[186:187], v[114:115], v[134:135] op_sel:[1,0]
	ds_write2_b32 v161, v186, v187 offset0:27 offset1:28
	s_waitcnt vmcnt(28)
	v_pk_mov_b32 v[186:187], v[134:135], v[112:113] op_sel:[1,0]
	ds_write2_b32 v161, v186, v187 offset0:29 offset1:30
	s_waitcnt vmcnt(26)
	v_pk_mov_b32 v[186:187], v[112:113], v[132:133] op_sel:[1,0]
	ds_write2_b32 v161, v186, v187 offset0:31 offset1:32
	s_waitcnt vmcnt(24)
	v_pk_mov_b32 v[186:187], v[132:133], v[110:111] op_sel:[1,0]
	ds_write2_b32 v161, v186, v187 offset0:33 offset1:34
	s_waitcnt vmcnt(22)
	v_pk_mov_b32 v[186:187], v[110:111], v[130:131] op_sel:[1,0]
	ds_write2_b32 v161, v186, v187 offset0:35 offset1:36
	s_waitcnt vmcnt(20)
	v_pk_mov_b32 v[186:187], v[130:131], v[108:109] op_sel:[1,0]
	ds_write2_b32 v161, v186, v187 offset0:37 offset1:38
	s_waitcnt vmcnt(18)
	v_pk_mov_b32 v[186:187], v[108:109], v[128:129] op_sel:[1,0]
	ds_write2_b32 v161, v186, v187 offset0:39 offset1:40
	s_waitcnt vmcnt(16)
	v_pk_mov_b32 v[186:187], v[128:129], v[106:107] op_sel:[1,0]
	ds_write2_b32 v161, v186, v187 offset0:41 offset1:42
	s_waitcnt vmcnt(14)
	v_pk_mov_b32 v[186:187], v[106:107], v[126:127] op_sel:[1,0]
	ds_write2_b32 v161, v186, v187 offset0:43 offset1:44
	s_waitcnt vmcnt(12)
	v_pk_mov_b32 v[186:187], v[126:127], v[104:105] op_sel:[1,0]
	ds_write2_b32 v161, v186, v187 offset0:45 offset1:46
	s_waitcnt vmcnt(10)
	v_pk_mov_b32 v[186:187], v[104:105], v[124:125] op_sel:[1,0]
	ds_write2_b32 v161, v186, v187 offset0:47 offset1:48
	s_waitcnt vmcnt(8)
	v_pk_mov_b32 v[186:187], v[124:125], v[146:147] op_sel:[1,0]
	ds_write2_b32 v161, v186, v187 offset0:49 offset1:50
	ds_write_b32 v161, v147 offset:204
	ds_read_b32 v185, v159
	s_waitcnt lgkmcnt(0)
	v_cmp_neq_f32_e32 vcc, 0, v185
	s_and_b64 exec, exec, vcc
	s_cbranch_execz .LBB103_134
; %bb.133:
	v_div_scale_f32 v186, s[4:5], v185, v185, 1.0
	v_rcp_f32_e32 v187, v186
	v_div_scale_f32 v188, vcc, 1.0, v185, 1.0
	v_fma_f32 v189, -v186, v187, 1.0
	v_fmac_f32_e32 v187, v189, v187
	v_mul_f32_e32 v189, v188, v187
	v_fma_f32 v190, -v186, v189, v188
	v_fmac_f32_e32 v189, v190, v187
	v_fma_f32 v186, -v186, v189, v188
	v_div_fmas_f32 v186, v186, v187, v189
	v_div_fixup_f32 v185, v186, v185, 1.0
	ds_write_b32 v159, v185
.LBB103_134:
	s_or_b64 exec, exec, s[2:3]
	s_waitcnt lgkmcnt(0)
	s_barrier
	ds_read_b32 v185, v159
	v_cmp_lt_u32_e32 vcc, 24, v157
	s_and_saveexec_b64 s[2:3], vcc
	s_cbranch_execz .LBB103_136
; %bb.135:
	ds_read_b32 v198, v161 offset:100
	ds_read2_b64 v[186:189], v161 offset0:13 offset1:14
	s_waitcnt vmcnt(35) lgkmcnt(2)
	v_mul_f32_e32 v136, v185, v136
	ds_read2_b64 v[190:193], v161 offset0:15 offset1:16
	ds_read2_b64 v[194:197], v161 offset0:17 offset1:18
	s_waitcnt vmcnt(34) lgkmcnt(3)
	v_fma_f32 v137, -v136, v198, v137
	s_waitcnt vmcnt(32) lgkmcnt(2)
	v_pk_fma_f32 v[114:115], v[136:137], v[186:187], v[114:115] op_sel_hi:[0,1,1] neg_lo:[1,0,0] neg_hi:[1,0,0]
	s_waitcnt vmcnt(30)
	v_pk_fma_f32 v[134:135], v[136:137], v[188:189], v[134:135] op_sel_hi:[0,1,1] neg_lo:[1,0,0] neg_hi:[1,0,0]
	ds_read2_b64 v[186:189], v161 offset0:19 offset1:20
	s_waitcnt vmcnt(28) lgkmcnt(2)
	v_pk_fma_f32 v[112:113], v[136:137], v[190:191], v[112:113] op_sel_hi:[0,1,1] neg_lo:[1,0,0] neg_hi:[1,0,0]
	s_waitcnt vmcnt(26)
	v_pk_fma_f32 v[132:133], v[136:137], v[192:193], v[132:133] op_sel_hi:[0,1,1] neg_lo:[1,0,0] neg_hi:[1,0,0]
	s_waitcnt vmcnt(24) lgkmcnt(1)
	v_pk_fma_f32 v[110:111], v[136:137], v[194:195], v[110:111] op_sel_hi:[0,1,1] neg_lo:[1,0,0] neg_hi:[1,0,0]
	s_waitcnt vmcnt(22)
	v_pk_fma_f32 v[130:131], v[136:137], v[196:197], v[130:131] op_sel_hi:[0,1,1] neg_lo:[1,0,0] neg_hi:[1,0,0]
	ds_read2_b64 v[190:193], v161 offset0:21 offset1:22
	s_waitcnt vmcnt(20) lgkmcnt(1)
	v_pk_fma_f32 v[108:109], v[136:137], v[186:187], v[108:109] op_sel_hi:[0,1,1] neg_lo:[1,0,0] neg_hi:[1,0,0]
	ds_read2_b64 v[194:197], v161 offset0:23 offset1:24
	ds_read_b64 v[186:187], v161 offset:200
	s_waitcnt vmcnt(18)
	v_pk_fma_f32 v[128:129], v[136:137], v[188:189], v[128:129] op_sel_hi:[0,1,1] neg_lo:[1,0,0] neg_hi:[1,0,0]
	s_waitcnt vmcnt(16) lgkmcnt(2)
	v_pk_fma_f32 v[106:107], v[136:137], v[190:191], v[106:107] op_sel_hi:[0,1,1] neg_lo:[1,0,0] neg_hi:[1,0,0]
	s_waitcnt vmcnt(14)
	v_pk_fma_f32 v[126:127], v[136:137], v[192:193], v[126:127] op_sel_hi:[0,1,1] neg_lo:[1,0,0] neg_hi:[1,0,0]
	s_waitcnt vmcnt(12) lgkmcnt(1)
	v_pk_fma_f32 v[104:105], v[136:137], v[194:195], v[104:105] op_sel_hi:[0,1,1] neg_lo:[1,0,0] neg_hi:[1,0,0]
	;; [unrolled: 4-line block ×3, first 2 shown]
.LBB103_136:
	s_or_b64 exec, exec, s[2:3]
	v_cmp_ne_u32_e32 vcc, 25, v157
	s_waitcnt lgkmcnt(0)
	s_barrier
	s_and_saveexec_b64 s[2:3], vcc
	s_xor_b64 s[2:3], exec, s[2:3]
	s_andn2_saveexec_b64 s[2:3], s[2:3]
	s_cbranch_execz .LBB103_140
; %bb.137:
	s_waitcnt vmcnt(34)
	ds_write_b32 v159, v137
	s_waitcnt vmcnt(30)
	ds_write2_b64 v161, v[114:115], v[134:135] offset0:13 offset1:14
	s_waitcnt vmcnt(26)
	ds_write2_b64 v161, v[112:113], v[132:133] offset0:15 offset1:16
	;; [unrolled: 2-line block ×6, first 2 shown]
	s_waitcnt vmcnt(8)
	ds_write_b64 v161, v[146:147] offset:200
	ds_read_b32 v186, v159
	s_waitcnt lgkmcnt(0)
	v_cmp_neq_f32_e32 vcc, 0, v186
	s_and_saveexec_b64 s[4:5], vcc
	s_cbranch_execz .LBB103_139
; %bb.138:
	v_div_scale_f32 v187, s[10:11], v186, v186, 1.0
	v_rcp_f32_e32 v188, v187
	v_div_scale_f32 v189, vcc, 1.0, v186, 1.0
	v_fma_f32 v190, -v187, v188, 1.0
	v_fmac_f32_e32 v188, v190, v188
	v_mul_f32_e32 v190, v189, v188
	v_fma_f32 v191, -v187, v190, v189
	v_fmac_f32_e32 v190, v191, v188
	v_fma_f32 v187, -v187, v190, v189
	v_div_fmas_f32 v187, v187, v188, v190
	v_div_fixup_f32 v186, v187, v186, 1.0
	ds_write_b32 v159, v186
.LBB103_139:
	s_or_b64 exec, exec, s[4:5]
.LBB103_140:
	s_or_b64 exec, exec, s[2:3]
	s_waitcnt lgkmcnt(0)
	s_barrier
	ds_read_b32 v186, v159
	v_cmp_lt_u32_e32 vcc, 25, v157
	s_and_saveexec_b64 s[2:3], vcc
	s_cbranch_execz .LBB103_142
; %bb.141:
	ds_read2_b64 v[188:191], v161 offset0:13 offset1:14
	ds_read2_b64 v[192:195], v161 offset0:15 offset1:16
	s_waitcnt vmcnt(34) lgkmcnt(2)
	v_mul_f32_e32 v200, v186, v137
	ds_read2_b64 v[196:199], v161 offset0:17 offset1:18
	v_mov_b32_e32 v137, v200
	s_waitcnt vmcnt(32) lgkmcnt(2)
	v_pk_fma_f32 v[114:115], v[200:201], v[188:189], v[114:115] op_sel_hi:[0,1,1] neg_lo:[1,0,0] neg_hi:[1,0,0]
	s_waitcnt vmcnt(30)
	v_pk_fma_f32 v[134:135], v[200:201], v[190:191], v[134:135] op_sel_hi:[0,1,1] neg_lo:[1,0,0] neg_hi:[1,0,0]
	ds_read2_b64 v[188:191], v161 offset0:19 offset1:20
	s_waitcnt vmcnt(28) lgkmcnt(2)
	v_pk_fma_f32 v[112:113], v[200:201], v[192:193], v[112:113] op_sel_hi:[0,1,1] neg_lo:[1,0,0] neg_hi:[1,0,0]
	s_waitcnt vmcnt(26)
	v_pk_fma_f32 v[132:133], v[200:201], v[194:195], v[132:133] op_sel_hi:[0,1,1] neg_lo:[1,0,0] neg_hi:[1,0,0]
	s_waitcnt vmcnt(24) lgkmcnt(1)
	v_pk_fma_f32 v[110:111], v[200:201], v[196:197], v[110:111] op_sel_hi:[0,1,1] neg_lo:[1,0,0] neg_hi:[1,0,0]
	s_waitcnt vmcnt(22)
	v_pk_fma_f32 v[130:131], v[200:201], v[198:199], v[130:131] op_sel_hi:[0,1,1] neg_lo:[1,0,0] neg_hi:[1,0,0]
	ds_read2_b64 v[192:195], v161 offset0:21 offset1:22
	ds_read2_b64 v[196:199], v161 offset0:23 offset1:24
	s_waitcnt vmcnt(20) lgkmcnt(2)
	v_pk_fma_f32 v[108:109], v[200:201], v[188:189], v[108:109] op_sel_hi:[0,1,1] neg_lo:[1,0,0] neg_hi:[1,0,0]
	ds_read_b64 v[188:189], v161 offset:200
	s_waitcnt vmcnt(18)
	v_pk_fma_f32 v[128:129], v[200:201], v[190:191], v[128:129] op_sel_hi:[0,1,1] neg_lo:[1,0,0] neg_hi:[1,0,0]
	s_waitcnt vmcnt(16) lgkmcnt(2)
	v_pk_fma_f32 v[106:107], v[200:201], v[192:193], v[106:107] op_sel_hi:[0,1,1] neg_lo:[1,0,0] neg_hi:[1,0,0]
	s_waitcnt vmcnt(14)
	v_pk_fma_f32 v[126:127], v[200:201], v[194:195], v[126:127] op_sel_hi:[0,1,1] neg_lo:[1,0,0] neg_hi:[1,0,0]
	s_waitcnt vmcnt(12) lgkmcnt(1)
	v_pk_fma_f32 v[104:105], v[200:201], v[196:197], v[104:105] op_sel_hi:[0,1,1] neg_lo:[1,0,0] neg_hi:[1,0,0]
	;; [unrolled: 4-line block ×3, first 2 shown]
.LBB103_142:
	s_or_b64 exec, exec, s[2:3]
	v_cmp_eq_u32_e32 vcc, 26, v157
	s_waitcnt lgkmcnt(0)
	s_barrier
	s_and_saveexec_b64 s[2:3], vcc
	s_cbranch_execz .LBB103_145
; %bb.143:
	s_waitcnt vmcnt(30)
	v_pk_mov_b32 v[188:189], v[114:115], v[134:135] op_sel:[1,0]
	ds_write_b32 v159, v114
	ds_write2_b32 v161, v188, v189 offset0:27 offset1:28
	s_waitcnt vmcnt(28)
	v_pk_mov_b32 v[188:189], v[134:135], v[112:113] op_sel:[1,0]
	ds_write2_b32 v161, v188, v189 offset0:29 offset1:30
	s_waitcnt vmcnt(26)
	v_pk_mov_b32 v[188:189], v[112:113], v[132:133] op_sel:[1,0]
	;; [unrolled: 3-line block ×11, first 2 shown]
	ds_write2_b32 v161, v188, v189 offset0:49 offset1:50
	ds_write_b32 v161, v147 offset:204
	ds_read_b32 v187, v159
	s_waitcnt lgkmcnt(0)
	v_cmp_neq_f32_e32 vcc, 0, v187
	s_and_b64 exec, exec, vcc
	s_cbranch_execz .LBB103_145
; %bb.144:
	v_div_scale_f32 v188, s[4:5], v187, v187, 1.0
	v_rcp_f32_e32 v189, v188
	v_div_scale_f32 v190, vcc, 1.0, v187, 1.0
	v_fma_f32 v191, -v188, v189, 1.0
	v_fmac_f32_e32 v189, v191, v189
	v_mul_f32_e32 v191, v190, v189
	v_fma_f32 v192, -v188, v191, v190
	v_fmac_f32_e32 v191, v192, v189
	v_fma_f32 v188, -v188, v191, v190
	v_div_fmas_f32 v188, v188, v189, v191
	v_div_fixup_f32 v187, v188, v187, 1.0
	ds_write_b32 v159, v187
.LBB103_145:
	s_or_b64 exec, exec, s[2:3]
	s_waitcnt lgkmcnt(0)
	s_barrier
	ds_read_b32 v187, v159
	v_cmp_lt_u32_e32 vcc, 26, v157
	s_and_saveexec_b64 s[2:3], vcc
	s_cbranch_execz .LBB103_147
; %bb.146:
	ds_read_b32 v200, v161 offset:108
	ds_read2_b64 v[188:191], v161 offset0:14 offset1:15
	ds_read2_b64 v[192:195], v161 offset0:16 offset1:17
	;; [unrolled: 1-line block ×3, first 2 shown]
	s_waitcnt vmcnt(33) lgkmcnt(4)
	v_mul_f32_e32 v114, v187, v114
	s_waitcnt vmcnt(32) lgkmcnt(3)
	v_fma_f32 v115, -v114, v200, v115
	s_waitcnt vmcnt(30) lgkmcnt(2)
	v_pk_fma_f32 v[134:135], v[114:115], v[188:189], v[134:135] op_sel_hi:[0,1,1] neg_lo:[1,0,0] neg_hi:[1,0,0]
	s_waitcnt vmcnt(28)
	v_pk_fma_f32 v[112:113], v[114:115], v[190:191], v[112:113] op_sel_hi:[0,1,1] neg_lo:[1,0,0] neg_hi:[1,0,0]
	s_waitcnt vmcnt(26) lgkmcnt(1)
	v_pk_fma_f32 v[132:133], v[114:115], v[192:193], v[132:133] op_sel_hi:[0,1,1] neg_lo:[1,0,0] neg_hi:[1,0,0]
	s_waitcnt vmcnt(24)
	v_pk_fma_f32 v[110:111], v[114:115], v[194:195], v[110:111] op_sel_hi:[0,1,1] neg_lo:[1,0,0] neg_hi:[1,0,0]
	ds_read2_b64 v[188:191], v161 offset0:20 offset1:21
	ds_read2_b64 v[192:195], v161 offset0:22 offset1:23
	s_waitcnt vmcnt(22) lgkmcnt(2)
	v_pk_fma_f32 v[130:131], v[114:115], v[196:197], v[130:131] op_sel_hi:[0,1,1] neg_lo:[1,0,0] neg_hi:[1,0,0]
	s_waitcnt vmcnt(20)
	v_pk_fma_f32 v[108:109], v[114:115], v[198:199], v[108:109] op_sel_hi:[0,1,1] neg_lo:[1,0,0] neg_hi:[1,0,0]
	ds_read2_b64 v[196:199], v161 offset0:24 offset1:25
	s_waitcnt vmcnt(18) lgkmcnt(2)
	v_pk_fma_f32 v[128:129], v[114:115], v[188:189], v[128:129] op_sel_hi:[0,1,1] neg_lo:[1,0,0] neg_hi:[1,0,0]
	s_waitcnt vmcnt(16)
	v_pk_fma_f32 v[106:107], v[114:115], v[190:191], v[106:107] op_sel_hi:[0,1,1] neg_lo:[1,0,0] neg_hi:[1,0,0]
	s_waitcnt vmcnt(14) lgkmcnt(1)
	v_pk_fma_f32 v[126:127], v[114:115], v[192:193], v[126:127] op_sel_hi:[0,1,1] neg_lo:[1,0,0] neg_hi:[1,0,0]
	s_waitcnt vmcnt(12)
	v_pk_fma_f32 v[104:105], v[114:115], v[194:195], v[104:105] op_sel_hi:[0,1,1] neg_lo:[1,0,0] neg_hi:[1,0,0]
	s_waitcnt vmcnt(10) lgkmcnt(0)
	v_pk_fma_f32 v[124:125], v[114:115], v[196:197], v[124:125] op_sel_hi:[0,1,1] neg_lo:[1,0,0] neg_hi:[1,0,0]
	s_waitcnt vmcnt(8)
	v_pk_fma_f32 v[146:147], v[114:115], v[198:199], v[146:147] op_sel_hi:[0,1,1] neg_lo:[1,0,0] neg_hi:[1,0,0]
.LBB103_147:
	s_or_b64 exec, exec, s[2:3]
	v_cmp_ne_u32_e32 vcc, 27, v157
	s_waitcnt lgkmcnt(0)
	s_barrier
	s_and_saveexec_b64 s[2:3], vcc
	s_xor_b64 s[2:3], exec, s[2:3]
	s_andn2_saveexec_b64 s[2:3], s[2:3]
	s_cbranch_execz .LBB103_151
; %bb.148:
	s_waitcnt vmcnt(31)
	v_mov_b32_e32 v188, v134
	s_waitcnt vmcnt(30)
	v_mov_b32_e32 v189, v135
	;; [unrolled: 2-line block ×4, first 2 shown]
	ds_write_b32 v159, v115
	ds_write2_b64 v161, v[188:189], v[190:191] offset0:14 offset1:15
	s_waitcnt vmcnt(27)
	v_mov_b32_e32 v188, v132
	s_waitcnt vmcnt(26)
	v_mov_b32_e32 v189, v133
	s_waitcnt vmcnt(25)
	v_mov_b32_e32 v190, v110
	s_waitcnt vmcnt(24)
	v_mov_b32_e32 v191, v111
	ds_write2_b64 v161, v[188:189], v[190:191] offset0:16 offset1:17
	s_waitcnt vmcnt(23)
	v_mov_b32_e32 v188, v130
	s_waitcnt vmcnt(22)
	v_mov_b32_e32 v189, v131
	s_waitcnt vmcnt(21)
	v_mov_b32_e32 v190, v108
	s_waitcnt vmcnt(20)
	v_mov_b32_e32 v191, v109
	;; [unrolled: 9-line block ×4, first 2 shown]
	ds_write2_b64 v161, v[188:189], v[190:191] offset0:22 offset1:23
	s_waitcnt vmcnt(11)
	v_mov_b32_e32 v188, v124
	s_waitcnt vmcnt(10)
	v_mov_b32_e32 v189, v125
	s_waitcnt vmcnt(8)
	ds_write2_b64 v161, v[188:189], v[146:147] offset0:24 offset1:25
	ds_read_b32 v188, v159
	s_waitcnt lgkmcnt(0)
	v_cmp_neq_f32_e32 vcc, 0, v188
	s_and_saveexec_b64 s[4:5], vcc
	s_cbranch_execz .LBB103_150
; %bb.149:
	v_div_scale_f32 v189, s[10:11], v188, v188, 1.0
	v_rcp_f32_e32 v190, v189
	v_div_scale_f32 v191, vcc, 1.0, v188, 1.0
	v_fma_f32 v192, -v189, v190, 1.0
	v_fmac_f32_e32 v190, v192, v190
	v_mul_f32_e32 v192, v191, v190
	v_fma_f32 v193, -v189, v192, v191
	v_fmac_f32_e32 v192, v193, v190
	v_fma_f32 v189, -v189, v192, v191
	v_div_fmas_f32 v189, v189, v190, v192
	v_div_fixup_f32 v188, v189, v188, 1.0
	ds_write_b32 v159, v188
.LBB103_150:
	s_or_b64 exec, exec, s[4:5]
.LBB103_151:
	s_or_b64 exec, exec, s[2:3]
	s_waitcnt lgkmcnt(0)
	s_barrier
	ds_read_b32 v188, v159
	v_cmp_lt_u32_e32 vcc, 27, v157
	s_and_saveexec_b64 s[2:3], vcc
	s_cbranch_execz .LBB103_153
; %bb.152:
	ds_read2_b64 v[190:193], v161 offset0:14 offset1:15
	ds_read2_b64 v[194:197], v161 offset0:16 offset1:17
	ds_read2_b64 v[198:201], v161 offset0:18 offset1:19
	s_waitcnt vmcnt(32) lgkmcnt(3)
	v_mul_f32_e32 v202, v188, v115
	v_mov_b32_e32 v115, v202
	s_waitcnt vmcnt(30) lgkmcnt(2)
	v_pk_fma_f32 v[134:135], v[202:203], v[190:191], v[134:135] op_sel_hi:[0,1,1] neg_lo:[1,0,0] neg_hi:[1,0,0]
	s_waitcnt vmcnt(28)
	v_pk_fma_f32 v[112:113], v[202:203], v[192:193], v[112:113] op_sel_hi:[0,1,1] neg_lo:[1,0,0] neg_hi:[1,0,0]
	s_waitcnt vmcnt(26) lgkmcnt(1)
	v_pk_fma_f32 v[132:133], v[202:203], v[194:195], v[132:133] op_sel_hi:[0,1,1] neg_lo:[1,0,0] neg_hi:[1,0,0]
	s_waitcnt vmcnt(24)
	v_pk_fma_f32 v[110:111], v[202:203], v[196:197], v[110:111] op_sel_hi:[0,1,1] neg_lo:[1,0,0] neg_hi:[1,0,0]
	ds_read2_b64 v[190:193], v161 offset0:20 offset1:21
	s_waitcnt vmcnt(22) lgkmcnt(1)
	v_pk_fma_f32 v[130:131], v[202:203], v[198:199], v[130:131] op_sel_hi:[0,1,1] neg_lo:[1,0,0] neg_hi:[1,0,0]
	ds_read2_b64 v[194:197], v161 offset0:22 offset1:23
	s_waitcnt vmcnt(20)
	v_pk_fma_f32 v[108:109], v[202:203], v[200:201], v[108:109] op_sel_hi:[0,1,1] neg_lo:[1,0,0] neg_hi:[1,0,0]
	ds_read2_b64 v[198:201], v161 offset0:24 offset1:25
	s_waitcnt vmcnt(18) lgkmcnt(2)
	v_pk_fma_f32 v[128:129], v[202:203], v[190:191], v[128:129] op_sel_hi:[0,1,1] neg_lo:[1,0,0] neg_hi:[1,0,0]
	s_waitcnt vmcnt(16)
	v_pk_fma_f32 v[106:107], v[202:203], v[192:193], v[106:107] op_sel_hi:[0,1,1] neg_lo:[1,0,0] neg_hi:[1,0,0]
	s_waitcnt vmcnt(14) lgkmcnt(1)
	v_pk_fma_f32 v[126:127], v[202:203], v[194:195], v[126:127] op_sel_hi:[0,1,1] neg_lo:[1,0,0] neg_hi:[1,0,0]
	s_waitcnt vmcnt(12)
	v_pk_fma_f32 v[104:105], v[202:203], v[196:197], v[104:105] op_sel_hi:[0,1,1] neg_lo:[1,0,0] neg_hi:[1,0,0]
	;; [unrolled: 4-line block ×3, first 2 shown]
.LBB103_153:
	s_or_b64 exec, exec, s[2:3]
	v_cmp_eq_u32_e32 vcc, 28, v157
	s_waitcnt lgkmcnt(0)
	s_barrier
	s_and_saveexec_b64 s[2:3], vcc
	s_cbranch_execz .LBB103_156
; %bb.154:
	s_waitcnt vmcnt(28)
	v_pk_mov_b32 v[190:191], v[134:135], v[112:113] op_sel:[1,0]
	ds_write_b32 v159, v134
	ds_write2_b32 v161, v190, v191 offset0:29 offset1:30
	s_waitcnt vmcnt(26)
	v_pk_mov_b32 v[190:191], v[112:113], v[132:133] op_sel:[1,0]
	ds_write2_b32 v161, v190, v191 offset0:31 offset1:32
	s_waitcnt vmcnt(24)
	v_pk_mov_b32 v[190:191], v[132:133], v[110:111] op_sel:[1,0]
	ds_write2_b32 v161, v190, v191 offset0:33 offset1:34
	s_waitcnt vmcnt(22)
	v_pk_mov_b32 v[190:191], v[110:111], v[130:131] op_sel:[1,0]
	ds_write2_b32 v161, v190, v191 offset0:35 offset1:36
	s_waitcnt vmcnt(20)
	v_pk_mov_b32 v[190:191], v[130:131], v[108:109] op_sel:[1,0]
	ds_write2_b32 v161, v190, v191 offset0:37 offset1:38
	s_waitcnt vmcnt(18)
	v_pk_mov_b32 v[190:191], v[108:109], v[128:129] op_sel:[1,0]
	ds_write2_b32 v161, v190, v191 offset0:39 offset1:40
	s_waitcnt vmcnt(16)
	v_pk_mov_b32 v[190:191], v[128:129], v[106:107] op_sel:[1,0]
	ds_write2_b32 v161, v190, v191 offset0:41 offset1:42
	s_waitcnt vmcnt(14)
	v_pk_mov_b32 v[190:191], v[106:107], v[126:127] op_sel:[1,0]
	ds_write2_b32 v161, v190, v191 offset0:43 offset1:44
	s_waitcnt vmcnt(12)
	v_pk_mov_b32 v[190:191], v[126:127], v[104:105] op_sel:[1,0]
	ds_write2_b32 v161, v190, v191 offset0:45 offset1:46
	s_waitcnt vmcnt(10)
	v_pk_mov_b32 v[190:191], v[104:105], v[124:125] op_sel:[1,0]
	ds_write2_b32 v161, v190, v191 offset0:47 offset1:48
	s_waitcnt vmcnt(8)
	v_pk_mov_b32 v[190:191], v[124:125], v[146:147] op_sel:[1,0]
	ds_write2_b32 v161, v190, v191 offset0:49 offset1:50
	ds_write_b32 v161, v147 offset:204
	ds_read_b32 v189, v159
	s_waitcnt lgkmcnt(0)
	v_cmp_neq_f32_e32 vcc, 0, v189
	s_and_b64 exec, exec, vcc
	s_cbranch_execz .LBB103_156
; %bb.155:
	v_div_scale_f32 v190, s[4:5], v189, v189, 1.0
	v_rcp_f32_e32 v191, v190
	v_div_scale_f32 v192, vcc, 1.0, v189, 1.0
	v_fma_f32 v193, -v190, v191, 1.0
	v_fmac_f32_e32 v191, v193, v191
	v_mul_f32_e32 v193, v192, v191
	v_fma_f32 v194, -v190, v193, v192
	v_fmac_f32_e32 v193, v194, v191
	v_fma_f32 v190, -v190, v193, v192
	v_div_fmas_f32 v190, v190, v191, v193
	v_div_fixup_f32 v189, v190, v189, 1.0
	ds_write_b32 v159, v189
.LBB103_156:
	s_or_b64 exec, exec, s[2:3]
	s_waitcnt lgkmcnt(0)
	s_barrier
	ds_read_b32 v189, v159
	v_cmp_lt_u32_e32 vcc, 28, v157
	s_and_saveexec_b64 s[2:3], vcc
	s_cbranch_execz .LBB103_158
; %bb.157:
	ds_read_b32 v202, v161 offset:116
	ds_read2_b64 v[190:193], v161 offset0:15 offset1:16
	ds_read2_b64 v[194:197], v161 offset0:17 offset1:18
	;; [unrolled: 1-line block ×3, first 2 shown]
	s_waitcnt vmcnt(31) lgkmcnt(4)
	v_mul_f32_e32 v134, v189, v134
	s_waitcnt vmcnt(30) lgkmcnt(3)
	v_fma_f32 v135, -v134, v202, v135
	s_waitcnt vmcnt(28) lgkmcnt(2)
	v_pk_fma_f32 v[112:113], v[134:135], v[190:191], v[112:113] op_sel_hi:[0,1,1] neg_lo:[1,0,0] neg_hi:[1,0,0]
	s_waitcnt vmcnt(26)
	v_pk_fma_f32 v[132:133], v[134:135], v[192:193], v[132:133] op_sel_hi:[0,1,1] neg_lo:[1,0,0] neg_hi:[1,0,0]
	s_waitcnt vmcnt(24) lgkmcnt(1)
	v_pk_fma_f32 v[110:111], v[134:135], v[194:195], v[110:111] op_sel_hi:[0,1,1] neg_lo:[1,0,0] neg_hi:[1,0,0]
	s_waitcnt vmcnt(22)
	v_pk_fma_f32 v[130:131], v[134:135], v[196:197], v[130:131] op_sel_hi:[0,1,1] neg_lo:[1,0,0] neg_hi:[1,0,0]
	ds_read2_b64 v[190:193], v161 offset0:21 offset1:22
	ds_read2_b64 v[194:197], v161 offset0:23 offset1:24
	s_waitcnt vmcnt(20) lgkmcnt(2)
	v_pk_fma_f32 v[108:109], v[134:135], v[198:199], v[108:109] op_sel_hi:[0,1,1] neg_lo:[1,0,0] neg_hi:[1,0,0]
	ds_read_b64 v[198:199], v161 offset:200
	s_waitcnt vmcnt(18)
	v_pk_fma_f32 v[128:129], v[134:135], v[200:201], v[128:129] op_sel_hi:[0,1,1] neg_lo:[1,0,0] neg_hi:[1,0,0]
	s_waitcnt vmcnt(16) lgkmcnt(2)
	v_pk_fma_f32 v[106:107], v[134:135], v[190:191], v[106:107] op_sel_hi:[0,1,1] neg_lo:[1,0,0] neg_hi:[1,0,0]
	s_waitcnt vmcnt(14)
	v_pk_fma_f32 v[126:127], v[134:135], v[192:193], v[126:127] op_sel_hi:[0,1,1] neg_lo:[1,0,0] neg_hi:[1,0,0]
	s_waitcnt vmcnt(12) lgkmcnt(1)
	v_pk_fma_f32 v[104:105], v[134:135], v[194:195], v[104:105] op_sel_hi:[0,1,1] neg_lo:[1,0,0] neg_hi:[1,0,0]
	;; [unrolled: 4-line block ×3, first 2 shown]
.LBB103_158:
	s_or_b64 exec, exec, s[2:3]
	v_cmp_ne_u32_e32 vcc, 29, v157
	s_waitcnt lgkmcnt(0)
	s_barrier
	s_and_saveexec_b64 s[2:3], vcc
	s_xor_b64 s[2:3], exec, s[2:3]
	s_andn2_saveexec_b64 s[2:3], s[2:3]
	s_cbranch_execz .LBB103_162
; %bb.159:
	s_waitcnt vmcnt(30)
	ds_write_b32 v159, v135
	s_waitcnt vmcnt(26)
	ds_write2_b64 v161, v[112:113], v[132:133] offset0:15 offset1:16
	s_waitcnt vmcnt(22)
	ds_write2_b64 v161, v[110:111], v[130:131] offset0:17 offset1:18
	;; [unrolled: 2-line block ×5, first 2 shown]
	s_waitcnt vmcnt(8)
	ds_write_b64 v161, v[146:147] offset:200
	ds_read_b32 v190, v159
	s_waitcnt lgkmcnt(0)
	v_cmp_neq_f32_e32 vcc, 0, v190
	s_and_saveexec_b64 s[4:5], vcc
	s_cbranch_execz .LBB103_161
; %bb.160:
	v_div_scale_f32 v191, s[10:11], v190, v190, 1.0
	v_rcp_f32_e32 v192, v191
	v_div_scale_f32 v193, vcc, 1.0, v190, 1.0
	v_fma_f32 v194, -v191, v192, 1.0
	v_fmac_f32_e32 v192, v194, v192
	v_mul_f32_e32 v194, v193, v192
	v_fma_f32 v195, -v191, v194, v193
	v_fmac_f32_e32 v194, v195, v192
	v_fma_f32 v191, -v191, v194, v193
	v_div_fmas_f32 v191, v191, v192, v194
	v_div_fixup_f32 v190, v191, v190, 1.0
	ds_write_b32 v159, v190
.LBB103_161:
	s_or_b64 exec, exec, s[4:5]
.LBB103_162:
	s_or_b64 exec, exec, s[2:3]
	s_waitcnt lgkmcnt(0)
	s_barrier
	ds_read_b32 v190, v159
	v_cmp_lt_u32_e32 vcc, 29, v157
	s_and_saveexec_b64 s[2:3], vcc
	s_cbranch_execz .LBB103_164
; %bb.163:
	ds_read2_b64 v[192:195], v161 offset0:15 offset1:16
	ds_read2_b64 v[196:199], v161 offset0:17 offset1:18
	ds_read2_b64 v[200:203], v161 offset0:19 offset1:20
	s_waitcnt vmcnt(30) lgkmcnt(3)
	v_mul_f32_e32 v204, v190, v135
	v_mov_b32_e32 v135, v204
	s_waitcnt vmcnt(28) lgkmcnt(2)
	v_pk_fma_f32 v[112:113], v[204:205], v[192:193], v[112:113] op_sel_hi:[0,1,1] neg_lo:[1,0,0] neg_hi:[1,0,0]
	s_waitcnt vmcnt(26)
	v_pk_fma_f32 v[132:133], v[204:205], v[194:195], v[132:133] op_sel_hi:[0,1,1] neg_lo:[1,0,0] neg_hi:[1,0,0]
	s_waitcnt vmcnt(24) lgkmcnt(1)
	v_pk_fma_f32 v[110:111], v[204:205], v[196:197], v[110:111] op_sel_hi:[0,1,1] neg_lo:[1,0,0] neg_hi:[1,0,0]
	s_waitcnt vmcnt(22)
	v_pk_fma_f32 v[130:131], v[204:205], v[198:199], v[130:131] op_sel_hi:[0,1,1] neg_lo:[1,0,0] neg_hi:[1,0,0]
	ds_read2_b64 v[192:195], v161 offset0:21 offset1:22
	s_waitcnt vmcnt(20) lgkmcnt(1)
	v_pk_fma_f32 v[108:109], v[204:205], v[200:201], v[108:109] op_sel_hi:[0,1,1] neg_lo:[1,0,0] neg_hi:[1,0,0]
	ds_read2_b64 v[196:199], v161 offset0:23 offset1:24
	ds_read_b64 v[200:201], v161 offset:200
	s_waitcnt vmcnt(18)
	v_pk_fma_f32 v[128:129], v[204:205], v[202:203], v[128:129] op_sel_hi:[0,1,1] neg_lo:[1,0,0] neg_hi:[1,0,0]
	s_waitcnt vmcnt(16) lgkmcnt(2)
	v_pk_fma_f32 v[106:107], v[204:205], v[192:193], v[106:107] op_sel_hi:[0,1,1] neg_lo:[1,0,0] neg_hi:[1,0,0]
	s_waitcnt vmcnt(14)
	v_pk_fma_f32 v[126:127], v[204:205], v[194:195], v[126:127] op_sel_hi:[0,1,1] neg_lo:[1,0,0] neg_hi:[1,0,0]
	s_waitcnt vmcnt(12) lgkmcnt(1)
	v_pk_fma_f32 v[104:105], v[204:205], v[196:197], v[104:105] op_sel_hi:[0,1,1] neg_lo:[1,0,0] neg_hi:[1,0,0]
	;; [unrolled: 4-line block ×3, first 2 shown]
.LBB103_164:
	s_or_b64 exec, exec, s[2:3]
	v_cmp_eq_u32_e32 vcc, 30, v157
	s_waitcnt lgkmcnt(0)
	s_barrier
	s_and_saveexec_b64 s[2:3], vcc
	s_cbranch_execz .LBB103_167
; %bb.165:
	s_waitcnt vmcnt(26)
	v_pk_mov_b32 v[192:193], v[112:113], v[132:133] op_sel:[1,0]
	ds_write_b32 v159, v112
	ds_write2_b32 v161, v192, v193 offset0:31 offset1:32
	s_waitcnt vmcnt(24)
	v_pk_mov_b32 v[192:193], v[132:133], v[110:111] op_sel:[1,0]
	ds_write2_b32 v161, v192, v193 offset0:33 offset1:34
	s_waitcnt vmcnt(22)
	v_pk_mov_b32 v[192:193], v[110:111], v[130:131] op_sel:[1,0]
	;; [unrolled: 3-line block ×9, first 2 shown]
	ds_write2_b32 v161, v192, v193 offset0:49 offset1:50
	ds_write_b32 v161, v147 offset:204
	ds_read_b32 v191, v159
	s_waitcnt lgkmcnt(0)
	v_cmp_neq_f32_e32 vcc, 0, v191
	s_and_b64 exec, exec, vcc
	s_cbranch_execz .LBB103_167
; %bb.166:
	v_div_scale_f32 v192, s[4:5], v191, v191, 1.0
	v_rcp_f32_e32 v193, v192
	v_div_scale_f32 v194, vcc, 1.0, v191, 1.0
	v_fma_f32 v195, -v192, v193, 1.0
	v_fmac_f32_e32 v193, v195, v193
	v_mul_f32_e32 v195, v194, v193
	v_fma_f32 v196, -v192, v195, v194
	v_fmac_f32_e32 v195, v196, v193
	v_fma_f32 v192, -v192, v195, v194
	v_div_fmas_f32 v192, v192, v193, v195
	v_div_fixup_f32 v191, v192, v191, 1.0
	ds_write_b32 v159, v191
.LBB103_167:
	s_or_b64 exec, exec, s[2:3]
	s_waitcnt lgkmcnt(0)
	s_barrier
	ds_read_b32 v191, v159
	v_cmp_lt_u32_e32 vcc, 30, v157
	s_and_saveexec_b64 s[2:3], vcc
	s_cbranch_execz .LBB103_169
; %bb.168:
	ds_read_b32 v200, v161 offset:124
	ds_read2_b64 v[192:195], v161 offset0:16 offset1:17
	ds_read2_b64 v[196:199], v161 offset0:18 offset1:19
	s_waitcnt vmcnt(29) lgkmcnt(3)
	v_mul_f32_e32 v112, v191, v112
	s_waitcnt vmcnt(28) lgkmcnt(2)
	v_fma_f32 v113, -v112, v200, v113
	s_waitcnt vmcnt(26) lgkmcnt(1)
	v_pk_fma_f32 v[132:133], v[112:113], v[192:193], v[132:133] op_sel_hi:[0,1,1] neg_lo:[1,0,0] neg_hi:[1,0,0]
	s_waitcnt vmcnt(24)
	v_pk_fma_f32 v[110:111], v[112:113], v[194:195], v[110:111] op_sel_hi:[0,1,1] neg_lo:[1,0,0] neg_hi:[1,0,0]
	ds_read2_b64 v[192:195], v161 offset0:20 offset1:21
	s_waitcnt vmcnt(22) lgkmcnt(1)
	v_pk_fma_f32 v[130:131], v[112:113], v[196:197], v[130:131] op_sel_hi:[0,1,1] neg_lo:[1,0,0] neg_hi:[1,0,0]
	ds_read2_b64 v[200:203], v161 offset0:22 offset1:23
	s_waitcnt vmcnt(20)
	v_pk_fma_f32 v[108:109], v[112:113], v[198:199], v[108:109] op_sel_hi:[0,1,1] neg_lo:[1,0,0] neg_hi:[1,0,0]
	ds_read2_b64 v[196:199], v161 offset0:24 offset1:25
	s_waitcnt vmcnt(18) lgkmcnt(2)
	v_pk_fma_f32 v[128:129], v[112:113], v[192:193], v[128:129] op_sel_hi:[0,1,1] neg_lo:[1,0,0] neg_hi:[1,0,0]
	s_waitcnt vmcnt(16)
	v_pk_fma_f32 v[106:107], v[112:113], v[194:195], v[106:107] op_sel_hi:[0,1,1] neg_lo:[1,0,0] neg_hi:[1,0,0]
	s_waitcnt vmcnt(14) lgkmcnt(1)
	v_pk_fma_f32 v[126:127], v[112:113], v[200:201], v[126:127] op_sel_hi:[0,1,1] neg_lo:[1,0,0] neg_hi:[1,0,0]
	s_waitcnt vmcnt(12)
	v_pk_fma_f32 v[104:105], v[112:113], v[202:203], v[104:105] op_sel_hi:[0,1,1] neg_lo:[1,0,0] neg_hi:[1,0,0]
	s_waitcnt vmcnt(10) lgkmcnt(0)
	v_pk_fma_f32 v[124:125], v[112:113], v[196:197], v[124:125] op_sel_hi:[0,1,1] neg_lo:[1,0,0] neg_hi:[1,0,0]
	s_waitcnt vmcnt(8)
	v_pk_fma_f32 v[146:147], v[112:113], v[198:199], v[146:147] op_sel_hi:[0,1,1] neg_lo:[1,0,0] neg_hi:[1,0,0]
.LBB103_169:
	s_or_b64 exec, exec, s[2:3]
	v_cmp_ne_u32_e32 vcc, 31, v157
	s_waitcnt lgkmcnt(0)
	s_barrier
	s_and_saveexec_b64 s[2:3], vcc
	s_xor_b64 s[2:3], exec, s[2:3]
	s_andn2_saveexec_b64 s[2:3], s[2:3]
	s_cbranch_execz .LBB103_173
; %bb.170:
	s_waitcnt vmcnt(27)
	v_mov_b32_e32 v192, v132
	s_waitcnt vmcnt(26)
	v_mov_b32_e32 v193, v133
	;; [unrolled: 2-line block ×4, first 2 shown]
	ds_write_b32 v159, v113
	ds_write2_b64 v161, v[192:193], v[194:195] offset0:16 offset1:17
	s_waitcnt vmcnt(23)
	v_mov_b32_e32 v192, v130
	s_waitcnt vmcnt(22)
	v_mov_b32_e32 v193, v131
	s_waitcnt vmcnt(21)
	v_mov_b32_e32 v194, v108
	s_waitcnt vmcnt(20)
	v_mov_b32_e32 v195, v109
	ds_write2_b64 v161, v[192:193], v[194:195] offset0:18 offset1:19
	s_waitcnt vmcnt(19)
	v_mov_b32_e32 v192, v128
	s_waitcnt vmcnt(18)
	v_mov_b32_e32 v193, v129
	s_waitcnt vmcnt(17)
	v_mov_b32_e32 v194, v106
	s_waitcnt vmcnt(16)
	v_mov_b32_e32 v195, v107
	;; [unrolled: 9-line block ×3, first 2 shown]
	ds_write2_b64 v161, v[192:193], v[194:195] offset0:22 offset1:23
	s_waitcnt vmcnt(11)
	v_mov_b32_e32 v192, v124
	s_waitcnt vmcnt(10)
	v_mov_b32_e32 v193, v125
	s_waitcnt vmcnt(8)
	ds_write2_b64 v161, v[192:193], v[146:147] offset0:24 offset1:25
	ds_read_b32 v192, v159
	s_waitcnt lgkmcnt(0)
	v_cmp_neq_f32_e32 vcc, 0, v192
	s_and_saveexec_b64 s[4:5], vcc
	s_cbranch_execz .LBB103_172
; %bb.171:
	v_div_scale_f32 v193, s[10:11], v192, v192, 1.0
	v_rcp_f32_e32 v194, v193
	v_div_scale_f32 v195, vcc, 1.0, v192, 1.0
	v_fma_f32 v196, -v193, v194, 1.0
	v_fmac_f32_e32 v194, v196, v194
	v_mul_f32_e32 v196, v195, v194
	v_fma_f32 v197, -v193, v196, v195
	v_fmac_f32_e32 v196, v197, v194
	v_fma_f32 v193, -v193, v196, v195
	v_div_fmas_f32 v193, v193, v194, v196
	v_div_fixup_f32 v192, v193, v192, 1.0
	ds_write_b32 v159, v192
.LBB103_172:
	s_or_b64 exec, exec, s[4:5]
.LBB103_173:
	s_or_b64 exec, exec, s[2:3]
	s_waitcnt lgkmcnt(0)
	s_barrier
	ds_read_b32 v192, v159
	v_cmp_lt_u32_e32 vcc, 31, v157
	s_and_saveexec_b64 s[2:3], vcc
	s_cbranch_execz .LBB103_175
; %bb.174:
	ds_read2_b64 v[194:197], v161 offset0:16 offset1:17
	ds_read2_b64 v[198:201], v161 offset0:18 offset1:19
	s_waitcnt vmcnt(28) lgkmcnt(2)
	v_mul_f32_e32 v206, v192, v113
	ds_read2_b64 v[202:205], v161 offset0:20 offset1:21
	v_mov_b32_e32 v113, v206
	s_waitcnt vmcnt(26) lgkmcnt(2)
	v_pk_fma_f32 v[132:133], v[206:207], v[194:195], v[132:133] op_sel_hi:[0,1,1] neg_lo:[1,0,0] neg_hi:[1,0,0]
	s_waitcnt vmcnt(24)
	v_pk_fma_f32 v[110:111], v[206:207], v[196:197], v[110:111] op_sel_hi:[0,1,1] neg_lo:[1,0,0] neg_hi:[1,0,0]
	s_waitcnt vmcnt(22) lgkmcnt(1)
	v_pk_fma_f32 v[130:131], v[206:207], v[198:199], v[130:131] op_sel_hi:[0,1,1] neg_lo:[1,0,0] neg_hi:[1,0,0]
	ds_read2_b64 v[194:197], v161 offset0:22 offset1:23
	s_waitcnt vmcnt(20)
	v_pk_fma_f32 v[108:109], v[206:207], v[200:201], v[108:109] op_sel_hi:[0,1,1] neg_lo:[1,0,0] neg_hi:[1,0,0]
	ds_read2_b64 v[198:201], v161 offset0:24 offset1:25
	s_waitcnt vmcnt(18) lgkmcnt(2)
	v_pk_fma_f32 v[128:129], v[206:207], v[202:203], v[128:129] op_sel_hi:[0,1,1] neg_lo:[1,0,0] neg_hi:[1,0,0]
	s_waitcnt vmcnt(16)
	v_pk_fma_f32 v[106:107], v[206:207], v[204:205], v[106:107] op_sel_hi:[0,1,1] neg_lo:[1,0,0] neg_hi:[1,0,0]
	s_waitcnt vmcnt(14) lgkmcnt(1)
	v_pk_fma_f32 v[126:127], v[206:207], v[194:195], v[126:127] op_sel_hi:[0,1,1] neg_lo:[1,0,0] neg_hi:[1,0,0]
	s_waitcnt vmcnt(12)
	v_pk_fma_f32 v[104:105], v[206:207], v[196:197], v[104:105] op_sel_hi:[0,1,1] neg_lo:[1,0,0] neg_hi:[1,0,0]
	;; [unrolled: 4-line block ×3, first 2 shown]
.LBB103_175:
	s_or_b64 exec, exec, s[2:3]
	v_cmp_eq_u32_e32 vcc, 32, v157
	s_waitcnt lgkmcnt(0)
	s_barrier
	s_and_saveexec_b64 s[2:3], vcc
	s_cbranch_execz .LBB103_178
; %bb.176:
	s_waitcnt vmcnt(24)
	v_pk_mov_b32 v[194:195], v[132:133], v[110:111] op_sel:[1,0]
	ds_write_b32 v159, v132
	ds_write2_b32 v161, v194, v195 offset0:33 offset1:34
	s_waitcnt vmcnt(22)
	v_pk_mov_b32 v[194:195], v[110:111], v[130:131] op_sel:[1,0]
	ds_write2_b32 v161, v194, v195 offset0:35 offset1:36
	s_waitcnt vmcnt(20)
	v_pk_mov_b32 v[194:195], v[130:131], v[108:109] op_sel:[1,0]
	ds_write2_b32 v161, v194, v195 offset0:37 offset1:38
	s_waitcnt vmcnt(18)
	v_pk_mov_b32 v[194:195], v[108:109], v[128:129] op_sel:[1,0]
	ds_write2_b32 v161, v194, v195 offset0:39 offset1:40
	s_waitcnt vmcnt(16)
	v_pk_mov_b32 v[194:195], v[128:129], v[106:107] op_sel:[1,0]
	ds_write2_b32 v161, v194, v195 offset0:41 offset1:42
	s_waitcnt vmcnt(14)
	v_pk_mov_b32 v[194:195], v[106:107], v[126:127] op_sel:[1,0]
	ds_write2_b32 v161, v194, v195 offset0:43 offset1:44
	s_waitcnt vmcnt(12)
	v_pk_mov_b32 v[194:195], v[126:127], v[104:105] op_sel:[1,0]
	ds_write2_b32 v161, v194, v195 offset0:45 offset1:46
	s_waitcnt vmcnt(10)
	v_pk_mov_b32 v[194:195], v[104:105], v[124:125] op_sel:[1,0]
	ds_write2_b32 v161, v194, v195 offset0:47 offset1:48
	s_waitcnt vmcnt(8)
	v_pk_mov_b32 v[194:195], v[124:125], v[146:147] op_sel:[1,0]
	ds_write2_b32 v161, v194, v195 offset0:49 offset1:50
	ds_write_b32 v161, v147 offset:204
	ds_read_b32 v193, v159
	s_waitcnt lgkmcnt(0)
	v_cmp_neq_f32_e32 vcc, 0, v193
	s_and_b64 exec, exec, vcc
	s_cbranch_execz .LBB103_178
; %bb.177:
	v_div_scale_f32 v194, s[4:5], v193, v193, 1.0
	v_rcp_f32_e32 v195, v194
	v_div_scale_f32 v196, vcc, 1.0, v193, 1.0
	v_fma_f32 v197, -v194, v195, 1.0
	v_fmac_f32_e32 v195, v197, v195
	v_mul_f32_e32 v197, v196, v195
	v_fma_f32 v198, -v194, v197, v196
	v_fmac_f32_e32 v197, v198, v195
	v_fma_f32 v194, -v194, v197, v196
	v_div_fmas_f32 v194, v194, v195, v197
	v_div_fixup_f32 v193, v194, v193, 1.0
	ds_write_b32 v159, v193
.LBB103_178:
	s_or_b64 exec, exec, s[2:3]
	s_waitcnt lgkmcnt(0)
	s_barrier
	ds_read_b32 v193, v159
	v_cmp_lt_u32_e32 vcc, 32, v157
	s_and_saveexec_b64 s[2:3], vcc
	s_cbranch_execz .LBB103_180
; %bb.179:
	ds_read_b32 v202, v161 offset:132
	ds_read2_b64 v[194:197], v161 offset0:17 offset1:18
	ds_read2_b64 v[198:201], v161 offset0:19 offset1:20
	s_waitcnt vmcnt(27) lgkmcnt(3)
	v_mul_f32_e32 v132, v193, v132
	s_waitcnt vmcnt(26) lgkmcnt(2)
	v_fma_f32 v133, -v132, v202, v133
	s_waitcnt vmcnt(24) lgkmcnt(1)
	v_pk_fma_f32 v[110:111], v[132:133], v[194:195], v[110:111] op_sel_hi:[0,1,1] neg_lo:[1,0,0] neg_hi:[1,0,0]
	s_waitcnt vmcnt(22)
	v_pk_fma_f32 v[130:131], v[132:133], v[196:197], v[130:131] op_sel_hi:[0,1,1] neg_lo:[1,0,0] neg_hi:[1,0,0]
	ds_read2_b64 v[194:197], v161 offset0:21 offset1:22
	s_waitcnt vmcnt(20) lgkmcnt(1)
	v_pk_fma_f32 v[108:109], v[132:133], v[198:199], v[108:109] op_sel_hi:[0,1,1] neg_lo:[1,0,0] neg_hi:[1,0,0]
	ds_read2_b64 v[202:205], v161 offset0:23 offset1:24
	ds_read_b64 v[198:199], v161 offset:200
	s_waitcnt vmcnt(18)
	v_pk_fma_f32 v[128:129], v[132:133], v[200:201], v[128:129] op_sel_hi:[0,1,1] neg_lo:[1,0,0] neg_hi:[1,0,0]
	s_waitcnt vmcnt(16) lgkmcnt(2)
	v_pk_fma_f32 v[106:107], v[132:133], v[194:195], v[106:107] op_sel_hi:[0,1,1] neg_lo:[1,0,0] neg_hi:[1,0,0]
	s_waitcnt vmcnt(14)
	v_pk_fma_f32 v[126:127], v[132:133], v[196:197], v[126:127] op_sel_hi:[0,1,1] neg_lo:[1,0,0] neg_hi:[1,0,0]
	s_waitcnt vmcnt(12) lgkmcnt(1)
	v_pk_fma_f32 v[104:105], v[132:133], v[202:203], v[104:105] op_sel_hi:[0,1,1] neg_lo:[1,0,0] neg_hi:[1,0,0]
	;; [unrolled: 4-line block ×3, first 2 shown]
.LBB103_180:
	s_or_b64 exec, exec, s[2:3]
	v_cmp_ne_u32_e32 vcc, 33, v157
	s_waitcnt lgkmcnt(0)
	s_barrier
	s_and_saveexec_b64 s[2:3], vcc
	s_xor_b64 s[2:3], exec, s[2:3]
	s_andn2_saveexec_b64 s[2:3], s[2:3]
	s_cbranch_execz .LBB103_184
; %bb.181:
	s_waitcnt vmcnt(26)
	ds_write_b32 v159, v133
	s_waitcnt vmcnt(22)
	ds_write2_b64 v161, v[110:111], v[130:131] offset0:17 offset1:18
	s_waitcnt vmcnt(18)
	ds_write2_b64 v161, v[108:109], v[128:129] offset0:19 offset1:20
	;; [unrolled: 2-line block ×4, first 2 shown]
	s_waitcnt vmcnt(8)
	ds_write_b64 v161, v[146:147] offset:200
	ds_read_b32 v194, v159
	s_waitcnt lgkmcnt(0)
	v_cmp_neq_f32_e32 vcc, 0, v194
	s_and_saveexec_b64 s[4:5], vcc
	s_cbranch_execz .LBB103_183
; %bb.182:
	v_div_scale_f32 v195, s[10:11], v194, v194, 1.0
	v_rcp_f32_e32 v196, v195
	v_div_scale_f32 v197, vcc, 1.0, v194, 1.0
	v_fma_f32 v198, -v195, v196, 1.0
	v_fmac_f32_e32 v196, v198, v196
	v_mul_f32_e32 v198, v197, v196
	v_fma_f32 v199, -v195, v198, v197
	v_fmac_f32_e32 v198, v199, v196
	v_fma_f32 v195, -v195, v198, v197
	v_div_fmas_f32 v195, v195, v196, v198
	v_div_fixup_f32 v194, v195, v194, 1.0
	ds_write_b32 v159, v194
.LBB103_183:
	s_or_b64 exec, exec, s[4:5]
.LBB103_184:
	s_or_b64 exec, exec, s[2:3]
	s_waitcnt lgkmcnt(0)
	s_barrier
	ds_read_b32 v194, v159
	v_cmp_lt_u32_e32 vcc, 33, v157
	s_and_saveexec_b64 s[2:3], vcc
	s_cbranch_execz .LBB103_186
; %bb.185:
	ds_read2_b64 v[196:199], v161 offset0:17 offset1:18
	ds_read2_b64 v[200:203], v161 offset0:19 offset1:20
	s_waitcnt vmcnt(26) lgkmcnt(2)
	v_mul_f32_e32 v208, v194, v133
	ds_read2_b64 v[204:207], v161 offset0:21 offset1:22
	v_mov_b32_e32 v133, v208
	s_waitcnt vmcnt(24) lgkmcnt(2)
	v_pk_fma_f32 v[110:111], v[208:209], v[196:197], v[110:111] op_sel_hi:[0,1,1] neg_lo:[1,0,0] neg_hi:[1,0,0]
	s_waitcnt vmcnt(22)
	v_pk_fma_f32 v[130:131], v[208:209], v[198:199], v[130:131] op_sel_hi:[0,1,1] neg_lo:[1,0,0] neg_hi:[1,0,0]
	s_waitcnt vmcnt(20) lgkmcnt(1)
	v_pk_fma_f32 v[108:109], v[208:209], v[200:201], v[108:109] op_sel_hi:[0,1,1] neg_lo:[1,0,0] neg_hi:[1,0,0]
	ds_read2_b64 v[196:199], v161 offset0:23 offset1:24
	ds_read_b64 v[200:201], v161 offset:200
	s_waitcnt vmcnt(18)
	v_pk_fma_f32 v[128:129], v[208:209], v[202:203], v[128:129] op_sel_hi:[0,1,1] neg_lo:[1,0,0] neg_hi:[1,0,0]
	s_waitcnt vmcnt(16) lgkmcnt(2)
	v_pk_fma_f32 v[106:107], v[208:209], v[204:205], v[106:107] op_sel_hi:[0,1,1] neg_lo:[1,0,0] neg_hi:[1,0,0]
	s_waitcnt vmcnt(14)
	v_pk_fma_f32 v[126:127], v[208:209], v[206:207], v[126:127] op_sel_hi:[0,1,1] neg_lo:[1,0,0] neg_hi:[1,0,0]
	s_waitcnt vmcnt(12) lgkmcnt(1)
	v_pk_fma_f32 v[104:105], v[208:209], v[196:197], v[104:105] op_sel_hi:[0,1,1] neg_lo:[1,0,0] neg_hi:[1,0,0]
	;; [unrolled: 4-line block ×3, first 2 shown]
.LBB103_186:
	s_or_b64 exec, exec, s[2:3]
	v_cmp_eq_u32_e32 vcc, 34, v157
	s_waitcnt lgkmcnt(0)
	s_barrier
	s_and_saveexec_b64 s[2:3], vcc
	s_cbranch_execz .LBB103_189
; %bb.187:
	s_waitcnt vmcnt(22)
	v_pk_mov_b32 v[196:197], v[110:111], v[130:131] op_sel:[1,0]
	ds_write_b32 v159, v110
	ds_write2_b32 v161, v196, v197 offset0:35 offset1:36
	s_waitcnt vmcnt(20)
	v_pk_mov_b32 v[196:197], v[130:131], v[108:109] op_sel:[1,0]
	ds_write2_b32 v161, v196, v197 offset0:37 offset1:38
	s_waitcnt vmcnt(18)
	v_pk_mov_b32 v[196:197], v[108:109], v[128:129] op_sel:[1,0]
	;; [unrolled: 3-line block ×7, first 2 shown]
	ds_write2_b32 v161, v196, v197 offset0:49 offset1:50
	ds_write_b32 v161, v147 offset:204
	ds_read_b32 v195, v159
	s_waitcnt lgkmcnt(0)
	v_cmp_neq_f32_e32 vcc, 0, v195
	s_and_b64 exec, exec, vcc
	s_cbranch_execz .LBB103_189
; %bb.188:
	v_div_scale_f32 v196, s[4:5], v195, v195, 1.0
	v_rcp_f32_e32 v197, v196
	v_div_scale_f32 v198, vcc, 1.0, v195, 1.0
	v_fma_f32 v199, -v196, v197, 1.0
	v_fmac_f32_e32 v197, v199, v197
	v_mul_f32_e32 v199, v198, v197
	v_fma_f32 v200, -v196, v199, v198
	v_fmac_f32_e32 v199, v200, v197
	v_fma_f32 v196, -v196, v199, v198
	v_div_fmas_f32 v196, v196, v197, v199
	v_div_fixup_f32 v195, v196, v195, 1.0
	ds_write_b32 v159, v195
.LBB103_189:
	s_or_b64 exec, exec, s[2:3]
	s_waitcnt lgkmcnt(0)
	s_barrier
	ds_read_b32 v195, v159
	v_cmp_lt_u32_e32 vcc, 34, v157
	s_and_saveexec_b64 s[2:3], vcc
	s_cbranch_execz .LBB103_191
; %bb.190:
	ds_read_b32 v208, v161 offset:140
	ds_read2_b64 v[196:199], v161 offset0:18 offset1:19
	s_waitcnt vmcnt(25) lgkmcnt(2)
	v_mul_f32_e32 v110, v195, v110
	ds_read2_b64 v[200:203], v161 offset0:20 offset1:21
	ds_read2_b64 v[204:207], v161 offset0:22 offset1:23
	s_waitcnt vmcnt(24) lgkmcnt(3)
	v_fma_f32 v111, -v110, v208, v111
	s_waitcnt vmcnt(22) lgkmcnt(2)
	v_pk_fma_f32 v[130:131], v[110:111], v[196:197], v[130:131] op_sel_hi:[0,1,1] neg_lo:[1,0,0] neg_hi:[1,0,0]
	s_waitcnt vmcnt(20)
	v_pk_fma_f32 v[108:109], v[110:111], v[198:199], v[108:109] op_sel_hi:[0,1,1] neg_lo:[1,0,0] neg_hi:[1,0,0]
	ds_read2_b64 v[196:199], v161 offset0:24 offset1:25
	s_waitcnt vmcnt(18) lgkmcnt(2)
	v_pk_fma_f32 v[128:129], v[110:111], v[200:201], v[128:129] op_sel_hi:[0,1,1] neg_lo:[1,0,0] neg_hi:[1,0,0]
	s_waitcnt vmcnt(16)
	v_pk_fma_f32 v[106:107], v[110:111], v[202:203], v[106:107] op_sel_hi:[0,1,1] neg_lo:[1,0,0] neg_hi:[1,0,0]
	s_waitcnt vmcnt(14) lgkmcnt(1)
	v_pk_fma_f32 v[126:127], v[110:111], v[204:205], v[126:127] op_sel_hi:[0,1,1] neg_lo:[1,0,0] neg_hi:[1,0,0]
	s_waitcnt vmcnt(12)
	v_pk_fma_f32 v[104:105], v[110:111], v[206:207], v[104:105] op_sel_hi:[0,1,1] neg_lo:[1,0,0] neg_hi:[1,0,0]
	;; [unrolled: 4-line block ×3, first 2 shown]
.LBB103_191:
	s_or_b64 exec, exec, s[2:3]
	v_cmp_ne_u32_e32 vcc, 35, v157
	s_waitcnt lgkmcnt(0)
	s_barrier
	s_and_saveexec_b64 s[2:3], vcc
	s_xor_b64 s[2:3], exec, s[2:3]
	s_andn2_saveexec_b64 s[2:3], s[2:3]
	s_cbranch_execz .LBB103_195
; %bb.192:
	s_waitcnt vmcnt(23)
	v_mov_b32_e32 v196, v130
	s_waitcnt vmcnt(22)
	v_mov_b32_e32 v197, v131
	;; [unrolled: 2-line block ×4, first 2 shown]
	ds_write_b32 v159, v111
	ds_write2_b64 v161, v[196:197], v[198:199] offset0:18 offset1:19
	s_waitcnt vmcnt(19)
	v_mov_b32_e32 v196, v128
	s_waitcnt vmcnt(18)
	v_mov_b32_e32 v197, v129
	;; [unrolled: 2-line block ×4, first 2 shown]
	ds_write2_b64 v161, v[196:197], v[198:199] offset0:20 offset1:21
	s_waitcnt vmcnt(15)
	v_mov_b32_e32 v196, v126
	s_waitcnt vmcnt(14)
	v_mov_b32_e32 v197, v127
	s_waitcnt vmcnt(13)
	v_mov_b32_e32 v198, v104
	s_waitcnt vmcnt(12)
	v_mov_b32_e32 v199, v105
	ds_write2_b64 v161, v[196:197], v[198:199] offset0:22 offset1:23
	s_waitcnt vmcnt(11)
	v_mov_b32_e32 v196, v124
	s_waitcnt vmcnt(10)
	v_mov_b32_e32 v197, v125
	s_waitcnt vmcnt(8)
	ds_write2_b64 v161, v[196:197], v[146:147] offset0:24 offset1:25
	ds_read_b32 v196, v159
	s_waitcnt lgkmcnt(0)
	v_cmp_neq_f32_e32 vcc, 0, v196
	s_and_saveexec_b64 s[4:5], vcc
	s_cbranch_execz .LBB103_194
; %bb.193:
	v_div_scale_f32 v197, s[10:11], v196, v196, 1.0
	v_rcp_f32_e32 v198, v197
	v_div_scale_f32 v199, vcc, 1.0, v196, 1.0
	v_fma_f32 v200, -v197, v198, 1.0
	v_fmac_f32_e32 v198, v200, v198
	v_mul_f32_e32 v200, v199, v198
	v_fma_f32 v201, -v197, v200, v199
	v_fmac_f32_e32 v200, v201, v198
	v_fma_f32 v197, -v197, v200, v199
	v_div_fmas_f32 v197, v197, v198, v200
	v_div_fixup_f32 v196, v197, v196, 1.0
	ds_write_b32 v159, v196
.LBB103_194:
	s_or_b64 exec, exec, s[4:5]
.LBB103_195:
	s_or_b64 exec, exec, s[2:3]
	s_waitcnt lgkmcnt(0)
	s_barrier
	ds_read_b32 v196, v159
	v_cmp_lt_u32_e32 vcc, 35, v157
	s_and_saveexec_b64 s[2:3], vcc
	s_cbranch_execz .LBB103_197
; %bb.196:
	ds_read2_b64 v[198:201], v161 offset0:18 offset1:19
	s_waitcnt vmcnt(24) lgkmcnt(1)
	v_mul_f32_e32 v210, v196, v111
	ds_read2_b64 v[202:205], v161 offset0:20 offset1:21
	ds_read2_b64 v[206:209], v161 offset0:22 offset1:23
	v_mov_b32_e32 v111, v210
	s_waitcnt vmcnt(22) lgkmcnt(2)
	v_pk_fma_f32 v[130:131], v[210:211], v[198:199], v[130:131] op_sel_hi:[0,1,1] neg_lo:[1,0,0] neg_hi:[1,0,0]
	s_waitcnt vmcnt(20)
	v_pk_fma_f32 v[108:109], v[210:211], v[200:201], v[108:109] op_sel_hi:[0,1,1] neg_lo:[1,0,0] neg_hi:[1,0,0]
	ds_read2_b64 v[198:201], v161 offset0:24 offset1:25
	s_waitcnt vmcnt(18) lgkmcnt(2)
	v_pk_fma_f32 v[128:129], v[210:211], v[202:203], v[128:129] op_sel_hi:[0,1,1] neg_lo:[1,0,0] neg_hi:[1,0,0]
	s_waitcnt vmcnt(16)
	v_pk_fma_f32 v[106:107], v[210:211], v[204:205], v[106:107] op_sel_hi:[0,1,1] neg_lo:[1,0,0] neg_hi:[1,0,0]
	s_waitcnt vmcnt(14) lgkmcnt(1)
	v_pk_fma_f32 v[126:127], v[210:211], v[206:207], v[126:127] op_sel_hi:[0,1,1] neg_lo:[1,0,0] neg_hi:[1,0,0]
	s_waitcnt vmcnt(12)
	v_pk_fma_f32 v[104:105], v[210:211], v[208:209], v[104:105] op_sel_hi:[0,1,1] neg_lo:[1,0,0] neg_hi:[1,0,0]
	;; [unrolled: 4-line block ×3, first 2 shown]
.LBB103_197:
	s_or_b64 exec, exec, s[2:3]
	v_cmp_eq_u32_e32 vcc, 36, v157
	s_waitcnt lgkmcnt(0)
	s_barrier
	s_and_saveexec_b64 s[2:3], vcc
	s_cbranch_execz .LBB103_200
; %bb.198:
	s_waitcnt vmcnt(20)
	v_pk_mov_b32 v[198:199], v[130:131], v[108:109] op_sel:[1,0]
	ds_write_b32 v159, v130
	ds_write2_b32 v161, v198, v199 offset0:37 offset1:38
	s_waitcnt vmcnt(18)
	v_pk_mov_b32 v[198:199], v[108:109], v[128:129] op_sel:[1,0]
	ds_write2_b32 v161, v198, v199 offset0:39 offset1:40
	s_waitcnt vmcnt(16)
	v_pk_mov_b32 v[198:199], v[128:129], v[106:107] op_sel:[1,0]
	ds_write2_b32 v161, v198, v199 offset0:41 offset1:42
	s_waitcnt vmcnt(14)
	v_pk_mov_b32 v[198:199], v[106:107], v[126:127] op_sel:[1,0]
	ds_write2_b32 v161, v198, v199 offset0:43 offset1:44
	s_waitcnt vmcnt(12)
	v_pk_mov_b32 v[198:199], v[126:127], v[104:105] op_sel:[1,0]
	ds_write2_b32 v161, v198, v199 offset0:45 offset1:46
	s_waitcnt vmcnt(10)
	v_pk_mov_b32 v[198:199], v[104:105], v[124:125] op_sel:[1,0]
	ds_write2_b32 v161, v198, v199 offset0:47 offset1:48
	s_waitcnt vmcnt(8)
	v_pk_mov_b32 v[198:199], v[124:125], v[146:147] op_sel:[1,0]
	ds_write2_b32 v161, v198, v199 offset0:49 offset1:50
	ds_write_b32 v161, v147 offset:204
	ds_read_b32 v197, v159
	s_waitcnt lgkmcnt(0)
	v_cmp_neq_f32_e32 vcc, 0, v197
	s_and_b64 exec, exec, vcc
	s_cbranch_execz .LBB103_200
; %bb.199:
	v_div_scale_f32 v198, s[4:5], v197, v197, 1.0
	v_rcp_f32_e32 v199, v198
	v_div_scale_f32 v200, vcc, 1.0, v197, 1.0
	v_fma_f32 v201, -v198, v199, 1.0
	v_fmac_f32_e32 v199, v201, v199
	v_mul_f32_e32 v201, v200, v199
	v_fma_f32 v202, -v198, v201, v200
	v_fmac_f32_e32 v201, v202, v199
	v_fma_f32 v198, -v198, v201, v200
	v_div_fmas_f32 v198, v198, v199, v201
	v_div_fixup_f32 v197, v198, v197, 1.0
	ds_write_b32 v159, v197
.LBB103_200:
	s_or_b64 exec, exec, s[2:3]
	s_waitcnt lgkmcnt(0)
	s_barrier
	ds_read_b32 v197, v159
	v_cmp_lt_u32_e32 vcc, 36, v157
	s_and_saveexec_b64 s[2:3], vcc
	s_cbranch_execz .LBB103_202
; %bb.201:
	ds_read_b32 v206, v161 offset:148
	s_waitcnt vmcnt(23) lgkmcnt(1)
	v_mul_f32_e32 v130, v197, v130
	ds_read2_b64 v[198:201], v161 offset0:19 offset1:20
	ds_read_b64 v[210:211], v161 offset:200
	ds_read2_b64 v[202:205], v161 offset0:21 offset1:22
	s_waitcnt vmcnt(22) lgkmcnt(3)
	v_fma_f32 v131, -v130, v206, v131
	ds_read2_b64 v[206:209], v161 offset0:23 offset1:24
	s_waitcnt vmcnt(20) lgkmcnt(3)
	v_pk_fma_f32 v[108:109], v[130:131], v[198:199], v[108:109] op_sel_hi:[0,1,1] neg_lo:[1,0,0] neg_hi:[1,0,0]
	s_waitcnt vmcnt(18)
	v_pk_fma_f32 v[128:129], v[130:131], v[200:201], v[128:129] op_sel_hi:[0,1,1] neg_lo:[1,0,0] neg_hi:[1,0,0]
	s_waitcnt vmcnt(16) lgkmcnt(1)
	v_pk_fma_f32 v[106:107], v[130:131], v[202:203], v[106:107] op_sel_hi:[0,1,1] neg_lo:[1,0,0] neg_hi:[1,0,0]
	s_waitcnt vmcnt(14)
	v_pk_fma_f32 v[126:127], v[130:131], v[204:205], v[126:127] op_sel_hi:[0,1,1] neg_lo:[1,0,0] neg_hi:[1,0,0]
	;; [unrolled: 4-line block ×3, first 2 shown]
	s_waitcnt vmcnt(8)
	v_pk_fma_f32 v[146:147], v[130:131], v[210:211], v[146:147] op_sel_hi:[0,1,1] neg_lo:[1,0,0] neg_hi:[1,0,0]
.LBB103_202:
	s_or_b64 exec, exec, s[2:3]
	v_cmp_ne_u32_e32 vcc, 37, v157
	s_waitcnt lgkmcnt(0)
	s_barrier
	s_and_saveexec_b64 s[2:3], vcc
	s_xor_b64 s[2:3], exec, s[2:3]
	s_andn2_saveexec_b64 s[2:3], s[2:3]
	s_cbranch_execz .LBB103_206
; %bb.203:
	s_waitcnt vmcnt(22)
	ds_write_b32 v159, v131
	s_waitcnt vmcnt(18)
	ds_write2_b64 v161, v[108:109], v[128:129] offset0:19 offset1:20
	s_waitcnt vmcnt(14)
	ds_write2_b64 v161, v[106:107], v[126:127] offset0:21 offset1:22
	;; [unrolled: 2-line block ×3, first 2 shown]
	s_waitcnt vmcnt(8)
	ds_write_b64 v161, v[146:147] offset:200
	ds_read_b32 v198, v159
	s_waitcnt lgkmcnt(0)
	v_cmp_neq_f32_e32 vcc, 0, v198
	s_and_saveexec_b64 s[4:5], vcc
	s_cbranch_execz .LBB103_205
; %bb.204:
	v_div_scale_f32 v199, s[10:11], v198, v198, 1.0
	v_rcp_f32_e32 v200, v199
	v_div_scale_f32 v201, vcc, 1.0, v198, 1.0
	v_fma_f32 v202, -v199, v200, 1.0
	v_fmac_f32_e32 v200, v202, v200
	v_mul_f32_e32 v202, v201, v200
	v_fma_f32 v203, -v199, v202, v201
	v_fmac_f32_e32 v202, v203, v200
	v_fma_f32 v199, -v199, v202, v201
	v_div_fmas_f32 v199, v199, v200, v202
	v_div_fixup_f32 v198, v199, v198, 1.0
	ds_write_b32 v159, v198
.LBB103_205:
	s_or_b64 exec, exec, s[4:5]
.LBB103_206:
	s_or_b64 exec, exec, s[2:3]
	s_waitcnt lgkmcnt(0)
	s_barrier
	ds_read_b32 v198, v159
	v_cmp_lt_u32_e32 vcc, 37, v157
	s_and_saveexec_b64 s[2:3], vcc
	s_cbranch_execz .LBB103_208
; %bb.207:
	ds_read2_b64 v[200:203], v161 offset0:19 offset1:20
	s_waitcnt vmcnt(22) lgkmcnt(1)
	v_mul_f32_e32 v212, v198, v131
	ds_read2_b64 v[204:207], v161 offset0:21 offset1:22
	ds_read2_b64 v[208:211], v161 offset0:23 offset1:24
	v_mov_b32_e32 v131, v212
	s_waitcnt vmcnt(20) lgkmcnt(2)
	v_pk_fma_f32 v[108:109], v[212:213], v[200:201], v[108:109] op_sel_hi:[0,1,1] neg_lo:[1,0,0] neg_hi:[1,0,0]
	ds_read_b64 v[200:201], v161 offset:200
	s_waitcnt vmcnt(18)
	v_pk_fma_f32 v[128:129], v[212:213], v[202:203], v[128:129] op_sel_hi:[0,1,1] neg_lo:[1,0,0] neg_hi:[1,0,0]
	s_waitcnt vmcnt(16) lgkmcnt(2)
	v_pk_fma_f32 v[106:107], v[212:213], v[204:205], v[106:107] op_sel_hi:[0,1,1] neg_lo:[1,0,0] neg_hi:[1,0,0]
	s_waitcnt vmcnt(14)
	v_pk_fma_f32 v[126:127], v[212:213], v[206:207], v[126:127] op_sel_hi:[0,1,1] neg_lo:[1,0,0] neg_hi:[1,0,0]
	s_waitcnt vmcnt(12) lgkmcnt(1)
	v_pk_fma_f32 v[104:105], v[212:213], v[208:209], v[104:105] op_sel_hi:[0,1,1] neg_lo:[1,0,0] neg_hi:[1,0,0]
	;; [unrolled: 4-line block ×3, first 2 shown]
.LBB103_208:
	s_or_b64 exec, exec, s[2:3]
	v_cmp_eq_u32_e32 vcc, 38, v157
	s_waitcnt lgkmcnt(0)
	s_barrier
	s_and_saveexec_b64 s[2:3], vcc
	s_cbranch_execz .LBB103_211
; %bb.209:
	s_waitcnt vmcnt(18)
	v_pk_mov_b32 v[200:201], v[108:109], v[128:129] op_sel:[1,0]
	ds_write_b32 v159, v108
	ds_write2_b32 v161, v200, v201 offset0:39 offset1:40
	s_waitcnt vmcnt(16)
	v_pk_mov_b32 v[200:201], v[128:129], v[106:107] op_sel:[1,0]
	ds_write2_b32 v161, v200, v201 offset0:41 offset1:42
	s_waitcnt vmcnt(14)
	v_pk_mov_b32 v[200:201], v[106:107], v[126:127] op_sel:[1,0]
	;; [unrolled: 3-line block ×5, first 2 shown]
	ds_write2_b32 v161, v200, v201 offset0:49 offset1:50
	ds_write_b32 v161, v147 offset:204
	ds_read_b32 v199, v159
	s_waitcnt lgkmcnt(0)
	v_cmp_neq_f32_e32 vcc, 0, v199
	s_and_b64 exec, exec, vcc
	s_cbranch_execz .LBB103_211
; %bb.210:
	v_div_scale_f32 v200, s[4:5], v199, v199, 1.0
	v_rcp_f32_e32 v201, v200
	v_div_scale_f32 v202, vcc, 1.0, v199, 1.0
	v_fma_f32 v203, -v200, v201, 1.0
	v_fmac_f32_e32 v201, v203, v201
	v_mul_f32_e32 v203, v202, v201
	v_fma_f32 v204, -v200, v203, v202
	v_fmac_f32_e32 v203, v204, v201
	v_fma_f32 v200, -v200, v203, v202
	v_div_fmas_f32 v200, v200, v201, v203
	v_div_fixup_f32 v199, v200, v199, 1.0
	ds_write_b32 v159, v199
.LBB103_211:
	s_or_b64 exec, exec, s[2:3]
	s_waitcnt lgkmcnt(0)
	s_barrier
	ds_read_b32 v199, v159
	v_cmp_lt_u32_e32 vcc, 38, v157
	s_and_saveexec_b64 s[2:3], vcc
	s_cbranch_execz .LBB103_213
; %bb.212:
	ds_read_b32 v212, v161 offset:156
	ds_read2_b64 v[200:203], v161 offset0:20 offset1:21
	ds_read2_b64 v[204:207], v161 offset0:22 offset1:23
	;; [unrolled: 1-line block ×3, first 2 shown]
	s_waitcnt vmcnt(21) lgkmcnt(4)
	v_mul_f32_e32 v108, v199, v108
	s_waitcnt vmcnt(20) lgkmcnt(3)
	v_fma_f32 v109, -v108, v212, v109
	s_waitcnt vmcnt(18) lgkmcnt(2)
	v_pk_fma_f32 v[128:129], v[108:109], v[200:201], v[128:129] op_sel_hi:[0,1,1] neg_lo:[1,0,0] neg_hi:[1,0,0]
	s_waitcnt vmcnt(16)
	v_pk_fma_f32 v[106:107], v[108:109], v[202:203], v[106:107] op_sel_hi:[0,1,1] neg_lo:[1,0,0] neg_hi:[1,0,0]
	s_waitcnt vmcnt(14) lgkmcnt(1)
	v_pk_fma_f32 v[126:127], v[108:109], v[204:205], v[126:127] op_sel_hi:[0,1,1] neg_lo:[1,0,0] neg_hi:[1,0,0]
	s_waitcnt vmcnt(12)
	v_pk_fma_f32 v[104:105], v[108:109], v[206:207], v[104:105] op_sel_hi:[0,1,1] neg_lo:[1,0,0] neg_hi:[1,0,0]
	;; [unrolled: 4-line block ×3, first 2 shown]
.LBB103_213:
	s_or_b64 exec, exec, s[2:3]
	v_cmp_ne_u32_e32 vcc, 39, v157
	s_waitcnt lgkmcnt(0)
	s_barrier
	s_and_saveexec_b64 s[2:3], vcc
	s_xor_b64 s[2:3], exec, s[2:3]
	s_andn2_saveexec_b64 s[2:3], s[2:3]
	s_cbranch_execz .LBB103_217
; %bb.214:
	s_waitcnt vmcnt(19)
	v_mov_b32_e32 v200, v128
	s_waitcnt vmcnt(18)
	v_mov_b32_e32 v201, v129
	;; [unrolled: 2-line block ×4, first 2 shown]
	ds_write_b32 v159, v109
	ds_write2_b64 v161, v[200:201], v[202:203] offset0:20 offset1:21
	s_waitcnt vmcnt(15)
	v_mov_b32_e32 v200, v126
	s_waitcnt vmcnt(14)
	v_mov_b32_e32 v201, v127
	;; [unrolled: 2-line block ×4, first 2 shown]
	ds_write2_b64 v161, v[200:201], v[202:203] offset0:22 offset1:23
	s_waitcnt vmcnt(11)
	v_mov_b32_e32 v200, v124
	s_waitcnt vmcnt(10)
	v_mov_b32_e32 v201, v125
	s_waitcnt vmcnt(8)
	ds_write2_b64 v161, v[200:201], v[146:147] offset0:24 offset1:25
	ds_read_b32 v200, v159
	s_waitcnt lgkmcnt(0)
	v_cmp_neq_f32_e32 vcc, 0, v200
	s_and_saveexec_b64 s[4:5], vcc
	s_cbranch_execz .LBB103_216
; %bb.215:
	v_div_scale_f32 v201, s[10:11], v200, v200, 1.0
	v_rcp_f32_e32 v202, v201
	v_div_scale_f32 v203, vcc, 1.0, v200, 1.0
	v_fma_f32 v204, -v201, v202, 1.0
	v_fmac_f32_e32 v202, v204, v202
	v_mul_f32_e32 v204, v203, v202
	v_fma_f32 v205, -v201, v204, v203
	v_fmac_f32_e32 v204, v205, v202
	v_fma_f32 v201, -v201, v204, v203
	v_div_fmas_f32 v201, v201, v202, v204
	v_div_fixup_f32 v200, v201, v200, 1.0
	ds_write_b32 v159, v200
.LBB103_216:
	s_or_b64 exec, exec, s[4:5]
.LBB103_217:
	s_or_b64 exec, exec, s[2:3]
	s_waitcnt lgkmcnt(0)
	s_barrier
	ds_read_b32 v200, v159
	v_cmp_lt_u32_e32 vcc, 39, v157
	s_and_saveexec_b64 s[2:3], vcc
	s_cbranch_execz .LBB103_219
; %bb.218:
	ds_read2_b64 v[202:205], v161 offset0:20 offset1:21
	ds_read2_b64 v[206:209], v161 offset0:22 offset1:23
	;; [unrolled: 1-line block ×3, first 2 shown]
	s_waitcnt vmcnt(20) lgkmcnt(3)
	v_mul_f32_e32 v214, v200, v109
	v_mov_b32_e32 v109, v214
	s_waitcnt vmcnt(18) lgkmcnt(2)
	v_pk_fma_f32 v[128:129], v[214:215], v[202:203], v[128:129] op_sel_hi:[0,1,1] neg_lo:[1,0,0] neg_hi:[1,0,0]
	s_waitcnt vmcnt(16)
	v_pk_fma_f32 v[106:107], v[214:215], v[204:205], v[106:107] op_sel_hi:[0,1,1] neg_lo:[1,0,0] neg_hi:[1,0,0]
	s_waitcnt vmcnt(14) lgkmcnt(1)
	v_pk_fma_f32 v[126:127], v[214:215], v[206:207], v[126:127] op_sel_hi:[0,1,1] neg_lo:[1,0,0] neg_hi:[1,0,0]
	s_waitcnt vmcnt(12)
	v_pk_fma_f32 v[104:105], v[214:215], v[208:209], v[104:105] op_sel_hi:[0,1,1] neg_lo:[1,0,0] neg_hi:[1,0,0]
	s_waitcnt vmcnt(10) lgkmcnt(0)
	v_pk_fma_f32 v[124:125], v[214:215], v[210:211], v[124:125] op_sel_hi:[0,1,1] neg_lo:[1,0,0] neg_hi:[1,0,0]
	s_waitcnt vmcnt(8)
	v_pk_fma_f32 v[146:147], v[214:215], v[212:213], v[146:147] op_sel_hi:[0,1,1] neg_lo:[1,0,0] neg_hi:[1,0,0]
.LBB103_219:
	s_or_b64 exec, exec, s[2:3]
	v_cmp_eq_u32_e32 vcc, 40, v157
	s_waitcnt lgkmcnt(0)
	s_barrier
	s_and_saveexec_b64 s[2:3], vcc
	s_cbranch_execz .LBB103_222
; %bb.220:
	s_waitcnt vmcnt(16)
	v_pk_mov_b32 v[202:203], v[128:129], v[106:107] op_sel:[1,0]
	ds_write_b32 v159, v128
	ds_write2_b32 v161, v202, v203 offset0:41 offset1:42
	s_waitcnt vmcnt(14)
	v_pk_mov_b32 v[202:203], v[106:107], v[126:127] op_sel:[1,0]
	ds_write2_b32 v161, v202, v203 offset0:43 offset1:44
	s_waitcnt vmcnt(12)
	v_pk_mov_b32 v[202:203], v[126:127], v[104:105] op_sel:[1,0]
	;; [unrolled: 3-line block ×4, first 2 shown]
	ds_write2_b32 v161, v202, v203 offset0:49 offset1:50
	ds_write_b32 v161, v147 offset:204
	ds_read_b32 v201, v159
	s_waitcnt lgkmcnt(0)
	v_cmp_neq_f32_e32 vcc, 0, v201
	s_and_b64 exec, exec, vcc
	s_cbranch_execz .LBB103_222
; %bb.221:
	v_div_scale_f32 v202, s[4:5], v201, v201, 1.0
	v_rcp_f32_e32 v203, v202
	v_div_scale_f32 v204, vcc, 1.0, v201, 1.0
	v_fma_f32 v205, -v202, v203, 1.0
	v_fmac_f32_e32 v203, v205, v203
	v_mul_f32_e32 v205, v204, v203
	v_fma_f32 v206, -v202, v205, v204
	v_fmac_f32_e32 v205, v206, v203
	v_fma_f32 v202, -v202, v205, v204
	v_div_fmas_f32 v202, v202, v203, v205
	v_div_fixup_f32 v201, v202, v201, 1.0
	ds_write_b32 v159, v201
.LBB103_222:
	s_or_b64 exec, exec, s[2:3]
	s_waitcnt lgkmcnt(0)
	s_barrier
	ds_read_b32 v201, v159
	v_cmp_lt_u32_e32 vcc, 40, v157
	s_and_saveexec_b64 s[2:3], vcc
	s_cbranch_execz .LBB103_224
; %bb.223:
	ds_read_b32 v212, v161 offset:164
	ds_read2_b64 v[202:205], v161 offset0:21 offset1:22
	ds_read_b64 v[210:211], v161 offset:200
	ds_read2_b64 v[206:209], v161 offset0:23 offset1:24
	s_waitcnt vmcnt(19) lgkmcnt(4)
	v_mul_f32_e32 v128, v201, v128
	s_waitcnt vmcnt(18) lgkmcnt(3)
	v_fma_f32 v129, -v128, v212, v129
	s_waitcnt vmcnt(16) lgkmcnt(2)
	v_pk_fma_f32 v[106:107], v[128:129], v[202:203], v[106:107] op_sel_hi:[0,1,1] neg_lo:[1,0,0] neg_hi:[1,0,0]
	s_waitcnt vmcnt(14)
	v_pk_fma_f32 v[126:127], v[128:129], v[204:205], v[126:127] op_sel_hi:[0,1,1] neg_lo:[1,0,0] neg_hi:[1,0,0]
	s_waitcnt vmcnt(12) lgkmcnt(0)
	v_pk_fma_f32 v[104:105], v[128:129], v[206:207], v[104:105] op_sel_hi:[0,1,1] neg_lo:[1,0,0] neg_hi:[1,0,0]
	s_waitcnt vmcnt(10)
	v_pk_fma_f32 v[124:125], v[128:129], v[208:209], v[124:125] op_sel_hi:[0,1,1] neg_lo:[1,0,0] neg_hi:[1,0,0]
	s_waitcnt vmcnt(8)
	v_pk_fma_f32 v[146:147], v[128:129], v[210:211], v[146:147] op_sel_hi:[0,1,1] neg_lo:[1,0,0] neg_hi:[1,0,0]
.LBB103_224:
	s_or_b64 exec, exec, s[2:3]
	v_cmp_ne_u32_e32 vcc, 41, v157
	s_waitcnt lgkmcnt(0)
	s_barrier
	s_and_saveexec_b64 s[2:3], vcc
	s_xor_b64 s[2:3], exec, s[2:3]
	s_andn2_saveexec_b64 s[2:3], s[2:3]
	s_cbranch_execz .LBB103_228
; %bb.225:
	s_waitcnt vmcnt(18)
	ds_write_b32 v159, v129
	s_waitcnt vmcnt(14)
	ds_write2_b64 v161, v[106:107], v[126:127] offset0:21 offset1:22
	s_waitcnt vmcnt(10)
	ds_write2_b64 v161, v[104:105], v[124:125] offset0:23 offset1:24
	s_waitcnt vmcnt(8)
	ds_write_b64 v161, v[146:147] offset:200
	ds_read_b32 v202, v159
	s_waitcnt lgkmcnt(0)
	v_cmp_neq_f32_e32 vcc, 0, v202
	s_and_saveexec_b64 s[4:5], vcc
	s_cbranch_execz .LBB103_227
; %bb.226:
	v_div_scale_f32 v203, s[10:11], v202, v202, 1.0
	v_rcp_f32_e32 v204, v203
	v_div_scale_f32 v205, vcc, 1.0, v202, 1.0
	v_fma_f32 v206, -v203, v204, 1.0
	v_fmac_f32_e32 v204, v206, v204
	v_mul_f32_e32 v206, v205, v204
	v_fma_f32 v207, -v203, v206, v205
	v_fmac_f32_e32 v206, v207, v204
	v_fma_f32 v203, -v203, v206, v205
	v_div_fmas_f32 v203, v203, v204, v206
	v_div_fixup_f32 v202, v203, v202, 1.0
	ds_write_b32 v159, v202
.LBB103_227:
	s_or_b64 exec, exec, s[4:5]
.LBB103_228:
	s_or_b64 exec, exec, s[2:3]
	s_waitcnt lgkmcnt(0)
	s_barrier
	ds_read_b32 v202, v159
	v_cmp_lt_u32_e32 vcc, 41, v157
	s_and_saveexec_b64 s[2:3], vcc
	s_cbranch_execz .LBB103_230
; %bb.229:
	ds_read2_b64 v[204:207], v161 offset0:21 offset1:22
	ds_read2_b64 v[208:211], v161 offset0:23 offset1:24
	ds_read_b64 v[214:215], v161 offset:200
	s_waitcnt vmcnt(18) lgkmcnt(3)
	v_mul_f32_e32 v212, v202, v129
	v_mov_b32_e32 v129, v212
	s_waitcnt vmcnt(16) lgkmcnt(2)
	v_pk_fma_f32 v[106:107], v[212:213], v[204:205], v[106:107] op_sel_hi:[0,1,1] neg_lo:[1,0,0] neg_hi:[1,0,0]
	s_waitcnt vmcnt(14)
	v_pk_fma_f32 v[126:127], v[212:213], v[206:207], v[126:127] op_sel_hi:[0,1,1] neg_lo:[1,0,0] neg_hi:[1,0,0]
	s_waitcnt vmcnt(12) lgkmcnt(1)
	v_pk_fma_f32 v[104:105], v[212:213], v[208:209], v[104:105] op_sel_hi:[0,1,1] neg_lo:[1,0,0] neg_hi:[1,0,0]
	s_waitcnt vmcnt(10)
	v_pk_fma_f32 v[124:125], v[212:213], v[210:211], v[124:125] op_sel_hi:[0,1,1] neg_lo:[1,0,0] neg_hi:[1,0,0]
	s_waitcnt vmcnt(8) lgkmcnt(0)
	v_pk_fma_f32 v[146:147], v[212:213], v[214:215], v[146:147] op_sel_hi:[0,1,1] neg_lo:[1,0,0] neg_hi:[1,0,0]
.LBB103_230:
	s_or_b64 exec, exec, s[2:3]
	v_cmp_eq_u32_e32 vcc, 42, v157
	s_waitcnt lgkmcnt(0)
	s_barrier
	s_and_saveexec_b64 s[2:3], vcc
	s_cbranch_execz .LBB103_233
; %bb.231:
	s_waitcnt vmcnt(14)
	v_pk_mov_b32 v[204:205], v[106:107], v[126:127] op_sel:[1,0]
	ds_write_b32 v159, v106
	ds_write2_b32 v161, v204, v205 offset0:43 offset1:44
	s_waitcnt vmcnt(12)
	v_pk_mov_b32 v[204:205], v[126:127], v[104:105] op_sel:[1,0]
	ds_write2_b32 v161, v204, v205 offset0:45 offset1:46
	s_waitcnt vmcnt(10)
	v_pk_mov_b32 v[204:205], v[104:105], v[124:125] op_sel:[1,0]
	;; [unrolled: 3-line block ×3, first 2 shown]
	ds_write2_b32 v161, v204, v205 offset0:49 offset1:50
	ds_write_b32 v161, v147 offset:204
	ds_read_b32 v203, v159
	s_waitcnt lgkmcnt(0)
	v_cmp_neq_f32_e32 vcc, 0, v203
	s_and_b64 exec, exec, vcc
	s_cbranch_execz .LBB103_233
; %bb.232:
	v_div_scale_f32 v204, s[4:5], v203, v203, 1.0
	v_rcp_f32_e32 v205, v204
	v_div_scale_f32 v206, vcc, 1.0, v203, 1.0
	v_fma_f32 v207, -v204, v205, 1.0
	v_fmac_f32_e32 v205, v207, v205
	v_mul_f32_e32 v207, v206, v205
	v_fma_f32 v208, -v204, v207, v206
	v_fmac_f32_e32 v207, v208, v205
	v_fma_f32 v204, -v204, v207, v206
	v_div_fmas_f32 v204, v204, v205, v207
	v_div_fixup_f32 v203, v204, v203, 1.0
	ds_write_b32 v159, v203
.LBB103_233:
	s_or_b64 exec, exec, s[2:3]
	s_waitcnt lgkmcnt(0)
	s_barrier
	ds_read_b32 v203, v159
	v_cmp_lt_u32_e32 vcc, 42, v157
	s_and_saveexec_b64 s[2:3], vcc
	s_cbranch_execz .LBB103_235
; %bb.234:
	ds_read_b32 v212, v161 offset:172
	ds_read2_b64 v[204:207], v161 offset0:22 offset1:23
	ds_read2_b64 v[208:211], v161 offset0:24 offset1:25
	s_waitcnt vmcnt(17) lgkmcnt(3)
	v_mul_f32_e32 v106, v203, v106
	s_waitcnt vmcnt(16) lgkmcnt(2)
	v_fma_f32 v107, -v106, v212, v107
	s_waitcnt vmcnt(14) lgkmcnt(1)
	v_pk_fma_f32 v[126:127], v[106:107], v[204:205], v[126:127] op_sel_hi:[0,1,1] neg_lo:[1,0,0] neg_hi:[1,0,0]
	s_waitcnt vmcnt(12)
	v_pk_fma_f32 v[104:105], v[106:107], v[206:207], v[104:105] op_sel_hi:[0,1,1] neg_lo:[1,0,0] neg_hi:[1,0,0]
	s_waitcnt vmcnt(10) lgkmcnt(0)
	v_pk_fma_f32 v[124:125], v[106:107], v[208:209], v[124:125] op_sel_hi:[0,1,1] neg_lo:[1,0,0] neg_hi:[1,0,0]
	s_waitcnt vmcnt(8)
	v_pk_fma_f32 v[146:147], v[106:107], v[210:211], v[146:147] op_sel_hi:[0,1,1] neg_lo:[1,0,0] neg_hi:[1,0,0]
.LBB103_235:
	s_or_b64 exec, exec, s[2:3]
	v_cmp_ne_u32_e32 vcc, 43, v157
	s_waitcnt lgkmcnt(0)
	s_barrier
	s_and_saveexec_b64 s[2:3], vcc
	s_xor_b64 s[2:3], exec, s[2:3]
	s_andn2_saveexec_b64 s[2:3], s[2:3]
	s_cbranch_execz .LBB103_239
; %bb.236:
	s_waitcnt vmcnt(15)
	v_mov_b32_e32 v204, v126
	s_waitcnt vmcnt(14)
	v_mov_b32_e32 v205, v127
	s_waitcnt vmcnt(13)
	v_mov_b32_e32 v206, v104
	s_waitcnt vmcnt(12)
	v_mov_b32_e32 v207, v105
	ds_write_b32 v159, v107
	ds_write2_b64 v161, v[204:205], v[206:207] offset0:22 offset1:23
	s_waitcnt vmcnt(11)
	v_mov_b32_e32 v204, v124
	s_waitcnt vmcnt(10)
	v_mov_b32_e32 v205, v125
	s_waitcnt vmcnt(8)
	ds_write2_b64 v161, v[204:205], v[146:147] offset0:24 offset1:25
	ds_read_b32 v204, v159
	s_waitcnt lgkmcnt(0)
	v_cmp_neq_f32_e32 vcc, 0, v204
	s_and_saveexec_b64 s[4:5], vcc
	s_cbranch_execz .LBB103_238
; %bb.237:
	v_div_scale_f32 v205, s[10:11], v204, v204, 1.0
	v_rcp_f32_e32 v206, v205
	v_div_scale_f32 v207, vcc, 1.0, v204, 1.0
	v_fma_f32 v208, -v205, v206, 1.0
	v_fmac_f32_e32 v206, v208, v206
	v_mul_f32_e32 v208, v207, v206
	v_fma_f32 v209, -v205, v208, v207
	v_fmac_f32_e32 v208, v209, v206
	v_fma_f32 v205, -v205, v208, v207
	v_div_fmas_f32 v205, v205, v206, v208
	v_div_fixup_f32 v204, v205, v204, 1.0
	ds_write_b32 v159, v204
.LBB103_238:
	s_or_b64 exec, exec, s[4:5]
.LBB103_239:
	s_or_b64 exec, exec, s[2:3]
	s_waitcnt lgkmcnt(0)
	s_barrier
	ds_read_b32 v204, v159
	v_cmp_lt_u32_e32 vcc, 43, v157
	s_and_saveexec_b64 s[2:3], vcc
	s_cbranch_execz .LBB103_241
; %bb.240:
	ds_read2_b64 v[206:209], v161 offset0:22 offset1:23
	ds_read2_b64 v[210:213], v161 offset0:24 offset1:25
	s_waitcnt vmcnt(16) lgkmcnt(2)
	v_mul_f32_e32 v214, v204, v107
	v_mov_b32_e32 v107, v214
	s_waitcnt vmcnt(14) lgkmcnt(1)
	v_pk_fma_f32 v[126:127], v[214:215], v[206:207], v[126:127] op_sel_hi:[0,1,1] neg_lo:[1,0,0] neg_hi:[1,0,0]
	s_waitcnt vmcnt(12)
	v_pk_fma_f32 v[104:105], v[214:215], v[208:209], v[104:105] op_sel_hi:[0,1,1] neg_lo:[1,0,0] neg_hi:[1,0,0]
	s_waitcnt vmcnt(10) lgkmcnt(0)
	v_pk_fma_f32 v[124:125], v[214:215], v[210:211], v[124:125] op_sel_hi:[0,1,1] neg_lo:[1,0,0] neg_hi:[1,0,0]
	s_waitcnt vmcnt(8)
	v_pk_fma_f32 v[146:147], v[214:215], v[212:213], v[146:147] op_sel_hi:[0,1,1] neg_lo:[1,0,0] neg_hi:[1,0,0]
.LBB103_241:
	s_or_b64 exec, exec, s[2:3]
	v_cmp_eq_u32_e32 vcc, 44, v157
	s_waitcnt lgkmcnt(0)
	s_barrier
	s_and_saveexec_b64 s[2:3], vcc
	s_cbranch_execz .LBB103_244
; %bb.242:
	s_waitcnt vmcnt(12)
	v_pk_mov_b32 v[206:207], v[126:127], v[104:105] op_sel:[1,0]
	ds_write_b32 v159, v126
	ds_write2_b32 v161, v206, v207 offset0:45 offset1:46
	s_waitcnt vmcnt(10)
	v_pk_mov_b32 v[206:207], v[104:105], v[124:125] op_sel:[1,0]
	ds_write2_b32 v161, v206, v207 offset0:47 offset1:48
	s_waitcnt vmcnt(8)
	v_pk_mov_b32 v[206:207], v[124:125], v[146:147] op_sel:[1,0]
	ds_write2_b32 v161, v206, v207 offset0:49 offset1:50
	ds_write_b32 v161, v147 offset:204
	ds_read_b32 v205, v159
	s_waitcnt lgkmcnt(0)
	v_cmp_neq_f32_e32 vcc, 0, v205
	s_and_b64 exec, exec, vcc
	s_cbranch_execz .LBB103_244
; %bb.243:
	v_div_scale_f32 v206, s[4:5], v205, v205, 1.0
	v_rcp_f32_e32 v207, v206
	v_div_scale_f32 v208, vcc, 1.0, v205, 1.0
	v_fma_f32 v209, -v206, v207, 1.0
	v_fmac_f32_e32 v207, v209, v207
	v_mul_f32_e32 v209, v208, v207
	v_fma_f32 v210, -v206, v209, v208
	v_fmac_f32_e32 v209, v210, v207
	v_fma_f32 v206, -v206, v209, v208
	v_div_fmas_f32 v206, v206, v207, v209
	v_div_fixup_f32 v205, v206, v205, 1.0
	ds_write_b32 v159, v205
.LBB103_244:
	s_or_b64 exec, exec, s[2:3]
	s_waitcnt lgkmcnt(0)
	s_barrier
	ds_read_b32 v205, v159
	v_cmp_lt_u32_e32 vcc, 44, v157
	s_and_saveexec_b64 s[2:3], vcc
	s_cbranch_execz .LBB103_246
; %bb.245:
	ds_read_b32 v212, v161 offset:180
	ds_read2_b64 v[206:209], v161 offset0:23 offset1:24
	ds_read_b64 v[210:211], v161 offset:200
	s_waitcnt vmcnt(15) lgkmcnt(3)
	v_mul_f32_e32 v126, v205, v126
	s_waitcnt vmcnt(14) lgkmcnt(2)
	v_fma_f32 v127, -v126, v212, v127
	s_waitcnt vmcnt(12) lgkmcnt(1)
	v_pk_fma_f32 v[104:105], v[126:127], v[206:207], v[104:105] op_sel_hi:[0,1,1] neg_lo:[1,0,0] neg_hi:[1,0,0]
	s_waitcnt vmcnt(10)
	v_pk_fma_f32 v[124:125], v[126:127], v[208:209], v[124:125] op_sel_hi:[0,1,1] neg_lo:[1,0,0] neg_hi:[1,0,0]
	s_waitcnt vmcnt(8) lgkmcnt(0)
	v_pk_fma_f32 v[146:147], v[126:127], v[210:211], v[146:147] op_sel_hi:[0,1,1] neg_lo:[1,0,0] neg_hi:[1,0,0]
.LBB103_246:
	s_or_b64 exec, exec, s[2:3]
	v_cmp_ne_u32_e32 vcc, 45, v157
	s_waitcnt lgkmcnt(0)
	s_barrier
	s_and_saveexec_b64 s[2:3], vcc
	s_xor_b64 s[2:3], exec, s[2:3]
	s_andn2_saveexec_b64 s[2:3], s[2:3]
	s_cbranch_execz .LBB103_250
; %bb.247:
	s_waitcnt vmcnt(14)
	ds_write_b32 v159, v127
	s_waitcnt vmcnt(10)
	ds_write2_b64 v161, v[104:105], v[124:125] offset0:23 offset1:24
	s_waitcnt vmcnt(8)
	ds_write_b64 v161, v[146:147] offset:200
	ds_read_b32 v206, v159
	s_waitcnt lgkmcnt(0)
	v_cmp_neq_f32_e32 vcc, 0, v206
	s_and_saveexec_b64 s[4:5], vcc
	s_cbranch_execz .LBB103_249
; %bb.248:
	v_div_scale_f32 v207, s[10:11], v206, v206, 1.0
	v_rcp_f32_e32 v208, v207
	v_div_scale_f32 v209, vcc, 1.0, v206, 1.0
	v_fma_f32 v210, -v207, v208, 1.0
	v_fmac_f32_e32 v208, v210, v208
	v_mul_f32_e32 v210, v209, v208
	v_fma_f32 v211, -v207, v210, v209
	v_fmac_f32_e32 v210, v211, v208
	v_fma_f32 v207, -v207, v210, v209
	v_div_fmas_f32 v207, v207, v208, v210
	v_div_fixup_f32 v206, v207, v206, 1.0
	ds_write_b32 v159, v206
.LBB103_249:
	s_or_b64 exec, exec, s[4:5]
.LBB103_250:
	s_or_b64 exec, exec, s[2:3]
	s_waitcnt lgkmcnt(0)
	s_barrier
	ds_read_b32 v206, v159
	v_cmp_lt_u32_e32 vcc, 45, v157
	s_and_saveexec_b64 s[2:3], vcc
	s_cbranch_execz .LBB103_252
; %bb.251:
	ds_read2_b64 v[208:211], v161 offset0:23 offset1:24
	ds_read_b64 v[212:213], v161 offset:200
	s_waitcnt vmcnt(14) lgkmcnt(2)
	v_mul_f32_e32 v214, v206, v127
	v_mov_b32_e32 v127, v214
	s_waitcnt vmcnt(12) lgkmcnt(1)
	v_pk_fma_f32 v[104:105], v[214:215], v[208:209], v[104:105] op_sel_hi:[0,1,1] neg_lo:[1,0,0] neg_hi:[1,0,0]
	s_waitcnt vmcnt(10)
	v_pk_fma_f32 v[124:125], v[214:215], v[210:211], v[124:125] op_sel_hi:[0,1,1] neg_lo:[1,0,0] neg_hi:[1,0,0]
	s_waitcnt vmcnt(8) lgkmcnt(0)
	v_pk_fma_f32 v[146:147], v[214:215], v[212:213], v[146:147] op_sel_hi:[0,1,1] neg_lo:[1,0,0] neg_hi:[1,0,0]
.LBB103_252:
	s_or_b64 exec, exec, s[2:3]
	v_cmp_eq_u32_e32 vcc, 46, v157
	s_waitcnt lgkmcnt(0)
	s_barrier
	s_and_saveexec_b64 s[2:3], vcc
	s_cbranch_execz .LBB103_255
; %bb.253:
	s_waitcnt vmcnt(10)
	v_pk_mov_b32 v[208:209], v[104:105], v[124:125] op_sel:[1,0]
	ds_write_b32 v159, v104
	ds_write2_b32 v161, v208, v209 offset0:47 offset1:48
	s_waitcnt vmcnt(8)
	v_pk_mov_b32 v[208:209], v[124:125], v[146:147] op_sel:[1,0]
	ds_write2_b32 v161, v208, v209 offset0:49 offset1:50
	ds_write_b32 v161, v147 offset:204
	ds_read_b32 v207, v159
	s_waitcnt lgkmcnt(0)
	v_cmp_neq_f32_e32 vcc, 0, v207
	s_and_b64 exec, exec, vcc
	s_cbranch_execz .LBB103_255
; %bb.254:
	v_div_scale_f32 v208, s[4:5], v207, v207, 1.0
	v_rcp_f32_e32 v209, v208
	v_div_scale_f32 v210, vcc, 1.0, v207, 1.0
	v_fma_f32 v211, -v208, v209, 1.0
	v_fmac_f32_e32 v209, v211, v209
	v_mul_f32_e32 v211, v210, v209
	v_fma_f32 v212, -v208, v211, v210
	v_fmac_f32_e32 v211, v212, v209
	v_fma_f32 v208, -v208, v211, v210
	v_div_fmas_f32 v208, v208, v209, v211
	v_div_fixup_f32 v207, v208, v207, 1.0
	ds_write_b32 v159, v207
.LBB103_255:
	s_or_b64 exec, exec, s[2:3]
	s_waitcnt lgkmcnt(0)
	s_barrier
	ds_read_b32 v207, v159
	v_cmp_lt_u32_e32 vcc, 46, v157
	s_and_saveexec_b64 s[2:3], vcc
	s_cbranch_execz .LBB103_257
; %bb.256:
	ds_read_b32 v212, v161 offset:188
	ds_read2_b64 v[208:211], v161 offset0:24 offset1:25
	s_waitcnt vmcnt(13) lgkmcnt(2)
	v_mul_f32_e32 v104, v207, v104
	s_waitcnt vmcnt(12) lgkmcnt(1)
	v_fma_f32 v105, -v104, v212, v105
	s_waitcnt vmcnt(10) lgkmcnt(0)
	v_pk_fma_f32 v[124:125], v[104:105], v[208:209], v[124:125] op_sel_hi:[0,1,1] neg_lo:[1,0,0] neg_hi:[1,0,0]
	s_waitcnt vmcnt(8)
	v_pk_fma_f32 v[146:147], v[104:105], v[210:211], v[146:147] op_sel_hi:[0,1,1] neg_lo:[1,0,0] neg_hi:[1,0,0]
.LBB103_257:
	s_or_b64 exec, exec, s[2:3]
	v_cmp_ne_u32_e32 vcc, 47, v157
	s_waitcnt lgkmcnt(0)
	s_barrier
	s_and_saveexec_b64 s[2:3], vcc
	s_xor_b64 s[2:3], exec, s[2:3]
	s_andn2_saveexec_b64 s[2:3], s[2:3]
	s_cbranch_execz .LBB103_261
; %bb.258:
	s_waitcnt vmcnt(11)
	v_mov_b32_e32 v208, v124
	s_waitcnt vmcnt(10)
	v_mov_b32_e32 v209, v125
	ds_write_b32 v159, v105
	s_waitcnt vmcnt(8)
	ds_write2_b64 v161, v[208:209], v[146:147] offset0:24 offset1:25
	ds_read_b32 v208, v159
	s_waitcnt lgkmcnt(0)
	v_cmp_neq_f32_e32 vcc, 0, v208
	s_and_saveexec_b64 s[4:5], vcc
	s_cbranch_execz .LBB103_260
; %bb.259:
	v_div_scale_f32 v209, s[10:11], v208, v208, 1.0
	v_rcp_f32_e32 v210, v209
	v_div_scale_f32 v211, vcc, 1.0, v208, 1.0
	v_fma_f32 v212, -v209, v210, 1.0
	v_fmac_f32_e32 v210, v212, v210
	v_mul_f32_e32 v212, v211, v210
	v_fma_f32 v213, -v209, v212, v211
	v_fmac_f32_e32 v212, v213, v210
	v_fma_f32 v209, -v209, v212, v211
	v_div_fmas_f32 v209, v209, v210, v212
	v_div_fixup_f32 v208, v209, v208, 1.0
	ds_write_b32 v159, v208
.LBB103_260:
	s_or_b64 exec, exec, s[4:5]
.LBB103_261:
	s_or_b64 exec, exec, s[2:3]
	s_waitcnt lgkmcnt(0)
	s_barrier
	ds_read_b32 v208, v159
	v_cmp_lt_u32_e32 vcc, 47, v157
	s_and_saveexec_b64 s[2:3], vcc
	s_cbranch_execz .LBB103_263
; %bb.262:
	ds_read2_b64 v[210:213], v161 offset0:24 offset1:25
	s_waitcnt vmcnt(12) lgkmcnt(1)
	v_mul_f32_e32 v214, v208, v105
	v_mov_b32_e32 v105, v214
	s_waitcnt vmcnt(10) lgkmcnt(0)
	v_pk_fma_f32 v[124:125], v[214:215], v[210:211], v[124:125] op_sel_hi:[0,1,1] neg_lo:[1,0,0] neg_hi:[1,0,0]
	s_waitcnt vmcnt(8)
	v_pk_fma_f32 v[146:147], v[214:215], v[212:213], v[146:147] op_sel_hi:[0,1,1] neg_lo:[1,0,0] neg_hi:[1,0,0]
.LBB103_263:
	s_or_b64 exec, exec, s[2:3]
	v_cmp_eq_u32_e32 vcc, 48, v157
	s_waitcnt lgkmcnt(0)
	s_barrier
	s_and_saveexec_b64 s[2:3], vcc
	s_cbranch_execz .LBB103_266
; %bb.264:
	s_waitcnt vmcnt(8)
	v_pk_mov_b32 v[210:211], v[124:125], v[146:147] op_sel:[1,0]
	ds_write_b32 v159, v124
	ds_write2_b32 v161, v210, v211 offset0:49 offset1:50
	ds_write_b32 v161, v147 offset:204
	ds_read_b32 v209, v159
	s_waitcnt lgkmcnt(0)
	v_cmp_neq_f32_e32 vcc, 0, v209
	s_and_b64 exec, exec, vcc
	s_cbranch_execz .LBB103_266
; %bb.265:
	v_div_scale_f32 v210, s[4:5], v209, v209, 1.0
	v_rcp_f32_e32 v211, v210
	v_div_scale_f32 v212, vcc, 1.0, v209, 1.0
	v_fma_f32 v213, -v210, v211, 1.0
	v_fmac_f32_e32 v211, v213, v211
	v_mul_f32_e32 v213, v212, v211
	v_fma_f32 v214, -v210, v213, v212
	v_fmac_f32_e32 v213, v214, v211
	v_fma_f32 v210, -v210, v213, v212
	v_div_fmas_f32 v210, v210, v211, v213
	v_div_fixup_f32 v209, v210, v209, 1.0
	ds_write_b32 v159, v209
.LBB103_266:
	s_or_b64 exec, exec, s[2:3]
	s_waitcnt lgkmcnt(0)
	s_barrier
	ds_read_b32 v209, v159
	v_cmp_lt_u32_e32 vcc, 48, v157
	s_and_saveexec_b64 s[2:3], vcc
	s_cbranch_execz .LBB103_268
; %bb.267:
	ds_read_b32 v212, v161 offset:196
	ds_read_b64 v[210:211], v161 offset:200
	s_waitcnt vmcnt(11) lgkmcnt(2)
	v_mul_f32_e32 v124, v209, v124
	s_waitcnt vmcnt(10) lgkmcnt(1)
	v_fma_f32 v125, -v124, v212, v125
	s_waitcnt vmcnt(8) lgkmcnt(0)
	v_pk_fma_f32 v[146:147], v[124:125], v[210:211], v[146:147] op_sel_hi:[0,1,1] neg_lo:[1,0,0] neg_hi:[1,0,0]
.LBB103_268:
	s_or_b64 exec, exec, s[2:3]
	v_cmp_ne_u32_e32 vcc, 49, v157
	s_waitcnt lgkmcnt(0)
	s_barrier
	s_and_saveexec_b64 s[2:3], vcc
	s_xor_b64 s[2:3], exec, s[2:3]
	s_andn2_saveexec_b64 s[2:3], s[2:3]
	s_cbranch_execz .LBB103_272
; %bb.269:
	s_waitcnt vmcnt(10)
	ds_write_b32 v159, v125
	s_waitcnt vmcnt(8)
	ds_write_b64 v161, v[146:147] offset:200
	ds_read_b32 v210, v159
	s_waitcnt lgkmcnt(0)
	v_cmp_neq_f32_e32 vcc, 0, v210
	s_and_saveexec_b64 s[4:5], vcc
	s_cbranch_execz .LBB103_271
; %bb.270:
	v_div_scale_f32 v211, s[10:11], v210, v210, 1.0
	v_rcp_f32_e32 v212, v211
	v_div_scale_f32 v213, vcc, 1.0, v210, 1.0
	v_fma_f32 v214, -v211, v212, 1.0
	v_fmac_f32_e32 v212, v214, v212
	v_mul_f32_e32 v214, v213, v212
	v_fma_f32 v215, -v211, v214, v213
	v_fmac_f32_e32 v214, v215, v212
	v_fma_f32 v211, -v211, v214, v213
	v_div_fmas_f32 v211, v211, v212, v214
	v_div_fixup_f32 v210, v211, v210, 1.0
	ds_write_b32 v159, v210
.LBB103_271:
	s_or_b64 exec, exec, s[4:5]
.LBB103_272:
	s_or_b64 exec, exec, s[2:3]
	s_waitcnt lgkmcnt(0)
	s_barrier
	ds_read_b32 v210, v159
	v_cmp_lt_u32_e32 vcc, 49, v157
	s_and_saveexec_b64 s[2:3], vcc
	s_cbranch_execz .LBB103_274
; %bb.273:
	ds_read_b64 v[212:213], v161 offset:200
	s_waitcnt vmcnt(10) lgkmcnt(1)
	v_mul_f32_e32 v214, v210, v125
	v_mov_b32_e32 v125, v214
	s_waitcnt vmcnt(8) lgkmcnt(0)
	v_pk_fma_f32 v[146:147], v[214:215], v[212:213], v[146:147] op_sel_hi:[0,1,1] neg_lo:[1,0,0] neg_hi:[1,0,0]
.LBB103_274:
	s_or_b64 exec, exec, s[2:3]
	v_cmp_eq_u32_e32 vcc, 50, v157
	s_waitcnt lgkmcnt(0)
	s_barrier
	s_and_saveexec_b64 s[2:3], vcc
	s_cbranch_execz .LBB103_277
; %bb.275:
	s_waitcnt vmcnt(9)
	ds_write_b32 v159, v146
	s_waitcnt vmcnt(8)
	ds_write_b32 v161, v147 offset:204
	ds_read_b32 v211, v159
	s_waitcnt lgkmcnt(0)
	v_cmp_neq_f32_e32 vcc, 0, v211
	s_and_b64 exec, exec, vcc
	s_cbranch_execz .LBB103_277
; %bb.276:
	v_div_scale_f32 v212, s[4:5], v211, v211, 1.0
	v_rcp_f32_e32 v213, v212
	v_div_scale_f32 v214, vcc, 1.0, v211, 1.0
	v_fma_f32 v215, -v212, v213, 1.0
	v_fmac_f32_e32 v213, v215, v213
	v_mul_f32_e32 v215, v214, v213
	v_fma_f32 v216, -v212, v215, v214
	v_fmac_f32_e32 v215, v216, v213
	v_fma_f32 v212, -v212, v215, v214
	v_div_fmas_f32 v212, v212, v213, v215
	v_div_fixup_f32 v211, v212, v211, 1.0
	ds_write_b32 v159, v211
.LBB103_277:
	s_or_b64 exec, exec, s[2:3]
	s_waitcnt lgkmcnt(0)
	s_barrier
	ds_read_b32 v211, v159
	v_cmp_lt_u32_e32 vcc, 50, v157
	s_and_saveexec_b64 s[2:3], vcc
	s_cbranch_execz .LBB103_279
; %bb.278:
	ds_read_b32 v161, v161 offset:204
	s_waitcnt vmcnt(9) lgkmcnt(1)
	v_mul_f32_e32 v146, v211, v146
	s_waitcnt vmcnt(8) lgkmcnt(0)
	v_fma_f32 v147, -v146, v161, v147
.LBB103_279:
	s_or_b64 exec, exec, s[2:3]
	v_cmp_ne_u32_e32 vcc, 51, v157
	s_waitcnt lgkmcnt(0)
	s_barrier
	s_and_saveexec_b64 s[2:3], vcc
	s_xor_b64 s[2:3], exec, s[2:3]
	s_andn2_saveexec_b64 s[2:3], s[2:3]
	s_cbranch_execz .LBB103_283
; %bb.280:
	s_waitcnt vmcnt(8)
	v_cmp_neq_f32_e32 vcc, 0, v147
	ds_write_b32 v159, v147
	s_and_saveexec_b64 s[4:5], vcc
	s_cbranch_execz .LBB103_282
; %bb.281:
	v_div_scale_f32 v161, s[10:11], v147, v147, 1.0
	v_rcp_f32_e32 v212, v161
	v_div_scale_f32 v213, vcc, 1.0, v147, 1.0
	v_fma_f32 v214, -v161, v212, 1.0
	v_fmac_f32_e32 v212, v214, v212
	v_mul_f32_e32 v214, v213, v212
	v_fma_f32 v215, -v161, v214, v213
	v_fmac_f32_e32 v214, v215, v212
	v_fma_f32 v161, -v161, v214, v213
	v_div_fmas_f32 v161, v161, v212, v214
	v_div_fixup_f32 v161, v161, v147, 1.0
	ds_write_b32 v159, v161
.LBB103_282:
	s_or_b64 exec, exec, s[4:5]
.LBB103_283:
	s_or_b64 exec, exec, s[2:3]
	s_waitcnt lgkmcnt(0)
	s_barrier
	ds_read_b32 v159, v159
	s_waitcnt lgkmcnt(0)
	s_barrier
	s_and_saveexec_b64 s[2:3], s[0:1]
	s_cbranch_execz .LBB103_286
; %bb.284:
	v_cmp_eq_f32_e32 vcc, 0, v160
	v_cmp_neq_f32_e64 s[0:1], 0, v162
	v_mov_b32_e32 v161, s7
	v_cndmask_b32_e64 v160, 0, 1, vcc
	s_or_b64 vcc, s[0:1], vcc
	v_cndmask_b32_e32 v160, 2, v160, vcc
	v_cmp_eq_f32_e32 vcc, 0, v163
	v_cmp_eq_u32_e64 s[0:1], 0, v160
	s_and_b64 s[0:1], vcc, s[0:1]
	v_cmp_eq_f32_e32 vcc, 0, v164
	v_cndmask_b32_e64 v160, v160, 3, s[0:1]
	v_cmp_eq_u32_e64 s[0:1], 0, v160
	s_and_b64 s[0:1], vcc, s[0:1]
	v_cmp_eq_f32_e32 vcc, 0, v165
	v_cndmask_b32_e64 v160, v160, 4, s[0:1]
	;; [unrolled: 4-line block ×30, first 2 shown]
	v_mov_b32_e32 v160, s6
	v_lshl_add_u64 v[24:25], v[24:25], 2, v[160:161]
	global_load_dword v161, v[24:25], off
	v_cmp_eq_u32_e64 s[0:1], 0, v162
	s_and_b64 s[0:1], vcc, s[0:1]
	v_cmp_eq_f32_e32 vcc, 0, v194
	v_cndmask_b32_e64 v160, v162, 33, s[0:1]
	v_cmp_eq_u32_e64 s[0:1], 0, v160
	s_and_b64 s[0:1], vcc, s[0:1]
	v_cmp_eq_f32_e32 vcc, 0, v195
	v_cndmask_b32_e64 v160, v160, 34, s[0:1]
	;; [unrolled: 4-line block ×19, first 2 shown]
	v_cmp_eq_u32_e64 s[0:1], 0, v160
	s_and_b64 s[0:1], vcc, s[0:1]
	s_waitcnt vmcnt(0)
	v_cmp_eq_u32_e32 vcc, 0, v161
	v_cndmask_b32_e64 v160, v160, 52, s[0:1]
	v_cmp_ne_u32_e64 s[0:1], 0, v160
	s_and_b64 s[0:1], vcc, s[0:1]
	s_and_b64 exec, exec, s[0:1]
	s_cbranch_execz .LBB103_286
; %bb.285:
	v_add_u32_e32 v160, s9, v160
	global_store_dword v[24:25], v160, off
.LBB103_286:
	s_or_b64 exec, exec, s[2:3]
	s_waitcnt vmcnt(8)
	v_mul_f32_e32 v24, v159, v147
	v_cmp_lt_u32_e32 vcc, 51, v157
	s_nop 1
	v_cndmask_b32_e32 v24, v147, v24, vcc
	s_waitcnt vmcnt(1)
	global_store_dword v[0:1], v156, off
	s_waitcnt vmcnt(1)
	global_store_dword v[154:155], v158, off
	global_store_dword v[2:3], v150, off
	;; [unrolled: 1-line block ×51, first 2 shown]
.LBB103_287:
	s_endpgm
	.section	.rodata,"a",@progbits
	.p2align	6, 0x0
	.amdhsa_kernel _ZN9rocsolver6v33100L23getf2_npvt_small_kernelILi52EfiiPfEEvT1_T3_lS3_lPT2_S3_S3_
		.amdhsa_group_segment_fixed_size 0
		.amdhsa_private_segment_fixed_size 0
		.amdhsa_kernarg_size 312
		.amdhsa_user_sgpr_count 2
		.amdhsa_user_sgpr_dispatch_ptr 0
		.amdhsa_user_sgpr_queue_ptr 0
		.amdhsa_user_sgpr_kernarg_segment_ptr 1
		.amdhsa_user_sgpr_dispatch_id 0
		.amdhsa_user_sgpr_kernarg_preload_length 0
		.amdhsa_user_sgpr_kernarg_preload_offset 0
		.amdhsa_user_sgpr_private_segment_size 0
		.amdhsa_uses_dynamic_stack 0
		.amdhsa_enable_private_segment 0
		.amdhsa_system_sgpr_workgroup_id_x 1
		.amdhsa_system_sgpr_workgroup_id_y 1
		.amdhsa_system_sgpr_workgroup_id_z 0
		.amdhsa_system_sgpr_workgroup_info 0
		.amdhsa_system_vgpr_workitem_id 1
		.amdhsa_next_free_vgpr 217
		.amdhsa_next_free_sgpr 16
		.amdhsa_accum_offset 220
		.amdhsa_reserve_vcc 1
		.amdhsa_float_round_mode_32 0
		.amdhsa_float_round_mode_16_64 0
		.amdhsa_float_denorm_mode_32 3
		.amdhsa_float_denorm_mode_16_64 3
		.amdhsa_dx10_clamp 1
		.amdhsa_ieee_mode 1
		.amdhsa_fp16_overflow 0
		.amdhsa_tg_split 0
		.amdhsa_exception_fp_ieee_invalid_op 0
		.amdhsa_exception_fp_denorm_src 0
		.amdhsa_exception_fp_ieee_div_zero 0
		.amdhsa_exception_fp_ieee_overflow 0
		.amdhsa_exception_fp_ieee_underflow 0
		.amdhsa_exception_fp_ieee_inexact 0
		.amdhsa_exception_int_div_zero 0
	.end_amdhsa_kernel
	.section	.text._ZN9rocsolver6v33100L23getf2_npvt_small_kernelILi52EfiiPfEEvT1_T3_lS3_lPT2_S3_S3_,"axG",@progbits,_ZN9rocsolver6v33100L23getf2_npvt_small_kernelILi52EfiiPfEEvT1_T3_lS3_lPT2_S3_S3_,comdat
.Lfunc_end103:
	.size	_ZN9rocsolver6v33100L23getf2_npvt_small_kernelILi52EfiiPfEEvT1_T3_lS3_lPT2_S3_S3_, .Lfunc_end103-_ZN9rocsolver6v33100L23getf2_npvt_small_kernelILi52EfiiPfEEvT1_T3_lS3_lPT2_S3_S3_
                                        ; -- End function
	.set _ZN9rocsolver6v33100L23getf2_npvt_small_kernelILi52EfiiPfEEvT1_T3_lS3_lPT2_S3_S3_.num_vgpr, 217
	.set _ZN9rocsolver6v33100L23getf2_npvt_small_kernelILi52EfiiPfEEvT1_T3_lS3_lPT2_S3_S3_.num_agpr, 0
	.set _ZN9rocsolver6v33100L23getf2_npvt_small_kernelILi52EfiiPfEEvT1_T3_lS3_lPT2_S3_S3_.numbered_sgpr, 16
	.set _ZN9rocsolver6v33100L23getf2_npvt_small_kernelILi52EfiiPfEEvT1_T3_lS3_lPT2_S3_S3_.num_named_barrier, 0
	.set _ZN9rocsolver6v33100L23getf2_npvt_small_kernelILi52EfiiPfEEvT1_T3_lS3_lPT2_S3_S3_.private_seg_size, 0
	.set _ZN9rocsolver6v33100L23getf2_npvt_small_kernelILi52EfiiPfEEvT1_T3_lS3_lPT2_S3_S3_.uses_vcc, 1
	.set _ZN9rocsolver6v33100L23getf2_npvt_small_kernelILi52EfiiPfEEvT1_T3_lS3_lPT2_S3_S3_.uses_flat_scratch, 0
	.set _ZN9rocsolver6v33100L23getf2_npvt_small_kernelILi52EfiiPfEEvT1_T3_lS3_lPT2_S3_S3_.has_dyn_sized_stack, 0
	.set _ZN9rocsolver6v33100L23getf2_npvt_small_kernelILi52EfiiPfEEvT1_T3_lS3_lPT2_S3_S3_.has_recursion, 0
	.set _ZN9rocsolver6v33100L23getf2_npvt_small_kernelILi52EfiiPfEEvT1_T3_lS3_lPT2_S3_S3_.has_indirect_call, 0
	.section	.AMDGPU.csdata,"",@progbits
; Kernel info:
; codeLenInByte = 33216
; TotalNumSgprs: 22
; NumVgprs: 217
; NumAgprs: 0
; TotalNumVgprs: 217
; ScratchSize: 0
; MemoryBound: 0
; FloatMode: 240
; IeeeMode: 1
; LDSByteSize: 0 bytes/workgroup (compile time only)
; SGPRBlocks: 2
; VGPRBlocks: 27
; NumSGPRsForWavesPerEU: 22
; NumVGPRsForWavesPerEU: 217
; AccumOffset: 220
; Occupancy: 2
; WaveLimiterHint : 0
; COMPUTE_PGM_RSRC2:SCRATCH_EN: 0
; COMPUTE_PGM_RSRC2:USER_SGPR: 2
; COMPUTE_PGM_RSRC2:TRAP_HANDLER: 0
; COMPUTE_PGM_RSRC2:TGID_X_EN: 1
; COMPUTE_PGM_RSRC2:TGID_Y_EN: 1
; COMPUTE_PGM_RSRC2:TGID_Z_EN: 0
; COMPUTE_PGM_RSRC2:TIDIG_COMP_CNT: 1
; COMPUTE_PGM_RSRC3_GFX90A:ACCUM_OFFSET: 54
; COMPUTE_PGM_RSRC3_GFX90A:TG_SPLIT: 0
	.section	.text._ZN9rocsolver6v33100L18getf2_small_kernelILi53EfiiPfEEvT1_T3_lS3_lPS3_llPT2_S3_S3_S5_l,"axG",@progbits,_ZN9rocsolver6v33100L18getf2_small_kernelILi53EfiiPfEEvT1_T3_lS3_lPS3_llPT2_S3_S3_S5_l,comdat
	.globl	_ZN9rocsolver6v33100L18getf2_small_kernelILi53EfiiPfEEvT1_T3_lS3_lPS3_llPT2_S3_S3_S5_l ; -- Begin function _ZN9rocsolver6v33100L18getf2_small_kernelILi53EfiiPfEEvT1_T3_lS3_lPS3_llPT2_S3_S3_S5_l
	.p2align	8
	.type	_ZN9rocsolver6v33100L18getf2_small_kernelILi53EfiiPfEEvT1_T3_lS3_lPS3_llPT2_S3_S3_S5_l,@function
_ZN9rocsolver6v33100L18getf2_small_kernelILi53EfiiPfEEvT1_T3_lS3_lPS3_llPT2_S3_S3_S5_l: ; @_ZN9rocsolver6v33100L18getf2_small_kernelILi53EfiiPfEEvT1_T3_lS3_lPS3_llPT2_S3_S3_S5_l
; %bb.0:
	s_load_dword s2, s[0:1], 0x6c
	s_load_dwordx2 s[18:19], s[0:1], 0x48
	v_bfe_u32 v59, v0, 10, 10
	s_waitcnt lgkmcnt(0)
	s_lshr_b32 s2, s2, 16
	s_mul_i32 s3, s3, s2
	v_add_u32_e32 v2, s3, v59
	v_cmp_gt_i32_e32 vcc, s18, v2
	s_and_saveexec_b64 s[2:3], vcc
	s_cbranch_execz .LBB104_898
; %bb.1:
	s_load_dwordx4 s[4:7], s[0:1], 0x50
	v_ashrrev_i32_e32 v3, 31, v2
	v_mov_b64_e32 v[4:5], 0
	s_waitcnt lgkmcnt(0)
	s_cmp_eq_u64 s[4:5], 0
	s_cselect_b64 s[20:21], -1, 0
	s_and_b64 vcc, exec, s[20:21]
	s_cbranch_vccnz .LBB104_3
; %bb.2:
	v_mul_lo_u32 v1, s7, v2
	v_mul_lo_u32 v6, s6, v3
	v_mad_u64_u32 v[4:5], s[2:3], s6, v2, 0
	v_add3_u32 v5, v5, v6, v1
	v_lshl_add_u64 v[4:5], v[4:5], 2, s[4:5]
.LBB104_3:
	s_load_dwordx4 s[12:15], s[0:1], 0x8
	s_load_dwordx8 s[4:11], s[0:1], 0x20
	s_load_dword s16, s[0:1], 0x18
	s_load_dword s22, s[0:1], 0x0
	v_and_b32_e32 v64, 0x3ff, v0
	s_waitcnt lgkmcnt(0)
	v_mov_b32_e32 v6, s12
	v_mul_lo_u32 v1, s5, v2
	v_mul_lo_u32 v10, s4, v3
	v_mad_u64_u32 v[8:9], s[2:3], s4, v2, 0
	v_mov_b32_e32 v7, s13
	v_add3_u32 v9, v9, v10, v1
	s_add_i32 s18, s16, s16
	v_lshl_add_u64 v[6:7], v[8:9], 2, v[6:7]
	v_add_u32_e32 v8, s18, v64
	v_lshl_add_u64 v[6:7], s[14:15], 2, v[6:7]
	v_ashrrev_i32_e32 v9, 31, v8
	v_lshl_add_u64 v[10:11], v[8:9], 2, v[6:7]
	v_add_u32_e32 v8, s16, v8
	v_ashrrev_i32_e32 v9, 31, v8
	v_lshl_add_u64 v[12:13], v[8:9], 2, v[6:7]
	v_add_u32_e32 v8, s16, v8
	v_ashrrev_i32_e32 v9, 31, v8
	v_lshl_add_u64 v[14:15], v[8:9], 2, v[6:7]
	v_add_u32_e32 v8, s16, v8
	v_ashrrev_i32_e32 v9, 31, v8
	v_lshlrev_b32_e32 v60, 2, v64
	v_mov_b32_e32 v61, 0
	v_lshl_add_u64 v[16:17], v[8:9], 2, v[6:7]
	v_add_u32_e32 v8, s16, v8
	v_lshl_add_u64 v[54:55], v[6:7], 0, v[60:61]
	s_ashr_i32 s17, s16, 31
	v_add_u32_e32 v56, s16, v8
	v_lshl_add_u64 v[0:1], s[16:17], 2, v[54:55]
	v_ashrrev_i32_e32 v9, 31, v8
	v_add_u32_e32 v62, s16, v56
	v_lshl_add_u64 v[18:19], v[8:9], 2, v[6:7]
	global_load_dword v50, v[0:1], off
	global_load_dword v51, v[10:11], off
	;; [unrolled: 1-line block ×6, first 2 shown]
	v_add_u32_e32 v0, s16, v62
	v_ashrrev_i32_e32 v1, 31, v0
	v_lshl_add_u64 v[8:9], v[0:1], 2, v[6:7]
	v_add_u32_e32 v0, s16, v0
	v_ashrrev_i32_e32 v1, 31, v0
	v_lshl_add_u64 v[10:11], v[0:1], 2, v[6:7]
	;; [unrolled: 3-line block ×3, first 2 shown]
	v_add_u32_e32 v0, s16, v0
	v_add_u32_e32 v66, s16, v0
	;; [unrolled: 1-line block ×4, first 2 shown]
	v_ashrrev_i32_e32 v1, 31, v0
	v_add_u32_e32 v52, s16, v70
	v_lshl_add_u64 v[14:15], v[0:1], 2, v[6:7]
	v_add_u32_e32 v0, s16, v52
	v_ashrrev_i32_e32 v1, 31, v0
	global_load_dword v46, v[8:9], off
	global_load_dword v47, v[10:11], off
	;; [unrolled: 1-line block ×4, first 2 shown]
	v_lshl_add_u64 v[8:9], v[0:1], 2, v[6:7]
	v_add_u32_e32 v0, s16, v0
	v_ashrrev_i32_e32 v1, 31, v0
	v_lshl_add_u64 v[10:11], v[0:1], 2, v[6:7]
	v_add_u32_e32 v0, s16, v0
	v_ashrrev_i32_e32 v1, 31, v0
	;; [unrolled: 3-line block ×7, first 2 shown]
	global_load_dword v40, v[8:9], off
	global_load_dword v41, v[10:11], off
	;; [unrolled: 1-line block ×7, first 2 shown]
	v_lshl_add_u64 v[8:9], v[0:1], 2, v[6:7]
	v_add_u32_e32 v0, s16, v0
	v_ashrrev_i32_e32 v1, 31, v0
	v_lshl_add_u64 v[10:11], v[0:1], 2, v[6:7]
	v_add_u32_e32 v0, s16, v0
	v_ashrrev_i32_e32 v1, 31, v0
	;; [unrolled: 3-line block ×8, first 2 shown]
	global_load_dword v25, v[8:9], off
	global_load_dword v38, v[10:11], off
	;; [unrolled: 1-line block ×8, first 2 shown]
	v_lshl_add_u64 v[8:9], v[0:1], 2, v[6:7]
	v_add_u32_e32 v0, s16, v0
	v_ashrrev_i32_e32 v1, 31, v0
	v_lshl_add_u64 v[12:13], v[0:1], 2, v[6:7]
	v_add_u32_e32 v0, s16, v0
	v_ashrrev_i32_e32 v1, 31, v0
	;; [unrolled: 3-line block ×8, first 2 shown]
	global_load_dword v19, v[8:9], off
	global_load_dword v34, v[12:13], off
	;; [unrolled: 1-line block ×8, first 2 shown]
	v_lshl_add_u64 v[8:9], v[0:1], 2, v[6:7]
	v_add_u32_e32 v0, s16, v0
	v_ashrrev_i32_e32 v1, 31, v0
	v_lshl_add_u64 v[12:13], v[0:1], 2, v[6:7]
	v_add_u32_e32 v0, s16, v0
	v_ashrrev_i32_e32 v1, 31, v0
	;; [unrolled: 3-line block ×5, first 2 shown]
	global_load_dword v11, v[8:9], off
	global_load_dword v22, v[12:13], off
	;; [unrolled: 1-line block ×5, first 2 shown]
	v_lshl_add_u64 v[12:13], v[0:1], 2, v[6:7]
	v_add_u32_e32 v0, s16, v0
	v_ashrrev_i32_e32 v1, 31, v0
	v_lshl_add_u64 v[72:73], v[0:1], 2, v[6:7]
	v_add_u32_e32 v0, s16, v0
	v_ashrrev_i32_e32 v1, 31, v0
	;; [unrolled: 3-line block ×3, first 2 shown]
	global_load_dword v16, v[12:13], off
	global_load_dword v17, v[72:73], off
	;; [unrolled: 1-line block ×3, first 2 shown]
	v_lshl_add_u64 v[12:13], v[0:1], 2, v[6:7]
	global_load_dword v9, v[12:13], off
	v_add_u32_e32 v12, s16, v0
	v_ashrrev_i32_e32 v13, 31, v12
	v_lshl_add_u64 v[0:1], v[12:13], 2, v[6:7]
	v_add_u32_e32 v12, s16, v12
	v_ashrrev_i32_e32 v13, 31, v12
	v_lshl_add_u64 v[72:73], v[12:13], 2, v[6:7]
	v_add_u32_e32 v12, s16, v12
	v_ashrrev_i32_e32 v13, 31, v12
	global_load_dword v0, v[0:1], off
	v_ashrrev_i32_e32 v53, 31, v52
	global_load_dword v1, v[72:73], off
	v_lshl_add_u64 v[72:73], v[12:13], 2, v[6:7]
	v_add_u32_e32 v12, s16, v12
	v_ashrrev_i32_e32 v13, 31, v12
	v_ashrrev_i32_e32 v57, 31, v56
	v_lshl_add_u64 v[74:75], v[12:13], 2, v[6:7]
	global_load_dword v12, v[72:73], off
	global_load_dword v13, v[74:75], off
	v_lshl_add_u64 v[52:53], v[52:53], 2, v[6:7]
	v_lshl_add_u64 v[72:73], v[56:57], 2, v[6:7]
	global_load_dword v53, v[52:53], off
	s_nop 0
	global_load_dword v56, v[72:73], off
	global_load_dword v58, v[54:55], off
	v_ashrrev_i32_e32 v67, 31, v66
	v_lshl_add_u64 v[66:67], v[66:67], 2, v[6:7]
	v_ashrrev_i32_e32 v69, 31, v68
	v_ashrrev_i32_e32 v71, 31, v70
	;; [unrolled: 1-line block ×3, first 2 shown]
	v_lshl_add_u64 v[68:69], v[68:69], 2, v[6:7]
	v_lshl_add_u64 v[70:71], v[70:71], 2, v[6:7]
	;; [unrolled: 1-line block ×3, first 2 shown]
	global_load_dword v54, v[66:67], off
	global_load_dword v55, v[68:69], off
	;; [unrolled: 1-line block ×4, first 2 shown]
	s_max_i32 s2, s22, 53
	v_mul_lo_u32 v62, s2, v59
	v_lshl_add_u32 v59, v62, 2, 0
	v_add_u32_e32 v60, v59, v60
	s_load_dwordx2 s[4:5], s[0:1], 0x40
	s_cmp_lt_i32 s22, 2
	v_lshlrev_b32_e32 v62, 2, v62
	s_waitcnt vmcnt(4)
	ds_write_b32 v60, v58
	s_waitcnt lgkmcnt(0)
	s_barrier
	ds_read_b32 v60, v59
	s_cbranch_scc1 .LBB104_6
; %bb.4:
	v_add3_u32 v63, v62, 0, 4
	v_mov_b32_e32 v61, 0
	s_mov_b32 s0, 1
.LBB104_5:                              ; =>This Inner Loop Header: Depth=1
	ds_read_b32 v65, v63
	v_mov_b32_e32 v66, s0
	s_add_i32 s0, s0, 1
	v_add_u32_e32 v63, 4, v63
	s_cmp_eq_u32 s22, s0
	s_waitcnt lgkmcnt(0)
	v_cmp_lt_f32_e64 vcc, |v60|, |v65|
	s_nop 1
	v_cndmask_b32_e32 v60, v60, v65, vcc
	v_cndmask_b32_e32 v61, v61, v66, vcc
	s_cbranch_scc0 .LBB104_5
.LBB104_6:
	v_cmp_ne_u32_e32 vcc, v64, v61
                                        ; implicit-def: $vgpr63
	s_and_saveexec_b64 s[0:1], vcc
	s_xor_b64 s[0:1], exec, s[0:1]
	s_cbranch_execz .LBB104_12
; %bb.7:
	v_cmp_eq_u32_e32 vcc, 0, v64
	s_and_saveexec_b64 s[2:3], vcc
	s_cbranch_execz .LBB104_11
; %bb.8:
	v_cmp_ne_u32_e32 vcc, 0, v61
	s_xor_b64 s[12:13], s[20:21], -1
	s_and_b64 s[14:15], s[12:13], vcc
	s_and_saveexec_b64 s[12:13], s[14:15]
	s_cbranch_execz .LBB104_10
; %bb.9:
	v_ashrrev_i32_e32 v65, 31, v61
	v_mov_b32_e32 v64, v61
	v_lshl_add_u64 v[64:65], v[64:65], 2, v[4:5]
	global_load_dword v63, v[64:65], off
	global_load_dword v66, v[4:5], off
	s_waitcnt vmcnt(1)
	global_store_dword v[4:5], v63, off
	s_waitcnt vmcnt(1)
	global_store_dword v[64:65], v66, off
.LBB104_10:
	s_or_b64 exec, exec, s[12:13]
	v_mov_b32_e32 v64, v61
.LBB104_11:
	s_or_b64 exec, exec, s[2:3]
	v_mov_b32_e32 v63, v64
                                        ; implicit-def: $vgpr64
.LBB104_12:
	s_or_saveexec_b64 s[0:1], s[0:1]
	v_mov_b32_e32 v61, v63
	s_xor_b64 exec, exec, s[0:1]
	s_cbranch_execz .LBB104_14
; %bb.13:
	v_mov_b32_e32 v63, 0
	v_mov_b32_e32 v61, v64
	ds_write2_b32 v59, v50, v51 offset0:1 offset1:2
	ds_write2_b32 v59, v48, v49 offset0:3 offset1:4
	;; [unrolled: 1-line block ×3, first 2 shown]
	s_waitcnt vmcnt(0)
	ds_write2_b32 v59, v56, v57 offset0:7 offset1:8
	ds_write2_b32 v59, v46, v47 offset0:9 offset1:10
	ds_write2_b32 v59, v42, v43 offset0:11 offset1:12
	ds_write2_b32 v59, v54, v55 offset0:13 offset1:14
	ds_write2_b32 v59, v52, v53 offset0:15 offset1:16
	ds_write2_b32 v59, v40, v41 offset0:17 offset1:18
	ds_write2_b32 v59, v36, v37 offset0:19 offset1:20
	ds_write2_b32 v59, v30, v31 offset0:21 offset1:22
	ds_write2_b32 v59, v24, v25 offset0:23 offset1:24
	ds_write2_b32 v59, v38, v39 offset0:25 offset1:26
	ds_write2_b32 v59, v32, v33 offset0:27 offset1:28
	ds_write2_b32 v59, v26, v27 offset0:29 offset1:30
	ds_write2_b32 v59, v18, v19 offset0:31 offset1:32
	ds_write2_b32 v59, v34, v35 offset0:33 offset1:34
	ds_write2_b32 v59, v28, v29 offset0:35 offset1:36
	ds_write2_b32 v59, v20, v21 offset0:37 offset1:38
	ds_write2_b32 v59, v10, v11 offset0:39 offset1:40
	ds_write2_b32 v59, v22, v23 offset0:41 offset1:42
	ds_write2_b32 v59, v14, v15 offset0:43 offset1:44
	ds_write2_b32 v59, v16, v17 offset0:45 offset1:46
	ds_write2_b32 v59, v8, v9 offset0:47 offset1:48
	ds_write2_b32 v59, v0, v1 offset0:49 offset1:50
	ds_write2_b32 v59, v12, v13 offset0:51 offset1:52
.LBB104_14:
	s_or_b64 exec, exec, s[0:1]
	s_waitcnt lgkmcnt(0)
	v_cmp_eq_f32_e64 s[0:1], 0, v60
	v_cmp_lt_i32_e32 vcc, 0, v63
	s_barrier
	s_and_saveexec_b64 s[2:3], vcc
	s_cbranch_execz .LBB104_16
; %bb.15:
	v_div_scale_f32 v64, s[12:13], v60, v60, 1.0
	v_rcp_f32_e32 v65, v64
	s_nop 0
	v_fma_f32 v66, -v64, v65, 1.0
	v_fmac_f32_e32 v65, v66, v65
	v_div_scale_f32 v66, vcc, 1.0, v60, 1.0
	v_mul_f32_e32 v67, v66, v65
	v_fma_f32 v68, -v64, v67, v66
	v_fmac_f32_e32 v67, v68, v65
	v_fma_f32 v64, -v64, v67, v66
	v_div_fmas_f32 v64, v64, v65, v67
	v_div_fixup_f32 v64, v64, v60, 1.0
	v_cndmask_b32_e64 v60, v64, v60, s[0:1]
	ds_read2_b32 v[64:65], v59 offset0:1 offset1:2
	v_mul_f32_e32 v58, v60, v58
	s_waitcnt lgkmcnt(0)
	v_pk_fma_f32 v[50:51], v[58:59], v[64:65], v[50:51] op_sel_hi:[0,1,1] neg_lo:[1,0,0] neg_hi:[1,0,0]
	ds_read2_b32 v[64:65], v59 offset0:3 offset1:4
	s_waitcnt lgkmcnt(0)
	v_pk_fma_f32 v[48:49], v[58:59], v[64:65], v[48:49] op_sel_hi:[0,1,1] neg_lo:[1,0,0] neg_hi:[1,0,0]
	ds_read2_b32 v[64:65], v59 offset0:5 offset1:6
	;; [unrolled: 3-line block ×3, first 2 shown]
	s_waitcnt vmcnt(0) lgkmcnt(0)
	v_pk_fma_f32 v[56:57], v[58:59], v[64:65], v[56:57] op_sel_hi:[0,1,1] neg_lo:[1,0,0] neg_hi:[1,0,0]
	ds_read2_b32 v[64:65], v59 offset0:9 offset1:10
	s_waitcnt lgkmcnt(0)
	v_pk_fma_f32 v[46:47], v[58:59], v[64:65], v[46:47] op_sel_hi:[0,1,1] neg_lo:[1,0,0] neg_hi:[1,0,0]
	ds_read2_b32 v[64:65], v59 offset0:11 offset1:12
	s_waitcnt lgkmcnt(0)
	v_pk_fma_f32 v[42:43], v[58:59], v[64:65], v[42:43] op_sel_hi:[0,1,1] neg_lo:[1,0,0] neg_hi:[1,0,0]
	ds_read2_b32 v[64:65], v59 offset0:13 offset1:14
	s_waitcnt lgkmcnt(0)
	v_pk_fma_f32 v[54:55], v[58:59], v[64:65], v[54:55] op_sel_hi:[0,1,1] neg_lo:[1,0,0] neg_hi:[1,0,0]
	ds_read2_b32 v[64:65], v59 offset0:15 offset1:16
	s_waitcnt lgkmcnt(0)
	v_pk_fma_f32 v[52:53], v[58:59], v[64:65], v[52:53] op_sel_hi:[0,1,1] neg_lo:[1,0,0] neg_hi:[1,0,0]
	ds_read2_b32 v[64:65], v59 offset0:17 offset1:18
	s_waitcnt lgkmcnt(0)
	v_pk_fma_f32 v[40:41], v[58:59], v[64:65], v[40:41] op_sel_hi:[0,1,1] neg_lo:[1,0,0] neg_hi:[1,0,0]
	ds_read2_b32 v[64:65], v59 offset0:19 offset1:20
	s_waitcnt lgkmcnt(0)
	v_pk_fma_f32 v[36:37], v[58:59], v[64:65], v[36:37] op_sel_hi:[0,1,1] neg_lo:[1,0,0] neg_hi:[1,0,0]
	ds_read2_b32 v[64:65], v59 offset0:21 offset1:22
	s_waitcnt lgkmcnt(0)
	v_pk_fma_f32 v[30:31], v[58:59], v[64:65], v[30:31] op_sel_hi:[0,1,1] neg_lo:[1,0,0] neg_hi:[1,0,0]
	ds_read2_b32 v[64:65], v59 offset0:23 offset1:24
	s_waitcnt lgkmcnt(0)
	v_pk_fma_f32 v[24:25], v[58:59], v[64:65], v[24:25] op_sel_hi:[0,1,1] neg_lo:[1,0,0] neg_hi:[1,0,0]
	ds_read2_b32 v[64:65], v59 offset0:25 offset1:26
	s_waitcnt lgkmcnt(0)
	v_pk_fma_f32 v[38:39], v[58:59], v[64:65], v[38:39] op_sel_hi:[0,1,1] neg_lo:[1,0,0] neg_hi:[1,0,0]
	ds_read2_b32 v[64:65], v59 offset0:27 offset1:28
	s_waitcnt lgkmcnt(0)
	v_pk_fma_f32 v[32:33], v[58:59], v[64:65], v[32:33] op_sel_hi:[0,1,1] neg_lo:[1,0,0] neg_hi:[1,0,0]
	ds_read2_b32 v[64:65], v59 offset0:29 offset1:30
	s_waitcnt lgkmcnt(0)
	v_pk_fma_f32 v[26:27], v[58:59], v[64:65], v[26:27] op_sel_hi:[0,1,1] neg_lo:[1,0,0] neg_hi:[1,0,0]
	ds_read2_b32 v[64:65], v59 offset0:31 offset1:32
	s_waitcnt lgkmcnt(0)
	v_pk_fma_f32 v[18:19], v[58:59], v[64:65], v[18:19] op_sel_hi:[0,1,1] neg_lo:[1,0,0] neg_hi:[1,0,0]
	ds_read2_b32 v[64:65], v59 offset0:33 offset1:34
	s_waitcnt lgkmcnt(0)
	v_pk_fma_f32 v[34:35], v[58:59], v[64:65], v[34:35] op_sel_hi:[0,1,1] neg_lo:[1,0,0] neg_hi:[1,0,0]
	ds_read2_b32 v[64:65], v59 offset0:35 offset1:36
	s_waitcnt lgkmcnt(0)
	v_pk_fma_f32 v[28:29], v[58:59], v[64:65], v[28:29] op_sel_hi:[0,1,1] neg_lo:[1,0,0] neg_hi:[1,0,0]
	ds_read2_b32 v[64:65], v59 offset0:37 offset1:38
	s_waitcnt lgkmcnt(0)
	v_pk_fma_f32 v[20:21], v[58:59], v[64:65], v[20:21] op_sel_hi:[0,1,1] neg_lo:[1,0,0] neg_hi:[1,0,0]
	ds_read2_b32 v[64:65], v59 offset0:39 offset1:40
	s_waitcnt lgkmcnt(0)
	v_pk_fma_f32 v[10:11], v[58:59], v[64:65], v[10:11] op_sel_hi:[0,1,1] neg_lo:[1,0,0] neg_hi:[1,0,0]
	ds_read2_b32 v[64:65], v59 offset0:41 offset1:42
	s_waitcnt lgkmcnt(0)
	v_pk_fma_f32 v[22:23], v[58:59], v[64:65], v[22:23] op_sel_hi:[0,1,1] neg_lo:[1,0,0] neg_hi:[1,0,0]
	ds_read2_b32 v[64:65], v59 offset0:43 offset1:44
	s_waitcnt lgkmcnt(0)
	v_pk_fma_f32 v[14:15], v[58:59], v[64:65], v[14:15] op_sel_hi:[0,1,1] neg_lo:[1,0,0] neg_hi:[1,0,0]
	ds_read2_b32 v[64:65], v59 offset0:45 offset1:46
	s_waitcnt lgkmcnt(0)
	v_pk_fma_f32 v[16:17], v[58:59], v[64:65], v[16:17] op_sel_hi:[0,1,1] neg_lo:[1,0,0] neg_hi:[1,0,0]
	ds_read2_b32 v[64:65], v59 offset0:47 offset1:48
	s_waitcnt lgkmcnt(0)
	v_pk_fma_f32 v[8:9], v[58:59], v[64:65], v[8:9] op_sel_hi:[0,1,1] neg_lo:[1,0,0] neg_hi:[1,0,0]
	ds_read2_b32 v[64:65], v59 offset0:49 offset1:50
	s_waitcnt lgkmcnt(0)
	v_pk_fma_f32 v[0:1], v[58:59], v[64:65], v[0:1] op_sel_hi:[0,1,1] neg_lo:[1,0,0] neg_hi:[1,0,0]
	ds_read2_b32 v[64:65], v59 offset0:51 offset1:52
	s_waitcnt lgkmcnt(0)
	v_pk_fma_f32 v[12:13], v[58:59], v[64:65], v[12:13] op_sel_hi:[0,1,1] neg_lo:[1,0,0] neg_hi:[1,0,0]
.LBB104_16:
	s_or_b64 exec, exec, s[2:3]
	v_lshl_add_u32 v60, v63, 2, v59
	s_barrier
	ds_write_b32 v60, v50
	s_waitcnt lgkmcnt(0)
	s_barrier
	ds_read_b32 v64, v59 offset:4
	s_mov_b32 s2, 2
	s_cmp_lt_i32 s22, 3
	v_mov_b32_e32 v60, 1
	s_cbranch_scc1 .LBB104_19
; %bb.17:
	v_add3_u32 v65, v62, 0, 8
	v_mov_b32_e32 v60, 1
.LBB104_18:                             ; =>This Inner Loop Header: Depth=1
	ds_read_b32 v66, v65
	v_mov_b32_e32 v67, s2
	s_add_i32 s2, s2, 1
	v_add_u32_e32 v65, 4, v65
	s_cmp_lg_u32 s22, s2
	s_waitcnt lgkmcnt(0)
	v_cmp_lt_f32_e64 vcc, |v64|, |v66|
	s_nop 1
	v_cndmask_b32_e32 v64, v64, v66, vcc
	v_cndmask_b32_e32 v60, v60, v67, vcc
	s_cbranch_scc1 .LBB104_18
.LBB104_19:
	v_cmp_ne_u32_e32 vcc, v63, v60
	s_and_saveexec_b64 s[2:3], vcc
	s_xor_b64 s[2:3], exec, s[2:3]
	s_cbranch_execz .LBB104_25
; %bb.20:
	v_cmp_eq_u32_e32 vcc, 1, v63
	s_and_saveexec_b64 s[12:13], vcc
	s_cbranch_execz .LBB104_24
; %bb.21:
	v_cmp_ne_u32_e32 vcc, 1, v60
	s_xor_b64 s[14:15], s[20:21], -1
	s_and_b64 s[24:25], s[14:15], vcc
	s_and_saveexec_b64 s[14:15], s[24:25]
	s_cbranch_execz .LBB104_23
; %bb.22:
	v_ashrrev_i32_e32 v61, 31, v60
	v_lshl_add_u64 v[66:67], v[60:61], 2, v[4:5]
	global_load_dword v61, v[66:67], off
	global_load_dword v63, v[4:5], off offset:4
	s_waitcnt vmcnt(1)
	global_store_dword v[4:5], v61, off offset:4
	s_waitcnt vmcnt(1)
	global_store_dword v[66:67], v63, off
.LBB104_23:
	s_or_b64 exec, exec, s[14:15]
	v_mov_b32_e32 v61, v60
	v_mov_b32_e32 v63, v60
.LBB104_24:
	s_or_b64 exec, exec, s[12:13]
.LBB104_25:
	s_andn2_saveexec_b64 s[2:3], s[2:3]
	s_cbranch_execz .LBB104_27
; %bb.26:
	v_pk_mov_b32 v[66:67], v[50:51], v[48:49] op_sel:[1,0]
	ds_write2_b32 v59, v66, v67 offset0:2 offset1:3
	v_pk_mov_b32 v[66:67], v[48:49], v[44:45] op_sel:[1,0]
	ds_write2_b32 v59, v66, v67 offset0:4 offset1:5
	s_waitcnt vmcnt(0)
	v_pk_mov_b32 v[66:67], v[44:45], v[56:57] op_sel:[1,0]
	ds_write2_b32 v59, v66, v67 offset0:6 offset1:7
	v_pk_mov_b32 v[66:67], v[56:57], v[46:47] op_sel:[1,0]
	ds_write2_b32 v59, v66, v67 offset0:8 offset1:9
	v_pk_mov_b32 v[66:67], v[46:47], v[42:43] op_sel:[1,0]
	ds_write2_b32 v59, v66, v67 offset0:10 offset1:11
	v_pk_mov_b32 v[66:67], v[42:43], v[54:55] op_sel:[1,0]
	ds_write2_b32 v59, v66, v67 offset0:12 offset1:13
	v_pk_mov_b32 v[66:67], v[54:55], v[52:53] op_sel:[1,0]
	ds_write2_b32 v59, v66, v67 offset0:14 offset1:15
	v_pk_mov_b32 v[66:67], v[52:53], v[40:41] op_sel:[1,0]
	ds_write2_b32 v59, v66, v67 offset0:16 offset1:17
	v_pk_mov_b32 v[66:67], v[40:41], v[36:37] op_sel:[1,0]
	ds_write2_b32 v59, v66, v67 offset0:18 offset1:19
	v_pk_mov_b32 v[66:67], v[36:37], v[30:31] op_sel:[1,0]
	ds_write2_b32 v59, v66, v67 offset0:20 offset1:21
	v_pk_mov_b32 v[66:67], v[30:31], v[24:25] op_sel:[1,0]
	ds_write2_b32 v59, v66, v67 offset0:22 offset1:23
	v_pk_mov_b32 v[66:67], v[24:25], v[38:39] op_sel:[1,0]
	ds_write2_b32 v59, v66, v67 offset0:24 offset1:25
	v_pk_mov_b32 v[66:67], v[38:39], v[32:33] op_sel:[1,0]
	ds_write2_b32 v59, v66, v67 offset0:26 offset1:27
	v_pk_mov_b32 v[66:67], v[32:33], v[26:27] op_sel:[1,0]
	ds_write2_b32 v59, v66, v67 offset0:28 offset1:29
	v_pk_mov_b32 v[66:67], v[26:27], v[18:19] op_sel:[1,0]
	ds_write2_b32 v59, v66, v67 offset0:30 offset1:31
	v_pk_mov_b32 v[66:67], v[18:19], v[34:35] op_sel:[1,0]
	ds_write2_b32 v59, v66, v67 offset0:32 offset1:33
	v_pk_mov_b32 v[66:67], v[34:35], v[28:29] op_sel:[1,0]
	ds_write2_b32 v59, v66, v67 offset0:34 offset1:35
	v_pk_mov_b32 v[66:67], v[28:29], v[20:21] op_sel:[1,0]
	ds_write2_b32 v59, v66, v67 offset0:36 offset1:37
	v_pk_mov_b32 v[66:67], v[20:21], v[10:11] op_sel:[1,0]
	ds_write2_b32 v59, v66, v67 offset0:38 offset1:39
	v_pk_mov_b32 v[66:67], v[10:11], v[22:23] op_sel:[1,0]
	ds_write2_b32 v59, v66, v67 offset0:40 offset1:41
	v_pk_mov_b32 v[66:67], v[22:23], v[14:15] op_sel:[1,0]
	ds_write2_b32 v59, v66, v67 offset0:42 offset1:43
	v_pk_mov_b32 v[66:67], v[14:15], v[16:17] op_sel:[1,0]
	ds_write2_b32 v59, v66, v67 offset0:44 offset1:45
	v_pk_mov_b32 v[66:67], v[16:17], v[8:9] op_sel:[1,0]
	ds_write2_b32 v59, v66, v67 offset0:46 offset1:47
	v_pk_mov_b32 v[66:67], v[8:9], v[0:1] op_sel:[1,0]
	ds_write2_b32 v59, v66, v67 offset0:48 offset1:49
	v_pk_mov_b32 v[66:67], v[0:1], v[12:13] op_sel:[1,0]
	v_mov_b32_e32 v63, 1
	ds_write2_b32 v59, v66, v67 offset0:50 offset1:51
	ds_write_b32 v59, v13 offset:208
.LBB104_27:
	s_or_b64 exec, exec, s[2:3]
	s_waitcnt lgkmcnt(0)
	v_cmp_neq_f32_e64 s[2:3], 0, v64
	v_cmp_lt_i32_e32 vcc, 1, v63
	s_barrier
	s_and_saveexec_b64 s[12:13], vcc
	s_cbranch_execz .LBB104_29
; %bb.28:
	v_div_scale_f32 v60, s[14:15], v64, v64, 1.0
	v_rcp_f32_e32 v65, v60
	s_nop 0
	v_fma_f32 v66, -v60, v65, 1.0
	v_fmac_f32_e32 v65, v66, v65
	v_div_scale_f32 v66, vcc, 1.0, v64, 1.0
	v_mul_f32_e32 v67, v66, v65
	v_fma_f32 v68, -v60, v67, v66
	v_fmac_f32_e32 v67, v68, v65
	v_fma_f32 v60, -v60, v67, v66
	v_div_fmas_f32 v60, v60, v65, v67
	v_div_fixup_f32 v60, v60, v64, 1.0
	v_cndmask_b32_e64 v60, v64, v60, s[2:3]
	v_mul_f32_e32 v50, v60, v50
	ds_read_b32 v60, v59 offset:8
	ds_read2_b32 v[64:65], v59 offset0:3 offset1:4
	s_waitcnt lgkmcnt(1)
	v_fma_f32 v51, -v50, v60, v51
	s_waitcnt lgkmcnt(0)
	v_pk_fma_f32 v[48:49], v[50:51], v[64:65], v[48:49] op_sel_hi:[0,1,1] neg_lo:[1,0,0] neg_hi:[1,0,0]
	ds_read2_b32 v[64:65], v59 offset0:5 offset1:6
	s_waitcnt lgkmcnt(0)
	v_pk_fma_f32 v[44:45], v[50:51], v[64:65], v[44:45] op_sel_hi:[0,1,1] neg_lo:[1,0,0] neg_hi:[1,0,0]
	ds_read2_b32 v[64:65], v59 offset0:7 offset1:8
	s_waitcnt vmcnt(0) lgkmcnt(0)
	v_pk_fma_f32 v[56:57], v[50:51], v[64:65], v[56:57] op_sel_hi:[0,1,1] neg_lo:[1,0,0] neg_hi:[1,0,0]
	ds_read2_b32 v[64:65], v59 offset0:9 offset1:10
	s_waitcnt lgkmcnt(0)
	v_pk_fma_f32 v[46:47], v[50:51], v[64:65], v[46:47] op_sel_hi:[0,1,1] neg_lo:[1,0,0] neg_hi:[1,0,0]
	ds_read2_b32 v[64:65], v59 offset0:11 offset1:12
	s_waitcnt lgkmcnt(0)
	;; [unrolled: 3-line block ×22, first 2 shown]
	v_pk_fma_f32 v[12:13], v[50:51], v[64:65], v[12:13] op_sel_hi:[0,1,1] neg_lo:[1,0,0] neg_hi:[1,0,0]
.LBB104_29:
	s_or_b64 exec, exec, s[12:13]
	v_lshl_add_u32 v60, v63, 2, v59
	s_barrier
	ds_write_b32 v60, v51
	s_waitcnt lgkmcnt(0)
	s_barrier
	ds_read_b32 v65, v59 offset:8
	s_cmp_lt_i32 s22, 4
	v_mov_b32_e32 v60, 2
	s_cbranch_scc1 .LBB104_32
; %bb.30:
	v_mov_b32_e32 v60, 2
	v_add3_u32 v64, v62, 0, 12
	s_mov_b32 s12, 3
.LBB104_31:                             ; =>This Inner Loop Header: Depth=1
	ds_read_b32 v66, v64
	v_mov_b32_e32 v67, s12
	s_add_i32 s12, s12, 1
	v_add_u32_e32 v64, 4, v64
	s_cmp_lg_u32 s22, s12
	s_waitcnt lgkmcnt(0)
	v_cmp_lt_f32_e64 vcc, |v65|, |v66|
	s_nop 1
	v_cndmask_b32_e32 v65, v65, v66, vcc
	v_cndmask_b32_e32 v60, v60, v67, vcc
	s_cbranch_scc1 .LBB104_31
.LBB104_32:
	v_cndmask_b32_e64 v64, 2, 1, s[0:1]
	v_cndmask_b32_e64 v66, 0, 1, s[0:1]
	;; [unrolled: 1-line block ×3, first 2 shown]
	s_waitcnt lgkmcnt(0)
	v_cmp_eq_f32_e32 vcc, 0, v65
	s_and_saveexec_b64 s[0:1], vcc
	s_xor_b64 s[0:1], exec, s[0:1]
; %bb.33:
	v_cmp_ne_u32_e32 vcc, 0, v64
	s_nop 1
	v_cndmask_b32_e32 v64, 3, v64, vcc
; %bb.34:
	s_andn2_saveexec_b64 s[0:1], s[0:1]
	s_cbranch_execz .LBB104_36
; %bb.35:
	v_div_scale_f32 v66, s[2:3], v65, v65, 1.0
	v_rcp_f32_e32 v67, v66
	v_div_scale_f32 v68, vcc, 1.0, v65, 1.0
	v_fma_f32 v69, -v66, v67, 1.0
	v_fmac_f32_e32 v67, v69, v67
	v_mul_f32_e32 v69, v68, v67
	v_fma_f32 v70, -v66, v69, v68
	v_fmac_f32_e32 v69, v70, v67
	v_fma_f32 v66, -v66, v69, v68
	v_div_fmas_f32 v66, v66, v67, v69
	v_div_fixup_f32 v65, v66, v65, 1.0
.LBB104_36:
	s_or_b64 exec, exec, s[0:1]
	v_cmp_ne_u32_e32 vcc, v63, v60
	s_and_saveexec_b64 s[0:1], vcc
	s_xor_b64 s[0:1], exec, s[0:1]
	s_cbranch_execz .LBB104_42
; %bb.37:
	v_cmp_eq_u32_e32 vcc, 2, v63
	s_and_saveexec_b64 s[2:3], vcc
	s_cbranch_execz .LBB104_41
; %bb.38:
	v_cmp_ne_u32_e32 vcc, 2, v60
	s_xor_b64 s[12:13], s[20:21], -1
	s_and_b64 s[14:15], s[12:13], vcc
	s_and_saveexec_b64 s[12:13], s[14:15]
	s_cbranch_execz .LBB104_40
; %bb.39:
	v_ashrrev_i32_e32 v61, 31, v60
	v_lshl_add_u64 v[66:67], v[60:61], 2, v[4:5]
	global_load_dword v61, v[66:67], off
	global_load_dword v63, v[4:5], off offset:8
	s_waitcnt vmcnt(1)
	global_store_dword v[4:5], v61, off offset:8
	s_waitcnt vmcnt(1)
	global_store_dword v[66:67], v63, off
.LBB104_40:
	s_or_b64 exec, exec, s[12:13]
	v_mov_b32_e32 v61, v60
	v_mov_b32_e32 v63, v60
.LBB104_41:
	s_or_b64 exec, exec, s[2:3]
.LBB104_42:
	s_andn2_saveexec_b64 s[0:1], s[0:1]
	s_cbranch_execz .LBB104_44
; %bb.43:
	v_mov_b32_e32 v63, 2
	ds_write2_b32 v59, v48, v49 offset0:3 offset1:4
	ds_write2_b32 v59, v44, v45 offset0:5 offset1:6
	s_waitcnt vmcnt(0)
	ds_write2_b32 v59, v56, v57 offset0:7 offset1:8
	ds_write2_b32 v59, v46, v47 offset0:9 offset1:10
	;; [unrolled: 1-line block ×23, first 2 shown]
.LBB104_44:
	s_or_b64 exec, exec, s[0:1]
	v_cmp_lt_i32_e32 vcc, 2, v63
	s_waitcnt lgkmcnt(0)
	s_barrier
	s_and_saveexec_b64 s[0:1], vcc
	s_cbranch_execz .LBB104_46
; %bb.45:
	ds_read2_b32 v[66:67], v59 offset0:3 offset1:4
	v_mul_f32_e32 v60, v65, v51
	v_mov_b32_e32 v51, v60
	s_waitcnt lgkmcnt(0)
	v_pk_fma_f32 v[48:49], v[60:61], v[66:67], v[48:49] op_sel_hi:[0,1,1] neg_lo:[1,0,0] neg_hi:[1,0,0]
	ds_read2_b32 v[66:67], v59 offset0:5 offset1:6
	s_waitcnt lgkmcnt(0)
	v_pk_fma_f32 v[44:45], v[60:61], v[66:67], v[44:45] op_sel_hi:[0,1,1] neg_lo:[1,0,0] neg_hi:[1,0,0]
	ds_read2_b32 v[66:67], v59 offset0:7 offset1:8
	s_waitcnt vmcnt(0) lgkmcnt(0)
	v_pk_fma_f32 v[56:57], v[60:61], v[66:67], v[56:57] op_sel_hi:[0,1,1] neg_lo:[1,0,0] neg_hi:[1,0,0]
	ds_read2_b32 v[66:67], v59 offset0:9 offset1:10
	s_waitcnt lgkmcnt(0)
	v_pk_fma_f32 v[46:47], v[60:61], v[66:67], v[46:47] op_sel_hi:[0,1,1] neg_lo:[1,0,0] neg_hi:[1,0,0]
	ds_read2_b32 v[66:67], v59 offset0:11 offset1:12
	s_waitcnt lgkmcnt(0)
	;; [unrolled: 3-line block ×22, first 2 shown]
	v_pk_fma_f32 v[12:13], v[60:61], v[66:67], v[12:13] op_sel_hi:[0,1,1] neg_lo:[1,0,0] neg_hi:[1,0,0]
.LBB104_46:
	s_or_b64 exec, exec, s[0:1]
	v_lshl_add_u32 v60, v63, 2, v59
	s_barrier
	ds_write_b32 v60, v48
	s_waitcnt lgkmcnt(0)
	s_barrier
	ds_read_b32 v65, v59 offset:12
	s_cmp_lt_i32 s22, 5
	v_mov_b32_e32 v60, 3
	s_cbranch_scc1 .LBB104_49
; %bb.47:
	v_add3_u32 v66, v62, 0, 16
	v_mov_b32_e32 v60, 3
	s_mov_b32 s0, 4
.LBB104_48:                             ; =>This Inner Loop Header: Depth=1
	ds_read_b32 v67, v66
	v_mov_b32_e32 v68, s0
	s_add_i32 s0, s0, 1
	v_add_u32_e32 v66, 4, v66
	s_cmp_lg_u32 s22, s0
	s_waitcnt lgkmcnt(0)
	v_cmp_lt_f32_e64 vcc, |v65|, |v67|
	s_nop 1
	v_cndmask_b32_e32 v65, v65, v67, vcc
	v_cndmask_b32_e32 v60, v60, v68, vcc
	s_cbranch_scc1 .LBB104_48
.LBB104_49:
	s_waitcnt lgkmcnt(0)
	v_cmp_eq_f32_e32 vcc, 0, v65
	s_and_saveexec_b64 s[0:1], vcc
	s_xor_b64 s[0:1], exec, s[0:1]
; %bb.50:
	v_cmp_ne_u32_e32 vcc, 0, v64
	s_nop 1
	v_cndmask_b32_e32 v64, 4, v64, vcc
; %bb.51:
	s_andn2_saveexec_b64 s[0:1], s[0:1]
	s_cbranch_execz .LBB104_53
; %bb.52:
	v_div_scale_f32 v66, s[2:3], v65, v65, 1.0
	v_rcp_f32_e32 v67, v66
	v_div_scale_f32 v68, vcc, 1.0, v65, 1.0
	v_fma_f32 v69, -v66, v67, 1.0
	v_fmac_f32_e32 v67, v69, v67
	v_mul_f32_e32 v69, v68, v67
	v_fma_f32 v70, -v66, v69, v68
	v_fmac_f32_e32 v69, v70, v67
	v_fma_f32 v66, -v66, v69, v68
	v_div_fmas_f32 v66, v66, v67, v69
	v_div_fixup_f32 v65, v66, v65, 1.0
.LBB104_53:
	s_or_b64 exec, exec, s[0:1]
	v_cmp_ne_u32_e32 vcc, v63, v60
	s_and_saveexec_b64 s[0:1], vcc
	s_xor_b64 s[0:1], exec, s[0:1]
	s_cbranch_execz .LBB104_59
; %bb.54:
	v_cmp_eq_u32_e32 vcc, 3, v63
	s_and_saveexec_b64 s[2:3], vcc
	s_cbranch_execz .LBB104_58
; %bb.55:
	v_cmp_ne_u32_e32 vcc, 3, v60
	s_xor_b64 s[12:13], s[20:21], -1
	s_and_b64 s[14:15], s[12:13], vcc
	s_and_saveexec_b64 s[12:13], s[14:15]
	s_cbranch_execz .LBB104_57
; %bb.56:
	v_ashrrev_i32_e32 v61, 31, v60
	v_lshl_add_u64 v[66:67], v[60:61], 2, v[4:5]
	global_load_dword v61, v[66:67], off
	global_load_dword v63, v[4:5], off offset:12
	s_waitcnt vmcnt(1)
	global_store_dword v[4:5], v61, off offset:12
	s_waitcnt vmcnt(1)
	global_store_dword v[66:67], v63, off
.LBB104_57:
	s_or_b64 exec, exec, s[12:13]
	v_mov_b32_e32 v61, v60
	v_mov_b32_e32 v63, v60
.LBB104_58:
	s_or_b64 exec, exec, s[2:3]
.LBB104_59:
	s_andn2_saveexec_b64 s[0:1], s[0:1]
	s_cbranch_execz .LBB104_61
; %bb.60:
	v_pk_mov_b32 v[66:67], v[48:49], v[44:45] op_sel:[1,0]
	ds_write2_b32 v59, v66, v67 offset0:4 offset1:5
	s_waitcnt vmcnt(0)
	v_pk_mov_b32 v[66:67], v[44:45], v[56:57] op_sel:[1,0]
	ds_write2_b32 v59, v66, v67 offset0:6 offset1:7
	v_pk_mov_b32 v[66:67], v[56:57], v[46:47] op_sel:[1,0]
	ds_write2_b32 v59, v66, v67 offset0:8 offset1:9
	;; [unrolled: 2-line block ×22, first 2 shown]
	v_pk_mov_b32 v[66:67], v[0:1], v[12:13] op_sel:[1,0]
	v_mov_b32_e32 v63, 3
	ds_write2_b32 v59, v66, v67 offset0:50 offset1:51
	ds_write_b32 v59, v13 offset:208
.LBB104_61:
	s_or_b64 exec, exec, s[0:1]
	v_cmp_lt_i32_e32 vcc, 3, v63
	s_waitcnt lgkmcnt(0)
	s_barrier
	s_and_saveexec_b64 s[0:1], vcc
	s_cbranch_execz .LBB104_63
; %bb.62:
	ds_read_b32 v60, v59 offset:16
	ds_read2_b32 v[66:67], v59 offset0:5 offset1:6
	v_mul_f32_e32 v48, v65, v48
	s_waitcnt lgkmcnt(1)
	v_fma_f32 v49, -v48, v60, v49
	s_waitcnt lgkmcnt(0)
	v_pk_fma_f32 v[44:45], v[48:49], v[66:67], v[44:45] op_sel_hi:[0,1,1] neg_lo:[1,0,0] neg_hi:[1,0,0]
	ds_read2_b32 v[66:67], v59 offset0:7 offset1:8
	s_waitcnt vmcnt(0) lgkmcnt(0)
	v_pk_fma_f32 v[56:57], v[48:49], v[66:67], v[56:57] op_sel_hi:[0,1,1] neg_lo:[1,0,0] neg_hi:[1,0,0]
	ds_read2_b32 v[66:67], v59 offset0:9 offset1:10
	s_waitcnt lgkmcnt(0)
	v_pk_fma_f32 v[46:47], v[48:49], v[66:67], v[46:47] op_sel_hi:[0,1,1] neg_lo:[1,0,0] neg_hi:[1,0,0]
	ds_read2_b32 v[66:67], v59 offset0:11 offset1:12
	s_waitcnt lgkmcnt(0)
	;; [unrolled: 3-line block ×22, first 2 shown]
	v_pk_fma_f32 v[12:13], v[48:49], v[66:67], v[12:13] op_sel_hi:[0,1,1] neg_lo:[1,0,0] neg_hi:[1,0,0]
.LBB104_63:
	s_or_b64 exec, exec, s[0:1]
	v_lshl_add_u32 v60, v63, 2, v59
	s_barrier
	ds_write_b32 v60, v49
	s_waitcnt lgkmcnt(0)
	s_barrier
	ds_read_b32 v65, v59 offset:16
	s_cmp_lt_i32 s22, 6
	v_mov_b32_e32 v60, 4
	s_cbranch_scc1 .LBB104_66
; %bb.64:
	v_add3_u32 v66, v62, 0, 20
	v_mov_b32_e32 v60, 4
	s_mov_b32 s0, 5
.LBB104_65:                             ; =>This Inner Loop Header: Depth=1
	ds_read_b32 v67, v66
	v_mov_b32_e32 v68, s0
	s_add_i32 s0, s0, 1
	v_add_u32_e32 v66, 4, v66
	s_cmp_lg_u32 s22, s0
	s_waitcnt lgkmcnt(0)
	v_cmp_lt_f32_e64 vcc, |v65|, |v67|
	s_nop 1
	v_cndmask_b32_e32 v65, v65, v67, vcc
	v_cndmask_b32_e32 v60, v60, v68, vcc
	s_cbranch_scc1 .LBB104_65
.LBB104_66:
	s_waitcnt lgkmcnt(0)
	v_cmp_eq_f32_e32 vcc, 0, v65
	s_and_saveexec_b64 s[0:1], vcc
	s_xor_b64 s[0:1], exec, s[0:1]
; %bb.67:
	v_cmp_ne_u32_e32 vcc, 0, v64
	s_nop 1
	v_cndmask_b32_e32 v64, 5, v64, vcc
; %bb.68:
	s_andn2_saveexec_b64 s[0:1], s[0:1]
	s_cbranch_execz .LBB104_70
; %bb.69:
	v_div_scale_f32 v66, s[2:3], v65, v65, 1.0
	v_rcp_f32_e32 v67, v66
	v_div_scale_f32 v68, vcc, 1.0, v65, 1.0
	v_fma_f32 v69, -v66, v67, 1.0
	v_fmac_f32_e32 v67, v69, v67
	v_mul_f32_e32 v69, v68, v67
	v_fma_f32 v70, -v66, v69, v68
	v_fmac_f32_e32 v69, v70, v67
	v_fma_f32 v66, -v66, v69, v68
	v_div_fmas_f32 v66, v66, v67, v69
	v_div_fixup_f32 v65, v66, v65, 1.0
.LBB104_70:
	s_or_b64 exec, exec, s[0:1]
	v_cmp_ne_u32_e32 vcc, v63, v60
	s_and_saveexec_b64 s[0:1], vcc
	s_xor_b64 s[0:1], exec, s[0:1]
	s_cbranch_execz .LBB104_76
; %bb.71:
	v_cmp_eq_u32_e32 vcc, 4, v63
	s_and_saveexec_b64 s[2:3], vcc
	s_cbranch_execz .LBB104_75
; %bb.72:
	v_cmp_ne_u32_e32 vcc, 4, v60
	s_xor_b64 s[12:13], s[20:21], -1
	s_and_b64 s[14:15], s[12:13], vcc
	s_and_saveexec_b64 s[12:13], s[14:15]
	s_cbranch_execz .LBB104_74
; %bb.73:
	v_ashrrev_i32_e32 v61, 31, v60
	v_lshl_add_u64 v[66:67], v[60:61], 2, v[4:5]
	global_load_dword v61, v[66:67], off
	global_load_dword v63, v[4:5], off offset:16
	s_waitcnt vmcnt(1)
	global_store_dword v[4:5], v61, off offset:16
	s_waitcnt vmcnt(1)
	global_store_dword v[66:67], v63, off
.LBB104_74:
	s_or_b64 exec, exec, s[12:13]
	v_mov_b32_e32 v61, v60
	v_mov_b32_e32 v63, v60
.LBB104_75:
	s_or_b64 exec, exec, s[2:3]
.LBB104_76:
	s_andn2_saveexec_b64 s[0:1], s[0:1]
	s_cbranch_execz .LBB104_78
; %bb.77:
	v_mov_b32_e32 v63, 4
	ds_write2_b32 v59, v44, v45 offset0:5 offset1:6
	s_waitcnt vmcnt(0)
	ds_write2_b32 v59, v56, v57 offset0:7 offset1:8
	ds_write2_b32 v59, v46, v47 offset0:9 offset1:10
	;; [unrolled: 1-line block ×23, first 2 shown]
.LBB104_78:
	s_or_b64 exec, exec, s[0:1]
	v_cmp_lt_i32_e32 vcc, 4, v63
	s_waitcnt lgkmcnt(0)
	s_barrier
	s_and_saveexec_b64 s[0:1], vcc
	s_cbranch_execz .LBB104_80
; %bb.79:
	ds_read2_b32 v[66:67], v59 offset0:5 offset1:6
	v_mul_f32_e32 v60, v65, v49
	v_mov_b32_e32 v49, v60
	s_waitcnt lgkmcnt(0)
	v_pk_fma_f32 v[44:45], v[60:61], v[66:67], v[44:45] op_sel_hi:[0,1,1] neg_lo:[1,0,0] neg_hi:[1,0,0]
	ds_read2_b32 v[66:67], v59 offset0:7 offset1:8
	s_waitcnt vmcnt(0) lgkmcnt(0)
	v_pk_fma_f32 v[56:57], v[60:61], v[66:67], v[56:57] op_sel_hi:[0,1,1] neg_lo:[1,0,0] neg_hi:[1,0,0]
	ds_read2_b32 v[66:67], v59 offset0:9 offset1:10
	s_waitcnt lgkmcnt(0)
	v_pk_fma_f32 v[46:47], v[60:61], v[66:67], v[46:47] op_sel_hi:[0,1,1] neg_lo:[1,0,0] neg_hi:[1,0,0]
	ds_read2_b32 v[66:67], v59 offset0:11 offset1:12
	s_waitcnt lgkmcnt(0)
	v_pk_fma_f32 v[42:43], v[60:61], v[66:67], v[42:43] op_sel_hi:[0,1,1] neg_lo:[1,0,0] neg_hi:[1,0,0]
	ds_read2_b32 v[66:67], v59 offset0:13 offset1:14
	s_waitcnt lgkmcnt(0)
	v_pk_fma_f32 v[54:55], v[60:61], v[66:67], v[54:55] op_sel_hi:[0,1,1] neg_lo:[1,0,0] neg_hi:[1,0,0]
	ds_read2_b32 v[66:67], v59 offset0:15 offset1:16
	s_waitcnt lgkmcnt(0)
	v_pk_fma_f32 v[52:53], v[60:61], v[66:67], v[52:53] op_sel_hi:[0,1,1] neg_lo:[1,0,0] neg_hi:[1,0,0]
	ds_read2_b32 v[66:67], v59 offset0:17 offset1:18
	s_waitcnt lgkmcnt(0)
	v_pk_fma_f32 v[40:41], v[60:61], v[66:67], v[40:41] op_sel_hi:[0,1,1] neg_lo:[1,0,0] neg_hi:[1,0,0]
	ds_read2_b32 v[66:67], v59 offset0:19 offset1:20
	s_waitcnt lgkmcnt(0)
	v_pk_fma_f32 v[36:37], v[60:61], v[66:67], v[36:37] op_sel_hi:[0,1,1] neg_lo:[1,0,0] neg_hi:[1,0,0]
	ds_read2_b32 v[66:67], v59 offset0:21 offset1:22
	s_waitcnt lgkmcnt(0)
	v_pk_fma_f32 v[30:31], v[60:61], v[66:67], v[30:31] op_sel_hi:[0,1,1] neg_lo:[1,0,0] neg_hi:[1,0,0]
	ds_read2_b32 v[66:67], v59 offset0:23 offset1:24
	s_waitcnt lgkmcnt(0)
	v_pk_fma_f32 v[24:25], v[60:61], v[66:67], v[24:25] op_sel_hi:[0,1,1] neg_lo:[1,0,0] neg_hi:[1,0,0]
	ds_read2_b32 v[66:67], v59 offset0:25 offset1:26
	s_waitcnt lgkmcnt(0)
	v_pk_fma_f32 v[38:39], v[60:61], v[66:67], v[38:39] op_sel_hi:[0,1,1] neg_lo:[1,0,0] neg_hi:[1,0,0]
	ds_read2_b32 v[66:67], v59 offset0:27 offset1:28
	s_waitcnt lgkmcnt(0)
	v_pk_fma_f32 v[32:33], v[60:61], v[66:67], v[32:33] op_sel_hi:[0,1,1] neg_lo:[1,0,0] neg_hi:[1,0,0]
	ds_read2_b32 v[66:67], v59 offset0:29 offset1:30
	s_waitcnt lgkmcnt(0)
	v_pk_fma_f32 v[26:27], v[60:61], v[66:67], v[26:27] op_sel_hi:[0,1,1] neg_lo:[1,0,0] neg_hi:[1,0,0]
	ds_read2_b32 v[66:67], v59 offset0:31 offset1:32
	s_waitcnt lgkmcnt(0)
	v_pk_fma_f32 v[18:19], v[60:61], v[66:67], v[18:19] op_sel_hi:[0,1,1] neg_lo:[1,0,0] neg_hi:[1,0,0]
	ds_read2_b32 v[66:67], v59 offset0:33 offset1:34
	s_waitcnt lgkmcnt(0)
	v_pk_fma_f32 v[34:35], v[60:61], v[66:67], v[34:35] op_sel_hi:[0,1,1] neg_lo:[1,0,0] neg_hi:[1,0,0]
	ds_read2_b32 v[66:67], v59 offset0:35 offset1:36
	s_waitcnt lgkmcnt(0)
	v_pk_fma_f32 v[28:29], v[60:61], v[66:67], v[28:29] op_sel_hi:[0,1,1] neg_lo:[1,0,0] neg_hi:[1,0,0]
	ds_read2_b32 v[66:67], v59 offset0:37 offset1:38
	s_waitcnt lgkmcnt(0)
	v_pk_fma_f32 v[20:21], v[60:61], v[66:67], v[20:21] op_sel_hi:[0,1,1] neg_lo:[1,0,0] neg_hi:[1,0,0]
	ds_read2_b32 v[66:67], v59 offset0:39 offset1:40
	s_waitcnt lgkmcnt(0)
	v_pk_fma_f32 v[10:11], v[60:61], v[66:67], v[10:11] op_sel_hi:[0,1,1] neg_lo:[1,0,0] neg_hi:[1,0,0]
	ds_read2_b32 v[66:67], v59 offset0:41 offset1:42
	s_waitcnt lgkmcnt(0)
	v_pk_fma_f32 v[22:23], v[60:61], v[66:67], v[22:23] op_sel_hi:[0,1,1] neg_lo:[1,0,0] neg_hi:[1,0,0]
	ds_read2_b32 v[66:67], v59 offset0:43 offset1:44
	s_waitcnt lgkmcnt(0)
	v_pk_fma_f32 v[14:15], v[60:61], v[66:67], v[14:15] op_sel_hi:[0,1,1] neg_lo:[1,0,0] neg_hi:[1,0,0]
	ds_read2_b32 v[66:67], v59 offset0:45 offset1:46
	s_waitcnt lgkmcnt(0)
	v_pk_fma_f32 v[16:17], v[60:61], v[66:67], v[16:17] op_sel_hi:[0,1,1] neg_lo:[1,0,0] neg_hi:[1,0,0]
	ds_read2_b32 v[66:67], v59 offset0:47 offset1:48
	s_waitcnt lgkmcnt(0)
	v_pk_fma_f32 v[8:9], v[60:61], v[66:67], v[8:9] op_sel_hi:[0,1,1] neg_lo:[1,0,0] neg_hi:[1,0,0]
	ds_read2_b32 v[66:67], v59 offset0:49 offset1:50
	s_waitcnt lgkmcnt(0)
	v_pk_fma_f32 v[0:1], v[60:61], v[66:67], v[0:1] op_sel_hi:[0,1,1] neg_lo:[1,0,0] neg_hi:[1,0,0]
	ds_read2_b32 v[66:67], v59 offset0:51 offset1:52
	s_waitcnt lgkmcnt(0)
	v_pk_fma_f32 v[12:13], v[60:61], v[66:67], v[12:13] op_sel_hi:[0,1,1] neg_lo:[1,0,0] neg_hi:[1,0,0]
.LBB104_80:
	s_or_b64 exec, exec, s[0:1]
	v_lshl_add_u32 v60, v63, 2, v59
	s_barrier
	ds_write_b32 v60, v44
	s_waitcnt lgkmcnt(0)
	s_barrier
	ds_read_b32 v65, v59 offset:20
	s_cmp_lt_i32 s22, 7
	v_mov_b32_e32 v60, 5
	s_cbranch_scc1 .LBB104_83
; %bb.81:
	v_add3_u32 v66, v62, 0, 24
	v_mov_b32_e32 v60, 5
	s_mov_b32 s0, 6
.LBB104_82:                             ; =>This Inner Loop Header: Depth=1
	ds_read_b32 v67, v66
	v_mov_b32_e32 v68, s0
	s_add_i32 s0, s0, 1
	v_add_u32_e32 v66, 4, v66
	s_cmp_lg_u32 s22, s0
	s_waitcnt lgkmcnt(0)
	v_cmp_lt_f32_e64 vcc, |v65|, |v67|
	s_nop 1
	v_cndmask_b32_e32 v65, v65, v67, vcc
	v_cndmask_b32_e32 v60, v60, v68, vcc
	s_cbranch_scc1 .LBB104_82
.LBB104_83:
	s_waitcnt lgkmcnt(0)
	v_cmp_eq_f32_e32 vcc, 0, v65
	s_and_saveexec_b64 s[0:1], vcc
	s_xor_b64 s[0:1], exec, s[0:1]
; %bb.84:
	v_cmp_ne_u32_e32 vcc, 0, v64
	s_nop 1
	v_cndmask_b32_e32 v64, 6, v64, vcc
; %bb.85:
	s_andn2_saveexec_b64 s[0:1], s[0:1]
	s_cbranch_execz .LBB104_87
; %bb.86:
	v_div_scale_f32 v66, s[2:3], v65, v65, 1.0
	v_rcp_f32_e32 v67, v66
	v_div_scale_f32 v68, vcc, 1.0, v65, 1.0
	v_fma_f32 v69, -v66, v67, 1.0
	v_fmac_f32_e32 v67, v69, v67
	v_mul_f32_e32 v69, v68, v67
	v_fma_f32 v70, -v66, v69, v68
	v_fmac_f32_e32 v69, v70, v67
	v_fma_f32 v66, -v66, v69, v68
	v_div_fmas_f32 v66, v66, v67, v69
	v_div_fixup_f32 v65, v66, v65, 1.0
.LBB104_87:
	s_or_b64 exec, exec, s[0:1]
	v_cmp_ne_u32_e32 vcc, v63, v60
	s_and_saveexec_b64 s[0:1], vcc
	s_xor_b64 s[0:1], exec, s[0:1]
	s_cbranch_execz .LBB104_93
; %bb.88:
	v_cmp_eq_u32_e32 vcc, 5, v63
	s_and_saveexec_b64 s[2:3], vcc
	s_cbranch_execz .LBB104_92
; %bb.89:
	v_cmp_ne_u32_e32 vcc, 5, v60
	s_xor_b64 s[12:13], s[20:21], -1
	s_and_b64 s[14:15], s[12:13], vcc
	s_and_saveexec_b64 s[12:13], s[14:15]
	s_cbranch_execz .LBB104_91
; %bb.90:
	v_ashrrev_i32_e32 v61, 31, v60
	v_lshl_add_u64 v[66:67], v[60:61], 2, v[4:5]
	global_load_dword v61, v[66:67], off
	global_load_dword v63, v[4:5], off offset:20
	s_waitcnt vmcnt(1)
	global_store_dword v[4:5], v61, off offset:20
	s_waitcnt vmcnt(1)
	global_store_dword v[66:67], v63, off
.LBB104_91:
	s_or_b64 exec, exec, s[12:13]
	v_mov_b32_e32 v61, v60
	v_mov_b32_e32 v63, v60
.LBB104_92:
	s_or_b64 exec, exec, s[2:3]
.LBB104_93:
	s_andn2_saveexec_b64 s[0:1], s[0:1]
	s_cbranch_execz .LBB104_95
; %bb.94:
	s_waitcnt vmcnt(0)
	v_pk_mov_b32 v[66:67], v[44:45], v[56:57] op_sel:[1,0]
	ds_write2_b32 v59, v66, v67 offset0:6 offset1:7
	v_pk_mov_b32 v[66:67], v[56:57], v[46:47] op_sel:[1,0]
	ds_write2_b32 v59, v66, v67 offset0:8 offset1:9
	;; [unrolled: 2-line block ×22, first 2 shown]
	v_pk_mov_b32 v[66:67], v[0:1], v[12:13] op_sel:[1,0]
	v_mov_b32_e32 v63, 5
	ds_write2_b32 v59, v66, v67 offset0:50 offset1:51
	ds_write_b32 v59, v13 offset:208
.LBB104_95:
	s_or_b64 exec, exec, s[0:1]
	v_cmp_lt_i32_e32 vcc, 5, v63
	s_waitcnt lgkmcnt(0)
	s_barrier
	s_and_saveexec_b64 s[0:1], vcc
	s_cbranch_execz .LBB104_97
; %bb.96:
	ds_read_b32 v60, v59 offset:24
	ds_read2_b32 v[66:67], v59 offset0:7 offset1:8
	v_mul_f32_e32 v44, v65, v44
	s_waitcnt lgkmcnt(1)
	v_fma_f32 v45, -v44, v60, v45
	s_waitcnt vmcnt(0) lgkmcnt(0)
	v_pk_fma_f32 v[56:57], v[44:45], v[66:67], v[56:57] op_sel_hi:[0,1,1] neg_lo:[1,0,0] neg_hi:[1,0,0]
	ds_read2_b32 v[66:67], v59 offset0:9 offset1:10
	s_waitcnt lgkmcnt(0)
	v_pk_fma_f32 v[46:47], v[44:45], v[66:67], v[46:47] op_sel_hi:[0,1,1] neg_lo:[1,0,0] neg_hi:[1,0,0]
	ds_read2_b32 v[66:67], v59 offset0:11 offset1:12
	s_waitcnt lgkmcnt(0)
	;; [unrolled: 3-line block ×22, first 2 shown]
	v_pk_fma_f32 v[12:13], v[44:45], v[66:67], v[12:13] op_sel_hi:[0,1,1] neg_lo:[1,0,0] neg_hi:[1,0,0]
.LBB104_97:
	s_or_b64 exec, exec, s[0:1]
	v_lshl_add_u32 v60, v63, 2, v59
	s_barrier
	ds_write_b32 v60, v45
	s_waitcnt lgkmcnt(0)
	s_barrier
	ds_read_b32 v65, v59 offset:24
	s_cmp_lt_i32 s22, 8
	v_mov_b32_e32 v60, 6
	s_cbranch_scc1 .LBB104_100
; %bb.98:
	v_add3_u32 v66, v62, 0, 28
	v_mov_b32_e32 v60, 6
	s_mov_b32 s0, 7
.LBB104_99:                             ; =>This Inner Loop Header: Depth=1
	ds_read_b32 v67, v66
	v_mov_b32_e32 v68, s0
	s_add_i32 s0, s0, 1
	v_add_u32_e32 v66, 4, v66
	s_cmp_lg_u32 s22, s0
	s_waitcnt lgkmcnt(0)
	v_cmp_lt_f32_e64 vcc, |v65|, |v67|
	s_nop 1
	v_cndmask_b32_e32 v65, v65, v67, vcc
	v_cndmask_b32_e32 v60, v60, v68, vcc
	s_cbranch_scc1 .LBB104_99
.LBB104_100:
	s_waitcnt lgkmcnt(0)
	v_cmp_eq_f32_e32 vcc, 0, v65
	s_and_saveexec_b64 s[0:1], vcc
	s_xor_b64 s[0:1], exec, s[0:1]
; %bb.101:
	v_cmp_ne_u32_e32 vcc, 0, v64
	s_nop 1
	v_cndmask_b32_e32 v64, 7, v64, vcc
; %bb.102:
	s_andn2_saveexec_b64 s[0:1], s[0:1]
	s_cbranch_execz .LBB104_104
; %bb.103:
	v_div_scale_f32 v66, s[2:3], v65, v65, 1.0
	v_rcp_f32_e32 v67, v66
	v_div_scale_f32 v68, vcc, 1.0, v65, 1.0
	v_fma_f32 v69, -v66, v67, 1.0
	v_fmac_f32_e32 v67, v69, v67
	v_mul_f32_e32 v69, v68, v67
	v_fma_f32 v70, -v66, v69, v68
	v_fmac_f32_e32 v69, v70, v67
	v_fma_f32 v66, -v66, v69, v68
	v_div_fmas_f32 v66, v66, v67, v69
	v_div_fixup_f32 v65, v66, v65, 1.0
.LBB104_104:
	s_or_b64 exec, exec, s[0:1]
	v_cmp_ne_u32_e32 vcc, v63, v60
	s_and_saveexec_b64 s[0:1], vcc
	s_xor_b64 s[0:1], exec, s[0:1]
	s_cbranch_execz .LBB104_110
; %bb.105:
	v_cmp_eq_u32_e32 vcc, 6, v63
	s_and_saveexec_b64 s[2:3], vcc
	s_cbranch_execz .LBB104_109
; %bb.106:
	v_cmp_ne_u32_e32 vcc, 6, v60
	s_xor_b64 s[12:13], s[20:21], -1
	s_and_b64 s[14:15], s[12:13], vcc
	s_and_saveexec_b64 s[12:13], s[14:15]
	s_cbranch_execz .LBB104_108
; %bb.107:
	v_ashrrev_i32_e32 v61, 31, v60
	v_lshl_add_u64 v[66:67], v[60:61], 2, v[4:5]
	global_load_dword v61, v[66:67], off
	global_load_dword v63, v[4:5], off offset:24
	s_waitcnt vmcnt(1)
	global_store_dword v[4:5], v61, off offset:24
	s_waitcnt vmcnt(1)
	global_store_dword v[66:67], v63, off
.LBB104_108:
	s_or_b64 exec, exec, s[12:13]
	v_mov_b32_e32 v61, v60
	v_mov_b32_e32 v63, v60
.LBB104_109:
	s_or_b64 exec, exec, s[2:3]
.LBB104_110:
	s_andn2_saveexec_b64 s[0:1], s[0:1]
	s_cbranch_execz .LBB104_112
; %bb.111:
	v_mov_b32_e32 v63, 6
	s_waitcnt vmcnt(0)
	ds_write2_b32 v59, v56, v57 offset0:7 offset1:8
	ds_write2_b32 v59, v46, v47 offset0:9 offset1:10
	;; [unrolled: 1-line block ×23, first 2 shown]
.LBB104_112:
	s_or_b64 exec, exec, s[0:1]
	v_cmp_lt_i32_e32 vcc, 6, v63
	s_waitcnt lgkmcnt(0)
	s_barrier
	s_and_saveexec_b64 s[0:1], vcc
	s_cbranch_execz .LBB104_114
; %bb.113:
	ds_read2_b32 v[66:67], v59 offset0:7 offset1:8
	v_mul_f32_e32 v60, v65, v45
	v_mov_b32_e32 v45, v60
	s_waitcnt vmcnt(0) lgkmcnt(0)
	v_pk_fma_f32 v[56:57], v[60:61], v[66:67], v[56:57] op_sel_hi:[0,1,1] neg_lo:[1,0,0] neg_hi:[1,0,0]
	ds_read2_b32 v[66:67], v59 offset0:9 offset1:10
	s_waitcnt lgkmcnt(0)
	v_pk_fma_f32 v[46:47], v[60:61], v[66:67], v[46:47] op_sel_hi:[0,1,1] neg_lo:[1,0,0] neg_hi:[1,0,0]
	ds_read2_b32 v[66:67], v59 offset0:11 offset1:12
	s_waitcnt lgkmcnt(0)
	;; [unrolled: 3-line block ×22, first 2 shown]
	v_pk_fma_f32 v[12:13], v[60:61], v[66:67], v[12:13] op_sel_hi:[0,1,1] neg_lo:[1,0,0] neg_hi:[1,0,0]
.LBB104_114:
	s_or_b64 exec, exec, s[0:1]
	v_lshl_add_u32 v60, v63, 2, v59
	s_barrier
	ds_write_b32 v60, v56
	s_waitcnt lgkmcnt(0)
	s_barrier
	ds_read_b32 v65, v59 offset:28
	s_cmp_lt_i32 s22, 9
	v_mov_b32_e32 v60, 7
	s_cbranch_scc1 .LBB104_117
; %bb.115:
	v_add3_u32 v66, v62, 0, 32
	v_mov_b32_e32 v60, 7
	s_mov_b32 s0, 8
.LBB104_116:                            ; =>This Inner Loop Header: Depth=1
	ds_read_b32 v67, v66
	v_mov_b32_e32 v68, s0
	s_add_i32 s0, s0, 1
	v_add_u32_e32 v66, 4, v66
	s_cmp_lg_u32 s22, s0
	s_waitcnt lgkmcnt(0)
	v_cmp_lt_f32_e64 vcc, |v65|, |v67|
	s_nop 1
	v_cndmask_b32_e32 v65, v65, v67, vcc
	v_cndmask_b32_e32 v60, v60, v68, vcc
	s_cbranch_scc1 .LBB104_116
.LBB104_117:
	s_waitcnt lgkmcnt(0)
	v_cmp_eq_f32_e32 vcc, 0, v65
	s_and_saveexec_b64 s[0:1], vcc
	s_xor_b64 s[0:1], exec, s[0:1]
; %bb.118:
	v_cmp_ne_u32_e32 vcc, 0, v64
	s_nop 1
	v_cndmask_b32_e32 v64, 8, v64, vcc
; %bb.119:
	s_andn2_saveexec_b64 s[0:1], s[0:1]
	s_cbranch_execz .LBB104_121
; %bb.120:
	v_div_scale_f32 v66, s[2:3], v65, v65, 1.0
	v_rcp_f32_e32 v67, v66
	v_div_scale_f32 v68, vcc, 1.0, v65, 1.0
	v_fma_f32 v69, -v66, v67, 1.0
	v_fmac_f32_e32 v67, v69, v67
	v_mul_f32_e32 v69, v68, v67
	v_fma_f32 v70, -v66, v69, v68
	v_fmac_f32_e32 v69, v70, v67
	v_fma_f32 v66, -v66, v69, v68
	v_div_fmas_f32 v66, v66, v67, v69
	v_div_fixup_f32 v65, v66, v65, 1.0
.LBB104_121:
	s_or_b64 exec, exec, s[0:1]
	v_cmp_ne_u32_e32 vcc, v63, v60
	s_and_saveexec_b64 s[0:1], vcc
	s_xor_b64 s[0:1], exec, s[0:1]
	s_cbranch_execz .LBB104_127
; %bb.122:
	v_cmp_eq_u32_e32 vcc, 7, v63
	s_and_saveexec_b64 s[2:3], vcc
	s_cbranch_execz .LBB104_126
; %bb.123:
	v_cmp_ne_u32_e32 vcc, 7, v60
	s_xor_b64 s[12:13], s[20:21], -1
	s_and_b64 s[14:15], s[12:13], vcc
	s_and_saveexec_b64 s[12:13], s[14:15]
	s_cbranch_execz .LBB104_125
; %bb.124:
	v_ashrrev_i32_e32 v61, 31, v60
	v_lshl_add_u64 v[66:67], v[60:61], 2, v[4:5]
	global_load_dword v61, v[66:67], off
	global_load_dword v63, v[4:5], off offset:28
	s_waitcnt vmcnt(1)
	global_store_dword v[4:5], v61, off offset:28
	s_waitcnt vmcnt(1)
	global_store_dword v[66:67], v63, off
.LBB104_125:
	s_or_b64 exec, exec, s[12:13]
	v_mov_b32_e32 v61, v60
	v_mov_b32_e32 v63, v60
.LBB104_126:
	s_or_b64 exec, exec, s[2:3]
.LBB104_127:
	s_andn2_saveexec_b64 s[0:1], s[0:1]
	s_cbranch_execz .LBB104_129
; %bb.128:
	s_waitcnt vmcnt(0)
	v_pk_mov_b32 v[66:67], v[56:57], v[46:47] op_sel:[1,0]
	ds_write2_b32 v59, v66, v67 offset0:8 offset1:9
	v_pk_mov_b32 v[66:67], v[46:47], v[42:43] op_sel:[1,0]
	ds_write2_b32 v59, v66, v67 offset0:10 offset1:11
	;; [unrolled: 2-line block ×21, first 2 shown]
	v_pk_mov_b32 v[66:67], v[0:1], v[12:13] op_sel:[1,0]
	v_mov_b32_e32 v63, 7
	ds_write2_b32 v59, v66, v67 offset0:50 offset1:51
	ds_write_b32 v59, v13 offset:208
.LBB104_129:
	s_or_b64 exec, exec, s[0:1]
	v_cmp_lt_i32_e32 vcc, 7, v63
	s_waitcnt lgkmcnt(0)
	s_barrier
	s_and_saveexec_b64 s[0:1], vcc
	s_cbranch_execz .LBB104_131
; %bb.130:
	ds_read_b32 v60, v59 offset:32
	ds_read2_b32 v[66:67], v59 offset0:9 offset1:10
	v_mul_f32_e32 v56, v65, v56
	s_waitcnt vmcnt(0) lgkmcnt(1)
	v_fma_f32 v57, -v56, v60, v57
	s_waitcnt lgkmcnt(0)
	v_pk_fma_f32 v[46:47], v[56:57], v[66:67], v[46:47] op_sel_hi:[0,1,1] neg_lo:[1,0,0] neg_hi:[1,0,0]
	ds_read2_b32 v[66:67], v59 offset0:11 offset1:12
	s_waitcnt lgkmcnt(0)
	v_pk_fma_f32 v[42:43], v[56:57], v[66:67], v[42:43] op_sel_hi:[0,1,1] neg_lo:[1,0,0] neg_hi:[1,0,0]
	ds_read2_b32 v[66:67], v59 offset0:13 offset1:14
	;; [unrolled: 3-line block ×21, first 2 shown]
	s_waitcnt lgkmcnt(0)
	v_pk_fma_f32 v[12:13], v[56:57], v[66:67], v[12:13] op_sel_hi:[0,1,1] neg_lo:[1,0,0] neg_hi:[1,0,0]
.LBB104_131:
	s_or_b64 exec, exec, s[0:1]
	v_lshl_add_u32 v60, v63, 2, v59
	s_barrier
	s_waitcnt vmcnt(0)
	ds_write_b32 v60, v57
	s_waitcnt lgkmcnt(0)
	s_barrier
	ds_read_b32 v65, v59 offset:32
	s_cmp_lt_i32 s22, 10
	v_mov_b32_e32 v60, 8
	s_cbranch_scc1 .LBB104_134
; %bb.132:
	v_add3_u32 v66, v62, 0, 36
	v_mov_b32_e32 v60, 8
	s_mov_b32 s0, 9
.LBB104_133:                            ; =>This Inner Loop Header: Depth=1
	ds_read_b32 v67, v66
	v_mov_b32_e32 v68, s0
	s_add_i32 s0, s0, 1
	v_add_u32_e32 v66, 4, v66
	s_cmp_lg_u32 s22, s0
	s_waitcnt lgkmcnt(0)
	v_cmp_lt_f32_e64 vcc, |v65|, |v67|
	s_nop 1
	v_cndmask_b32_e32 v65, v65, v67, vcc
	v_cndmask_b32_e32 v60, v60, v68, vcc
	s_cbranch_scc1 .LBB104_133
.LBB104_134:
	s_waitcnt lgkmcnt(0)
	v_cmp_eq_f32_e32 vcc, 0, v65
	s_and_saveexec_b64 s[0:1], vcc
	s_xor_b64 s[0:1], exec, s[0:1]
; %bb.135:
	v_cmp_ne_u32_e32 vcc, 0, v64
	s_nop 1
	v_cndmask_b32_e32 v64, 9, v64, vcc
; %bb.136:
	s_andn2_saveexec_b64 s[0:1], s[0:1]
	s_cbranch_execz .LBB104_138
; %bb.137:
	v_div_scale_f32 v66, s[2:3], v65, v65, 1.0
	v_rcp_f32_e32 v67, v66
	v_div_scale_f32 v68, vcc, 1.0, v65, 1.0
	v_fma_f32 v69, -v66, v67, 1.0
	v_fmac_f32_e32 v67, v69, v67
	v_mul_f32_e32 v69, v68, v67
	v_fma_f32 v70, -v66, v69, v68
	v_fmac_f32_e32 v69, v70, v67
	v_fma_f32 v66, -v66, v69, v68
	v_div_fmas_f32 v66, v66, v67, v69
	v_div_fixup_f32 v65, v66, v65, 1.0
.LBB104_138:
	s_or_b64 exec, exec, s[0:1]
	v_cmp_ne_u32_e32 vcc, v63, v60
	s_and_saveexec_b64 s[0:1], vcc
	s_xor_b64 s[0:1], exec, s[0:1]
	s_cbranch_execz .LBB104_144
; %bb.139:
	v_cmp_eq_u32_e32 vcc, 8, v63
	s_and_saveexec_b64 s[2:3], vcc
	s_cbranch_execz .LBB104_143
; %bb.140:
	v_cmp_ne_u32_e32 vcc, 8, v60
	s_xor_b64 s[12:13], s[20:21], -1
	s_and_b64 s[14:15], s[12:13], vcc
	s_and_saveexec_b64 s[12:13], s[14:15]
	s_cbranch_execz .LBB104_142
; %bb.141:
	v_ashrrev_i32_e32 v61, 31, v60
	v_lshl_add_u64 v[66:67], v[60:61], 2, v[4:5]
	global_load_dword v61, v[66:67], off
	global_load_dword v63, v[4:5], off offset:32
	s_waitcnt vmcnt(1)
	global_store_dword v[4:5], v61, off offset:32
	s_waitcnt vmcnt(1)
	global_store_dword v[66:67], v63, off
.LBB104_142:
	s_or_b64 exec, exec, s[12:13]
	v_mov_b32_e32 v61, v60
	v_mov_b32_e32 v63, v60
.LBB104_143:
	s_or_b64 exec, exec, s[2:3]
.LBB104_144:
	s_andn2_saveexec_b64 s[0:1], s[0:1]
	s_cbranch_execz .LBB104_146
; %bb.145:
	v_mov_b32_e32 v63, 8
	ds_write2_b32 v59, v46, v47 offset0:9 offset1:10
	ds_write2_b32 v59, v42, v43 offset0:11 offset1:12
	;; [unrolled: 1-line block ×22, first 2 shown]
.LBB104_146:
	s_or_b64 exec, exec, s[0:1]
	v_cmp_lt_i32_e32 vcc, 8, v63
	s_waitcnt lgkmcnt(0)
	s_barrier
	s_and_saveexec_b64 s[0:1], vcc
	s_cbranch_execz .LBB104_148
; %bb.147:
	ds_read2_b32 v[66:67], v59 offset0:9 offset1:10
	v_mul_f32_e32 v60, v65, v57
	v_mov_b32_e32 v57, v60
	s_waitcnt lgkmcnt(0)
	v_pk_fma_f32 v[46:47], v[60:61], v[66:67], v[46:47] op_sel_hi:[0,1,1] neg_lo:[1,0,0] neg_hi:[1,0,0]
	ds_read2_b32 v[66:67], v59 offset0:11 offset1:12
	s_waitcnt lgkmcnt(0)
	v_pk_fma_f32 v[42:43], v[60:61], v[66:67], v[42:43] op_sel_hi:[0,1,1] neg_lo:[1,0,0] neg_hi:[1,0,0]
	ds_read2_b32 v[66:67], v59 offset0:13 offset1:14
	;; [unrolled: 3-line block ×21, first 2 shown]
	s_waitcnt lgkmcnt(0)
	v_pk_fma_f32 v[12:13], v[60:61], v[66:67], v[12:13] op_sel_hi:[0,1,1] neg_lo:[1,0,0] neg_hi:[1,0,0]
.LBB104_148:
	s_or_b64 exec, exec, s[0:1]
	v_lshl_add_u32 v60, v63, 2, v59
	s_barrier
	ds_write_b32 v60, v46
	s_waitcnt lgkmcnt(0)
	s_barrier
	ds_read_b32 v65, v59 offset:36
	s_cmp_lt_i32 s22, 11
	v_mov_b32_e32 v60, 9
	s_cbranch_scc1 .LBB104_151
; %bb.149:
	v_add3_u32 v66, v62, 0, 40
	v_mov_b32_e32 v60, 9
	s_mov_b32 s0, 10
.LBB104_150:                            ; =>This Inner Loop Header: Depth=1
	ds_read_b32 v67, v66
	v_mov_b32_e32 v68, s0
	s_add_i32 s0, s0, 1
	v_add_u32_e32 v66, 4, v66
	s_cmp_lg_u32 s22, s0
	s_waitcnt lgkmcnt(0)
	v_cmp_lt_f32_e64 vcc, |v65|, |v67|
	s_nop 1
	v_cndmask_b32_e32 v65, v65, v67, vcc
	v_cndmask_b32_e32 v60, v60, v68, vcc
	s_cbranch_scc1 .LBB104_150
.LBB104_151:
	s_waitcnt lgkmcnt(0)
	v_cmp_eq_f32_e32 vcc, 0, v65
	s_and_saveexec_b64 s[0:1], vcc
	s_xor_b64 s[0:1], exec, s[0:1]
; %bb.152:
	v_cmp_ne_u32_e32 vcc, 0, v64
	s_nop 1
	v_cndmask_b32_e32 v64, 10, v64, vcc
; %bb.153:
	s_andn2_saveexec_b64 s[0:1], s[0:1]
	s_cbranch_execz .LBB104_155
; %bb.154:
	v_div_scale_f32 v66, s[2:3], v65, v65, 1.0
	v_rcp_f32_e32 v67, v66
	v_div_scale_f32 v68, vcc, 1.0, v65, 1.0
	v_fma_f32 v69, -v66, v67, 1.0
	v_fmac_f32_e32 v67, v69, v67
	v_mul_f32_e32 v69, v68, v67
	v_fma_f32 v70, -v66, v69, v68
	v_fmac_f32_e32 v69, v70, v67
	v_fma_f32 v66, -v66, v69, v68
	v_div_fmas_f32 v66, v66, v67, v69
	v_div_fixup_f32 v65, v66, v65, 1.0
.LBB104_155:
	s_or_b64 exec, exec, s[0:1]
	v_cmp_ne_u32_e32 vcc, v63, v60
	s_and_saveexec_b64 s[0:1], vcc
	s_xor_b64 s[0:1], exec, s[0:1]
	s_cbranch_execz .LBB104_161
; %bb.156:
	v_cmp_eq_u32_e32 vcc, 9, v63
	s_and_saveexec_b64 s[2:3], vcc
	s_cbranch_execz .LBB104_160
; %bb.157:
	v_cmp_ne_u32_e32 vcc, 9, v60
	s_xor_b64 s[12:13], s[20:21], -1
	s_and_b64 s[14:15], s[12:13], vcc
	s_and_saveexec_b64 s[12:13], s[14:15]
	s_cbranch_execz .LBB104_159
; %bb.158:
	v_ashrrev_i32_e32 v61, 31, v60
	v_lshl_add_u64 v[66:67], v[60:61], 2, v[4:5]
	global_load_dword v61, v[66:67], off
	global_load_dword v63, v[4:5], off offset:36
	s_waitcnt vmcnt(1)
	global_store_dword v[4:5], v61, off offset:36
	s_waitcnt vmcnt(1)
	global_store_dword v[66:67], v63, off
.LBB104_159:
	s_or_b64 exec, exec, s[12:13]
	v_mov_b32_e32 v61, v60
	v_mov_b32_e32 v63, v60
.LBB104_160:
	s_or_b64 exec, exec, s[2:3]
.LBB104_161:
	s_andn2_saveexec_b64 s[0:1], s[0:1]
	s_cbranch_execz .LBB104_163
; %bb.162:
	v_pk_mov_b32 v[66:67], v[46:47], v[42:43] op_sel:[1,0]
	ds_write2_b32 v59, v66, v67 offset0:10 offset1:11
	v_pk_mov_b32 v[66:67], v[42:43], v[54:55] op_sel:[1,0]
	ds_write2_b32 v59, v66, v67 offset0:12 offset1:13
	;; [unrolled: 2-line block ×20, first 2 shown]
	v_pk_mov_b32 v[66:67], v[0:1], v[12:13] op_sel:[1,0]
	v_mov_b32_e32 v63, 9
	ds_write2_b32 v59, v66, v67 offset0:50 offset1:51
	ds_write_b32 v59, v13 offset:208
.LBB104_163:
	s_or_b64 exec, exec, s[0:1]
	v_cmp_lt_i32_e32 vcc, 9, v63
	s_waitcnt lgkmcnt(0)
	s_barrier
	s_and_saveexec_b64 s[0:1], vcc
	s_cbranch_execz .LBB104_165
; %bb.164:
	ds_read_b32 v60, v59 offset:40
	ds_read2_b32 v[66:67], v59 offset0:11 offset1:12
	v_mul_f32_e32 v46, v65, v46
	s_waitcnt lgkmcnt(1)
	v_fma_f32 v47, -v46, v60, v47
	s_waitcnt lgkmcnt(0)
	v_pk_fma_f32 v[42:43], v[46:47], v[66:67], v[42:43] op_sel_hi:[0,1,1] neg_lo:[1,0,0] neg_hi:[1,0,0]
	ds_read2_b32 v[66:67], v59 offset0:13 offset1:14
	s_waitcnt lgkmcnt(0)
	v_pk_fma_f32 v[54:55], v[46:47], v[66:67], v[54:55] op_sel_hi:[0,1,1] neg_lo:[1,0,0] neg_hi:[1,0,0]
	ds_read2_b32 v[66:67], v59 offset0:15 offset1:16
	;; [unrolled: 3-line block ×20, first 2 shown]
	s_waitcnt lgkmcnt(0)
	v_pk_fma_f32 v[12:13], v[46:47], v[66:67], v[12:13] op_sel_hi:[0,1,1] neg_lo:[1,0,0] neg_hi:[1,0,0]
.LBB104_165:
	s_or_b64 exec, exec, s[0:1]
	v_lshl_add_u32 v60, v63, 2, v59
	s_barrier
	ds_write_b32 v60, v47
	s_waitcnt lgkmcnt(0)
	s_barrier
	ds_read_b32 v65, v59 offset:40
	s_cmp_lt_i32 s22, 12
	v_mov_b32_e32 v60, 10
	s_cbranch_scc1 .LBB104_168
; %bb.166:
	v_add3_u32 v66, v62, 0, 44
	v_mov_b32_e32 v60, 10
	s_mov_b32 s0, 11
.LBB104_167:                            ; =>This Inner Loop Header: Depth=1
	ds_read_b32 v67, v66
	v_mov_b32_e32 v68, s0
	s_add_i32 s0, s0, 1
	v_add_u32_e32 v66, 4, v66
	s_cmp_lg_u32 s22, s0
	s_waitcnt lgkmcnt(0)
	v_cmp_lt_f32_e64 vcc, |v65|, |v67|
	s_nop 1
	v_cndmask_b32_e32 v65, v65, v67, vcc
	v_cndmask_b32_e32 v60, v60, v68, vcc
	s_cbranch_scc1 .LBB104_167
.LBB104_168:
	s_waitcnt lgkmcnt(0)
	v_cmp_eq_f32_e32 vcc, 0, v65
	s_and_saveexec_b64 s[0:1], vcc
	s_xor_b64 s[0:1], exec, s[0:1]
; %bb.169:
	v_cmp_ne_u32_e32 vcc, 0, v64
	s_nop 1
	v_cndmask_b32_e32 v64, 11, v64, vcc
; %bb.170:
	s_andn2_saveexec_b64 s[0:1], s[0:1]
	s_cbranch_execz .LBB104_172
; %bb.171:
	v_div_scale_f32 v66, s[2:3], v65, v65, 1.0
	v_rcp_f32_e32 v67, v66
	v_div_scale_f32 v68, vcc, 1.0, v65, 1.0
	v_fma_f32 v69, -v66, v67, 1.0
	v_fmac_f32_e32 v67, v69, v67
	v_mul_f32_e32 v69, v68, v67
	v_fma_f32 v70, -v66, v69, v68
	v_fmac_f32_e32 v69, v70, v67
	v_fma_f32 v66, -v66, v69, v68
	v_div_fmas_f32 v66, v66, v67, v69
	v_div_fixup_f32 v65, v66, v65, 1.0
.LBB104_172:
	s_or_b64 exec, exec, s[0:1]
	v_cmp_ne_u32_e32 vcc, v63, v60
	s_and_saveexec_b64 s[0:1], vcc
	s_xor_b64 s[0:1], exec, s[0:1]
	s_cbranch_execz .LBB104_178
; %bb.173:
	v_cmp_eq_u32_e32 vcc, 10, v63
	s_and_saveexec_b64 s[2:3], vcc
	s_cbranch_execz .LBB104_177
; %bb.174:
	v_cmp_ne_u32_e32 vcc, 10, v60
	s_xor_b64 s[12:13], s[20:21], -1
	s_and_b64 s[14:15], s[12:13], vcc
	s_and_saveexec_b64 s[12:13], s[14:15]
	s_cbranch_execz .LBB104_176
; %bb.175:
	v_ashrrev_i32_e32 v61, 31, v60
	v_lshl_add_u64 v[66:67], v[60:61], 2, v[4:5]
	global_load_dword v61, v[66:67], off
	global_load_dword v63, v[4:5], off offset:40
	s_waitcnt vmcnt(1)
	global_store_dword v[4:5], v61, off offset:40
	s_waitcnt vmcnt(1)
	global_store_dword v[66:67], v63, off
.LBB104_176:
	s_or_b64 exec, exec, s[12:13]
	v_mov_b32_e32 v61, v60
	v_mov_b32_e32 v63, v60
.LBB104_177:
	s_or_b64 exec, exec, s[2:3]
.LBB104_178:
	s_andn2_saveexec_b64 s[0:1], s[0:1]
	s_cbranch_execz .LBB104_180
; %bb.179:
	v_mov_b32_e32 v63, 10
	ds_write2_b32 v59, v42, v43 offset0:11 offset1:12
	ds_write2_b32 v59, v54, v55 offset0:13 offset1:14
	;; [unrolled: 1-line block ×21, first 2 shown]
.LBB104_180:
	s_or_b64 exec, exec, s[0:1]
	v_cmp_lt_i32_e32 vcc, 10, v63
	s_waitcnt lgkmcnt(0)
	s_barrier
	s_and_saveexec_b64 s[0:1], vcc
	s_cbranch_execz .LBB104_182
; %bb.181:
	ds_read2_b32 v[66:67], v59 offset0:11 offset1:12
	v_mul_f32_e32 v60, v65, v47
	v_mov_b32_e32 v47, v60
	s_waitcnt lgkmcnt(0)
	v_pk_fma_f32 v[42:43], v[60:61], v[66:67], v[42:43] op_sel_hi:[0,1,1] neg_lo:[1,0,0] neg_hi:[1,0,0]
	ds_read2_b32 v[66:67], v59 offset0:13 offset1:14
	s_waitcnt lgkmcnt(0)
	v_pk_fma_f32 v[54:55], v[60:61], v[66:67], v[54:55] op_sel_hi:[0,1,1] neg_lo:[1,0,0] neg_hi:[1,0,0]
	ds_read2_b32 v[66:67], v59 offset0:15 offset1:16
	;; [unrolled: 3-line block ×20, first 2 shown]
	s_waitcnt lgkmcnt(0)
	v_pk_fma_f32 v[12:13], v[60:61], v[66:67], v[12:13] op_sel_hi:[0,1,1] neg_lo:[1,0,0] neg_hi:[1,0,0]
.LBB104_182:
	s_or_b64 exec, exec, s[0:1]
	v_lshl_add_u32 v60, v63, 2, v59
	s_barrier
	ds_write_b32 v60, v42
	s_waitcnt lgkmcnt(0)
	s_barrier
	ds_read_b32 v65, v59 offset:44
	s_cmp_lt_i32 s22, 13
	v_mov_b32_e32 v60, 11
	s_cbranch_scc1 .LBB104_185
; %bb.183:
	v_add3_u32 v66, v62, 0, 48
	v_mov_b32_e32 v60, 11
	s_mov_b32 s0, 12
.LBB104_184:                            ; =>This Inner Loop Header: Depth=1
	ds_read_b32 v67, v66
	v_mov_b32_e32 v68, s0
	s_add_i32 s0, s0, 1
	v_add_u32_e32 v66, 4, v66
	s_cmp_lg_u32 s22, s0
	s_waitcnt lgkmcnt(0)
	v_cmp_lt_f32_e64 vcc, |v65|, |v67|
	s_nop 1
	v_cndmask_b32_e32 v65, v65, v67, vcc
	v_cndmask_b32_e32 v60, v60, v68, vcc
	s_cbranch_scc1 .LBB104_184
.LBB104_185:
	s_waitcnt lgkmcnt(0)
	v_cmp_eq_f32_e32 vcc, 0, v65
	s_and_saveexec_b64 s[0:1], vcc
	s_xor_b64 s[0:1], exec, s[0:1]
; %bb.186:
	v_cmp_ne_u32_e32 vcc, 0, v64
	s_nop 1
	v_cndmask_b32_e32 v64, 12, v64, vcc
; %bb.187:
	s_andn2_saveexec_b64 s[0:1], s[0:1]
	s_cbranch_execz .LBB104_189
; %bb.188:
	v_div_scale_f32 v66, s[2:3], v65, v65, 1.0
	v_rcp_f32_e32 v67, v66
	v_div_scale_f32 v68, vcc, 1.0, v65, 1.0
	v_fma_f32 v69, -v66, v67, 1.0
	v_fmac_f32_e32 v67, v69, v67
	v_mul_f32_e32 v69, v68, v67
	v_fma_f32 v70, -v66, v69, v68
	v_fmac_f32_e32 v69, v70, v67
	v_fma_f32 v66, -v66, v69, v68
	v_div_fmas_f32 v66, v66, v67, v69
	v_div_fixup_f32 v65, v66, v65, 1.0
.LBB104_189:
	s_or_b64 exec, exec, s[0:1]
	v_cmp_ne_u32_e32 vcc, v63, v60
	s_and_saveexec_b64 s[0:1], vcc
	s_xor_b64 s[0:1], exec, s[0:1]
	s_cbranch_execz .LBB104_195
; %bb.190:
	v_cmp_eq_u32_e32 vcc, 11, v63
	s_and_saveexec_b64 s[2:3], vcc
	s_cbranch_execz .LBB104_194
; %bb.191:
	v_cmp_ne_u32_e32 vcc, 11, v60
	s_xor_b64 s[12:13], s[20:21], -1
	s_and_b64 s[14:15], s[12:13], vcc
	s_and_saveexec_b64 s[12:13], s[14:15]
	s_cbranch_execz .LBB104_193
; %bb.192:
	v_ashrrev_i32_e32 v61, 31, v60
	v_lshl_add_u64 v[66:67], v[60:61], 2, v[4:5]
	global_load_dword v61, v[66:67], off
	global_load_dword v63, v[4:5], off offset:44
	s_waitcnt vmcnt(1)
	global_store_dword v[4:5], v61, off offset:44
	s_waitcnt vmcnt(1)
	global_store_dword v[66:67], v63, off
.LBB104_193:
	s_or_b64 exec, exec, s[12:13]
	v_mov_b32_e32 v61, v60
	v_mov_b32_e32 v63, v60
.LBB104_194:
	s_or_b64 exec, exec, s[2:3]
.LBB104_195:
	s_andn2_saveexec_b64 s[0:1], s[0:1]
	s_cbranch_execz .LBB104_197
; %bb.196:
	v_pk_mov_b32 v[66:67], v[42:43], v[54:55] op_sel:[1,0]
	ds_write2_b32 v59, v66, v67 offset0:12 offset1:13
	v_pk_mov_b32 v[66:67], v[54:55], v[52:53] op_sel:[1,0]
	ds_write2_b32 v59, v66, v67 offset0:14 offset1:15
	;; [unrolled: 2-line block ×19, first 2 shown]
	v_pk_mov_b32 v[66:67], v[0:1], v[12:13] op_sel:[1,0]
	v_mov_b32_e32 v63, 11
	ds_write2_b32 v59, v66, v67 offset0:50 offset1:51
	ds_write_b32 v59, v13 offset:208
.LBB104_197:
	s_or_b64 exec, exec, s[0:1]
	v_cmp_lt_i32_e32 vcc, 11, v63
	s_waitcnt lgkmcnt(0)
	s_barrier
	s_and_saveexec_b64 s[0:1], vcc
	s_cbranch_execz .LBB104_199
; %bb.198:
	ds_read_b32 v60, v59 offset:48
	ds_read2_b32 v[66:67], v59 offset0:13 offset1:14
	v_mul_f32_e32 v42, v65, v42
	s_waitcnt lgkmcnt(1)
	v_fma_f32 v43, -v42, v60, v43
	s_waitcnt lgkmcnt(0)
	v_pk_fma_f32 v[54:55], v[42:43], v[66:67], v[54:55] op_sel_hi:[0,1,1] neg_lo:[1,0,0] neg_hi:[1,0,0]
	ds_read2_b32 v[66:67], v59 offset0:15 offset1:16
	s_waitcnt lgkmcnt(0)
	v_pk_fma_f32 v[52:53], v[42:43], v[66:67], v[52:53] op_sel_hi:[0,1,1] neg_lo:[1,0,0] neg_hi:[1,0,0]
	ds_read2_b32 v[66:67], v59 offset0:17 offset1:18
	;; [unrolled: 3-line block ×19, first 2 shown]
	s_waitcnt lgkmcnt(0)
	v_pk_fma_f32 v[12:13], v[42:43], v[66:67], v[12:13] op_sel_hi:[0,1,1] neg_lo:[1,0,0] neg_hi:[1,0,0]
.LBB104_199:
	s_or_b64 exec, exec, s[0:1]
	v_lshl_add_u32 v60, v63, 2, v59
	s_barrier
	ds_write_b32 v60, v43
	s_waitcnt lgkmcnt(0)
	s_barrier
	ds_read_b32 v65, v59 offset:48
	s_cmp_lt_i32 s22, 14
	v_mov_b32_e32 v60, 12
	s_cbranch_scc1 .LBB104_202
; %bb.200:
	v_add3_u32 v66, v62, 0, 52
	v_mov_b32_e32 v60, 12
	s_mov_b32 s0, 13
.LBB104_201:                            ; =>This Inner Loop Header: Depth=1
	ds_read_b32 v67, v66
	v_mov_b32_e32 v68, s0
	s_add_i32 s0, s0, 1
	v_add_u32_e32 v66, 4, v66
	s_cmp_lg_u32 s22, s0
	s_waitcnt lgkmcnt(0)
	v_cmp_lt_f32_e64 vcc, |v65|, |v67|
	s_nop 1
	v_cndmask_b32_e32 v65, v65, v67, vcc
	v_cndmask_b32_e32 v60, v60, v68, vcc
	s_cbranch_scc1 .LBB104_201
.LBB104_202:
	s_waitcnt lgkmcnt(0)
	v_cmp_eq_f32_e32 vcc, 0, v65
	s_and_saveexec_b64 s[0:1], vcc
	s_xor_b64 s[0:1], exec, s[0:1]
; %bb.203:
	v_cmp_ne_u32_e32 vcc, 0, v64
	s_nop 1
	v_cndmask_b32_e32 v64, 13, v64, vcc
; %bb.204:
	s_andn2_saveexec_b64 s[0:1], s[0:1]
	s_cbranch_execz .LBB104_206
; %bb.205:
	v_div_scale_f32 v66, s[2:3], v65, v65, 1.0
	v_rcp_f32_e32 v67, v66
	v_div_scale_f32 v68, vcc, 1.0, v65, 1.0
	v_fma_f32 v69, -v66, v67, 1.0
	v_fmac_f32_e32 v67, v69, v67
	v_mul_f32_e32 v69, v68, v67
	v_fma_f32 v70, -v66, v69, v68
	v_fmac_f32_e32 v69, v70, v67
	v_fma_f32 v66, -v66, v69, v68
	v_div_fmas_f32 v66, v66, v67, v69
	v_div_fixup_f32 v65, v66, v65, 1.0
.LBB104_206:
	s_or_b64 exec, exec, s[0:1]
	v_cmp_ne_u32_e32 vcc, v63, v60
	s_and_saveexec_b64 s[0:1], vcc
	s_xor_b64 s[0:1], exec, s[0:1]
	s_cbranch_execz .LBB104_212
; %bb.207:
	v_cmp_eq_u32_e32 vcc, 12, v63
	s_and_saveexec_b64 s[2:3], vcc
	s_cbranch_execz .LBB104_211
; %bb.208:
	v_cmp_ne_u32_e32 vcc, 12, v60
	s_xor_b64 s[12:13], s[20:21], -1
	s_and_b64 s[14:15], s[12:13], vcc
	s_and_saveexec_b64 s[12:13], s[14:15]
	s_cbranch_execz .LBB104_210
; %bb.209:
	v_ashrrev_i32_e32 v61, 31, v60
	v_lshl_add_u64 v[66:67], v[60:61], 2, v[4:5]
	global_load_dword v61, v[66:67], off
	global_load_dword v63, v[4:5], off offset:48
	s_waitcnt vmcnt(1)
	global_store_dword v[4:5], v61, off offset:48
	s_waitcnt vmcnt(1)
	global_store_dword v[66:67], v63, off
.LBB104_210:
	s_or_b64 exec, exec, s[12:13]
	v_mov_b32_e32 v61, v60
	v_mov_b32_e32 v63, v60
.LBB104_211:
	s_or_b64 exec, exec, s[2:3]
.LBB104_212:
	s_andn2_saveexec_b64 s[0:1], s[0:1]
	s_cbranch_execz .LBB104_214
; %bb.213:
	v_mov_b32_e32 v63, 12
	ds_write2_b32 v59, v54, v55 offset0:13 offset1:14
	ds_write2_b32 v59, v52, v53 offset0:15 offset1:16
	;; [unrolled: 1-line block ×20, first 2 shown]
.LBB104_214:
	s_or_b64 exec, exec, s[0:1]
	v_cmp_lt_i32_e32 vcc, 12, v63
	s_waitcnt lgkmcnt(0)
	s_barrier
	s_and_saveexec_b64 s[0:1], vcc
	s_cbranch_execz .LBB104_216
; %bb.215:
	ds_read2_b32 v[66:67], v59 offset0:13 offset1:14
	v_mul_f32_e32 v60, v65, v43
	v_mov_b32_e32 v43, v60
	s_waitcnt lgkmcnt(0)
	v_pk_fma_f32 v[54:55], v[60:61], v[66:67], v[54:55] op_sel_hi:[0,1,1] neg_lo:[1,0,0] neg_hi:[1,0,0]
	ds_read2_b32 v[66:67], v59 offset0:15 offset1:16
	s_waitcnt lgkmcnt(0)
	v_pk_fma_f32 v[52:53], v[60:61], v[66:67], v[52:53] op_sel_hi:[0,1,1] neg_lo:[1,0,0] neg_hi:[1,0,0]
	ds_read2_b32 v[66:67], v59 offset0:17 offset1:18
	;; [unrolled: 3-line block ×19, first 2 shown]
	s_waitcnt lgkmcnt(0)
	v_pk_fma_f32 v[12:13], v[60:61], v[66:67], v[12:13] op_sel_hi:[0,1,1] neg_lo:[1,0,0] neg_hi:[1,0,0]
.LBB104_216:
	s_or_b64 exec, exec, s[0:1]
	v_lshl_add_u32 v60, v63, 2, v59
	s_barrier
	ds_write_b32 v60, v54
	s_waitcnt lgkmcnt(0)
	s_barrier
	ds_read_b32 v65, v59 offset:52
	s_cmp_lt_i32 s22, 15
	v_mov_b32_e32 v60, 13
	s_cbranch_scc1 .LBB104_219
; %bb.217:
	v_add3_u32 v66, v62, 0, 56
	v_mov_b32_e32 v60, 13
	s_mov_b32 s0, 14
.LBB104_218:                            ; =>This Inner Loop Header: Depth=1
	ds_read_b32 v67, v66
	v_mov_b32_e32 v68, s0
	s_add_i32 s0, s0, 1
	v_add_u32_e32 v66, 4, v66
	s_cmp_lg_u32 s22, s0
	s_waitcnt lgkmcnt(0)
	v_cmp_lt_f32_e64 vcc, |v65|, |v67|
	s_nop 1
	v_cndmask_b32_e32 v65, v65, v67, vcc
	v_cndmask_b32_e32 v60, v60, v68, vcc
	s_cbranch_scc1 .LBB104_218
.LBB104_219:
	s_waitcnt lgkmcnt(0)
	v_cmp_eq_f32_e32 vcc, 0, v65
	s_and_saveexec_b64 s[0:1], vcc
	s_xor_b64 s[0:1], exec, s[0:1]
; %bb.220:
	v_cmp_ne_u32_e32 vcc, 0, v64
	s_nop 1
	v_cndmask_b32_e32 v64, 14, v64, vcc
; %bb.221:
	s_andn2_saveexec_b64 s[0:1], s[0:1]
	s_cbranch_execz .LBB104_223
; %bb.222:
	v_div_scale_f32 v66, s[2:3], v65, v65, 1.0
	v_rcp_f32_e32 v67, v66
	v_div_scale_f32 v68, vcc, 1.0, v65, 1.0
	v_fma_f32 v69, -v66, v67, 1.0
	v_fmac_f32_e32 v67, v69, v67
	v_mul_f32_e32 v69, v68, v67
	v_fma_f32 v70, -v66, v69, v68
	v_fmac_f32_e32 v69, v70, v67
	v_fma_f32 v66, -v66, v69, v68
	v_div_fmas_f32 v66, v66, v67, v69
	v_div_fixup_f32 v65, v66, v65, 1.0
.LBB104_223:
	s_or_b64 exec, exec, s[0:1]
	v_cmp_ne_u32_e32 vcc, v63, v60
	s_and_saveexec_b64 s[0:1], vcc
	s_xor_b64 s[0:1], exec, s[0:1]
	s_cbranch_execz .LBB104_229
; %bb.224:
	v_cmp_eq_u32_e32 vcc, 13, v63
	s_and_saveexec_b64 s[2:3], vcc
	s_cbranch_execz .LBB104_228
; %bb.225:
	v_cmp_ne_u32_e32 vcc, 13, v60
	s_xor_b64 s[12:13], s[20:21], -1
	s_and_b64 s[14:15], s[12:13], vcc
	s_and_saveexec_b64 s[12:13], s[14:15]
	s_cbranch_execz .LBB104_227
; %bb.226:
	v_ashrrev_i32_e32 v61, 31, v60
	v_lshl_add_u64 v[66:67], v[60:61], 2, v[4:5]
	global_load_dword v61, v[66:67], off
	global_load_dword v63, v[4:5], off offset:52
	s_waitcnt vmcnt(1)
	global_store_dword v[4:5], v61, off offset:52
	s_waitcnt vmcnt(1)
	global_store_dword v[66:67], v63, off
.LBB104_227:
	s_or_b64 exec, exec, s[12:13]
	v_mov_b32_e32 v61, v60
	v_mov_b32_e32 v63, v60
.LBB104_228:
	s_or_b64 exec, exec, s[2:3]
.LBB104_229:
	s_andn2_saveexec_b64 s[0:1], s[0:1]
	s_cbranch_execz .LBB104_231
; %bb.230:
	v_pk_mov_b32 v[66:67], v[54:55], v[52:53] op_sel:[1,0]
	ds_write2_b32 v59, v66, v67 offset0:14 offset1:15
	v_pk_mov_b32 v[66:67], v[52:53], v[40:41] op_sel:[1,0]
	ds_write2_b32 v59, v66, v67 offset0:16 offset1:17
	;; [unrolled: 2-line block ×18, first 2 shown]
	v_pk_mov_b32 v[66:67], v[0:1], v[12:13] op_sel:[1,0]
	v_mov_b32_e32 v63, 13
	ds_write2_b32 v59, v66, v67 offset0:50 offset1:51
	ds_write_b32 v59, v13 offset:208
.LBB104_231:
	s_or_b64 exec, exec, s[0:1]
	v_cmp_lt_i32_e32 vcc, 13, v63
	s_waitcnt lgkmcnt(0)
	s_barrier
	s_and_saveexec_b64 s[0:1], vcc
	s_cbranch_execz .LBB104_233
; %bb.232:
	ds_read_b32 v60, v59 offset:56
	ds_read2_b32 v[66:67], v59 offset0:15 offset1:16
	v_mul_f32_e32 v54, v65, v54
	s_waitcnt lgkmcnt(1)
	v_fma_f32 v55, -v54, v60, v55
	s_waitcnt lgkmcnt(0)
	v_pk_fma_f32 v[52:53], v[54:55], v[66:67], v[52:53] op_sel_hi:[0,1,1] neg_lo:[1,0,0] neg_hi:[1,0,0]
	ds_read2_b32 v[66:67], v59 offset0:17 offset1:18
	s_waitcnt lgkmcnt(0)
	v_pk_fma_f32 v[40:41], v[54:55], v[66:67], v[40:41] op_sel_hi:[0,1,1] neg_lo:[1,0,0] neg_hi:[1,0,0]
	ds_read2_b32 v[66:67], v59 offset0:19 offset1:20
	;; [unrolled: 3-line block ×18, first 2 shown]
	s_waitcnt lgkmcnt(0)
	v_pk_fma_f32 v[12:13], v[54:55], v[66:67], v[12:13] op_sel_hi:[0,1,1] neg_lo:[1,0,0] neg_hi:[1,0,0]
.LBB104_233:
	s_or_b64 exec, exec, s[0:1]
	v_lshl_add_u32 v60, v63, 2, v59
	s_barrier
	ds_write_b32 v60, v55
	s_waitcnt lgkmcnt(0)
	s_barrier
	ds_read_b32 v65, v59 offset:56
	s_cmp_lt_i32 s22, 16
	v_mov_b32_e32 v60, 14
	s_cbranch_scc1 .LBB104_236
; %bb.234:
	v_add3_u32 v66, v62, 0, 60
	v_mov_b32_e32 v60, 14
	s_mov_b32 s0, 15
.LBB104_235:                            ; =>This Inner Loop Header: Depth=1
	ds_read_b32 v67, v66
	v_mov_b32_e32 v68, s0
	s_add_i32 s0, s0, 1
	v_add_u32_e32 v66, 4, v66
	s_cmp_lg_u32 s22, s0
	s_waitcnt lgkmcnt(0)
	v_cmp_lt_f32_e64 vcc, |v65|, |v67|
	s_nop 1
	v_cndmask_b32_e32 v65, v65, v67, vcc
	v_cndmask_b32_e32 v60, v60, v68, vcc
	s_cbranch_scc1 .LBB104_235
.LBB104_236:
	s_waitcnt lgkmcnt(0)
	v_cmp_eq_f32_e32 vcc, 0, v65
	s_and_saveexec_b64 s[0:1], vcc
	s_xor_b64 s[0:1], exec, s[0:1]
; %bb.237:
	v_cmp_ne_u32_e32 vcc, 0, v64
	s_nop 1
	v_cndmask_b32_e32 v64, 15, v64, vcc
; %bb.238:
	s_andn2_saveexec_b64 s[0:1], s[0:1]
	s_cbranch_execz .LBB104_240
; %bb.239:
	v_div_scale_f32 v66, s[2:3], v65, v65, 1.0
	v_rcp_f32_e32 v67, v66
	v_div_scale_f32 v68, vcc, 1.0, v65, 1.0
	v_fma_f32 v69, -v66, v67, 1.0
	v_fmac_f32_e32 v67, v69, v67
	v_mul_f32_e32 v69, v68, v67
	v_fma_f32 v70, -v66, v69, v68
	v_fmac_f32_e32 v69, v70, v67
	v_fma_f32 v66, -v66, v69, v68
	v_div_fmas_f32 v66, v66, v67, v69
	v_div_fixup_f32 v65, v66, v65, 1.0
.LBB104_240:
	s_or_b64 exec, exec, s[0:1]
	v_cmp_ne_u32_e32 vcc, v63, v60
	s_and_saveexec_b64 s[0:1], vcc
	s_xor_b64 s[0:1], exec, s[0:1]
	s_cbranch_execz .LBB104_246
; %bb.241:
	v_cmp_eq_u32_e32 vcc, 14, v63
	s_and_saveexec_b64 s[2:3], vcc
	s_cbranch_execz .LBB104_245
; %bb.242:
	v_cmp_ne_u32_e32 vcc, 14, v60
	s_xor_b64 s[12:13], s[20:21], -1
	s_and_b64 s[14:15], s[12:13], vcc
	s_and_saveexec_b64 s[12:13], s[14:15]
	s_cbranch_execz .LBB104_244
; %bb.243:
	v_ashrrev_i32_e32 v61, 31, v60
	v_lshl_add_u64 v[66:67], v[60:61], 2, v[4:5]
	global_load_dword v61, v[66:67], off
	global_load_dword v63, v[4:5], off offset:56
	s_waitcnt vmcnt(1)
	global_store_dword v[4:5], v61, off offset:56
	s_waitcnt vmcnt(1)
	global_store_dword v[66:67], v63, off
.LBB104_244:
	s_or_b64 exec, exec, s[12:13]
	v_mov_b32_e32 v61, v60
	v_mov_b32_e32 v63, v60
.LBB104_245:
	s_or_b64 exec, exec, s[2:3]
.LBB104_246:
	s_andn2_saveexec_b64 s[0:1], s[0:1]
	s_cbranch_execz .LBB104_248
; %bb.247:
	v_mov_b32_e32 v63, 14
	ds_write2_b32 v59, v52, v53 offset0:15 offset1:16
	ds_write2_b32 v59, v40, v41 offset0:17 offset1:18
	;; [unrolled: 1-line block ×19, first 2 shown]
.LBB104_248:
	s_or_b64 exec, exec, s[0:1]
	v_cmp_lt_i32_e32 vcc, 14, v63
	s_waitcnt lgkmcnt(0)
	s_barrier
	s_and_saveexec_b64 s[0:1], vcc
	s_cbranch_execz .LBB104_250
; %bb.249:
	ds_read2_b32 v[66:67], v59 offset0:15 offset1:16
	v_mul_f32_e32 v60, v65, v55
	v_mov_b32_e32 v55, v60
	s_waitcnt lgkmcnt(0)
	v_pk_fma_f32 v[52:53], v[60:61], v[66:67], v[52:53] op_sel_hi:[0,1,1] neg_lo:[1,0,0] neg_hi:[1,0,0]
	ds_read2_b32 v[66:67], v59 offset0:17 offset1:18
	s_waitcnt lgkmcnt(0)
	v_pk_fma_f32 v[40:41], v[60:61], v[66:67], v[40:41] op_sel_hi:[0,1,1] neg_lo:[1,0,0] neg_hi:[1,0,0]
	ds_read2_b32 v[66:67], v59 offset0:19 offset1:20
	;; [unrolled: 3-line block ×18, first 2 shown]
	s_waitcnt lgkmcnt(0)
	v_pk_fma_f32 v[12:13], v[60:61], v[66:67], v[12:13] op_sel_hi:[0,1,1] neg_lo:[1,0,0] neg_hi:[1,0,0]
.LBB104_250:
	s_or_b64 exec, exec, s[0:1]
	v_lshl_add_u32 v60, v63, 2, v59
	s_barrier
	ds_write_b32 v60, v52
	s_waitcnt lgkmcnt(0)
	s_barrier
	ds_read_b32 v65, v59 offset:60
	s_cmp_lt_i32 s22, 17
	v_mov_b32_e32 v60, 15
	s_cbranch_scc1 .LBB104_253
; %bb.251:
	v_add3_u32 v62, v62, 0, 64
	v_mov_b32_e32 v60, 15
	s_mov_b32 s0, 16
.LBB104_252:                            ; =>This Inner Loop Header: Depth=1
	ds_read_b32 v66, v62
	v_mov_b32_e32 v67, s0
	s_add_i32 s0, s0, 1
	v_add_u32_e32 v62, 4, v62
	s_cmp_lg_u32 s22, s0
	s_waitcnt lgkmcnt(0)
	v_cmp_lt_f32_e64 vcc, |v65|, |v66|
	s_nop 1
	v_cndmask_b32_e32 v65, v65, v66, vcc
	v_cndmask_b32_e32 v60, v60, v67, vcc
	s_cbranch_scc1 .LBB104_252
.LBB104_253:
	s_waitcnt lgkmcnt(0)
	v_cmp_eq_f32_e32 vcc, 0, v65
	s_and_saveexec_b64 s[0:1], vcc
	s_xor_b64 s[0:1], exec, s[0:1]
; %bb.254:
	v_cmp_ne_u32_e32 vcc, 0, v64
	s_nop 1
	v_cndmask_b32_e32 v64, 16, v64, vcc
; %bb.255:
	s_andn2_saveexec_b64 s[0:1], s[0:1]
	s_cbranch_execz .LBB104_257
; %bb.256:
	v_div_scale_f32 v62, s[2:3], v65, v65, 1.0
	v_rcp_f32_e32 v66, v62
	v_div_scale_f32 v67, vcc, 1.0, v65, 1.0
	v_fma_f32 v68, -v62, v66, 1.0
	v_fmac_f32_e32 v66, v68, v66
	v_mul_f32_e32 v68, v67, v66
	v_fma_f32 v69, -v62, v68, v67
	v_fmac_f32_e32 v68, v69, v66
	v_fma_f32 v62, -v62, v68, v67
	v_div_fmas_f32 v62, v62, v66, v68
	v_div_fixup_f32 v65, v62, v65, 1.0
.LBB104_257:
	s_or_b64 exec, exec, s[0:1]
	v_cmp_ne_u32_e32 vcc, v63, v60
	s_and_saveexec_b64 s[0:1], vcc
	s_xor_b64 s[0:1], exec, s[0:1]
	s_cbranch_execz .LBB104_263
; %bb.258:
	v_cmp_eq_u32_e32 vcc, 15, v63
	s_and_saveexec_b64 s[2:3], vcc
	s_cbranch_execz .LBB104_262
; %bb.259:
	v_cmp_ne_u32_e32 vcc, 15, v60
	s_xor_b64 s[12:13], s[20:21], -1
	s_and_b64 s[14:15], s[12:13], vcc
	s_and_saveexec_b64 s[12:13], s[14:15]
	s_cbranch_execz .LBB104_261
; %bb.260:
	v_ashrrev_i32_e32 v61, 31, v60
	v_lshl_add_u64 v[62:63], v[60:61], 2, v[4:5]
	global_load_dword v61, v[62:63], off
	global_load_dword v66, v[4:5], off offset:60
	s_waitcnt vmcnt(1)
	global_store_dword v[4:5], v61, off offset:60
	s_waitcnt vmcnt(1)
	global_store_dword v[62:63], v66, off
.LBB104_261:
	s_or_b64 exec, exec, s[12:13]
	v_mov_b32_e32 v61, v60
	v_mov_b32_e32 v63, v60
.LBB104_262:
	s_or_b64 exec, exec, s[2:3]
.LBB104_263:
	s_andn2_saveexec_b64 s[0:1], s[0:1]
	s_cbranch_execz .LBB104_265
; %bb.264:
	v_pk_mov_b32 v[62:63], v[52:53], v[40:41] op_sel:[1,0]
	ds_write2_b32 v59, v62, v63 offset0:16 offset1:17
	v_pk_mov_b32 v[62:63], v[40:41], v[36:37] op_sel:[1,0]
	ds_write2_b32 v59, v62, v63 offset0:18 offset1:19
	;; [unrolled: 2-line block ×18, first 2 shown]
	ds_write_b32 v59, v13 offset:208
	v_mov_b32_e32 v63, 15
.LBB104_265:
	s_or_b64 exec, exec, s[0:1]
	v_cmp_lt_i32_e32 vcc, 15, v63
	s_waitcnt lgkmcnt(0)
	s_barrier
	s_and_saveexec_b64 s[0:1], vcc
	s_cbranch_execz .LBB104_267
; %bb.266:
	ds_read_b32 v60, v59 offset:64
	ds_read2_b32 v[66:67], v59 offset0:17 offset1:18
	v_mul_f32_e32 v52, v65, v52
	s_waitcnt lgkmcnt(1)
	v_fma_f32 v53, -v52, v60, v53
	s_waitcnt lgkmcnt(0)
	v_pk_fma_f32 v[40:41], v[52:53], v[66:67], v[40:41] op_sel_hi:[0,1,1] neg_lo:[1,0,0] neg_hi:[1,0,0]
	ds_read2_b32 v[66:67], v59 offset0:19 offset1:20
	s_waitcnt lgkmcnt(0)
	v_pk_fma_f32 v[36:37], v[52:53], v[66:67], v[36:37] op_sel_hi:[0,1,1] neg_lo:[1,0,0] neg_hi:[1,0,0]
	ds_read2_b32 v[66:67], v59 offset0:21 offset1:22
	;; [unrolled: 3-line block ×17, first 2 shown]
	s_waitcnt lgkmcnt(0)
	v_pk_fma_f32 v[12:13], v[52:53], v[66:67], v[12:13] op_sel_hi:[0,1,1] neg_lo:[1,0,0] neg_hi:[1,0,0]
.LBB104_267:
	s_or_b64 exec, exec, s[0:1]
	v_lshl_add_u32 v60, v63, 2, v59
	s_barrier
	ds_write_b32 v60, v53
	s_waitcnt lgkmcnt(0)
	s_barrier
	ds_read_b32 v62, v59 offset:64
	s_cmp_lt_i32 s22, 18
	v_mov_b32_e32 v60, 16
	s_cbranch_scc1 .LBB104_270
; %bb.268:
	v_add_u32_e32 v65, 0x44, v59
	v_mov_b32_e32 v60, 16
	s_mov_b32 s0, 17
.LBB104_269:                            ; =>This Inner Loop Header: Depth=1
	ds_read_b32 v66, v65
	v_mov_b32_e32 v67, s0
	s_add_i32 s0, s0, 1
	v_add_u32_e32 v65, 4, v65
	s_cmp_lg_u32 s22, s0
	s_waitcnt lgkmcnt(0)
	v_cmp_lt_f32_e64 vcc, |v62|, |v66|
	s_nop 1
	v_cndmask_b32_e32 v62, v62, v66, vcc
	v_cndmask_b32_e32 v60, v60, v67, vcc
	s_cbranch_scc1 .LBB104_269
.LBB104_270:
	s_waitcnt lgkmcnt(0)
	v_cmp_eq_f32_e32 vcc, 0, v62
	s_and_saveexec_b64 s[0:1], vcc
	s_xor_b64 s[0:1], exec, s[0:1]
; %bb.271:
	v_cmp_ne_u32_e32 vcc, 0, v64
	s_nop 1
	v_cndmask_b32_e32 v64, 17, v64, vcc
; %bb.272:
	s_andn2_saveexec_b64 s[0:1], s[0:1]
	s_cbranch_execz .LBB104_274
; %bb.273:
	v_div_scale_f32 v65, s[2:3], v62, v62, 1.0
	v_rcp_f32_e32 v66, v65
	v_div_scale_f32 v67, vcc, 1.0, v62, 1.0
	v_fma_f32 v68, -v65, v66, 1.0
	v_fmac_f32_e32 v66, v68, v66
	v_mul_f32_e32 v68, v67, v66
	v_fma_f32 v69, -v65, v68, v67
	v_fmac_f32_e32 v68, v69, v66
	v_fma_f32 v65, -v65, v68, v67
	v_div_fmas_f32 v65, v65, v66, v68
	v_div_fixup_f32 v62, v65, v62, 1.0
.LBB104_274:
	s_or_b64 exec, exec, s[0:1]
	v_cmp_ne_u32_e32 vcc, v63, v60
	s_and_saveexec_b64 s[0:1], vcc
	s_xor_b64 s[0:1], exec, s[0:1]
	s_cbranch_execz .LBB104_280
; %bb.275:
	v_cmp_eq_u32_e32 vcc, 16, v63
	s_and_saveexec_b64 s[2:3], vcc
	s_cbranch_execz .LBB104_279
; %bb.276:
	v_cmp_ne_u32_e32 vcc, 16, v60
	s_xor_b64 s[12:13], s[20:21], -1
	s_and_b64 s[14:15], s[12:13], vcc
	s_and_saveexec_b64 s[12:13], s[14:15]
	s_cbranch_execz .LBB104_278
; %bb.277:
	v_ashrrev_i32_e32 v61, 31, v60
	v_lshl_add_u64 v[66:67], v[60:61], 2, v[4:5]
	global_load_dword v61, v[66:67], off
	global_load_dword v63, v[4:5], off offset:64
	s_waitcnt vmcnt(1)
	global_store_dword v[4:5], v61, off offset:64
	s_waitcnt vmcnt(1)
	global_store_dword v[66:67], v63, off
.LBB104_278:
	s_or_b64 exec, exec, s[12:13]
	v_mov_b32_e32 v61, v60
	v_mov_b32_e32 v63, v60
.LBB104_279:
	s_or_b64 exec, exec, s[2:3]
.LBB104_280:
	s_andn2_saveexec_b64 s[0:1], s[0:1]
	s_cbranch_execz .LBB104_282
; %bb.281:
	v_mov_b32_e32 v63, 16
	ds_write2_b32 v59, v40, v41 offset0:17 offset1:18
	ds_write2_b32 v59, v36, v37 offset0:19 offset1:20
	;; [unrolled: 1-line block ×18, first 2 shown]
.LBB104_282:
	s_or_b64 exec, exec, s[0:1]
	v_cmp_lt_i32_e32 vcc, 16, v63
	s_waitcnt lgkmcnt(0)
	s_barrier
	s_and_saveexec_b64 s[0:1], vcc
	s_cbranch_execz .LBB104_284
; %bb.283:
	ds_read2_b32 v[66:67], v59 offset0:17 offset1:18
	v_mul_f32_e32 v60, v62, v53
	v_mov_b32_e32 v53, v60
	s_waitcnt lgkmcnt(0)
	v_pk_fma_f32 v[40:41], v[60:61], v[66:67], v[40:41] op_sel_hi:[0,1,1] neg_lo:[1,0,0] neg_hi:[1,0,0]
	ds_read2_b32 v[66:67], v59 offset0:19 offset1:20
	s_waitcnt lgkmcnt(0)
	v_pk_fma_f32 v[36:37], v[60:61], v[66:67], v[36:37] op_sel_hi:[0,1,1] neg_lo:[1,0,0] neg_hi:[1,0,0]
	ds_read2_b32 v[66:67], v59 offset0:21 offset1:22
	;; [unrolled: 3-line block ×17, first 2 shown]
	s_waitcnt lgkmcnt(0)
	v_pk_fma_f32 v[12:13], v[60:61], v[66:67], v[12:13] op_sel_hi:[0,1,1] neg_lo:[1,0,0] neg_hi:[1,0,0]
.LBB104_284:
	s_or_b64 exec, exec, s[0:1]
	v_lshl_add_u32 v60, v63, 2, v59
	s_barrier
	ds_write_b32 v60, v40
	s_waitcnt lgkmcnt(0)
	s_barrier
	ds_read_b32 v62, v59 offset:68
	s_cmp_lt_i32 s22, 19
	v_mov_b32_e32 v60, 17
	s_cbranch_scc1 .LBB104_287
; %bb.285:
	v_add_u32_e32 v65, 0x48, v59
	v_mov_b32_e32 v60, 17
	s_mov_b32 s0, 18
.LBB104_286:                            ; =>This Inner Loop Header: Depth=1
	ds_read_b32 v66, v65
	v_mov_b32_e32 v67, s0
	s_add_i32 s0, s0, 1
	v_add_u32_e32 v65, 4, v65
	s_cmp_lg_u32 s22, s0
	s_waitcnt lgkmcnt(0)
	v_cmp_lt_f32_e64 vcc, |v62|, |v66|
	s_nop 1
	v_cndmask_b32_e32 v62, v62, v66, vcc
	v_cndmask_b32_e32 v60, v60, v67, vcc
	s_cbranch_scc1 .LBB104_286
.LBB104_287:
	s_waitcnt lgkmcnt(0)
	v_cmp_eq_f32_e32 vcc, 0, v62
	s_and_saveexec_b64 s[0:1], vcc
	s_xor_b64 s[0:1], exec, s[0:1]
; %bb.288:
	v_cmp_ne_u32_e32 vcc, 0, v64
	s_nop 1
	v_cndmask_b32_e32 v64, 18, v64, vcc
; %bb.289:
	s_andn2_saveexec_b64 s[0:1], s[0:1]
	s_cbranch_execz .LBB104_291
; %bb.290:
	v_div_scale_f32 v65, s[2:3], v62, v62, 1.0
	v_rcp_f32_e32 v66, v65
	v_div_scale_f32 v67, vcc, 1.0, v62, 1.0
	v_fma_f32 v68, -v65, v66, 1.0
	v_fmac_f32_e32 v66, v68, v66
	v_mul_f32_e32 v68, v67, v66
	v_fma_f32 v69, -v65, v68, v67
	v_fmac_f32_e32 v68, v69, v66
	v_fma_f32 v65, -v65, v68, v67
	v_div_fmas_f32 v65, v65, v66, v68
	v_div_fixup_f32 v62, v65, v62, 1.0
.LBB104_291:
	s_or_b64 exec, exec, s[0:1]
	v_cmp_ne_u32_e32 vcc, v63, v60
	s_and_saveexec_b64 s[0:1], vcc
	s_xor_b64 s[0:1], exec, s[0:1]
	s_cbranch_execz .LBB104_297
; %bb.292:
	v_cmp_eq_u32_e32 vcc, 17, v63
	s_and_saveexec_b64 s[2:3], vcc
	s_cbranch_execz .LBB104_296
; %bb.293:
	v_cmp_ne_u32_e32 vcc, 17, v60
	s_xor_b64 s[12:13], s[20:21], -1
	s_and_b64 s[14:15], s[12:13], vcc
	s_and_saveexec_b64 s[12:13], s[14:15]
	s_cbranch_execz .LBB104_295
; %bb.294:
	v_ashrrev_i32_e32 v61, 31, v60
	v_lshl_add_u64 v[66:67], v[60:61], 2, v[4:5]
	global_load_dword v61, v[66:67], off
	global_load_dword v63, v[4:5], off offset:68
	s_waitcnt vmcnt(1)
	global_store_dword v[4:5], v61, off offset:68
	s_waitcnt vmcnt(1)
	global_store_dword v[66:67], v63, off
.LBB104_295:
	s_or_b64 exec, exec, s[12:13]
	v_mov_b32_e32 v61, v60
	v_mov_b32_e32 v63, v60
.LBB104_296:
	s_or_b64 exec, exec, s[2:3]
.LBB104_297:
	s_andn2_saveexec_b64 s[0:1], s[0:1]
	s_cbranch_execz .LBB104_299
; %bb.298:
	v_pk_mov_b32 v[66:67], v[40:41], v[36:37] op_sel:[1,0]
	ds_write2_b32 v59, v66, v67 offset0:18 offset1:19
	v_pk_mov_b32 v[66:67], v[36:37], v[30:31] op_sel:[1,0]
	ds_write2_b32 v59, v66, v67 offset0:20 offset1:21
	;; [unrolled: 2-line block ×16, first 2 shown]
	v_pk_mov_b32 v[66:67], v[0:1], v[12:13] op_sel:[1,0]
	v_mov_b32_e32 v63, 17
	ds_write2_b32 v59, v66, v67 offset0:50 offset1:51
	ds_write_b32 v59, v13 offset:208
.LBB104_299:
	s_or_b64 exec, exec, s[0:1]
	v_cmp_lt_i32_e32 vcc, 17, v63
	s_waitcnt lgkmcnt(0)
	s_barrier
	s_and_saveexec_b64 s[0:1], vcc
	s_cbranch_execz .LBB104_301
; %bb.300:
	ds_read_b32 v60, v59 offset:72
	ds_read2_b32 v[66:67], v59 offset0:19 offset1:20
	v_mul_f32_e32 v40, v62, v40
	s_waitcnt lgkmcnt(1)
	v_fma_f32 v41, -v40, v60, v41
	s_waitcnt lgkmcnt(0)
	v_pk_fma_f32 v[36:37], v[40:41], v[66:67], v[36:37] op_sel_hi:[0,1,1] neg_lo:[1,0,0] neg_hi:[1,0,0]
	ds_read2_b32 v[66:67], v59 offset0:21 offset1:22
	s_waitcnt lgkmcnt(0)
	v_pk_fma_f32 v[30:31], v[40:41], v[66:67], v[30:31] op_sel_hi:[0,1,1] neg_lo:[1,0,0] neg_hi:[1,0,0]
	ds_read2_b32 v[66:67], v59 offset0:23 offset1:24
	;; [unrolled: 3-line block ×16, first 2 shown]
	s_waitcnt lgkmcnt(0)
	v_pk_fma_f32 v[12:13], v[40:41], v[66:67], v[12:13] op_sel_hi:[0,1,1] neg_lo:[1,0,0] neg_hi:[1,0,0]
.LBB104_301:
	s_or_b64 exec, exec, s[0:1]
	v_lshl_add_u32 v60, v63, 2, v59
	s_barrier
	ds_write_b32 v60, v41
	s_waitcnt lgkmcnt(0)
	s_barrier
	ds_read_b32 v62, v59 offset:72
	s_cmp_lt_i32 s22, 20
	v_mov_b32_e32 v60, 18
	s_cbranch_scc1 .LBB104_304
; %bb.302:
	v_add_u32_e32 v65, 0x4c, v59
	v_mov_b32_e32 v60, 18
	s_mov_b32 s0, 19
.LBB104_303:                            ; =>This Inner Loop Header: Depth=1
	ds_read_b32 v66, v65
	v_mov_b32_e32 v67, s0
	s_add_i32 s0, s0, 1
	v_add_u32_e32 v65, 4, v65
	s_cmp_lg_u32 s22, s0
	s_waitcnt lgkmcnt(0)
	v_cmp_lt_f32_e64 vcc, |v62|, |v66|
	s_nop 1
	v_cndmask_b32_e32 v62, v62, v66, vcc
	v_cndmask_b32_e32 v60, v60, v67, vcc
	s_cbranch_scc1 .LBB104_303
.LBB104_304:
	s_waitcnt lgkmcnt(0)
	v_cmp_eq_f32_e32 vcc, 0, v62
	s_and_saveexec_b64 s[0:1], vcc
	s_xor_b64 s[0:1], exec, s[0:1]
; %bb.305:
	v_cmp_ne_u32_e32 vcc, 0, v64
	s_nop 1
	v_cndmask_b32_e32 v64, 19, v64, vcc
; %bb.306:
	s_andn2_saveexec_b64 s[0:1], s[0:1]
	s_cbranch_execz .LBB104_308
; %bb.307:
	v_div_scale_f32 v65, s[2:3], v62, v62, 1.0
	v_rcp_f32_e32 v66, v65
	v_div_scale_f32 v67, vcc, 1.0, v62, 1.0
	v_fma_f32 v68, -v65, v66, 1.0
	v_fmac_f32_e32 v66, v68, v66
	v_mul_f32_e32 v68, v67, v66
	v_fma_f32 v69, -v65, v68, v67
	v_fmac_f32_e32 v68, v69, v66
	v_fma_f32 v65, -v65, v68, v67
	v_div_fmas_f32 v65, v65, v66, v68
	v_div_fixup_f32 v62, v65, v62, 1.0
.LBB104_308:
	s_or_b64 exec, exec, s[0:1]
	v_cmp_ne_u32_e32 vcc, v63, v60
	s_and_saveexec_b64 s[0:1], vcc
	s_xor_b64 s[0:1], exec, s[0:1]
	s_cbranch_execz .LBB104_314
; %bb.309:
	v_cmp_eq_u32_e32 vcc, 18, v63
	s_and_saveexec_b64 s[2:3], vcc
	s_cbranch_execz .LBB104_313
; %bb.310:
	v_cmp_ne_u32_e32 vcc, 18, v60
	s_xor_b64 s[12:13], s[20:21], -1
	s_and_b64 s[14:15], s[12:13], vcc
	s_and_saveexec_b64 s[12:13], s[14:15]
	s_cbranch_execz .LBB104_312
; %bb.311:
	v_ashrrev_i32_e32 v61, 31, v60
	v_lshl_add_u64 v[66:67], v[60:61], 2, v[4:5]
	global_load_dword v61, v[66:67], off
	global_load_dword v63, v[4:5], off offset:72
	s_waitcnt vmcnt(1)
	global_store_dword v[4:5], v61, off offset:72
	s_waitcnt vmcnt(1)
	global_store_dword v[66:67], v63, off
.LBB104_312:
	s_or_b64 exec, exec, s[12:13]
	v_mov_b32_e32 v61, v60
	v_mov_b32_e32 v63, v60
.LBB104_313:
	s_or_b64 exec, exec, s[2:3]
.LBB104_314:
	s_andn2_saveexec_b64 s[0:1], s[0:1]
	s_cbranch_execz .LBB104_316
; %bb.315:
	v_mov_b32_e32 v63, 18
	ds_write2_b32 v59, v36, v37 offset0:19 offset1:20
	ds_write2_b32 v59, v30, v31 offset0:21 offset1:22
	;; [unrolled: 1-line block ×17, first 2 shown]
.LBB104_316:
	s_or_b64 exec, exec, s[0:1]
	v_cmp_lt_i32_e32 vcc, 18, v63
	s_waitcnt lgkmcnt(0)
	s_barrier
	s_and_saveexec_b64 s[0:1], vcc
	s_cbranch_execz .LBB104_318
; %bb.317:
	ds_read2_b32 v[66:67], v59 offset0:19 offset1:20
	v_mul_f32_e32 v60, v62, v41
	v_mov_b32_e32 v41, v60
	s_waitcnt lgkmcnt(0)
	v_pk_fma_f32 v[36:37], v[60:61], v[66:67], v[36:37] op_sel_hi:[0,1,1] neg_lo:[1,0,0] neg_hi:[1,0,0]
	ds_read2_b32 v[66:67], v59 offset0:21 offset1:22
	s_waitcnt lgkmcnt(0)
	v_pk_fma_f32 v[30:31], v[60:61], v[66:67], v[30:31] op_sel_hi:[0,1,1] neg_lo:[1,0,0] neg_hi:[1,0,0]
	ds_read2_b32 v[66:67], v59 offset0:23 offset1:24
	;; [unrolled: 3-line block ×16, first 2 shown]
	s_waitcnt lgkmcnt(0)
	v_pk_fma_f32 v[12:13], v[60:61], v[66:67], v[12:13] op_sel_hi:[0,1,1] neg_lo:[1,0,0] neg_hi:[1,0,0]
.LBB104_318:
	s_or_b64 exec, exec, s[0:1]
	v_lshl_add_u32 v60, v63, 2, v59
	s_barrier
	ds_write_b32 v60, v36
	s_waitcnt lgkmcnt(0)
	s_barrier
	ds_read_b32 v62, v59 offset:76
	s_cmp_lt_i32 s22, 21
	v_mov_b32_e32 v60, 19
	s_cbranch_scc1 .LBB104_321
; %bb.319:
	v_add_u32_e32 v65, 0x50, v59
	v_mov_b32_e32 v60, 19
	s_mov_b32 s0, 20
.LBB104_320:                            ; =>This Inner Loop Header: Depth=1
	ds_read_b32 v66, v65
	v_mov_b32_e32 v67, s0
	s_add_i32 s0, s0, 1
	v_add_u32_e32 v65, 4, v65
	s_cmp_lg_u32 s22, s0
	s_waitcnt lgkmcnt(0)
	v_cmp_lt_f32_e64 vcc, |v62|, |v66|
	s_nop 1
	v_cndmask_b32_e32 v62, v62, v66, vcc
	v_cndmask_b32_e32 v60, v60, v67, vcc
	s_cbranch_scc1 .LBB104_320
.LBB104_321:
	s_waitcnt lgkmcnt(0)
	v_cmp_eq_f32_e32 vcc, 0, v62
	s_and_saveexec_b64 s[0:1], vcc
	s_xor_b64 s[0:1], exec, s[0:1]
; %bb.322:
	v_cmp_ne_u32_e32 vcc, 0, v64
	s_nop 1
	v_cndmask_b32_e32 v64, 20, v64, vcc
; %bb.323:
	s_andn2_saveexec_b64 s[0:1], s[0:1]
	s_cbranch_execz .LBB104_325
; %bb.324:
	v_div_scale_f32 v65, s[2:3], v62, v62, 1.0
	v_rcp_f32_e32 v66, v65
	v_div_scale_f32 v67, vcc, 1.0, v62, 1.0
	v_fma_f32 v68, -v65, v66, 1.0
	v_fmac_f32_e32 v66, v68, v66
	v_mul_f32_e32 v68, v67, v66
	v_fma_f32 v69, -v65, v68, v67
	v_fmac_f32_e32 v68, v69, v66
	v_fma_f32 v65, -v65, v68, v67
	v_div_fmas_f32 v65, v65, v66, v68
	v_div_fixup_f32 v62, v65, v62, 1.0
.LBB104_325:
	s_or_b64 exec, exec, s[0:1]
	v_cmp_ne_u32_e32 vcc, v63, v60
	s_and_saveexec_b64 s[0:1], vcc
	s_xor_b64 s[0:1], exec, s[0:1]
	s_cbranch_execz .LBB104_331
; %bb.326:
	v_cmp_eq_u32_e32 vcc, 19, v63
	s_and_saveexec_b64 s[2:3], vcc
	s_cbranch_execz .LBB104_330
; %bb.327:
	v_cmp_ne_u32_e32 vcc, 19, v60
	s_xor_b64 s[12:13], s[20:21], -1
	s_and_b64 s[14:15], s[12:13], vcc
	s_and_saveexec_b64 s[12:13], s[14:15]
	s_cbranch_execz .LBB104_329
; %bb.328:
	v_ashrrev_i32_e32 v61, 31, v60
	v_lshl_add_u64 v[66:67], v[60:61], 2, v[4:5]
	global_load_dword v61, v[66:67], off
	global_load_dword v63, v[4:5], off offset:76
	s_waitcnt vmcnt(1)
	global_store_dword v[4:5], v61, off offset:76
	s_waitcnt vmcnt(1)
	global_store_dword v[66:67], v63, off
.LBB104_329:
	s_or_b64 exec, exec, s[12:13]
	v_mov_b32_e32 v61, v60
	v_mov_b32_e32 v63, v60
.LBB104_330:
	s_or_b64 exec, exec, s[2:3]
.LBB104_331:
	s_andn2_saveexec_b64 s[0:1], s[0:1]
	s_cbranch_execz .LBB104_333
; %bb.332:
	v_pk_mov_b32 v[66:67], v[36:37], v[30:31] op_sel:[1,0]
	ds_write2_b32 v59, v66, v67 offset0:20 offset1:21
	v_pk_mov_b32 v[66:67], v[30:31], v[24:25] op_sel:[1,0]
	ds_write2_b32 v59, v66, v67 offset0:22 offset1:23
	;; [unrolled: 2-line block ×15, first 2 shown]
	v_pk_mov_b32 v[66:67], v[0:1], v[12:13] op_sel:[1,0]
	v_mov_b32_e32 v63, 19
	ds_write2_b32 v59, v66, v67 offset0:50 offset1:51
	ds_write_b32 v59, v13 offset:208
.LBB104_333:
	s_or_b64 exec, exec, s[0:1]
	v_cmp_lt_i32_e32 vcc, 19, v63
	s_waitcnt lgkmcnt(0)
	s_barrier
	s_and_saveexec_b64 s[0:1], vcc
	s_cbranch_execz .LBB104_335
; %bb.334:
	ds_read_b32 v60, v59 offset:80
	ds_read2_b32 v[66:67], v59 offset0:21 offset1:22
	v_mul_f32_e32 v36, v62, v36
	s_waitcnt lgkmcnt(1)
	v_fma_f32 v37, -v36, v60, v37
	s_waitcnt lgkmcnt(0)
	v_pk_fma_f32 v[30:31], v[36:37], v[66:67], v[30:31] op_sel_hi:[0,1,1] neg_lo:[1,0,0] neg_hi:[1,0,0]
	ds_read2_b32 v[66:67], v59 offset0:23 offset1:24
	s_waitcnt lgkmcnt(0)
	v_pk_fma_f32 v[24:25], v[36:37], v[66:67], v[24:25] op_sel_hi:[0,1,1] neg_lo:[1,0,0] neg_hi:[1,0,0]
	ds_read2_b32 v[66:67], v59 offset0:25 offset1:26
	;; [unrolled: 3-line block ×15, first 2 shown]
	s_waitcnt lgkmcnt(0)
	v_pk_fma_f32 v[12:13], v[36:37], v[66:67], v[12:13] op_sel_hi:[0,1,1] neg_lo:[1,0,0] neg_hi:[1,0,0]
.LBB104_335:
	s_or_b64 exec, exec, s[0:1]
	v_lshl_add_u32 v60, v63, 2, v59
	s_barrier
	ds_write_b32 v60, v37
	s_waitcnt lgkmcnt(0)
	s_barrier
	ds_read_b32 v62, v59 offset:80
	s_cmp_lt_i32 s22, 22
	v_mov_b32_e32 v60, 20
	s_cbranch_scc1 .LBB104_338
; %bb.336:
	v_add_u32_e32 v65, 0x54, v59
	v_mov_b32_e32 v60, 20
	s_mov_b32 s0, 21
.LBB104_337:                            ; =>This Inner Loop Header: Depth=1
	ds_read_b32 v66, v65
	v_mov_b32_e32 v67, s0
	s_add_i32 s0, s0, 1
	v_add_u32_e32 v65, 4, v65
	s_cmp_lg_u32 s22, s0
	s_waitcnt lgkmcnt(0)
	v_cmp_lt_f32_e64 vcc, |v62|, |v66|
	s_nop 1
	v_cndmask_b32_e32 v62, v62, v66, vcc
	v_cndmask_b32_e32 v60, v60, v67, vcc
	s_cbranch_scc1 .LBB104_337
.LBB104_338:
	s_waitcnt lgkmcnt(0)
	v_cmp_eq_f32_e32 vcc, 0, v62
	s_and_saveexec_b64 s[0:1], vcc
	s_xor_b64 s[0:1], exec, s[0:1]
; %bb.339:
	v_cmp_ne_u32_e32 vcc, 0, v64
	s_nop 1
	v_cndmask_b32_e32 v64, 21, v64, vcc
; %bb.340:
	s_andn2_saveexec_b64 s[0:1], s[0:1]
	s_cbranch_execz .LBB104_342
; %bb.341:
	v_div_scale_f32 v65, s[2:3], v62, v62, 1.0
	v_rcp_f32_e32 v66, v65
	v_div_scale_f32 v67, vcc, 1.0, v62, 1.0
	v_fma_f32 v68, -v65, v66, 1.0
	v_fmac_f32_e32 v66, v68, v66
	v_mul_f32_e32 v68, v67, v66
	v_fma_f32 v69, -v65, v68, v67
	v_fmac_f32_e32 v68, v69, v66
	v_fma_f32 v65, -v65, v68, v67
	v_div_fmas_f32 v65, v65, v66, v68
	v_div_fixup_f32 v62, v65, v62, 1.0
.LBB104_342:
	s_or_b64 exec, exec, s[0:1]
	v_cmp_ne_u32_e32 vcc, v63, v60
	s_and_saveexec_b64 s[0:1], vcc
	s_xor_b64 s[0:1], exec, s[0:1]
	s_cbranch_execz .LBB104_348
; %bb.343:
	v_cmp_eq_u32_e32 vcc, 20, v63
	s_and_saveexec_b64 s[2:3], vcc
	s_cbranch_execz .LBB104_347
; %bb.344:
	v_cmp_ne_u32_e32 vcc, 20, v60
	s_xor_b64 s[12:13], s[20:21], -1
	s_and_b64 s[14:15], s[12:13], vcc
	s_and_saveexec_b64 s[12:13], s[14:15]
	s_cbranch_execz .LBB104_346
; %bb.345:
	v_ashrrev_i32_e32 v61, 31, v60
	v_lshl_add_u64 v[66:67], v[60:61], 2, v[4:5]
	global_load_dword v61, v[66:67], off
	global_load_dword v63, v[4:5], off offset:80
	s_waitcnt vmcnt(1)
	global_store_dword v[4:5], v61, off offset:80
	s_waitcnt vmcnt(1)
	global_store_dword v[66:67], v63, off
.LBB104_346:
	s_or_b64 exec, exec, s[12:13]
	v_mov_b32_e32 v61, v60
	v_mov_b32_e32 v63, v60
.LBB104_347:
	s_or_b64 exec, exec, s[2:3]
.LBB104_348:
	s_andn2_saveexec_b64 s[0:1], s[0:1]
	s_cbranch_execz .LBB104_350
; %bb.349:
	v_mov_b32_e32 v63, 20
	ds_write2_b32 v59, v30, v31 offset0:21 offset1:22
	ds_write2_b32 v59, v24, v25 offset0:23 offset1:24
	;; [unrolled: 1-line block ×16, first 2 shown]
.LBB104_350:
	s_or_b64 exec, exec, s[0:1]
	v_cmp_lt_i32_e32 vcc, 20, v63
	s_waitcnt lgkmcnt(0)
	s_barrier
	s_and_saveexec_b64 s[0:1], vcc
	s_cbranch_execz .LBB104_352
; %bb.351:
	ds_read2_b32 v[66:67], v59 offset0:21 offset1:22
	v_mul_f32_e32 v60, v62, v37
	v_mov_b32_e32 v37, v60
	s_waitcnt lgkmcnt(0)
	v_pk_fma_f32 v[30:31], v[60:61], v[66:67], v[30:31] op_sel_hi:[0,1,1] neg_lo:[1,0,0] neg_hi:[1,0,0]
	ds_read2_b32 v[66:67], v59 offset0:23 offset1:24
	s_waitcnt lgkmcnt(0)
	v_pk_fma_f32 v[24:25], v[60:61], v[66:67], v[24:25] op_sel_hi:[0,1,1] neg_lo:[1,0,0] neg_hi:[1,0,0]
	ds_read2_b32 v[66:67], v59 offset0:25 offset1:26
	;; [unrolled: 3-line block ×15, first 2 shown]
	s_waitcnt lgkmcnt(0)
	v_pk_fma_f32 v[12:13], v[60:61], v[66:67], v[12:13] op_sel_hi:[0,1,1] neg_lo:[1,0,0] neg_hi:[1,0,0]
.LBB104_352:
	s_or_b64 exec, exec, s[0:1]
	v_lshl_add_u32 v60, v63, 2, v59
	s_barrier
	ds_write_b32 v60, v30
	s_waitcnt lgkmcnt(0)
	s_barrier
	ds_read_b32 v62, v59 offset:84
	s_cmp_lt_i32 s22, 23
	v_mov_b32_e32 v60, 21
	s_cbranch_scc1 .LBB104_355
; %bb.353:
	v_add_u32_e32 v65, 0x58, v59
	v_mov_b32_e32 v60, 21
	s_mov_b32 s0, 22
.LBB104_354:                            ; =>This Inner Loop Header: Depth=1
	ds_read_b32 v66, v65
	v_mov_b32_e32 v67, s0
	s_add_i32 s0, s0, 1
	v_add_u32_e32 v65, 4, v65
	s_cmp_lg_u32 s22, s0
	s_waitcnt lgkmcnt(0)
	v_cmp_lt_f32_e64 vcc, |v62|, |v66|
	s_nop 1
	v_cndmask_b32_e32 v62, v62, v66, vcc
	v_cndmask_b32_e32 v60, v60, v67, vcc
	s_cbranch_scc1 .LBB104_354
.LBB104_355:
	s_waitcnt lgkmcnt(0)
	v_cmp_eq_f32_e32 vcc, 0, v62
	s_and_saveexec_b64 s[0:1], vcc
	s_xor_b64 s[0:1], exec, s[0:1]
; %bb.356:
	v_cmp_ne_u32_e32 vcc, 0, v64
	s_nop 1
	v_cndmask_b32_e32 v64, 22, v64, vcc
; %bb.357:
	s_andn2_saveexec_b64 s[0:1], s[0:1]
	s_cbranch_execz .LBB104_359
; %bb.358:
	v_div_scale_f32 v65, s[2:3], v62, v62, 1.0
	v_rcp_f32_e32 v66, v65
	v_div_scale_f32 v67, vcc, 1.0, v62, 1.0
	v_fma_f32 v68, -v65, v66, 1.0
	v_fmac_f32_e32 v66, v68, v66
	v_mul_f32_e32 v68, v67, v66
	v_fma_f32 v69, -v65, v68, v67
	v_fmac_f32_e32 v68, v69, v66
	v_fma_f32 v65, -v65, v68, v67
	v_div_fmas_f32 v65, v65, v66, v68
	v_div_fixup_f32 v62, v65, v62, 1.0
.LBB104_359:
	s_or_b64 exec, exec, s[0:1]
	v_cmp_ne_u32_e32 vcc, v63, v60
	s_and_saveexec_b64 s[0:1], vcc
	s_xor_b64 s[0:1], exec, s[0:1]
	s_cbranch_execz .LBB104_365
; %bb.360:
	v_cmp_eq_u32_e32 vcc, 21, v63
	s_and_saveexec_b64 s[2:3], vcc
	s_cbranch_execz .LBB104_364
; %bb.361:
	v_cmp_ne_u32_e32 vcc, 21, v60
	s_xor_b64 s[12:13], s[20:21], -1
	s_and_b64 s[14:15], s[12:13], vcc
	s_and_saveexec_b64 s[12:13], s[14:15]
	s_cbranch_execz .LBB104_363
; %bb.362:
	v_ashrrev_i32_e32 v61, 31, v60
	v_lshl_add_u64 v[66:67], v[60:61], 2, v[4:5]
	global_load_dword v61, v[66:67], off
	global_load_dword v63, v[4:5], off offset:84
	s_waitcnt vmcnt(1)
	global_store_dword v[4:5], v61, off offset:84
	s_waitcnt vmcnt(1)
	global_store_dword v[66:67], v63, off
.LBB104_363:
	s_or_b64 exec, exec, s[12:13]
	v_mov_b32_e32 v61, v60
	v_mov_b32_e32 v63, v60
.LBB104_364:
	s_or_b64 exec, exec, s[2:3]
.LBB104_365:
	s_andn2_saveexec_b64 s[0:1], s[0:1]
	s_cbranch_execz .LBB104_367
; %bb.366:
	v_pk_mov_b32 v[66:67], v[30:31], v[24:25] op_sel:[1,0]
	ds_write2_b32 v59, v66, v67 offset0:22 offset1:23
	v_pk_mov_b32 v[66:67], v[24:25], v[38:39] op_sel:[1,0]
	ds_write2_b32 v59, v66, v67 offset0:24 offset1:25
	;; [unrolled: 2-line block ×14, first 2 shown]
	v_pk_mov_b32 v[66:67], v[0:1], v[12:13] op_sel:[1,0]
	v_mov_b32_e32 v63, 21
	ds_write2_b32 v59, v66, v67 offset0:50 offset1:51
	ds_write_b32 v59, v13 offset:208
.LBB104_367:
	s_or_b64 exec, exec, s[0:1]
	v_cmp_lt_i32_e32 vcc, 21, v63
	s_waitcnt lgkmcnt(0)
	s_barrier
	s_and_saveexec_b64 s[0:1], vcc
	s_cbranch_execz .LBB104_369
; %bb.368:
	ds_read_b32 v60, v59 offset:88
	ds_read2_b32 v[66:67], v59 offset0:23 offset1:24
	v_mul_f32_e32 v30, v62, v30
	s_waitcnt lgkmcnt(1)
	v_fma_f32 v31, -v30, v60, v31
	s_waitcnt lgkmcnt(0)
	v_pk_fma_f32 v[24:25], v[30:31], v[66:67], v[24:25] op_sel_hi:[0,1,1] neg_lo:[1,0,0] neg_hi:[1,0,0]
	ds_read2_b32 v[66:67], v59 offset0:25 offset1:26
	s_waitcnt lgkmcnt(0)
	v_pk_fma_f32 v[38:39], v[30:31], v[66:67], v[38:39] op_sel_hi:[0,1,1] neg_lo:[1,0,0] neg_hi:[1,0,0]
	ds_read2_b32 v[66:67], v59 offset0:27 offset1:28
	;; [unrolled: 3-line block ×14, first 2 shown]
	s_waitcnt lgkmcnt(0)
	v_pk_fma_f32 v[12:13], v[30:31], v[66:67], v[12:13] op_sel_hi:[0,1,1] neg_lo:[1,0,0] neg_hi:[1,0,0]
.LBB104_369:
	s_or_b64 exec, exec, s[0:1]
	v_lshl_add_u32 v60, v63, 2, v59
	s_barrier
	ds_write_b32 v60, v31
	s_waitcnt lgkmcnt(0)
	s_barrier
	ds_read_b32 v62, v59 offset:88
	s_cmp_lt_i32 s22, 24
	v_mov_b32_e32 v60, 22
	s_cbranch_scc1 .LBB104_372
; %bb.370:
	v_add_u32_e32 v65, 0x5c, v59
	v_mov_b32_e32 v60, 22
	s_mov_b32 s0, 23
.LBB104_371:                            ; =>This Inner Loop Header: Depth=1
	ds_read_b32 v66, v65
	v_mov_b32_e32 v67, s0
	s_add_i32 s0, s0, 1
	v_add_u32_e32 v65, 4, v65
	s_cmp_lg_u32 s22, s0
	s_waitcnt lgkmcnt(0)
	v_cmp_lt_f32_e64 vcc, |v62|, |v66|
	s_nop 1
	v_cndmask_b32_e32 v62, v62, v66, vcc
	v_cndmask_b32_e32 v60, v60, v67, vcc
	s_cbranch_scc1 .LBB104_371
.LBB104_372:
	s_waitcnt lgkmcnt(0)
	v_cmp_eq_f32_e32 vcc, 0, v62
	s_and_saveexec_b64 s[0:1], vcc
	s_xor_b64 s[0:1], exec, s[0:1]
; %bb.373:
	v_cmp_ne_u32_e32 vcc, 0, v64
	s_nop 1
	v_cndmask_b32_e32 v64, 23, v64, vcc
; %bb.374:
	s_andn2_saveexec_b64 s[0:1], s[0:1]
	s_cbranch_execz .LBB104_376
; %bb.375:
	v_div_scale_f32 v65, s[2:3], v62, v62, 1.0
	v_rcp_f32_e32 v66, v65
	v_div_scale_f32 v67, vcc, 1.0, v62, 1.0
	v_fma_f32 v68, -v65, v66, 1.0
	v_fmac_f32_e32 v66, v68, v66
	v_mul_f32_e32 v68, v67, v66
	v_fma_f32 v69, -v65, v68, v67
	v_fmac_f32_e32 v68, v69, v66
	v_fma_f32 v65, -v65, v68, v67
	v_div_fmas_f32 v65, v65, v66, v68
	v_div_fixup_f32 v62, v65, v62, 1.0
.LBB104_376:
	s_or_b64 exec, exec, s[0:1]
	v_cmp_ne_u32_e32 vcc, v63, v60
	s_and_saveexec_b64 s[0:1], vcc
	s_xor_b64 s[0:1], exec, s[0:1]
	s_cbranch_execz .LBB104_382
; %bb.377:
	v_cmp_eq_u32_e32 vcc, 22, v63
	s_and_saveexec_b64 s[2:3], vcc
	s_cbranch_execz .LBB104_381
; %bb.378:
	v_cmp_ne_u32_e32 vcc, 22, v60
	s_xor_b64 s[12:13], s[20:21], -1
	s_and_b64 s[14:15], s[12:13], vcc
	s_and_saveexec_b64 s[12:13], s[14:15]
	s_cbranch_execz .LBB104_380
; %bb.379:
	v_ashrrev_i32_e32 v61, 31, v60
	v_lshl_add_u64 v[66:67], v[60:61], 2, v[4:5]
	global_load_dword v61, v[66:67], off
	global_load_dword v63, v[4:5], off offset:88
	s_waitcnt vmcnt(1)
	global_store_dword v[4:5], v61, off offset:88
	s_waitcnt vmcnt(1)
	global_store_dword v[66:67], v63, off
.LBB104_380:
	s_or_b64 exec, exec, s[12:13]
	v_mov_b32_e32 v61, v60
	v_mov_b32_e32 v63, v60
.LBB104_381:
	s_or_b64 exec, exec, s[2:3]
.LBB104_382:
	s_andn2_saveexec_b64 s[0:1], s[0:1]
	s_cbranch_execz .LBB104_384
; %bb.383:
	v_mov_b32_e32 v63, 22
	ds_write2_b32 v59, v24, v25 offset0:23 offset1:24
	ds_write2_b32 v59, v38, v39 offset0:25 offset1:26
	;; [unrolled: 1-line block ×15, first 2 shown]
.LBB104_384:
	s_or_b64 exec, exec, s[0:1]
	v_cmp_lt_i32_e32 vcc, 22, v63
	s_waitcnt lgkmcnt(0)
	s_barrier
	s_and_saveexec_b64 s[0:1], vcc
	s_cbranch_execz .LBB104_386
; %bb.385:
	ds_read2_b32 v[66:67], v59 offset0:23 offset1:24
	v_mul_f32_e32 v60, v62, v31
	v_mov_b32_e32 v31, v60
	s_waitcnt lgkmcnt(0)
	v_pk_fma_f32 v[24:25], v[60:61], v[66:67], v[24:25] op_sel_hi:[0,1,1] neg_lo:[1,0,0] neg_hi:[1,0,0]
	ds_read2_b32 v[66:67], v59 offset0:25 offset1:26
	s_waitcnt lgkmcnt(0)
	v_pk_fma_f32 v[38:39], v[60:61], v[66:67], v[38:39] op_sel_hi:[0,1,1] neg_lo:[1,0,0] neg_hi:[1,0,0]
	ds_read2_b32 v[66:67], v59 offset0:27 offset1:28
	;; [unrolled: 3-line block ×14, first 2 shown]
	s_waitcnt lgkmcnt(0)
	v_pk_fma_f32 v[12:13], v[60:61], v[66:67], v[12:13] op_sel_hi:[0,1,1] neg_lo:[1,0,0] neg_hi:[1,0,0]
.LBB104_386:
	s_or_b64 exec, exec, s[0:1]
	v_lshl_add_u32 v60, v63, 2, v59
	s_barrier
	ds_write_b32 v60, v24
	s_waitcnt lgkmcnt(0)
	s_barrier
	ds_read_b32 v62, v59 offset:92
	s_cmp_lt_i32 s22, 25
	v_mov_b32_e32 v60, 23
	s_cbranch_scc1 .LBB104_389
; %bb.387:
	v_add_u32_e32 v65, 0x60, v59
	v_mov_b32_e32 v60, 23
	s_mov_b32 s0, 24
.LBB104_388:                            ; =>This Inner Loop Header: Depth=1
	ds_read_b32 v66, v65
	v_mov_b32_e32 v67, s0
	s_add_i32 s0, s0, 1
	v_add_u32_e32 v65, 4, v65
	s_cmp_lg_u32 s22, s0
	s_waitcnt lgkmcnt(0)
	v_cmp_lt_f32_e64 vcc, |v62|, |v66|
	s_nop 1
	v_cndmask_b32_e32 v62, v62, v66, vcc
	v_cndmask_b32_e32 v60, v60, v67, vcc
	s_cbranch_scc1 .LBB104_388
.LBB104_389:
	s_waitcnt lgkmcnt(0)
	v_cmp_eq_f32_e32 vcc, 0, v62
	s_and_saveexec_b64 s[0:1], vcc
	s_xor_b64 s[0:1], exec, s[0:1]
; %bb.390:
	v_cmp_ne_u32_e32 vcc, 0, v64
	s_nop 1
	v_cndmask_b32_e32 v64, 24, v64, vcc
; %bb.391:
	s_andn2_saveexec_b64 s[0:1], s[0:1]
	s_cbranch_execz .LBB104_393
; %bb.392:
	v_div_scale_f32 v65, s[2:3], v62, v62, 1.0
	v_rcp_f32_e32 v66, v65
	v_div_scale_f32 v67, vcc, 1.0, v62, 1.0
	v_fma_f32 v68, -v65, v66, 1.0
	v_fmac_f32_e32 v66, v68, v66
	v_mul_f32_e32 v68, v67, v66
	v_fma_f32 v69, -v65, v68, v67
	v_fmac_f32_e32 v68, v69, v66
	v_fma_f32 v65, -v65, v68, v67
	v_div_fmas_f32 v65, v65, v66, v68
	v_div_fixup_f32 v62, v65, v62, 1.0
.LBB104_393:
	s_or_b64 exec, exec, s[0:1]
	v_cmp_ne_u32_e32 vcc, v63, v60
	s_and_saveexec_b64 s[0:1], vcc
	s_xor_b64 s[0:1], exec, s[0:1]
	s_cbranch_execz .LBB104_399
; %bb.394:
	v_cmp_eq_u32_e32 vcc, 23, v63
	s_and_saveexec_b64 s[2:3], vcc
	s_cbranch_execz .LBB104_398
; %bb.395:
	v_cmp_ne_u32_e32 vcc, 23, v60
	s_xor_b64 s[12:13], s[20:21], -1
	s_and_b64 s[14:15], s[12:13], vcc
	s_and_saveexec_b64 s[12:13], s[14:15]
	s_cbranch_execz .LBB104_397
; %bb.396:
	v_ashrrev_i32_e32 v61, 31, v60
	v_lshl_add_u64 v[66:67], v[60:61], 2, v[4:5]
	global_load_dword v61, v[66:67], off
	global_load_dword v63, v[4:5], off offset:92
	s_waitcnt vmcnt(1)
	global_store_dword v[4:5], v61, off offset:92
	s_waitcnt vmcnt(1)
	global_store_dword v[66:67], v63, off
.LBB104_397:
	s_or_b64 exec, exec, s[12:13]
	v_mov_b32_e32 v61, v60
	v_mov_b32_e32 v63, v60
.LBB104_398:
	s_or_b64 exec, exec, s[2:3]
.LBB104_399:
	s_andn2_saveexec_b64 s[0:1], s[0:1]
	s_cbranch_execz .LBB104_401
; %bb.400:
	v_pk_mov_b32 v[66:67], v[24:25], v[38:39] op_sel:[1,0]
	ds_write2_b32 v59, v66, v67 offset0:24 offset1:25
	v_pk_mov_b32 v[66:67], v[38:39], v[32:33] op_sel:[1,0]
	ds_write2_b32 v59, v66, v67 offset0:26 offset1:27
	;; [unrolled: 2-line block ×13, first 2 shown]
	v_pk_mov_b32 v[66:67], v[0:1], v[12:13] op_sel:[1,0]
	v_mov_b32_e32 v63, 23
	ds_write2_b32 v59, v66, v67 offset0:50 offset1:51
	ds_write_b32 v59, v13 offset:208
.LBB104_401:
	s_or_b64 exec, exec, s[0:1]
	v_cmp_lt_i32_e32 vcc, 23, v63
	s_waitcnt lgkmcnt(0)
	s_barrier
	s_and_saveexec_b64 s[0:1], vcc
	s_cbranch_execz .LBB104_403
; %bb.402:
	ds_read_b32 v60, v59 offset:96
	ds_read2_b32 v[66:67], v59 offset0:25 offset1:26
	v_mul_f32_e32 v24, v62, v24
	s_waitcnt lgkmcnt(1)
	v_fma_f32 v25, -v24, v60, v25
	s_waitcnt lgkmcnt(0)
	v_pk_fma_f32 v[38:39], v[24:25], v[66:67], v[38:39] op_sel_hi:[0,1,1] neg_lo:[1,0,0] neg_hi:[1,0,0]
	ds_read2_b32 v[66:67], v59 offset0:27 offset1:28
	s_waitcnt lgkmcnt(0)
	v_pk_fma_f32 v[32:33], v[24:25], v[66:67], v[32:33] op_sel_hi:[0,1,1] neg_lo:[1,0,0] neg_hi:[1,0,0]
	ds_read2_b32 v[66:67], v59 offset0:29 offset1:30
	;; [unrolled: 3-line block ×13, first 2 shown]
	s_waitcnt lgkmcnt(0)
	v_pk_fma_f32 v[12:13], v[24:25], v[66:67], v[12:13] op_sel_hi:[0,1,1] neg_lo:[1,0,0] neg_hi:[1,0,0]
.LBB104_403:
	s_or_b64 exec, exec, s[0:1]
	v_lshl_add_u32 v60, v63, 2, v59
	s_barrier
	ds_write_b32 v60, v25
	s_waitcnt lgkmcnt(0)
	s_barrier
	ds_read_b32 v62, v59 offset:96
	s_cmp_lt_i32 s22, 26
	v_mov_b32_e32 v60, 24
	s_cbranch_scc1 .LBB104_406
; %bb.404:
	v_add_u32_e32 v65, 0x64, v59
	v_mov_b32_e32 v60, 24
	s_mov_b32 s0, 25
.LBB104_405:                            ; =>This Inner Loop Header: Depth=1
	ds_read_b32 v66, v65
	v_mov_b32_e32 v67, s0
	s_add_i32 s0, s0, 1
	v_add_u32_e32 v65, 4, v65
	s_cmp_lg_u32 s22, s0
	s_waitcnt lgkmcnt(0)
	v_cmp_lt_f32_e64 vcc, |v62|, |v66|
	s_nop 1
	v_cndmask_b32_e32 v62, v62, v66, vcc
	v_cndmask_b32_e32 v60, v60, v67, vcc
	s_cbranch_scc1 .LBB104_405
.LBB104_406:
	s_waitcnt lgkmcnt(0)
	v_cmp_eq_f32_e32 vcc, 0, v62
	s_and_saveexec_b64 s[0:1], vcc
	s_xor_b64 s[0:1], exec, s[0:1]
; %bb.407:
	v_cmp_ne_u32_e32 vcc, 0, v64
	s_nop 1
	v_cndmask_b32_e32 v64, 25, v64, vcc
; %bb.408:
	s_andn2_saveexec_b64 s[0:1], s[0:1]
	s_cbranch_execz .LBB104_410
; %bb.409:
	v_div_scale_f32 v65, s[2:3], v62, v62, 1.0
	v_rcp_f32_e32 v66, v65
	v_div_scale_f32 v67, vcc, 1.0, v62, 1.0
	v_fma_f32 v68, -v65, v66, 1.0
	v_fmac_f32_e32 v66, v68, v66
	v_mul_f32_e32 v68, v67, v66
	v_fma_f32 v69, -v65, v68, v67
	v_fmac_f32_e32 v68, v69, v66
	v_fma_f32 v65, -v65, v68, v67
	v_div_fmas_f32 v65, v65, v66, v68
	v_div_fixup_f32 v62, v65, v62, 1.0
.LBB104_410:
	s_or_b64 exec, exec, s[0:1]
	v_cmp_ne_u32_e32 vcc, v63, v60
	s_and_saveexec_b64 s[0:1], vcc
	s_xor_b64 s[0:1], exec, s[0:1]
	s_cbranch_execz .LBB104_416
; %bb.411:
	v_cmp_eq_u32_e32 vcc, 24, v63
	s_and_saveexec_b64 s[2:3], vcc
	s_cbranch_execz .LBB104_415
; %bb.412:
	v_cmp_ne_u32_e32 vcc, 24, v60
	s_xor_b64 s[12:13], s[20:21], -1
	s_and_b64 s[14:15], s[12:13], vcc
	s_and_saveexec_b64 s[12:13], s[14:15]
	s_cbranch_execz .LBB104_414
; %bb.413:
	v_ashrrev_i32_e32 v61, 31, v60
	v_lshl_add_u64 v[66:67], v[60:61], 2, v[4:5]
	global_load_dword v61, v[66:67], off
	global_load_dword v63, v[4:5], off offset:96
	s_waitcnt vmcnt(1)
	global_store_dword v[4:5], v61, off offset:96
	s_waitcnt vmcnt(1)
	global_store_dword v[66:67], v63, off
.LBB104_414:
	s_or_b64 exec, exec, s[12:13]
	v_mov_b32_e32 v61, v60
	v_mov_b32_e32 v63, v60
.LBB104_415:
	s_or_b64 exec, exec, s[2:3]
.LBB104_416:
	s_andn2_saveexec_b64 s[0:1], s[0:1]
	s_cbranch_execz .LBB104_418
; %bb.417:
	v_mov_b32_e32 v63, 24
	ds_write2_b32 v59, v38, v39 offset0:25 offset1:26
	ds_write2_b32 v59, v32, v33 offset0:27 offset1:28
	;; [unrolled: 1-line block ×14, first 2 shown]
.LBB104_418:
	s_or_b64 exec, exec, s[0:1]
	v_cmp_lt_i32_e32 vcc, 24, v63
	s_waitcnt lgkmcnt(0)
	s_barrier
	s_and_saveexec_b64 s[0:1], vcc
	s_cbranch_execz .LBB104_420
; %bb.419:
	ds_read2_b32 v[66:67], v59 offset0:25 offset1:26
	v_mul_f32_e32 v60, v62, v25
	v_mov_b32_e32 v25, v60
	s_waitcnt lgkmcnt(0)
	v_pk_fma_f32 v[38:39], v[60:61], v[66:67], v[38:39] op_sel_hi:[0,1,1] neg_lo:[1,0,0] neg_hi:[1,0,0]
	ds_read2_b32 v[66:67], v59 offset0:27 offset1:28
	s_waitcnt lgkmcnt(0)
	v_pk_fma_f32 v[32:33], v[60:61], v[66:67], v[32:33] op_sel_hi:[0,1,1] neg_lo:[1,0,0] neg_hi:[1,0,0]
	ds_read2_b32 v[66:67], v59 offset0:29 offset1:30
	;; [unrolled: 3-line block ×13, first 2 shown]
	s_waitcnt lgkmcnt(0)
	v_pk_fma_f32 v[12:13], v[60:61], v[66:67], v[12:13] op_sel_hi:[0,1,1] neg_lo:[1,0,0] neg_hi:[1,0,0]
.LBB104_420:
	s_or_b64 exec, exec, s[0:1]
	v_lshl_add_u32 v60, v63, 2, v59
	s_barrier
	ds_write_b32 v60, v38
	s_waitcnt lgkmcnt(0)
	s_barrier
	ds_read_b32 v62, v59 offset:100
	s_cmp_lt_i32 s22, 27
	v_mov_b32_e32 v60, 25
	s_cbranch_scc1 .LBB104_423
; %bb.421:
	v_add_u32_e32 v65, 0x68, v59
	v_mov_b32_e32 v60, 25
	s_mov_b32 s0, 26
.LBB104_422:                            ; =>This Inner Loop Header: Depth=1
	ds_read_b32 v66, v65
	v_mov_b32_e32 v67, s0
	s_add_i32 s0, s0, 1
	v_add_u32_e32 v65, 4, v65
	s_cmp_lg_u32 s22, s0
	s_waitcnt lgkmcnt(0)
	v_cmp_lt_f32_e64 vcc, |v62|, |v66|
	s_nop 1
	v_cndmask_b32_e32 v62, v62, v66, vcc
	v_cndmask_b32_e32 v60, v60, v67, vcc
	s_cbranch_scc1 .LBB104_422
.LBB104_423:
	s_waitcnt lgkmcnt(0)
	v_cmp_eq_f32_e32 vcc, 0, v62
	s_and_saveexec_b64 s[0:1], vcc
	s_xor_b64 s[0:1], exec, s[0:1]
; %bb.424:
	v_cmp_ne_u32_e32 vcc, 0, v64
	s_nop 1
	v_cndmask_b32_e32 v64, 26, v64, vcc
; %bb.425:
	s_andn2_saveexec_b64 s[0:1], s[0:1]
	s_cbranch_execz .LBB104_427
; %bb.426:
	v_div_scale_f32 v65, s[2:3], v62, v62, 1.0
	v_rcp_f32_e32 v66, v65
	v_div_scale_f32 v67, vcc, 1.0, v62, 1.0
	v_fma_f32 v68, -v65, v66, 1.0
	v_fmac_f32_e32 v66, v68, v66
	v_mul_f32_e32 v68, v67, v66
	v_fma_f32 v69, -v65, v68, v67
	v_fmac_f32_e32 v68, v69, v66
	v_fma_f32 v65, -v65, v68, v67
	v_div_fmas_f32 v65, v65, v66, v68
	v_div_fixup_f32 v62, v65, v62, 1.0
.LBB104_427:
	s_or_b64 exec, exec, s[0:1]
	v_cmp_ne_u32_e32 vcc, v63, v60
	s_and_saveexec_b64 s[0:1], vcc
	s_xor_b64 s[0:1], exec, s[0:1]
	s_cbranch_execz .LBB104_433
; %bb.428:
	v_cmp_eq_u32_e32 vcc, 25, v63
	s_and_saveexec_b64 s[2:3], vcc
	s_cbranch_execz .LBB104_432
; %bb.429:
	v_cmp_ne_u32_e32 vcc, 25, v60
	s_xor_b64 s[12:13], s[20:21], -1
	s_and_b64 s[14:15], s[12:13], vcc
	s_and_saveexec_b64 s[12:13], s[14:15]
	s_cbranch_execz .LBB104_431
; %bb.430:
	v_ashrrev_i32_e32 v61, 31, v60
	v_lshl_add_u64 v[66:67], v[60:61], 2, v[4:5]
	global_load_dword v61, v[66:67], off
	global_load_dword v63, v[4:5], off offset:100
	s_waitcnt vmcnt(1)
	global_store_dword v[4:5], v61, off offset:100
	s_waitcnt vmcnt(1)
	global_store_dword v[66:67], v63, off
.LBB104_431:
	s_or_b64 exec, exec, s[12:13]
	v_mov_b32_e32 v61, v60
	v_mov_b32_e32 v63, v60
.LBB104_432:
	s_or_b64 exec, exec, s[2:3]
.LBB104_433:
	s_andn2_saveexec_b64 s[0:1], s[0:1]
	s_cbranch_execz .LBB104_435
; %bb.434:
	v_pk_mov_b32 v[66:67], v[38:39], v[32:33] op_sel:[1,0]
	ds_write2_b32 v59, v66, v67 offset0:26 offset1:27
	v_pk_mov_b32 v[66:67], v[32:33], v[26:27] op_sel:[1,0]
	ds_write2_b32 v59, v66, v67 offset0:28 offset1:29
	;; [unrolled: 2-line block ×12, first 2 shown]
	v_pk_mov_b32 v[66:67], v[0:1], v[12:13] op_sel:[1,0]
	v_mov_b32_e32 v63, 25
	ds_write2_b32 v59, v66, v67 offset0:50 offset1:51
	ds_write_b32 v59, v13 offset:208
.LBB104_435:
	s_or_b64 exec, exec, s[0:1]
	v_cmp_lt_i32_e32 vcc, 25, v63
	s_waitcnt lgkmcnt(0)
	s_barrier
	s_and_saveexec_b64 s[0:1], vcc
	s_cbranch_execz .LBB104_437
; %bb.436:
	ds_read_b32 v60, v59 offset:104
	ds_read2_b32 v[66:67], v59 offset0:27 offset1:28
	v_mul_f32_e32 v38, v62, v38
	s_waitcnt lgkmcnt(1)
	v_fma_f32 v39, -v38, v60, v39
	s_waitcnt lgkmcnt(0)
	v_pk_fma_f32 v[32:33], v[38:39], v[66:67], v[32:33] op_sel_hi:[0,1,1] neg_lo:[1,0,0] neg_hi:[1,0,0]
	ds_read2_b32 v[66:67], v59 offset0:29 offset1:30
	s_waitcnt lgkmcnt(0)
	v_pk_fma_f32 v[26:27], v[38:39], v[66:67], v[26:27] op_sel_hi:[0,1,1] neg_lo:[1,0,0] neg_hi:[1,0,0]
	ds_read2_b32 v[66:67], v59 offset0:31 offset1:32
	;; [unrolled: 3-line block ×12, first 2 shown]
	s_waitcnt lgkmcnt(0)
	v_pk_fma_f32 v[12:13], v[38:39], v[66:67], v[12:13] op_sel_hi:[0,1,1] neg_lo:[1,0,0] neg_hi:[1,0,0]
.LBB104_437:
	s_or_b64 exec, exec, s[0:1]
	v_lshl_add_u32 v60, v63, 2, v59
	s_barrier
	ds_write_b32 v60, v39
	s_waitcnt lgkmcnt(0)
	s_barrier
	ds_read_b32 v62, v59 offset:104
	s_cmp_lt_i32 s22, 28
	v_mov_b32_e32 v60, 26
	s_cbranch_scc1 .LBB104_440
; %bb.438:
	v_add_u32_e32 v65, 0x6c, v59
	v_mov_b32_e32 v60, 26
	s_mov_b32 s0, 27
.LBB104_439:                            ; =>This Inner Loop Header: Depth=1
	ds_read_b32 v66, v65
	v_mov_b32_e32 v67, s0
	s_add_i32 s0, s0, 1
	v_add_u32_e32 v65, 4, v65
	s_cmp_lg_u32 s22, s0
	s_waitcnt lgkmcnt(0)
	v_cmp_lt_f32_e64 vcc, |v62|, |v66|
	s_nop 1
	v_cndmask_b32_e32 v62, v62, v66, vcc
	v_cndmask_b32_e32 v60, v60, v67, vcc
	s_cbranch_scc1 .LBB104_439
.LBB104_440:
	s_waitcnt lgkmcnt(0)
	v_cmp_eq_f32_e32 vcc, 0, v62
	s_and_saveexec_b64 s[0:1], vcc
	s_xor_b64 s[0:1], exec, s[0:1]
; %bb.441:
	v_cmp_ne_u32_e32 vcc, 0, v64
	s_nop 1
	v_cndmask_b32_e32 v64, 27, v64, vcc
; %bb.442:
	s_andn2_saveexec_b64 s[0:1], s[0:1]
	s_cbranch_execz .LBB104_444
; %bb.443:
	v_div_scale_f32 v65, s[2:3], v62, v62, 1.0
	v_rcp_f32_e32 v66, v65
	v_div_scale_f32 v67, vcc, 1.0, v62, 1.0
	v_fma_f32 v68, -v65, v66, 1.0
	v_fmac_f32_e32 v66, v68, v66
	v_mul_f32_e32 v68, v67, v66
	v_fma_f32 v69, -v65, v68, v67
	v_fmac_f32_e32 v68, v69, v66
	v_fma_f32 v65, -v65, v68, v67
	v_div_fmas_f32 v65, v65, v66, v68
	v_div_fixup_f32 v62, v65, v62, 1.0
.LBB104_444:
	s_or_b64 exec, exec, s[0:1]
	v_cmp_ne_u32_e32 vcc, v63, v60
	s_and_saveexec_b64 s[0:1], vcc
	s_xor_b64 s[0:1], exec, s[0:1]
	s_cbranch_execz .LBB104_450
; %bb.445:
	v_cmp_eq_u32_e32 vcc, 26, v63
	s_and_saveexec_b64 s[2:3], vcc
	s_cbranch_execz .LBB104_449
; %bb.446:
	v_cmp_ne_u32_e32 vcc, 26, v60
	s_xor_b64 s[12:13], s[20:21], -1
	s_and_b64 s[14:15], s[12:13], vcc
	s_and_saveexec_b64 s[12:13], s[14:15]
	s_cbranch_execz .LBB104_448
; %bb.447:
	v_ashrrev_i32_e32 v61, 31, v60
	v_lshl_add_u64 v[66:67], v[60:61], 2, v[4:5]
	global_load_dword v61, v[66:67], off
	global_load_dword v63, v[4:5], off offset:104
	s_waitcnt vmcnt(1)
	global_store_dword v[4:5], v61, off offset:104
	s_waitcnt vmcnt(1)
	global_store_dword v[66:67], v63, off
.LBB104_448:
	s_or_b64 exec, exec, s[12:13]
	v_mov_b32_e32 v61, v60
	v_mov_b32_e32 v63, v60
.LBB104_449:
	s_or_b64 exec, exec, s[2:3]
.LBB104_450:
	s_andn2_saveexec_b64 s[0:1], s[0:1]
	s_cbranch_execz .LBB104_452
; %bb.451:
	v_mov_b32_e32 v63, 26
	ds_write2_b32 v59, v32, v33 offset0:27 offset1:28
	ds_write2_b32 v59, v26, v27 offset0:29 offset1:30
	;; [unrolled: 1-line block ×13, first 2 shown]
.LBB104_452:
	s_or_b64 exec, exec, s[0:1]
	v_cmp_lt_i32_e32 vcc, 26, v63
	s_waitcnt lgkmcnt(0)
	s_barrier
	s_and_saveexec_b64 s[0:1], vcc
	s_cbranch_execz .LBB104_454
; %bb.453:
	ds_read2_b32 v[66:67], v59 offset0:27 offset1:28
	v_mul_f32_e32 v60, v62, v39
	v_mov_b32_e32 v39, v60
	s_waitcnt lgkmcnt(0)
	v_pk_fma_f32 v[32:33], v[60:61], v[66:67], v[32:33] op_sel_hi:[0,1,1] neg_lo:[1,0,0] neg_hi:[1,0,0]
	ds_read2_b32 v[66:67], v59 offset0:29 offset1:30
	s_waitcnt lgkmcnt(0)
	v_pk_fma_f32 v[26:27], v[60:61], v[66:67], v[26:27] op_sel_hi:[0,1,1] neg_lo:[1,0,0] neg_hi:[1,0,0]
	ds_read2_b32 v[66:67], v59 offset0:31 offset1:32
	;; [unrolled: 3-line block ×12, first 2 shown]
	s_waitcnt lgkmcnt(0)
	v_pk_fma_f32 v[12:13], v[60:61], v[66:67], v[12:13] op_sel_hi:[0,1,1] neg_lo:[1,0,0] neg_hi:[1,0,0]
.LBB104_454:
	s_or_b64 exec, exec, s[0:1]
	v_lshl_add_u32 v60, v63, 2, v59
	s_barrier
	ds_write_b32 v60, v32
	s_waitcnt lgkmcnt(0)
	s_barrier
	ds_read_b32 v62, v59 offset:108
	s_cmp_lt_i32 s22, 29
	v_mov_b32_e32 v60, 27
	s_cbranch_scc1 .LBB104_457
; %bb.455:
	v_add_u32_e32 v65, 0x70, v59
	v_mov_b32_e32 v60, 27
	s_mov_b32 s0, 28
.LBB104_456:                            ; =>This Inner Loop Header: Depth=1
	ds_read_b32 v66, v65
	v_mov_b32_e32 v67, s0
	s_add_i32 s0, s0, 1
	v_add_u32_e32 v65, 4, v65
	s_cmp_lg_u32 s22, s0
	s_waitcnt lgkmcnt(0)
	v_cmp_lt_f32_e64 vcc, |v62|, |v66|
	s_nop 1
	v_cndmask_b32_e32 v62, v62, v66, vcc
	v_cndmask_b32_e32 v60, v60, v67, vcc
	s_cbranch_scc1 .LBB104_456
.LBB104_457:
	s_waitcnt lgkmcnt(0)
	v_cmp_eq_f32_e32 vcc, 0, v62
	s_and_saveexec_b64 s[0:1], vcc
	s_xor_b64 s[0:1], exec, s[0:1]
; %bb.458:
	v_cmp_ne_u32_e32 vcc, 0, v64
	s_nop 1
	v_cndmask_b32_e32 v64, 28, v64, vcc
; %bb.459:
	s_andn2_saveexec_b64 s[0:1], s[0:1]
	s_cbranch_execz .LBB104_461
; %bb.460:
	v_div_scale_f32 v65, s[2:3], v62, v62, 1.0
	v_rcp_f32_e32 v66, v65
	v_div_scale_f32 v67, vcc, 1.0, v62, 1.0
	v_fma_f32 v68, -v65, v66, 1.0
	v_fmac_f32_e32 v66, v68, v66
	v_mul_f32_e32 v68, v67, v66
	v_fma_f32 v69, -v65, v68, v67
	v_fmac_f32_e32 v68, v69, v66
	v_fma_f32 v65, -v65, v68, v67
	v_div_fmas_f32 v65, v65, v66, v68
	v_div_fixup_f32 v62, v65, v62, 1.0
.LBB104_461:
	s_or_b64 exec, exec, s[0:1]
	v_cmp_ne_u32_e32 vcc, v63, v60
	s_and_saveexec_b64 s[0:1], vcc
	s_xor_b64 s[0:1], exec, s[0:1]
	s_cbranch_execz .LBB104_467
; %bb.462:
	v_cmp_eq_u32_e32 vcc, 27, v63
	s_and_saveexec_b64 s[2:3], vcc
	s_cbranch_execz .LBB104_466
; %bb.463:
	v_cmp_ne_u32_e32 vcc, 27, v60
	s_xor_b64 s[12:13], s[20:21], -1
	s_and_b64 s[14:15], s[12:13], vcc
	s_and_saveexec_b64 s[12:13], s[14:15]
	s_cbranch_execz .LBB104_465
; %bb.464:
	v_ashrrev_i32_e32 v61, 31, v60
	v_lshl_add_u64 v[66:67], v[60:61], 2, v[4:5]
	global_load_dword v61, v[66:67], off
	global_load_dword v63, v[4:5], off offset:108
	s_waitcnt vmcnt(1)
	global_store_dword v[4:5], v61, off offset:108
	s_waitcnt vmcnt(1)
	global_store_dword v[66:67], v63, off
.LBB104_465:
	s_or_b64 exec, exec, s[12:13]
	v_mov_b32_e32 v61, v60
	v_mov_b32_e32 v63, v60
.LBB104_466:
	s_or_b64 exec, exec, s[2:3]
.LBB104_467:
	s_andn2_saveexec_b64 s[0:1], s[0:1]
	s_cbranch_execz .LBB104_469
; %bb.468:
	v_pk_mov_b32 v[66:67], v[32:33], v[26:27] op_sel:[1,0]
	ds_write2_b32 v59, v66, v67 offset0:28 offset1:29
	v_pk_mov_b32 v[66:67], v[26:27], v[18:19] op_sel:[1,0]
	ds_write2_b32 v59, v66, v67 offset0:30 offset1:31
	;; [unrolled: 2-line block ×11, first 2 shown]
	v_pk_mov_b32 v[66:67], v[0:1], v[12:13] op_sel:[1,0]
	v_mov_b32_e32 v63, 27
	ds_write2_b32 v59, v66, v67 offset0:50 offset1:51
	ds_write_b32 v59, v13 offset:208
.LBB104_469:
	s_or_b64 exec, exec, s[0:1]
	v_cmp_lt_i32_e32 vcc, 27, v63
	s_waitcnt lgkmcnt(0)
	s_barrier
	s_and_saveexec_b64 s[0:1], vcc
	s_cbranch_execz .LBB104_471
; %bb.470:
	ds_read_b32 v60, v59 offset:112
	ds_read2_b32 v[66:67], v59 offset0:29 offset1:30
	v_mul_f32_e32 v32, v62, v32
	s_waitcnt lgkmcnt(1)
	v_fma_f32 v33, -v32, v60, v33
	s_waitcnt lgkmcnt(0)
	v_pk_fma_f32 v[26:27], v[32:33], v[66:67], v[26:27] op_sel_hi:[0,1,1] neg_lo:[1,0,0] neg_hi:[1,0,0]
	ds_read2_b32 v[66:67], v59 offset0:31 offset1:32
	s_waitcnt lgkmcnt(0)
	v_pk_fma_f32 v[18:19], v[32:33], v[66:67], v[18:19] op_sel_hi:[0,1,1] neg_lo:[1,0,0] neg_hi:[1,0,0]
	ds_read2_b32 v[66:67], v59 offset0:33 offset1:34
	;; [unrolled: 3-line block ×11, first 2 shown]
	s_waitcnt lgkmcnt(0)
	v_pk_fma_f32 v[12:13], v[32:33], v[66:67], v[12:13] op_sel_hi:[0,1,1] neg_lo:[1,0,0] neg_hi:[1,0,0]
.LBB104_471:
	s_or_b64 exec, exec, s[0:1]
	v_lshl_add_u32 v60, v63, 2, v59
	s_barrier
	ds_write_b32 v60, v33
	s_waitcnt lgkmcnt(0)
	s_barrier
	ds_read_b32 v62, v59 offset:112
	s_cmp_lt_i32 s22, 30
	v_mov_b32_e32 v60, 28
	s_cbranch_scc1 .LBB104_474
; %bb.472:
	v_add_u32_e32 v65, 0x74, v59
	v_mov_b32_e32 v60, 28
	s_mov_b32 s0, 29
.LBB104_473:                            ; =>This Inner Loop Header: Depth=1
	ds_read_b32 v66, v65
	v_mov_b32_e32 v67, s0
	s_add_i32 s0, s0, 1
	v_add_u32_e32 v65, 4, v65
	s_cmp_lg_u32 s22, s0
	s_waitcnt lgkmcnt(0)
	v_cmp_lt_f32_e64 vcc, |v62|, |v66|
	s_nop 1
	v_cndmask_b32_e32 v62, v62, v66, vcc
	v_cndmask_b32_e32 v60, v60, v67, vcc
	s_cbranch_scc1 .LBB104_473
.LBB104_474:
	s_waitcnt lgkmcnt(0)
	v_cmp_eq_f32_e32 vcc, 0, v62
	s_and_saveexec_b64 s[0:1], vcc
	s_xor_b64 s[0:1], exec, s[0:1]
; %bb.475:
	v_cmp_ne_u32_e32 vcc, 0, v64
	s_nop 1
	v_cndmask_b32_e32 v64, 29, v64, vcc
; %bb.476:
	s_andn2_saveexec_b64 s[0:1], s[0:1]
	s_cbranch_execz .LBB104_478
; %bb.477:
	v_div_scale_f32 v65, s[2:3], v62, v62, 1.0
	v_rcp_f32_e32 v66, v65
	v_div_scale_f32 v67, vcc, 1.0, v62, 1.0
	v_fma_f32 v68, -v65, v66, 1.0
	v_fmac_f32_e32 v66, v68, v66
	v_mul_f32_e32 v68, v67, v66
	v_fma_f32 v69, -v65, v68, v67
	v_fmac_f32_e32 v68, v69, v66
	v_fma_f32 v65, -v65, v68, v67
	v_div_fmas_f32 v65, v65, v66, v68
	v_div_fixup_f32 v62, v65, v62, 1.0
.LBB104_478:
	s_or_b64 exec, exec, s[0:1]
	v_cmp_ne_u32_e32 vcc, v63, v60
	s_and_saveexec_b64 s[0:1], vcc
	s_xor_b64 s[0:1], exec, s[0:1]
	s_cbranch_execz .LBB104_484
; %bb.479:
	v_cmp_eq_u32_e32 vcc, 28, v63
	s_and_saveexec_b64 s[2:3], vcc
	s_cbranch_execz .LBB104_483
; %bb.480:
	v_cmp_ne_u32_e32 vcc, 28, v60
	s_xor_b64 s[12:13], s[20:21], -1
	s_and_b64 s[14:15], s[12:13], vcc
	s_and_saveexec_b64 s[12:13], s[14:15]
	s_cbranch_execz .LBB104_482
; %bb.481:
	v_ashrrev_i32_e32 v61, 31, v60
	v_lshl_add_u64 v[66:67], v[60:61], 2, v[4:5]
	global_load_dword v61, v[66:67], off
	global_load_dword v63, v[4:5], off offset:112
	s_waitcnt vmcnt(1)
	global_store_dword v[4:5], v61, off offset:112
	s_waitcnt vmcnt(1)
	global_store_dword v[66:67], v63, off
.LBB104_482:
	s_or_b64 exec, exec, s[12:13]
	v_mov_b32_e32 v61, v60
	v_mov_b32_e32 v63, v60
.LBB104_483:
	s_or_b64 exec, exec, s[2:3]
.LBB104_484:
	s_andn2_saveexec_b64 s[0:1], s[0:1]
	s_cbranch_execz .LBB104_486
; %bb.485:
	v_mov_b32_e32 v63, 28
	ds_write2_b32 v59, v26, v27 offset0:29 offset1:30
	ds_write2_b32 v59, v18, v19 offset0:31 offset1:32
	;; [unrolled: 1-line block ×12, first 2 shown]
.LBB104_486:
	s_or_b64 exec, exec, s[0:1]
	v_cmp_lt_i32_e32 vcc, 28, v63
	s_waitcnt lgkmcnt(0)
	s_barrier
	s_and_saveexec_b64 s[0:1], vcc
	s_cbranch_execz .LBB104_488
; %bb.487:
	ds_read2_b32 v[66:67], v59 offset0:29 offset1:30
	v_mul_f32_e32 v60, v62, v33
	v_mov_b32_e32 v33, v60
	s_waitcnt lgkmcnt(0)
	v_pk_fma_f32 v[26:27], v[60:61], v[66:67], v[26:27] op_sel_hi:[0,1,1] neg_lo:[1,0,0] neg_hi:[1,0,0]
	ds_read2_b32 v[66:67], v59 offset0:31 offset1:32
	s_waitcnt lgkmcnt(0)
	v_pk_fma_f32 v[18:19], v[60:61], v[66:67], v[18:19] op_sel_hi:[0,1,1] neg_lo:[1,0,0] neg_hi:[1,0,0]
	ds_read2_b32 v[66:67], v59 offset0:33 offset1:34
	;; [unrolled: 3-line block ×11, first 2 shown]
	s_waitcnt lgkmcnt(0)
	v_pk_fma_f32 v[12:13], v[60:61], v[66:67], v[12:13] op_sel_hi:[0,1,1] neg_lo:[1,0,0] neg_hi:[1,0,0]
.LBB104_488:
	s_or_b64 exec, exec, s[0:1]
	v_lshl_add_u32 v60, v63, 2, v59
	s_barrier
	ds_write_b32 v60, v26
	s_waitcnt lgkmcnt(0)
	s_barrier
	ds_read_b32 v62, v59 offset:116
	s_cmp_lt_i32 s22, 31
	v_mov_b32_e32 v60, 29
	s_cbranch_scc1 .LBB104_491
; %bb.489:
	v_add_u32_e32 v65, 0x78, v59
	v_mov_b32_e32 v60, 29
	s_mov_b32 s0, 30
.LBB104_490:                            ; =>This Inner Loop Header: Depth=1
	ds_read_b32 v66, v65
	v_mov_b32_e32 v67, s0
	s_add_i32 s0, s0, 1
	v_add_u32_e32 v65, 4, v65
	s_cmp_lg_u32 s22, s0
	s_waitcnt lgkmcnt(0)
	v_cmp_lt_f32_e64 vcc, |v62|, |v66|
	s_nop 1
	v_cndmask_b32_e32 v62, v62, v66, vcc
	v_cndmask_b32_e32 v60, v60, v67, vcc
	s_cbranch_scc1 .LBB104_490
.LBB104_491:
	s_waitcnt lgkmcnt(0)
	v_cmp_eq_f32_e32 vcc, 0, v62
	s_and_saveexec_b64 s[0:1], vcc
	s_xor_b64 s[0:1], exec, s[0:1]
; %bb.492:
	v_cmp_ne_u32_e32 vcc, 0, v64
	s_nop 1
	v_cndmask_b32_e32 v64, 30, v64, vcc
; %bb.493:
	s_andn2_saveexec_b64 s[0:1], s[0:1]
	s_cbranch_execz .LBB104_495
; %bb.494:
	v_div_scale_f32 v65, s[2:3], v62, v62, 1.0
	v_rcp_f32_e32 v66, v65
	v_div_scale_f32 v67, vcc, 1.0, v62, 1.0
	v_fma_f32 v68, -v65, v66, 1.0
	v_fmac_f32_e32 v66, v68, v66
	v_mul_f32_e32 v68, v67, v66
	v_fma_f32 v69, -v65, v68, v67
	v_fmac_f32_e32 v68, v69, v66
	v_fma_f32 v65, -v65, v68, v67
	v_div_fmas_f32 v65, v65, v66, v68
	v_div_fixup_f32 v62, v65, v62, 1.0
.LBB104_495:
	s_or_b64 exec, exec, s[0:1]
	v_cmp_ne_u32_e32 vcc, v63, v60
	s_and_saveexec_b64 s[0:1], vcc
	s_xor_b64 s[0:1], exec, s[0:1]
	s_cbranch_execz .LBB104_501
; %bb.496:
	v_cmp_eq_u32_e32 vcc, 29, v63
	s_and_saveexec_b64 s[2:3], vcc
	s_cbranch_execz .LBB104_500
; %bb.497:
	v_cmp_ne_u32_e32 vcc, 29, v60
	s_xor_b64 s[12:13], s[20:21], -1
	s_and_b64 s[14:15], s[12:13], vcc
	s_and_saveexec_b64 s[12:13], s[14:15]
	s_cbranch_execz .LBB104_499
; %bb.498:
	v_ashrrev_i32_e32 v61, 31, v60
	v_lshl_add_u64 v[66:67], v[60:61], 2, v[4:5]
	global_load_dword v61, v[66:67], off
	global_load_dword v63, v[4:5], off offset:116
	s_waitcnt vmcnt(1)
	global_store_dword v[4:5], v61, off offset:116
	s_waitcnt vmcnt(1)
	global_store_dword v[66:67], v63, off
.LBB104_499:
	s_or_b64 exec, exec, s[12:13]
	v_mov_b32_e32 v61, v60
	v_mov_b32_e32 v63, v60
.LBB104_500:
	s_or_b64 exec, exec, s[2:3]
.LBB104_501:
	s_andn2_saveexec_b64 s[0:1], s[0:1]
	s_cbranch_execz .LBB104_503
; %bb.502:
	v_pk_mov_b32 v[66:67], v[26:27], v[18:19] op_sel:[1,0]
	ds_write2_b32 v59, v66, v67 offset0:30 offset1:31
	v_pk_mov_b32 v[66:67], v[18:19], v[34:35] op_sel:[1,0]
	ds_write2_b32 v59, v66, v67 offset0:32 offset1:33
	;; [unrolled: 2-line block ×10, first 2 shown]
	v_pk_mov_b32 v[66:67], v[0:1], v[12:13] op_sel:[1,0]
	v_mov_b32_e32 v63, 29
	ds_write2_b32 v59, v66, v67 offset0:50 offset1:51
	ds_write_b32 v59, v13 offset:208
.LBB104_503:
	s_or_b64 exec, exec, s[0:1]
	v_cmp_lt_i32_e32 vcc, 29, v63
	s_waitcnt lgkmcnt(0)
	s_barrier
	s_and_saveexec_b64 s[0:1], vcc
	s_cbranch_execz .LBB104_505
; %bb.504:
	ds_read_b32 v60, v59 offset:120
	ds_read2_b32 v[66:67], v59 offset0:31 offset1:32
	v_mul_f32_e32 v26, v62, v26
	s_waitcnt lgkmcnt(1)
	v_fma_f32 v27, -v26, v60, v27
	s_waitcnt lgkmcnt(0)
	v_pk_fma_f32 v[18:19], v[26:27], v[66:67], v[18:19] op_sel_hi:[0,1,1] neg_lo:[1,0,0] neg_hi:[1,0,0]
	ds_read2_b32 v[66:67], v59 offset0:33 offset1:34
	s_waitcnt lgkmcnt(0)
	v_pk_fma_f32 v[34:35], v[26:27], v[66:67], v[34:35] op_sel_hi:[0,1,1] neg_lo:[1,0,0] neg_hi:[1,0,0]
	ds_read2_b32 v[66:67], v59 offset0:35 offset1:36
	;; [unrolled: 3-line block ×10, first 2 shown]
	s_waitcnt lgkmcnt(0)
	v_pk_fma_f32 v[12:13], v[26:27], v[66:67], v[12:13] op_sel_hi:[0,1,1] neg_lo:[1,0,0] neg_hi:[1,0,0]
.LBB104_505:
	s_or_b64 exec, exec, s[0:1]
	v_lshl_add_u32 v60, v63, 2, v59
	s_barrier
	ds_write_b32 v60, v27
	s_waitcnt lgkmcnt(0)
	s_barrier
	ds_read_b32 v62, v59 offset:120
	s_cmp_lt_i32 s22, 32
	v_mov_b32_e32 v60, 30
	s_cbranch_scc1 .LBB104_508
; %bb.506:
	v_add_u32_e32 v65, 0x7c, v59
	v_mov_b32_e32 v60, 30
	s_mov_b32 s0, 31
.LBB104_507:                            ; =>This Inner Loop Header: Depth=1
	ds_read_b32 v66, v65
	v_mov_b32_e32 v67, s0
	s_add_i32 s0, s0, 1
	v_add_u32_e32 v65, 4, v65
	s_cmp_lg_u32 s22, s0
	s_waitcnt lgkmcnt(0)
	v_cmp_lt_f32_e64 vcc, |v62|, |v66|
	s_nop 1
	v_cndmask_b32_e32 v62, v62, v66, vcc
	v_cndmask_b32_e32 v60, v60, v67, vcc
	s_cbranch_scc1 .LBB104_507
.LBB104_508:
	s_waitcnt lgkmcnt(0)
	v_cmp_eq_f32_e32 vcc, 0, v62
	s_and_saveexec_b64 s[0:1], vcc
	s_xor_b64 s[0:1], exec, s[0:1]
; %bb.509:
	v_cmp_ne_u32_e32 vcc, 0, v64
	s_nop 1
	v_cndmask_b32_e32 v64, 31, v64, vcc
; %bb.510:
	s_andn2_saveexec_b64 s[0:1], s[0:1]
	s_cbranch_execz .LBB104_512
; %bb.511:
	v_div_scale_f32 v65, s[2:3], v62, v62, 1.0
	v_rcp_f32_e32 v66, v65
	v_div_scale_f32 v67, vcc, 1.0, v62, 1.0
	v_fma_f32 v68, -v65, v66, 1.0
	v_fmac_f32_e32 v66, v68, v66
	v_mul_f32_e32 v68, v67, v66
	v_fma_f32 v69, -v65, v68, v67
	v_fmac_f32_e32 v68, v69, v66
	v_fma_f32 v65, -v65, v68, v67
	v_div_fmas_f32 v65, v65, v66, v68
	v_div_fixup_f32 v62, v65, v62, 1.0
.LBB104_512:
	s_or_b64 exec, exec, s[0:1]
	v_cmp_ne_u32_e32 vcc, v63, v60
	s_and_saveexec_b64 s[0:1], vcc
	s_xor_b64 s[0:1], exec, s[0:1]
	s_cbranch_execz .LBB104_518
; %bb.513:
	v_cmp_eq_u32_e32 vcc, 30, v63
	s_and_saveexec_b64 s[2:3], vcc
	s_cbranch_execz .LBB104_517
; %bb.514:
	v_cmp_ne_u32_e32 vcc, 30, v60
	s_xor_b64 s[12:13], s[20:21], -1
	s_and_b64 s[14:15], s[12:13], vcc
	s_and_saveexec_b64 s[12:13], s[14:15]
	s_cbranch_execz .LBB104_516
; %bb.515:
	v_ashrrev_i32_e32 v61, 31, v60
	v_lshl_add_u64 v[66:67], v[60:61], 2, v[4:5]
	global_load_dword v61, v[66:67], off
	global_load_dword v63, v[4:5], off offset:120
	s_waitcnt vmcnt(1)
	global_store_dword v[4:5], v61, off offset:120
	s_waitcnt vmcnt(1)
	global_store_dword v[66:67], v63, off
.LBB104_516:
	s_or_b64 exec, exec, s[12:13]
	v_mov_b32_e32 v61, v60
	v_mov_b32_e32 v63, v60
.LBB104_517:
	s_or_b64 exec, exec, s[2:3]
.LBB104_518:
	s_andn2_saveexec_b64 s[0:1], s[0:1]
	s_cbranch_execz .LBB104_520
; %bb.519:
	v_mov_b32_e32 v63, 30
	ds_write2_b32 v59, v18, v19 offset0:31 offset1:32
	ds_write2_b32 v59, v34, v35 offset0:33 offset1:34
	;; [unrolled: 1-line block ×11, first 2 shown]
.LBB104_520:
	s_or_b64 exec, exec, s[0:1]
	v_cmp_lt_i32_e32 vcc, 30, v63
	s_waitcnt lgkmcnt(0)
	s_barrier
	s_and_saveexec_b64 s[0:1], vcc
	s_cbranch_execz .LBB104_522
; %bb.521:
	ds_read2_b32 v[66:67], v59 offset0:31 offset1:32
	v_mul_f32_e32 v60, v62, v27
	v_mov_b32_e32 v27, v60
	s_waitcnt lgkmcnt(0)
	v_pk_fma_f32 v[18:19], v[60:61], v[66:67], v[18:19] op_sel_hi:[0,1,1] neg_lo:[1,0,0] neg_hi:[1,0,0]
	ds_read2_b32 v[66:67], v59 offset0:33 offset1:34
	s_waitcnt lgkmcnt(0)
	v_pk_fma_f32 v[34:35], v[60:61], v[66:67], v[34:35] op_sel_hi:[0,1,1] neg_lo:[1,0,0] neg_hi:[1,0,0]
	ds_read2_b32 v[66:67], v59 offset0:35 offset1:36
	;; [unrolled: 3-line block ×10, first 2 shown]
	s_waitcnt lgkmcnt(0)
	v_pk_fma_f32 v[12:13], v[60:61], v[66:67], v[12:13] op_sel_hi:[0,1,1] neg_lo:[1,0,0] neg_hi:[1,0,0]
.LBB104_522:
	s_or_b64 exec, exec, s[0:1]
	v_lshl_add_u32 v60, v63, 2, v59
	s_barrier
	ds_write_b32 v60, v18
	s_waitcnt lgkmcnt(0)
	s_barrier
	ds_read_b32 v62, v59 offset:124
	s_cmp_lt_i32 s22, 33
	v_mov_b32_e32 v60, 31
	s_cbranch_scc1 .LBB104_525
; %bb.523:
	v_add_u32_e32 v65, 0x80, v59
	v_mov_b32_e32 v60, 31
	s_mov_b32 s0, 32
.LBB104_524:                            ; =>This Inner Loop Header: Depth=1
	ds_read_b32 v66, v65
	v_mov_b32_e32 v67, s0
	s_add_i32 s0, s0, 1
	v_add_u32_e32 v65, 4, v65
	s_cmp_lg_u32 s22, s0
	s_waitcnt lgkmcnt(0)
	v_cmp_lt_f32_e64 vcc, |v62|, |v66|
	s_nop 1
	v_cndmask_b32_e32 v62, v62, v66, vcc
	v_cndmask_b32_e32 v60, v60, v67, vcc
	s_cbranch_scc1 .LBB104_524
.LBB104_525:
	s_waitcnt lgkmcnt(0)
	v_cmp_eq_f32_e32 vcc, 0, v62
	s_and_saveexec_b64 s[0:1], vcc
	s_xor_b64 s[0:1], exec, s[0:1]
; %bb.526:
	v_cmp_ne_u32_e32 vcc, 0, v64
	s_nop 1
	v_cndmask_b32_e32 v64, 32, v64, vcc
; %bb.527:
	s_andn2_saveexec_b64 s[0:1], s[0:1]
	s_cbranch_execz .LBB104_529
; %bb.528:
	v_div_scale_f32 v65, s[2:3], v62, v62, 1.0
	v_rcp_f32_e32 v66, v65
	v_div_scale_f32 v67, vcc, 1.0, v62, 1.0
	v_fma_f32 v68, -v65, v66, 1.0
	v_fmac_f32_e32 v66, v68, v66
	v_mul_f32_e32 v68, v67, v66
	v_fma_f32 v69, -v65, v68, v67
	v_fmac_f32_e32 v68, v69, v66
	v_fma_f32 v65, -v65, v68, v67
	v_div_fmas_f32 v65, v65, v66, v68
	v_div_fixup_f32 v62, v65, v62, 1.0
.LBB104_529:
	s_or_b64 exec, exec, s[0:1]
	v_cmp_ne_u32_e32 vcc, v63, v60
	s_and_saveexec_b64 s[0:1], vcc
	s_xor_b64 s[0:1], exec, s[0:1]
	s_cbranch_execz .LBB104_535
; %bb.530:
	v_cmp_eq_u32_e32 vcc, 31, v63
	s_and_saveexec_b64 s[2:3], vcc
	s_cbranch_execz .LBB104_534
; %bb.531:
	v_cmp_ne_u32_e32 vcc, 31, v60
	s_xor_b64 s[12:13], s[20:21], -1
	s_and_b64 s[14:15], s[12:13], vcc
	s_and_saveexec_b64 s[12:13], s[14:15]
	s_cbranch_execz .LBB104_533
; %bb.532:
	v_ashrrev_i32_e32 v61, 31, v60
	v_lshl_add_u64 v[66:67], v[60:61], 2, v[4:5]
	global_load_dword v61, v[66:67], off
	global_load_dword v63, v[4:5], off offset:124
	s_waitcnt vmcnt(1)
	global_store_dword v[4:5], v61, off offset:124
	s_waitcnt vmcnt(1)
	global_store_dword v[66:67], v63, off
.LBB104_533:
	s_or_b64 exec, exec, s[12:13]
	v_mov_b32_e32 v61, v60
	v_mov_b32_e32 v63, v60
.LBB104_534:
	s_or_b64 exec, exec, s[2:3]
.LBB104_535:
	s_andn2_saveexec_b64 s[0:1], s[0:1]
	s_cbranch_execz .LBB104_537
; %bb.536:
	v_pk_mov_b32 v[66:67], v[18:19], v[34:35] op_sel:[1,0]
	ds_write2_b32 v59, v66, v67 offset0:32 offset1:33
	v_pk_mov_b32 v[66:67], v[34:35], v[28:29] op_sel:[1,0]
	ds_write2_b32 v59, v66, v67 offset0:34 offset1:35
	;; [unrolled: 2-line block ×9, first 2 shown]
	v_pk_mov_b32 v[66:67], v[0:1], v[12:13] op_sel:[1,0]
	v_mov_b32_e32 v63, 31
	ds_write2_b32 v59, v66, v67 offset0:50 offset1:51
	ds_write_b32 v59, v13 offset:208
.LBB104_537:
	s_or_b64 exec, exec, s[0:1]
	v_cmp_lt_i32_e32 vcc, 31, v63
	s_waitcnt lgkmcnt(0)
	s_barrier
	s_and_saveexec_b64 s[0:1], vcc
	s_cbranch_execz .LBB104_539
; %bb.538:
	ds_read_b32 v60, v59 offset:128
	ds_read2_b32 v[66:67], v59 offset0:33 offset1:34
	v_mul_f32_e32 v18, v62, v18
	s_waitcnt lgkmcnt(1)
	v_fma_f32 v19, -v18, v60, v19
	s_waitcnt lgkmcnt(0)
	v_pk_fma_f32 v[34:35], v[18:19], v[66:67], v[34:35] op_sel_hi:[0,1,1] neg_lo:[1,0,0] neg_hi:[1,0,0]
	ds_read2_b32 v[66:67], v59 offset0:35 offset1:36
	s_waitcnt lgkmcnt(0)
	v_pk_fma_f32 v[28:29], v[18:19], v[66:67], v[28:29] op_sel_hi:[0,1,1] neg_lo:[1,0,0] neg_hi:[1,0,0]
	ds_read2_b32 v[66:67], v59 offset0:37 offset1:38
	;; [unrolled: 3-line block ×9, first 2 shown]
	s_waitcnt lgkmcnt(0)
	v_pk_fma_f32 v[12:13], v[18:19], v[66:67], v[12:13] op_sel_hi:[0,1,1] neg_lo:[1,0,0] neg_hi:[1,0,0]
.LBB104_539:
	s_or_b64 exec, exec, s[0:1]
	v_lshl_add_u32 v60, v63, 2, v59
	s_barrier
	ds_write_b32 v60, v19
	s_waitcnt lgkmcnt(0)
	s_barrier
	ds_read_b32 v62, v59 offset:128
	s_cmp_lt_i32 s22, 34
	v_mov_b32_e32 v60, 32
	s_cbranch_scc1 .LBB104_542
; %bb.540:
	v_add_u32_e32 v65, 0x84, v59
	v_mov_b32_e32 v60, 32
	s_mov_b32 s0, 33
.LBB104_541:                            ; =>This Inner Loop Header: Depth=1
	ds_read_b32 v66, v65
	v_mov_b32_e32 v67, s0
	s_add_i32 s0, s0, 1
	v_add_u32_e32 v65, 4, v65
	s_cmp_lg_u32 s22, s0
	s_waitcnt lgkmcnt(0)
	v_cmp_lt_f32_e64 vcc, |v62|, |v66|
	s_nop 1
	v_cndmask_b32_e32 v62, v62, v66, vcc
	v_cndmask_b32_e32 v60, v60, v67, vcc
	s_cbranch_scc1 .LBB104_541
.LBB104_542:
	s_waitcnt lgkmcnt(0)
	v_cmp_eq_f32_e32 vcc, 0, v62
	s_and_saveexec_b64 s[0:1], vcc
	s_xor_b64 s[0:1], exec, s[0:1]
; %bb.543:
	v_cmp_ne_u32_e32 vcc, 0, v64
	s_nop 1
	v_cndmask_b32_e32 v64, 33, v64, vcc
; %bb.544:
	s_andn2_saveexec_b64 s[0:1], s[0:1]
	s_cbranch_execz .LBB104_546
; %bb.545:
	v_div_scale_f32 v65, s[2:3], v62, v62, 1.0
	v_rcp_f32_e32 v66, v65
	v_div_scale_f32 v67, vcc, 1.0, v62, 1.0
	v_fma_f32 v68, -v65, v66, 1.0
	v_fmac_f32_e32 v66, v68, v66
	v_mul_f32_e32 v68, v67, v66
	v_fma_f32 v69, -v65, v68, v67
	v_fmac_f32_e32 v68, v69, v66
	v_fma_f32 v65, -v65, v68, v67
	v_div_fmas_f32 v65, v65, v66, v68
	v_div_fixup_f32 v62, v65, v62, 1.0
.LBB104_546:
	s_or_b64 exec, exec, s[0:1]
	v_cmp_ne_u32_e32 vcc, v63, v60
	s_and_saveexec_b64 s[0:1], vcc
	s_xor_b64 s[0:1], exec, s[0:1]
	s_cbranch_execz .LBB104_552
; %bb.547:
	v_cmp_eq_u32_e32 vcc, 32, v63
	s_and_saveexec_b64 s[2:3], vcc
	s_cbranch_execz .LBB104_551
; %bb.548:
	v_cmp_ne_u32_e32 vcc, 32, v60
	s_xor_b64 s[12:13], s[20:21], -1
	s_and_b64 s[14:15], s[12:13], vcc
	s_and_saveexec_b64 s[12:13], s[14:15]
	s_cbranch_execz .LBB104_550
; %bb.549:
	v_ashrrev_i32_e32 v61, 31, v60
	v_lshl_add_u64 v[66:67], v[60:61], 2, v[4:5]
	global_load_dword v61, v[66:67], off
	global_load_dword v63, v[4:5], off offset:128
	s_waitcnt vmcnt(1)
	global_store_dword v[4:5], v61, off offset:128
	s_waitcnt vmcnt(1)
	global_store_dword v[66:67], v63, off
.LBB104_550:
	s_or_b64 exec, exec, s[12:13]
	v_mov_b32_e32 v61, v60
	v_mov_b32_e32 v63, v60
.LBB104_551:
	s_or_b64 exec, exec, s[2:3]
.LBB104_552:
	s_andn2_saveexec_b64 s[0:1], s[0:1]
	s_cbranch_execz .LBB104_554
; %bb.553:
	v_mov_b32_e32 v63, 32
	ds_write2_b32 v59, v34, v35 offset0:33 offset1:34
	ds_write2_b32 v59, v28, v29 offset0:35 offset1:36
	;; [unrolled: 1-line block ×10, first 2 shown]
.LBB104_554:
	s_or_b64 exec, exec, s[0:1]
	v_cmp_lt_i32_e32 vcc, 32, v63
	s_waitcnt lgkmcnt(0)
	s_barrier
	s_and_saveexec_b64 s[0:1], vcc
	s_cbranch_execz .LBB104_556
; %bb.555:
	ds_read2_b32 v[66:67], v59 offset0:33 offset1:34
	v_mul_f32_e32 v60, v62, v19
	v_mov_b32_e32 v19, v60
	s_waitcnt lgkmcnt(0)
	v_pk_fma_f32 v[34:35], v[60:61], v[66:67], v[34:35] op_sel_hi:[0,1,1] neg_lo:[1,0,0] neg_hi:[1,0,0]
	ds_read2_b32 v[66:67], v59 offset0:35 offset1:36
	s_waitcnt lgkmcnt(0)
	v_pk_fma_f32 v[28:29], v[60:61], v[66:67], v[28:29] op_sel_hi:[0,1,1] neg_lo:[1,0,0] neg_hi:[1,0,0]
	ds_read2_b32 v[66:67], v59 offset0:37 offset1:38
	;; [unrolled: 3-line block ×9, first 2 shown]
	s_waitcnt lgkmcnt(0)
	v_pk_fma_f32 v[12:13], v[60:61], v[66:67], v[12:13] op_sel_hi:[0,1,1] neg_lo:[1,0,0] neg_hi:[1,0,0]
.LBB104_556:
	s_or_b64 exec, exec, s[0:1]
	v_lshl_add_u32 v60, v63, 2, v59
	s_barrier
	ds_write_b32 v60, v34
	s_waitcnt lgkmcnt(0)
	s_barrier
	ds_read_b32 v62, v59 offset:132
	s_cmp_lt_i32 s22, 35
	v_mov_b32_e32 v60, 33
	s_cbranch_scc1 .LBB104_559
; %bb.557:
	v_add_u32_e32 v65, 0x88, v59
	v_mov_b32_e32 v60, 33
	s_mov_b32 s0, 34
.LBB104_558:                            ; =>This Inner Loop Header: Depth=1
	ds_read_b32 v66, v65
	v_mov_b32_e32 v67, s0
	s_add_i32 s0, s0, 1
	v_add_u32_e32 v65, 4, v65
	s_cmp_lg_u32 s22, s0
	s_waitcnt lgkmcnt(0)
	v_cmp_lt_f32_e64 vcc, |v62|, |v66|
	s_nop 1
	v_cndmask_b32_e32 v62, v62, v66, vcc
	v_cndmask_b32_e32 v60, v60, v67, vcc
	s_cbranch_scc1 .LBB104_558
.LBB104_559:
	s_waitcnt lgkmcnt(0)
	v_cmp_eq_f32_e32 vcc, 0, v62
	s_and_saveexec_b64 s[0:1], vcc
	s_xor_b64 s[0:1], exec, s[0:1]
; %bb.560:
	v_cmp_ne_u32_e32 vcc, 0, v64
	s_nop 1
	v_cndmask_b32_e32 v64, 34, v64, vcc
; %bb.561:
	s_andn2_saveexec_b64 s[0:1], s[0:1]
	s_cbranch_execz .LBB104_563
; %bb.562:
	v_div_scale_f32 v65, s[2:3], v62, v62, 1.0
	v_rcp_f32_e32 v66, v65
	v_div_scale_f32 v67, vcc, 1.0, v62, 1.0
	v_fma_f32 v68, -v65, v66, 1.0
	v_fmac_f32_e32 v66, v68, v66
	v_mul_f32_e32 v68, v67, v66
	v_fma_f32 v69, -v65, v68, v67
	v_fmac_f32_e32 v68, v69, v66
	v_fma_f32 v65, -v65, v68, v67
	v_div_fmas_f32 v65, v65, v66, v68
	v_div_fixup_f32 v62, v65, v62, 1.0
.LBB104_563:
	s_or_b64 exec, exec, s[0:1]
	v_cmp_ne_u32_e32 vcc, v63, v60
	s_and_saveexec_b64 s[0:1], vcc
	s_xor_b64 s[0:1], exec, s[0:1]
	s_cbranch_execz .LBB104_569
; %bb.564:
	v_cmp_eq_u32_e32 vcc, 33, v63
	s_and_saveexec_b64 s[2:3], vcc
	s_cbranch_execz .LBB104_568
; %bb.565:
	v_cmp_ne_u32_e32 vcc, 33, v60
	s_xor_b64 s[12:13], s[20:21], -1
	s_and_b64 s[14:15], s[12:13], vcc
	s_and_saveexec_b64 s[12:13], s[14:15]
	s_cbranch_execz .LBB104_567
; %bb.566:
	v_ashrrev_i32_e32 v61, 31, v60
	v_lshl_add_u64 v[66:67], v[60:61], 2, v[4:5]
	global_load_dword v61, v[66:67], off
	global_load_dword v63, v[4:5], off offset:132
	s_waitcnt vmcnt(1)
	global_store_dword v[4:5], v61, off offset:132
	s_waitcnt vmcnt(1)
	global_store_dword v[66:67], v63, off
.LBB104_567:
	s_or_b64 exec, exec, s[12:13]
	v_mov_b32_e32 v61, v60
	v_mov_b32_e32 v63, v60
.LBB104_568:
	s_or_b64 exec, exec, s[2:3]
.LBB104_569:
	s_andn2_saveexec_b64 s[0:1], s[0:1]
	s_cbranch_execz .LBB104_571
; %bb.570:
	v_pk_mov_b32 v[66:67], v[34:35], v[28:29] op_sel:[1,0]
	ds_write2_b32 v59, v66, v67 offset0:34 offset1:35
	v_pk_mov_b32 v[66:67], v[28:29], v[20:21] op_sel:[1,0]
	ds_write2_b32 v59, v66, v67 offset0:36 offset1:37
	;; [unrolled: 2-line block ×8, first 2 shown]
	v_pk_mov_b32 v[66:67], v[0:1], v[12:13] op_sel:[1,0]
	v_mov_b32_e32 v63, 33
	ds_write2_b32 v59, v66, v67 offset0:50 offset1:51
	ds_write_b32 v59, v13 offset:208
.LBB104_571:
	s_or_b64 exec, exec, s[0:1]
	v_cmp_lt_i32_e32 vcc, 33, v63
	s_waitcnt lgkmcnt(0)
	s_barrier
	s_and_saveexec_b64 s[0:1], vcc
	s_cbranch_execz .LBB104_573
; %bb.572:
	ds_read_b32 v60, v59 offset:136
	ds_read2_b32 v[66:67], v59 offset0:35 offset1:36
	v_mul_f32_e32 v34, v62, v34
	s_waitcnt lgkmcnt(1)
	v_fma_f32 v35, -v34, v60, v35
	s_waitcnt lgkmcnt(0)
	v_pk_fma_f32 v[28:29], v[34:35], v[66:67], v[28:29] op_sel_hi:[0,1,1] neg_lo:[1,0,0] neg_hi:[1,0,0]
	ds_read2_b32 v[66:67], v59 offset0:37 offset1:38
	s_waitcnt lgkmcnt(0)
	v_pk_fma_f32 v[20:21], v[34:35], v[66:67], v[20:21] op_sel_hi:[0,1,1] neg_lo:[1,0,0] neg_hi:[1,0,0]
	ds_read2_b32 v[66:67], v59 offset0:39 offset1:40
	;; [unrolled: 3-line block ×8, first 2 shown]
	s_waitcnt lgkmcnt(0)
	v_pk_fma_f32 v[12:13], v[34:35], v[66:67], v[12:13] op_sel_hi:[0,1,1] neg_lo:[1,0,0] neg_hi:[1,0,0]
.LBB104_573:
	s_or_b64 exec, exec, s[0:1]
	v_lshl_add_u32 v60, v63, 2, v59
	s_barrier
	ds_write_b32 v60, v35
	s_waitcnt lgkmcnt(0)
	s_barrier
	ds_read_b32 v62, v59 offset:136
	s_cmp_lt_i32 s22, 36
	v_mov_b32_e32 v60, 34
	s_cbranch_scc1 .LBB104_576
; %bb.574:
	v_add_u32_e32 v65, 0x8c, v59
	v_mov_b32_e32 v60, 34
	s_mov_b32 s0, 35
.LBB104_575:                            ; =>This Inner Loop Header: Depth=1
	ds_read_b32 v66, v65
	v_mov_b32_e32 v67, s0
	s_add_i32 s0, s0, 1
	v_add_u32_e32 v65, 4, v65
	s_cmp_lg_u32 s22, s0
	s_waitcnt lgkmcnt(0)
	v_cmp_lt_f32_e64 vcc, |v62|, |v66|
	s_nop 1
	v_cndmask_b32_e32 v62, v62, v66, vcc
	v_cndmask_b32_e32 v60, v60, v67, vcc
	s_cbranch_scc1 .LBB104_575
.LBB104_576:
	s_waitcnt lgkmcnt(0)
	v_cmp_eq_f32_e32 vcc, 0, v62
	s_and_saveexec_b64 s[0:1], vcc
	s_xor_b64 s[0:1], exec, s[0:1]
; %bb.577:
	v_cmp_ne_u32_e32 vcc, 0, v64
	s_nop 1
	v_cndmask_b32_e32 v64, 35, v64, vcc
; %bb.578:
	s_andn2_saveexec_b64 s[0:1], s[0:1]
	s_cbranch_execz .LBB104_580
; %bb.579:
	v_div_scale_f32 v65, s[2:3], v62, v62, 1.0
	v_rcp_f32_e32 v66, v65
	v_div_scale_f32 v67, vcc, 1.0, v62, 1.0
	v_fma_f32 v68, -v65, v66, 1.0
	v_fmac_f32_e32 v66, v68, v66
	v_mul_f32_e32 v68, v67, v66
	v_fma_f32 v69, -v65, v68, v67
	v_fmac_f32_e32 v68, v69, v66
	v_fma_f32 v65, -v65, v68, v67
	v_div_fmas_f32 v65, v65, v66, v68
	v_div_fixup_f32 v62, v65, v62, 1.0
.LBB104_580:
	s_or_b64 exec, exec, s[0:1]
	v_cmp_ne_u32_e32 vcc, v63, v60
	s_and_saveexec_b64 s[0:1], vcc
	s_xor_b64 s[0:1], exec, s[0:1]
	s_cbranch_execz .LBB104_586
; %bb.581:
	v_cmp_eq_u32_e32 vcc, 34, v63
	s_and_saveexec_b64 s[2:3], vcc
	s_cbranch_execz .LBB104_585
; %bb.582:
	v_cmp_ne_u32_e32 vcc, 34, v60
	s_xor_b64 s[12:13], s[20:21], -1
	s_and_b64 s[14:15], s[12:13], vcc
	s_and_saveexec_b64 s[12:13], s[14:15]
	s_cbranch_execz .LBB104_584
; %bb.583:
	v_ashrrev_i32_e32 v61, 31, v60
	v_lshl_add_u64 v[66:67], v[60:61], 2, v[4:5]
	global_load_dword v61, v[66:67], off
	global_load_dword v63, v[4:5], off offset:136
	s_waitcnt vmcnt(1)
	global_store_dword v[4:5], v61, off offset:136
	s_waitcnt vmcnt(1)
	global_store_dword v[66:67], v63, off
.LBB104_584:
	s_or_b64 exec, exec, s[12:13]
	v_mov_b32_e32 v61, v60
	v_mov_b32_e32 v63, v60
.LBB104_585:
	s_or_b64 exec, exec, s[2:3]
.LBB104_586:
	s_andn2_saveexec_b64 s[0:1], s[0:1]
	s_cbranch_execz .LBB104_588
; %bb.587:
	v_mov_b32_e32 v63, 34
	ds_write2_b32 v59, v28, v29 offset0:35 offset1:36
	ds_write2_b32 v59, v20, v21 offset0:37 offset1:38
	ds_write2_b32 v59, v10, v11 offset0:39 offset1:40
	ds_write2_b32 v59, v22, v23 offset0:41 offset1:42
	ds_write2_b32 v59, v14, v15 offset0:43 offset1:44
	ds_write2_b32 v59, v16, v17 offset0:45 offset1:46
	ds_write2_b32 v59, v8, v9 offset0:47 offset1:48
	ds_write2_b32 v59, v0, v1 offset0:49 offset1:50
	ds_write2_b32 v59, v12, v13 offset0:51 offset1:52
.LBB104_588:
	s_or_b64 exec, exec, s[0:1]
	v_cmp_lt_i32_e32 vcc, 34, v63
	s_waitcnt lgkmcnt(0)
	s_barrier
	s_and_saveexec_b64 s[0:1], vcc
	s_cbranch_execz .LBB104_590
; %bb.589:
	ds_read2_b32 v[66:67], v59 offset0:35 offset1:36
	v_mul_f32_e32 v60, v62, v35
	v_mov_b32_e32 v35, v60
	s_waitcnt lgkmcnt(0)
	v_pk_fma_f32 v[28:29], v[60:61], v[66:67], v[28:29] op_sel_hi:[0,1,1] neg_lo:[1,0,0] neg_hi:[1,0,0]
	ds_read2_b32 v[66:67], v59 offset0:37 offset1:38
	s_waitcnt lgkmcnt(0)
	v_pk_fma_f32 v[20:21], v[60:61], v[66:67], v[20:21] op_sel_hi:[0,1,1] neg_lo:[1,0,0] neg_hi:[1,0,0]
	ds_read2_b32 v[66:67], v59 offset0:39 offset1:40
	;; [unrolled: 3-line block ×8, first 2 shown]
	s_waitcnt lgkmcnt(0)
	v_pk_fma_f32 v[12:13], v[60:61], v[66:67], v[12:13] op_sel_hi:[0,1,1] neg_lo:[1,0,0] neg_hi:[1,0,0]
.LBB104_590:
	s_or_b64 exec, exec, s[0:1]
	v_lshl_add_u32 v60, v63, 2, v59
	s_barrier
	ds_write_b32 v60, v28
	s_waitcnt lgkmcnt(0)
	s_barrier
	ds_read_b32 v62, v59 offset:140
	s_cmp_lt_i32 s22, 37
	v_mov_b32_e32 v60, 35
	s_cbranch_scc1 .LBB104_593
; %bb.591:
	v_add_u32_e32 v65, 0x90, v59
	v_mov_b32_e32 v60, 35
	s_mov_b32 s0, 36
.LBB104_592:                            ; =>This Inner Loop Header: Depth=1
	ds_read_b32 v66, v65
	v_mov_b32_e32 v67, s0
	s_add_i32 s0, s0, 1
	v_add_u32_e32 v65, 4, v65
	s_cmp_lg_u32 s22, s0
	s_waitcnt lgkmcnt(0)
	v_cmp_lt_f32_e64 vcc, |v62|, |v66|
	s_nop 1
	v_cndmask_b32_e32 v62, v62, v66, vcc
	v_cndmask_b32_e32 v60, v60, v67, vcc
	s_cbranch_scc1 .LBB104_592
.LBB104_593:
	s_waitcnt lgkmcnt(0)
	v_cmp_eq_f32_e32 vcc, 0, v62
	s_and_saveexec_b64 s[0:1], vcc
	s_xor_b64 s[0:1], exec, s[0:1]
; %bb.594:
	v_cmp_ne_u32_e32 vcc, 0, v64
	s_nop 1
	v_cndmask_b32_e32 v64, 36, v64, vcc
; %bb.595:
	s_andn2_saveexec_b64 s[0:1], s[0:1]
	s_cbranch_execz .LBB104_597
; %bb.596:
	v_div_scale_f32 v65, s[2:3], v62, v62, 1.0
	v_rcp_f32_e32 v66, v65
	v_div_scale_f32 v67, vcc, 1.0, v62, 1.0
	v_fma_f32 v68, -v65, v66, 1.0
	v_fmac_f32_e32 v66, v68, v66
	v_mul_f32_e32 v68, v67, v66
	v_fma_f32 v69, -v65, v68, v67
	v_fmac_f32_e32 v68, v69, v66
	v_fma_f32 v65, -v65, v68, v67
	v_div_fmas_f32 v65, v65, v66, v68
	v_div_fixup_f32 v62, v65, v62, 1.0
.LBB104_597:
	s_or_b64 exec, exec, s[0:1]
	v_cmp_ne_u32_e32 vcc, v63, v60
	s_and_saveexec_b64 s[0:1], vcc
	s_xor_b64 s[0:1], exec, s[0:1]
	s_cbranch_execz .LBB104_603
; %bb.598:
	v_cmp_eq_u32_e32 vcc, 35, v63
	s_and_saveexec_b64 s[2:3], vcc
	s_cbranch_execz .LBB104_602
; %bb.599:
	v_cmp_ne_u32_e32 vcc, 35, v60
	s_xor_b64 s[12:13], s[20:21], -1
	s_and_b64 s[14:15], s[12:13], vcc
	s_and_saveexec_b64 s[12:13], s[14:15]
	s_cbranch_execz .LBB104_601
; %bb.600:
	v_ashrrev_i32_e32 v61, 31, v60
	v_lshl_add_u64 v[66:67], v[60:61], 2, v[4:5]
	global_load_dword v61, v[66:67], off
	global_load_dword v63, v[4:5], off offset:140
	s_waitcnt vmcnt(1)
	global_store_dword v[4:5], v61, off offset:140
	s_waitcnt vmcnt(1)
	global_store_dword v[66:67], v63, off
.LBB104_601:
	s_or_b64 exec, exec, s[12:13]
	v_mov_b32_e32 v61, v60
	v_mov_b32_e32 v63, v60
.LBB104_602:
	s_or_b64 exec, exec, s[2:3]
.LBB104_603:
	s_andn2_saveexec_b64 s[0:1], s[0:1]
	s_cbranch_execz .LBB104_605
; %bb.604:
	v_pk_mov_b32 v[66:67], v[28:29], v[20:21] op_sel:[1,0]
	ds_write2_b32 v59, v66, v67 offset0:36 offset1:37
	v_pk_mov_b32 v[66:67], v[20:21], v[10:11] op_sel:[1,0]
	ds_write2_b32 v59, v66, v67 offset0:38 offset1:39
	;; [unrolled: 2-line block ×7, first 2 shown]
	v_pk_mov_b32 v[66:67], v[0:1], v[12:13] op_sel:[1,0]
	v_mov_b32_e32 v63, 35
	ds_write2_b32 v59, v66, v67 offset0:50 offset1:51
	ds_write_b32 v59, v13 offset:208
.LBB104_605:
	s_or_b64 exec, exec, s[0:1]
	v_cmp_lt_i32_e32 vcc, 35, v63
	s_waitcnt lgkmcnt(0)
	s_barrier
	s_and_saveexec_b64 s[0:1], vcc
	s_cbranch_execz .LBB104_607
; %bb.606:
	ds_read_b32 v60, v59 offset:144
	ds_read2_b32 v[66:67], v59 offset0:37 offset1:38
	v_mul_f32_e32 v28, v62, v28
	s_waitcnt lgkmcnt(1)
	v_fma_f32 v29, -v28, v60, v29
	s_waitcnt lgkmcnt(0)
	v_pk_fma_f32 v[20:21], v[28:29], v[66:67], v[20:21] op_sel_hi:[0,1,1] neg_lo:[1,0,0] neg_hi:[1,0,0]
	ds_read2_b32 v[66:67], v59 offset0:39 offset1:40
	s_waitcnt lgkmcnt(0)
	v_pk_fma_f32 v[10:11], v[28:29], v[66:67], v[10:11] op_sel_hi:[0,1,1] neg_lo:[1,0,0] neg_hi:[1,0,0]
	ds_read2_b32 v[66:67], v59 offset0:41 offset1:42
	;; [unrolled: 3-line block ×7, first 2 shown]
	s_waitcnt lgkmcnt(0)
	v_pk_fma_f32 v[12:13], v[28:29], v[66:67], v[12:13] op_sel_hi:[0,1,1] neg_lo:[1,0,0] neg_hi:[1,0,0]
.LBB104_607:
	s_or_b64 exec, exec, s[0:1]
	v_lshl_add_u32 v60, v63, 2, v59
	s_barrier
	ds_write_b32 v60, v29
	s_waitcnt lgkmcnt(0)
	s_barrier
	ds_read_b32 v62, v59 offset:144
	s_cmp_lt_i32 s22, 38
	v_mov_b32_e32 v60, 36
	s_cbranch_scc1 .LBB104_610
; %bb.608:
	v_add_u32_e32 v65, 0x94, v59
	v_mov_b32_e32 v60, 36
	s_mov_b32 s0, 37
.LBB104_609:                            ; =>This Inner Loop Header: Depth=1
	ds_read_b32 v66, v65
	v_mov_b32_e32 v67, s0
	s_add_i32 s0, s0, 1
	v_add_u32_e32 v65, 4, v65
	s_cmp_lg_u32 s22, s0
	s_waitcnt lgkmcnt(0)
	v_cmp_lt_f32_e64 vcc, |v62|, |v66|
	s_nop 1
	v_cndmask_b32_e32 v62, v62, v66, vcc
	v_cndmask_b32_e32 v60, v60, v67, vcc
	s_cbranch_scc1 .LBB104_609
.LBB104_610:
	s_waitcnt lgkmcnt(0)
	v_cmp_eq_f32_e32 vcc, 0, v62
	s_and_saveexec_b64 s[0:1], vcc
	s_xor_b64 s[0:1], exec, s[0:1]
; %bb.611:
	v_cmp_ne_u32_e32 vcc, 0, v64
	s_nop 1
	v_cndmask_b32_e32 v64, 37, v64, vcc
; %bb.612:
	s_andn2_saveexec_b64 s[0:1], s[0:1]
	s_cbranch_execz .LBB104_614
; %bb.613:
	v_div_scale_f32 v65, s[2:3], v62, v62, 1.0
	v_rcp_f32_e32 v66, v65
	v_div_scale_f32 v67, vcc, 1.0, v62, 1.0
	v_fma_f32 v68, -v65, v66, 1.0
	v_fmac_f32_e32 v66, v68, v66
	v_mul_f32_e32 v68, v67, v66
	v_fma_f32 v69, -v65, v68, v67
	v_fmac_f32_e32 v68, v69, v66
	v_fma_f32 v65, -v65, v68, v67
	v_div_fmas_f32 v65, v65, v66, v68
	v_div_fixup_f32 v62, v65, v62, 1.0
.LBB104_614:
	s_or_b64 exec, exec, s[0:1]
	v_cmp_ne_u32_e32 vcc, v63, v60
	s_and_saveexec_b64 s[0:1], vcc
	s_xor_b64 s[0:1], exec, s[0:1]
	s_cbranch_execz .LBB104_620
; %bb.615:
	v_cmp_eq_u32_e32 vcc, 36, v63
	s_and_saveexec_b64 s[2:3], vcc
	s_cbranch_execz .LBB104_619
; %bb.616:
	v_cmp_ne_u32_e32 vcc, 36, v60
	s_xor_b64 s[12:13], s[20:21], -1
	s_and_b64 s[14:15], s[12:13], vcc
	s_and_saveexec_b64 s[12:13], s[14:15]
	s_cbranch_execz .LBB104_618
; %bb.617:
	v_ashrrev_i32_e32 v61, 31, v60
	v_lshl_add_u64 v[66:67], v[60:61], 2, v[4:5]
	global_load_dword v61, v[66:67], off
	global_load_dword v63, v[4:5], off offset:144
	s_waitcnt vmcnt(1)
	global_store_dword v[4:5], v61, off offset:144
	s_waitcnt vmcnt(1)
	global_store_dword v[66:67], v63, off
.LBB104_618:
	s_or_b64 exec, exec, s[12:13]
	v_mov_b32_e32 v61, v60
	v_mov_b32_e32 v63, v60
.LBB104_619:
	s_or_b64 exec, exec, s[2:3]
.LBB104_620:
	s_andn2_saveexec_b64 s[0:1], s[0:1]
	s_cbranch_execz .LBB104_622
; %bb.621:
	v_mov_b32_e32 v63, 36
	ds_write2_b32 v59, v20, v21 offset0:37 offset1:38
	ds_write2_b32 v59, v10, v11 offset0:39 offset1:40
	;; [unrolled: 1-line block ×8, first 2 shown]
.LBB104_622:
	s_or_b64 exec, exec, s[0:1]
	v_cmp_lt_i32_e32 vcc, 36, v63
	s_waitcnt lgkmcnt(0)
	s_barrier
	s_and_saveexec_b64 s[0:1], vcc
	s_cbranch_execz .LBB104_624
; %bb.623:
	ds_read2_b32 v[66:67], v59 offset0:37 offset1:38
	v_mul_f32_e32 v60, v62, v29
	v_mov_b32_e32 v29, v60
	s_waitcnt lgkmcnt(0)
	v_pk_fma_f32 v[20:21], v[60:61], v[66:67], v[20:21] op_sel_hi:[0,1,1] neg_lo:[1,0,0] neg_hi:[1,0,0]
	ds_read2_b32 v[66:67], v59 offset0:39 offset1:40
	s_waitcnt lgkmcnt(0)
	v_pk_fma_f32 v[10:11], v[60:61], v[66:67], v[10:11] op_sel_hi:[0,1,1] neg_lo:[1,0,0] neg_hi:[1,0,0]
	ds_read2_b32 v[66:67], v59 offset0:41 offset1:42
	;; [unrolled: 3-line block ×7, first 2 shown]
	s_waitcnt lgkmcnt(0)
	v_pk_fma_f32 v[12:13], v[60:61], v[66:67], v[12:13] op_sel_hi:[0,1,1] neg_lo:[1,0,0] neg_hi:[1,0,0]
.LBB104_624:
	s_or_b64 exec, exec, s[0:1]
	v_lshl_add_u32 v60, v63, 2, v59
	s_barrier
	ds_write_b32 v60, v20
	s_waitcnt lgkmcnt(0)
	s_barrier
	ds_read_b32 v62, v59 offset:148
	s_cmp_lt_i32 s22, 39
	v_mov_b32_e32 v60, 37
	s_cbranch_scc1 .LBB104_627
; %bb.625:
	v_add_u32_e32 v65, 0x98, v59
	v_mov_b32_e32 v60, 37
	s_mov_b32 s0, 38
.LBB104_626:                            ; =>This Inner Loop Header: Depth=1
	ds_read_b32 v66, v65
	v_mov_b32_e32 v67, s0
	s_add_i32 s0, s0, 1
	v_add_u32_e32 v65, 4, v65
	s_cmp_lg_u32 s22, s0
	s_waitcnt lgkmcnt(0)
	v_cmp_lt_f32_e64 vcc, |v62|, |v66|
	s_nop 1
	v_cndmask_b32_e32 v62, v62, v66, vcc
	v_cndmask_b32_e32 v60, v60, v67, vcc
	s_cbranch_scc1 .LBB104_626
.LBB104_627:
	s_waitcnt lgkmcnt(0)
	v_cmp_eq_f32_e32 vcc, 0, v62
	s_and_saveexec_b64 s[0:1], vcc
	s_xor_b64 s[0:1], exec, s[0:1]
; %bb.628:
	v_cmp_ne_u32_e32 vcc, 0, v64
	s_nop 1
	v_cndmask_b32_e32 v64, 38, v64, vcc
; %bb.629:
	s_andn2_saveexec_b64 s[0:1], s[0:1]
	s_cbranch_execz .LBB104_631
; %bb.630:
	v_div_scale_f32 v65, s[2:3], v62, v62, 1.0
	v_rcp_f32_e32 v66, v65
	v_div_scale_f32 v67, vcc, 1.0, v62, 1.0
	v_fma_f32 v68, -v65, v66, 1.0
	v_fmac_f32_e32 v66, v68, v66
	v_mul_f32_e32 v68, v67, v66
	v_fma_f32 v69, -v65, v68, v67
	v_fmac_f32_e32 v68, v69, v66
	v_fma_f32 v65, -v65, v68, v67
	v_div_fmas_f32 v65, v65, v66, v68
	v_div_fixup_f32 v62, v65, v62, 1.0
.LBB104_631:
	s_or_b64 exec, exec, s[0:1]
	v_cmp_ne_u32_e32 vcc, v63, v60
	s_and_saveexec_b64 s[0:1], vcc
	s_xor_b64 s[0:1], exec, s[0:1]
	s_cbranch_execz .LBB104_637
; %bb.632:
	v_cmp_eq_u32_e32 vcc, 37, v63
	s_and_saveexec_b64 s[2:3], vcc
	s_cbranch_execz .LBB104_636
; %bb.633:
	v_cmp_ne_u32_e32 vcc, 37, v60
	s_xor_b64 s[12:13], s[20:21], -1
	s_and_b64 s[14:15], s[12:13], vcc
	s_and_saveexec_b64 s[12:13], s[14:15]
	s_cbranch_execz .LBB104_635
; %bb.634:
	v_ashrrev_i32_e32 v61, 31, v60
	v_lshl_add_u64 v[66:67], v[60:61], 2, v[4:5]
	global_load_dword v61, v[66:67], off
	global_load_dword v63, v[4:5], off offset:148
	s_waitcnt vmcnt(1)
	global_store_dword v[4:5], v61, off offset:148
	s_waitcnt vmcnt(1)
	global_store_dword v[66:67], v63, off
.LBB104_635:
	s_or_b64 exec, exec, s[12:13]
	v_mov_b32_e32 v61, v60
	v_mov_b32_e32 v63, v60
.LBB104_636:
	s_or_b64 exec, exec, s[2:3]
.LBB104_637:
	s_andn2_saveexec_b64 s[0:1], s[0:1]
	s_cbranch_execz .LBB104_639
; %bb.638:
	v_pk_mov_b32 v[66:67], v[20:21], v[10:11] op_sel:[1,0]
	ds_write2_b32 v59, v66, v67 offset0:38 offset1:39
	v_pk_mov_b32 v[66:67], v[10:11], v[22:23] op_sel:[1,0]
	ds_write2_b32 v59, v66, v67 offset0:40 offset1:41
	;; [unrolled: 2-line block ×6, first 2 shown]
	v_pk_mov_b32 v[66:67], v[0:1], v[12:13] op_sel:[1,0]
	v_mov_b32_e32 v63, 37
	ds_write2_b32 v59, v66, v67 offset0:50 offset1:51
	ds_write_b32 v59, v13 offset:208
.LBB104_639:
	s_or_b64 exec, exec, s[0:1]
	v_cmp_lt_i32_e32 vcc, 37, v63
	s_waitcnt lgkmcnt(0)
	s_barrier
	s_and_saveexec_b64 s[0:1], vcc
	s_cbranch_execz .LBB104_641
; %bb.640:
	ds_read_b32 v60, v59 offset:152
	ds_read2_b32 v[66:67], v59 offset0:39 offset1:40
	v_mul_f32_e32 v20, v62, v20
	s_waitcnt lgkmcnt(1)
	v_fma_f32 v21, -v20, v60, v21
	s_waitcnt lgkmcnt(0)
	v_pk_fma_f32 v[10:11], v[20:21], v[66:67], v[10:11] op_sel_hi:[0,1,1] neg_lo:[1,0,0] neg_hi:[1,0,0]
	ds_read2_b32 v[66:67], v59 offset0:41 offset1:42
	s_waitcnt lgkmcnt(0)
	v_pk_fma_f32 v[22:23], v[20:21], v[66:67], v[22:23] op_sel_hi:[0,1,1] neg_lo:[1,0,0] neg_hi:[1,0,0]
	ds_read2_b32 v[66:67], v59 offset0:43 offset1:44
	;; [unrolled: 3-line block ×6, first 2 shown]
	s_waitcnt lgkmcnt(0)
	v_pk_fma_f32 v[12:13], v[20:21], v[66:67], v[12:13] op_sel_hi:[0,1,1] neg_lo:[1,0,0] neg_hi:[1,0,0]
.LBB104_641:
	s_or_b64 exec, exec, s[0:1]
	v_lshl_add_u32 v60, v63, 2, v59
	s_barrier
	ds_write_b32 v60, v21
	s_waitcnt lgkmcnt(0)
	s_barrier
	ds_read_b32 v62, v59 offset:152
	s_cmp_lt_i32 s22, 40
	v_mov_b32_e32 v60, 38
	s_cbranch_scc1 .LBB104_644
; %bb.642:
	v_add_u32_e32 v65, 0x9c, v59
	v_mov_b32_e32 v60, 38
	s_mov_b32 s0, 39
.LBB104_643:                            ; =>This Inner Loop Header: Depth=1
	ds_read_b32 v66, v65
	v_mov_b32_e32 v67, s0
	s_add_i32 s0, s0, 1
	v_add_u32_e32 v65, 4, v65
	s_cmp_lg_u32 s22, s0
	s_waitcnt lgkmcnt(0)
	v_cmp_lt_f32_e64 vcc, |v62|, |v66|
	s_nop 1
	v_cndmask_b32_e32 v62, v62, v66, vcc
	v_cndmask_b32_e32 v60, v60, v67, vcc
	s_cbranch_scc1 .LBB104_643
.LBB104_644:
	s_waitcnt lgkmcnt(0)
	v_cmp_eq_f32_e32 vcc, 0, v62
	s_and_saveexec_b64 s[0:1], vcc
	s_xor_b64 s[0:1], exec, s[0:1]
; %bb.645:
	v_cmp_ne_u32_e32 vcc, 0, v64
	s_nop 1
	v_cndmask_b32_e32 v64, 39, v64, vcc
; %bb.646:
	s_andn2_saveexec_b64 s[0:1], s[0:1]
	s_cbranch_execz .LBB104_648
; %bb.647:
	v_div_scale_f32 v65, s[2:3], v62, v62, 1.0
	v_rcp_f32_e32 v66, v65
	v_div_scale_f32 v67, vcc, 1.0, v62, 1.0
	v_fma_f32 v68, -v65, v66, 1.0
	v_fmac_f32_e32 v66, v68, v66
	v_mul_f32_e32 v68, v67, v66
	v_fma_f32 v69, -v65, v68, v67
	v_fmac_f32_e32 v68, v69, v66
	v_fma_f32 v65, -v65, v68, v67
	v_div_fmas_f32 v65, v65, v66, v68
	v_div_fixup_f32 v62, v65, v62, 1.0
.LBB104_648:
	s_or_b64 exec, exec, s[0:1]
	v_cmp_ne_u32_e32 vcc, v63, v60
	s_and_saveexec_b64 s[0:1], vcc
	s_xor_b64 s[0:1], exec, s[0:1]
	s_cbranch_execz .LBB104_654
; %bb.649:
	v_cmp_eq_u32_e32 vcc, 38, v63
	s_and_saveexec_b64 s[2:3], vcc
	s_cbranch_execz .LBB104_653
; %bb.650:
	v_cmp_ne_u32_e32 vcc, 38, v60
	s_xor_b64 s[12:13], s[20:21], -1
	s_and_b64 s[14:15], s[12:13], vcc
	s_and_saveexec_b64 s[12:13], s[14:15]
	s_cbranch_execz .LBB104_652
; %bb.651:
	v_ashrrev_i32_e32 v61, 31, v60
	v_lshl_add_u64 v[66:67], v[60:61], 2, v[4:5]
	global_load_dword v61, v[66:67], off
	global_load_dword v63, v[4:5], off offset:152
	s_waitcnt vmcnt(1)
	global_store_dword v[4:5], v61, off offset:152
	s_waitcnt vmcnt(1)
	global_store_dword v[66:67], v63, off
.LBB104_652:
	s_or_b64 exec, exec, s[12:13]
	v_mov_b32_e32 v61, v60
	v_mov_b32_e32 v63, v60
.LBB104_653:
	s_or_b64 exec, exec, s[2:3]
.LBB104_654:
	s_andn2_saveexec_b64 s[0:1], s[0:1]
	s_cbranch_execz .LBB104_656
; %bb.655:
	v_mov_b32_e32 v63, 38
	ds_write2_b32 v59, v10, v11 offset0:39 offset1:40
	ds_write2_b32 v59, v22, v23 offset0:41 offset1:42
	;; [unrolled: 1-line block ×7, first 2 shown]
.LBB104_656:
	s_or_b64 exec, exec, s[0:1]
	v_cmp_lt_i32_e32 vcc, 38, v63
	s_waitcnt lgkmcnt(0)
	s_barrier
	s_and_saveexec_b64 s[0:1], vcc
	s_cbranch_execz .LBB104_658
; %bb.657:
	ds_read2_b32 v[66:67], v59 offset0:39 offset1:40
	v_mul_f32_e32 v60, v62, v21
	v_mov_b32_e32 v21, v60
	s_waitcnt lgkmcnt(0)
	v_pk_fma_f32 v[10:11], v[60:61], v[66:67], v[10:11] op_sel_hi:[0,1,1] neg_lo:[1,0,0] neg_hi:[1,0,0]
	ds_read2_b32 v[66:67], v59 offset0:41 offset1:42
	s_waitcnt lgkmcnt(0)
	v_pk_fma_f32 v[22:23], v[60:61], v[66:67], v[22:23] op_sel_hi:[0,1,1] neg_lo:[1,0,0] neg_hi:[1,0,0]
	ds_read2_b32 v[66:67], v59 offset0:43 offset1:44
	;; [unrolled: 3-line block ×6, first 2 shown]
	s_waitcnt lgkmcnt(0)
	v_pk_fma_f32 v[12:13], v[60:61], v[66:67], v[12:13] op_sel_hi:[0,1,1] neg_lo:[1,0,0] neg_hi:[1,0,0]
.LBB104_658:
	s_or_b64 exec, exec, s[0:1]
	v_lshl_add_u32 v60, v63, 2, v59
	s_barrier
	ds_write_b32 v60, v10
	s_waitcnt lgkmcnt(0)
	s_barrier
	ds_read_b32 v62, v59 offset:156
	s_cmp_lt_i32 s22, 41
	v_mov_b32_e32 v60, 39
	s_cbranch_scc1 .LBB104_661
; %bb.659:
	v_add_u32_e32 v65, 0xa0, v59
	v_mov_b32_e32 v60, 39
	s_mov_b32 s0, 40
.LBB104_660:                            ; =>This Inner Loop Header: Depth=1
	ds_read_b32 v66, v65
	v_mov_b32_e32 v67, s0
	s_add_i32 s0, s0, 1
	v_add_u32_e32 v65, 4, v65
	s_cmp_lg_u32 s22, s0
	s_waitcnt lgkmcnt(0)
	v_cmp_lt_f32_e64 vcc, |v62|, |v66|
	s_nop 1
	v_cndmask_b32_e32 v62, v62, v66, vcc
	v_cndmask_b32_e32 v60, v60, v67, vcc
	s_cbranch_scc1 .LBB104_660
.LBB104_661:
	s_waitcnt lgkmcnt(0)
	v_cmp_eq_f32_e32 vcc, 0, v62
	s_and_saveexec_b64 s[0:1], vcc
	s_xor_b64 s[0:1], exec, s[0:1]
; %bb.662:
	v_cmp_ne_u32_e32 vcc, 0, v64
	s_nop 1
	v_cndmask_b32_e32 v64, 40, v64, vcc
; %bb.663:
	s_andn2_saveexec_b64 s[0:1], s[0:1]
	s_cbranch_execz .LBB104_665
; %bb.664:
	v_div_scale_f32 v65, s[2:3], v62, v62, 1.0
	v_rcp_f32_e32 v66, v65
	v_div_scale_f32 v67, vcc, 1.0, v62, 1.0
	v_fma_f32 v68, -v65, v66, 1.0
	v_fmac_f32_e32 v66, v68, v66
	v_mul_f32_e32 v68, v67, v66
	v_fma_f32 v69, -v65, v68, v67
	v_fmac_f32_e32 v68, v69, v66
	v_fma_f32 v65, -v65, v68, v67
	v_div_fmas_f32 v65, v65, v66, v68
	v_div_fixup_f32 v62, v65, v62, 1.0
.LBB104_665:
	s_or_b64 exec, exec, s[0:1]
	v_cmp_ne_u32_e32 vcc, v63, v60
	s_and_saveexec_b64 s[0:1], vcc
	s_xor_b64 s[0:1], exec, s[0:1]
	s_cbranch_execz .LBB104_671
; %bb.666:
	v_cmp_eq_u32_e32 vcc, 39, v63
	s_and_saveexec_b64 s[2:3], vcc
	s_cbranch_execz .LBB104_670
; %bb.667:
	v_cmp_ne_u32_e32 vcc, 39, v60
	s_xor_b64 s[12:13], s[20:21], -1
	s_and_b64 s[14:15], s[12:13], vcc
	s_and_saveexec_b64 s[12:13], s[14:15]
	s_cbranch_execz .LBB104_669
; %bb.668:
	v_ashrrev_i32_e32 v61, 31, v60
	v_lshl_add_u64 v[66:67], v[60:61], 2, v[4:5]
	global_load_dword v61, v[66:67], off
	global_load_dword v63, v[4:5], off offset:156
	s_waitcnt vmcnt(1)
	global_store_dword v[4:5], v61, off offset:156
	s_waitcnt vmcnt(1)
	global_store_dword v[66:67], v63, off
.LBB104_669:
	s_or_b64 exec, exec, s[12:13]
	v_mov_b32_e32 v61, v60
	v_mov_b32_e32 v63, v60
.LBB104_670:
	s_or_b64 exec, exec, s[2:3]
.LBB104_671:
	s_andn2_saveexec_b64 s[0:1], s[0:1]
	s_cbranch_execz .LBB104_673
; %bb.672:
	v_pk_mov_b32 v[66:67], v[10:11], v[22:23] op_sel:[1,0]
	ds_write2_b32 v59, v66, v67 offset0:40 offset1:41
	v_pk_mov_b32 v[66:67], v[22:23], v[14:15] op_sel:[1,0]
	ds_write2_b32 v59, v66, v67 offset0:42 offset1:43
	;; [unrolled: 2-line block ×5, first 2 shown]
	v_pk_mov_b32 v[66:67], v[0:1], v[12:13] op_sel:[1,0]
	v_mov_b32_e32 v63, 39
	ds_write2_b32 v59, v66, v67 offset0:50 offset1:51
	ds_write_b32 v59, v13 offset:208
.LBB104_673:
	s_or_b64 exec, exec, s[0:1]
	v_cmp_lt_i32_e32 vcc, 39, v63
	s_waitcnt lgkmcnt(0)
	s_barrier
	s_and_saveexec_b64 s[0:1], vcc
	s_cbranch_execz .LBB104_675
; %bb.674:
	ds_read_b32 v60, v59 offset:160
	ds_read2_b32 v[66:67], v59 offset0:41 offset1:42
	v_mul_f32_e32 v10, v62, v10
	s_waitcnt lgkmcnt(1)
	v_fma_f32 v11, -v10, v60, v11
	s_waitcnt lgkmcnt(0)
	v_pk_fma_f32 v[22:23], v[10:11], v[66:67], v[22:23] op_sel_hi:[0,1,1] neg_lo:[1,0,0] neg_hi:[1,0,0]
	ds_read2_b32 v[66:67], v59 offset0:43 offset1:44
	s_waitcnt lgkmcnt(0)
	v_pk_fma_f32 v[14:15], v[10:11], v[66:67], v[14:15] op_sel_hi:[0,1,1] neg_lo:[1,0,0] neg_hi:[1,0,0]
	ds_read2_b32 v[66:67], v59 offset0:45 offset1:46
	;; [unrolled: 3-line block ×5, first 2 shown]
	s_waitcnt lgkmcnt(0)
	v_pk_fma_f32 v[12:13], v[10:11], v[66:67], v[12:13] op_sel_hi:[0,1,1] neg_lo:[1,0,0] neg_hi:[1,0,0]
.LBB104_675:
	s_or_b64 exec, exec, s[0:1]
	v_lshl_add_u32 v60, v63, 2, v59
	s_barrier
	ds_write_b32 v60, v11
	s_waitcnt lgkmcnt(0)
	s_barrier
	ds_read_b32 v62, v59 offset:160
	s_cmp_lt_i32 s22, 42
	v_mov_b32_e32 v60, 40
	s_cbranch_scc1 .LBB104_678
; %bb.676:
	v_add_u32_e32 v65, 0xa4, v59
	v_mov_b32_e32 v60, 40
	s_mov_b32 s0, 41
.LBB104_677:                            ; =>This Inner Loop Header: Depth=1
	ds_read_b32 v66, v65
	v_mov_b32_e32 v67, s0
	s_add_i32 s0, s0, 1
	v_add_u32_e32 v65, 4, v65
	s_cmp_lg_u32 s22, s0
	s_waitcnt lgkmcnt(0)
	v_cmp_lt_f32_e64 vcc, |v62|, |v66|
	s_nop 1
	v_cndmask_b32_e32 v62, v62, v66, vcc
	v_cndmask_b32_e32 v60, v60, v67, vcc
	s_cbranch_scc1 .LBB104_677
.LBB104_678:
	s_waitcnt lgkmcnt(0)
	v_cmp_eq_f32_e32 vcc, 0, v62
	s_and_saveexec_b64 s[0:1], vcc
	s_xor_b64 s[0:1], exec, s[0:1]
; %bb.679:
	v_cmp_ne_u32_e32 vcc, 0, v64
	s_nop 1
	v_cndmask_b32_e32 v64, 41, v64, vcc
; %bb.680:
	s_andn2_saveexec_b64 s[0:1], s[0:1]
	s_cbranch_execz .LBB104_682
; %bb.681:
	v_div_scale_f32 v65, s[2:3], v62, v62, 1.0
	v_rcp_f32_e32 v66, v65
	v_div_scale_f32 v67, vcc, 1.0, v62, 1.0
	v_fma_f32 v68, -v65, v66, 1.0
	v_fmac_f32_e32 v66, v68, v66
	v_mul_f32_e32 v68, v67, v66
	v_fma_f32 v69, -v65, v68, v67
	v_fmac_f32_e32 v68, v69, v66
	v_fma_f32 v65, -v65, v68, v67
	v_div_fmas_f32 v65, v65, v66, v68
	v_div_fixup_f32 v62, v65, v62, 1.0
.LBB104_682:
	s_or_b64 exec, exec, s[0:1]
	v_cmp_ne_u32_e32 vcc, v63, v60
	s_and_saveexec_b64 s[0:1], vcc
	s_xor_b64 s[0:1], exec, s[0:1]
	s_cbranch_execz .LBB104_688
; %bb.683:
	v_cmp_eq_u32_e32 vcc, 40, v63
	s_and_saveexec_b64 s[2:3], vcc
	s_cbranch_execz .LBB104_687
; %bb.684:
	v_cmp_ne_u32_e32 vcc, 40, v60
	s_xor_b64 s[12:13], s[20:21], -1
	s_and_b64 s[14:15], s[12:13], vcc
	s_and_saveexec_b64 s[12:13], s[14:15]
	s_cbranch_execz .LBB104_686
; %bb.685:
	v_ashrrev_i32_e32 v61, 31, v60
	v_lshl_add_u64 v[66:67], v[60:61], 2, v[4:5]
	global_load_dword v61, v[66:67], off
	global_load_dword v63, v[4:5], off offset:160
	s_waitcnt vmcnt(1)
	global_store_dword v[4:5], v61, off offset:160
	s_waitcnt vmcnt(1)
	global_store_dword v[66:67], v63, off
.LBB104_686:
	s_or_b64 exec, exec, s[12:13]
	v_mov_b32_e32 v61, v60
	v_mov_b32_e32 v63, v60
.LBB104_687:
	s_or_b64 exec, exec, s[2:3]
.LBB104_688:
	s_andn2_saveexec_b64 s[0:1], s[0:1]
	s_cbranch_execz .LBB104_690
; %bb.689:
	v_mov_b32_e32 v63, 40
	ds_write2_b32 v59, v22, v23 offset0:41 offset1:42
	ds_write2_b32 v59, v14, v15 offset0:43 offset1:44
	;; [unrolled: 1-line block ×6, first 2 shown]
.LBB104_690:
	s_or_b64 exec, exec, s[0:1]
	v_cmp_lt_i32_e32 vcc, 40, v63
	s_waitcnt lgkmcnt(0)
	s_barrier
	s_and_saveexec_b64 s[0:1], vcc
	s_cbranch_execz .LBB104_692
; %bb.691:
	ds_read2_b32 v[66:67], v59 offset0:41 offset1:42
	v_mul_f32_e32 v60, v62, v11
	v_mov_b32_e32 v11, v60
	s_waitcnt lgkmcnt(0)
	v_pk_fma_f32 v[22:23], v[60:61], v[66:67], v[22:23] op_sel_hi:[0,1,1] neg_lo:[1,0,0] neg_hi:[1,0,0]
	ds_read2_b32 v[66:67], v59 offset0:43 offset1:44
	s_waitcnt lgkmcnt(0)
	v_pk_fma_f32 v[14:15], v[60:61], v[66:67], v[14:15] op_sel_hi:[0,1,1] neg_lo:[1,0,0] neg_hi:[1,0,0]
	ds_read2_b32 v[66:67], v59 offset0:45 offset1:46
	s_waitcnt lgkmcnt(0)
	v_pk_fma_f32 v[16:17], v[60:61], v[66:67], v[16:17] op_sel_hi:[0,1,1] neg_lo:[1,0,0] neg_hi:[1,0,0]
	ds_read2_b32 v[66:67], v59 offset0:47 offset1:48
	s_waitcnt lgkmcnt(0)
	v_pk_fma_f32 v[8:9], v[60:61], v[66:67], v[8:9] op_sel_hi:[0,1,1] neg_lo:[1,0,0] neg_hi:[1,0,0]
	ds_read2_b32 v[66:67], v59 offset0:49 offset1:50
	s_waitcnt lgkmcnt(0)
	v_pk_fma_f32 v[0:1], v[60:61], v[66:67], v[0:1] op_sel_hi:[0,1,1] neg_lo:[1,0,0] neg_hi:[1,0,0]
	ds_read2_b32 v[66:67], v59 offset0:51 offset1:52
	s_waitcnt lgkmcnt(0)
	v_pk_fma_f32 v[12:13], v[60:61], v[66:67], v[12:13] op_sel_hi:[0,1,1] neg_lo:[1,0,0] neg_hi:[1,0,0]
.LBB104_692:
	s_or_b64 exec, exec, s[0:1]
	v_lshl_add_u32 v60, v63, 2, v59
	s_barrier
	ds_write_b32 v60, v22
	s_waitcnt lgkmcnt(0)
	s_barrier
	ds_read_b32 v62, v59 offset:164
	s_cmp_lt_i32 s22, 43
	v_mov_b32_e32 v60, 41
	s_cbranch_scc1 .LBB104_695
; %bb.693:
	v_add_u32_e32 v65, 0xa8, v59
	v_mov_b32_e32 v60, 41
	s_mov_b32 s0, 42
.LBB104_694:                            ; =>This Inner Loop Header: Depth=1
	ds_read_b32 v66, v65
	v_mov_b32_e32 v67, s0
	s_add_i32 s0, s0, 1
	v_add_u32_e32 v65, 4, v65
	s_cmp_lg_u32 s22, s0
	s_waitcnt lgkmcnt(0)
	v_cmp_lt_f32_e64 vcc, |v62|, |v66|
	s_nop 1
	v_cndmask_b32_e32 v62, v62, v66, vcc
	v_cndmask_b32_e32 v60, v60, v67, vcc
	s_cbranch_scc1 .LBB104_694
.LBB104_695:
	s_waitcnt lgkmcnt(0)
	v_cmp_eq_f32_e32 vcc, 0, v62
	s_and_saveexec_b64 s[0:1], vcc
	s_xor_b64 s[0:1], exec, s[0:1]
; %bb.696:
	v_cmp_ne_u32_e32 vcc, 0, v64
	s_nop 1
	v_cndmask_b32_e32 v64, 42, v64, vcc
; %bb.697:
	s_andn2_saveexec_b64 s[0:1], s[0:1]
	s_cbranch_execz .LBB104_699
; %bb.698:
	v_div_scale_f32 v65, s[2:3], v62, v62, 1.0
	v_rcp_f32_e32 v66, v65
	v_div_scale_f32 v67, vcc, 1.0, v62, 1.0
	v_fma_f32 v68, -v65, v66, 1.0
	v_fmac_f32_e32 v66, v68, v66
	v_mul_f32_e32 v68, v67, v66
	v_fma_f32 v69, -v65, v68, v67
	v_fmac_f32_e32 v68, v69, v66
	v_fma_f32 v65, -v65, v68, v67
	v_div_fmas_f32 v65, v65, v66, v68
	v_div_fixup_f32 v62, v65, v62, 1.0
.LBB104_699:
	s_or_b64 exec, exec, s[0:1]
	v_cmp_ne_u32_e32 vcc, v63, v60
	s_and_saveexec_b64 s[0:1], vcc
	s_xor_b64 s[0:1], exec, s[0:1]
	s_cbranch_execz .LBB104_705
; %bb.700:
	v_cmp_eq_u32_e32 vcc, 41, v63
	s_and_saveexec_b64 s[2:3], vcc
	s_cbranch_execz .LBB104_704
; %bb.701:
	v_cmp_ne_u32_e32 vcc, 41, v60
	s_xor_b64 s[12:13], s[20:21], -1
	s_and_b64 s[14:15], s[12:13], vcc
	s_and_saveexec_b64 s[12:13], s[14:15]
	s_cbranch_execz .LBB104_703
; %bb.702:
	v_ashrrev_i32_e32 v61, 31, v60
	v_lshl_add_u64 v[66:67], v[60:61], 2, v[4:5]
	global_load_dword v61, v[66:67], off
	global_load_dword v63, v[4:5], off offset:164
	s_waitcnt vmcnt(1)
	global_store_dword v[4:5], v61, off offset:164
	s_waitcnt vmcnt(1)
	global_store_dword v[66:67], v63, off
.LBB104_703:
	s_or_b64 exec, exec, s[12:13]
	v_mov_b32_e32 v61, v60
	v_mov_b32_e32 v63, v60
.LBB104_704:
	s_or_b64 exec, exec, s[2:3]
.LBB104_705:
	s_andn2_saveexec_b64 s[0:1], s[0:1]
	s_cbranch_execz .LBB104_707
; %bb.706:
	v_pk_mov_b32 v[66:67], v[22:23], v[14:15] op_sel:[1,0]
	ds_write2_b32 v59, v66, v67 offset0:42 offset1:43
	v_pk_mov_b32 v[66:67], v[14:15], v[16:17] op_sel:[1,0]
	ds_write2_b32 v59, v66, v67 offset0:44 offset1:45
	;; [unrolled: 2-line block ×4, first 2 shown]
	v_pk_mov_b32 v[66:67], v[0:1], v[12:13] op_sel:[1,0]
	v_mov_b32_e32 v63, 41
	ds_write2_b32 v59, v66, v67 offset0:50 offset1:51
	ds_write_b32 v59, v13 offset:208
.LBB104_707:
	s_or_b64 exec, exec, s[0:1]
	v_cmp_lt_i32_e32 vcc, 41, v63
	s_waitcnt lgkmcnt(0)
	s_barrier
	s_and_saveexec_b64 s[0:1], vcc
	s_cbranch_execz .LBB104_709
; %bb.708:
	ds_read_b32 v60, v59 offset:168
	ds_read2_b32 v[66:67], v59 offset0:43 offset1:44
	v_mul_f32_e32 v22, v62, v22
	s_waitcnt lgkmcnt(1)
	v_fma_f32 v23, -v22, v60, v23
	s_waitcnt lgkmcnt(0)
	v_pk_fma_f32 v[14:15], v[22:23], v[66:67], v[14:15] op_sel_hi:[0,1,1] neg_lo:[1,0,0] neg_hi:[1,0,0]
	ds_read2_b32 v[66:67], v59 offset0:45 offset1:46
	s_waitcnt lgkmcnt(0)
	v_pk_fma_f32 v[16:17], v[22:23], v[66:67], v[16:17] op_sel_hi:[0,1,1] neg_lo:[1,0,0] neg_hi:[1,0,0]
	ds_read2_b32 v[66:67], v59 offset0:47 offset1:48
	;; [unrolled: 3-line block ×4, first 2 shown]
	s_waitcnt lgkmcnt(0)
	v_pk_fma_f32 v[12:13], v[22:23], v[66:67], v[12:13] op_sel_hi:[0,1,1] neg_lo:[1,0,0] neg_hi:[1,0,0]
.LBB104_709:
	s_or_b64 exec, exec, s[0:1]
	v_lshl_add_u32 v60, v63, 2, v59
	s_barrier
	ds_write_b32 v60, v23
	s_waitcnt lgkmcnt(0)
	s_barrier
	ds_read_b32 v62, v59 offset:168
	s_cmp_lt_i32 s22, 44
	v_mov_b32_e32 v60, 42
	s_cbranch_scc1 .LBB104_712
; %bb.710:
	v_add_u32_e32 v65, 0xac, v59
	v_mov_b32_e32 v60, 42
	s_mov_b32 s0, 43
.LBB104_711:                            ; =>This Inner Loop Header: Depth=1
	ds_read_b32 v66, v65
	v_mov_b32_e32 v67, s0
	s_add_i32 s0, s0, 1
	v_add_u32_e32 v65, 4, v65
	s_cmp_lg_u32 s22, s0
	s_waitcnt lgkmcnt(0)
	v_cmp_lt_f32_e64 vcc, |v62|, |v66|
	s_nop 1
	v_cndmask_b32_e32 v62, v62, v66, vcc
	v_cndmask_b32_e32 v60, v60, v67, vcc
	s_cbranch_scc1 .LBB104_711
.LBB104_712:
	s_waitcnt lgkmcnt(0)
	v_cmp_eq_f32_e32 vcc, 0, v62
	s_and_saveexec_b64 s[0:1], vcc
	s_xor_b64 s[0:1], exec, s[0:1]
; %bb.713:
	v_cmp_ne_u32_e32 vcc, 0, v64
	s_nop 1
	v_cndmask_b32_e32 v64, 43, v64, vcc
; %bb.714:
	s_andn2_saveexec_b64 s[0:1], s[0:1]
	s_cbranch_execz .LBB104_716
; %bb.715:
	v_div_scale_f32 v65, s[2:3], v62, v62, 1.0
	v_rcp_f32_e32 v66, v65
	v_div_scale_f32 v67, vcc, 1.0, v62, 1.0
	v_fma_f32 v68, -v65, v66, 1.0
	v_fmac_f32_e32 v66, v68, v66
	v_mul_f32_e32 v68, v67, v66
	v_fma_f32 v69, -v65, v68, v67
	v_fmac_f32_e32 v68, v69, v66
	v_fma_f32 v65, -v65, v68, v67
	v_div_fmas_f32 v65, v65, v66, v68
	v_div_fixup_f32 v62, v65, v62, 1.0
.LBB104_716:
	s_or_b64 exec, exec, s[0:1]
	v_cmp_ne_u32_e32 vcc, v63, v60
	s_and_saveexec_b64 s[0:1], vcc
	s_xor_b64 s[0:1], exec, s[0:1]
	s_cbranch_execz .LBB104_722
; %bb.717:
	v_cmp_eq_u32_e32 vcc, 42, v63
	s_and_saveexec_b64 s[2:3], vcc
	s_cbranch_execz .LBB104_721
; %bb.718:
	v_cmp_ne_u32_e32 vcc, 42, v60
	s_xor_b64 s[12:13], s[20:21], -1
	s_and_b64 s[14:15], s[12:13], vcc
	s_and_saveexec_b64 s[12:13], s[14:15]
	s_cbranch_execz .LBB104_720
; %bb.719:
	v_ashrrev_i32_e32 v61, 31, v60
	v_lshl_add_u64 v[66:67], v[60:61], 2, v[4:5]
	global_load_dword v61, v[66:67], off
	global_load_dword v63, v[4:5], off offset:168
	s_waitcnt vmcnt(1)
	global_store_dword v[4:5], v61, off offset:168
	s_waitcnt vmcnt(1)
	global_store_dword v[66:67], v63, off
.LBB104_720:
	s_or_b64 exec, exec, s[12:13]
	v_mov_b32_e32 v61, v60
	v_mov_b32_e32 v63, v60
.LBB104_721:
	s_or_b64 exec, exec, s[2:3]
.LBB104_722:
	s_andn2_saveexec_b64 s[0:1], s[0:1]
	s_cbranch_execz .LBB104_724
; %bb.723:
	v_mov_b32_e32 v63, 42
	ds_write2_b32 v59, v14, v15 offset0:43 offset1:44
	ds_write2_b32 v59, v16, v17 offset0:45 offset1:46
	;; [unrolled: 1-line block ×5, first 2 shown]
.LBB104_724:
	s_or_b64 exec, exec, s[0:1]
	v_cmp_lt_i32_e32 vcc, 42, v63
	s_waitcnt lgkmcnt(0)
	s_barrier
	s_and_saveexec_b64 s[0:1], vcc
	s_cbranch_execz .LBB104_726
; %bb.725:
	ds_read2_b32 v[66:67], v59 offset0:43 offset1:44
	v_mul_f32_e32 v60, v62, v23
	v_mov_b32_e32 v23, v60
	s_waitcnt lgkmcnt(0)
	v_pk_fma_f32 v[14:15], v[60:61], v[66:67], v[14:15] op_sel_hi:[0,1,1] neg_lo:[1,0,0] neg_hi:[1,0,0]
	ds_read2_b32 v[66:67], v59 offset0:45 offset1:46
	s_waitcnt lgkmcnt(0)
	v_pk_fma_f32 v[16:17], v[60:61], v[66:67], v[16:17] op_sel_hi:[0,1,1] neg_lo:[1,0,0] neg_hi:[1,0,0]
	ds_read2_b32 v[66:67], v59 offset0:47 offset1:48
	;; [unrolled: 3-line block ×4, first 2 shown]
	s_waitcnt lgkmcnt(0)
	v_pk_fma_f32 v[12:13], v[60:61], v[66:67], v[12:13] op_sel_hi:[0,1,1] neg_lo:[1,0,0] neg_hi:[1,0,0]
.LBB104_726:
	s_or_b64 exec, exec, s[0:1]
	v_lshl_add_u32 v60, v63, 2, v59
	s_barrier
	ds_write_b32 v60, v14
	s_waitcnt lgkmcnt(0)
	s_barrier
	ds_read_b32 v62, v59 offset:172
	s_cmp_lt_i32 s22, 45
	v_mov_b32_e32 v60, 43
	s_cbranch_scc1 .LBB104_729
; %bb.727:
	v_add_u32_e32 v65, 0xb0, v59
	v_mov_b32_e32 v60, 43
	s_mov_b32 s0, 44
.LBB104_728:                            ; =>This Inner Loop Header: Depth=1
	ds_read_b32 v66, v65
	v_mov_b32_e32 v67, s0
	s_add_i32 s0, s0, 1
	v_add_u32_e32 v65, 4, v65
	s_cmp_lg_u32 s22, s0
	s_waitcnt lgkmcnt(0)
	v_cmp_lt_f32_e64 vcc, |v62|, |v66|
	s_nop 1
	v_cndmask_b32_e32 v62, v62, v66, vcc
	v_cndmask_b32_e32 v60, v60, v67, vcc
	s_cbranch_scc1 .LBB104_728
.LBB104_729:
	s_waitcnt lgkmcnt(0)
	v_cmp_eq_f32_e32 vcc, 0, v62
	s_and_saveexec_b64 s[0:1], vcc
	s_xor_b64 s[0:1], exec, s[0:1]
; %bb.730:
	v_cmp_ne_u32_e32 vcc, 0, v64
	s_nop 1
	v_cndmask_b32_e32 v64, 44, v64, vcc
; %bb.731:
	s_andn2_saveexec_b64 s[0:1], s[0:1]
	s_cbranch_execz .LBB104_733
; %bb.732:
	v_div_scale_f32 v65, s[2:3], v62, v62, 1.0
	v_rcp_f32_e32 v66, v65
	v_div_scale_f32 v67, vcc, 1.0, v62, 1.0
	v_fma_f32 v68, -v65, v66, 1.0
	v_fmac_f32_e32 v66, v68, v66
	v_mul_f32_e32 v68, v67, v66
	v_fma_f32 v69, -v65, v68, v67
	v_fmac_f32_e32 v68, v69, v66
	v_fma_f32 v65, -v65, v68, v67
	v_div_fmas_f32 v65, v65, v66, v68
	v_div_fixup_f32 v62, v65, v62, 1.0
.LBB104_733:
	s_or_b64 exec, exec, s[0:1]
	v_cmp_ne_u32_e32 vcc, v63, v60
	s_and_saveexec_b64 s[0:1], vcc
	s_xor_b64 s[0:1], exec, s[0:1]
	s_cbranch_execz .LBB104_739
; %bb.734:
	v_cmp_eq_u32_e32 vcc, 43, v63
	s_and_saveexec_b64 s[2:3], vcc
	s_cbranch_execz .LBB104_738
; %bb.735:
	v_cmp_ne_u32_e32 vcc, 43, v60
	s_xor_b64 s[12:13], s[20:21], -1
	s_and_b64 s[14:15], s[12:13], vcc
	s_and_saveexec_b64 s[12:13], s[14:15]
	s_cbranch_execz .LBB104_737
; %bb.736:
	v_ashrrev_i32_e32 v61, 31, v60
	v_lshl_add_u64 v[66:67], v[60:61], 2, v[4:5]
	global_load_dword v61, v[66:67], off
	global_load_dword v63, v[4:5], off offset:172
	s_waitcnt vmcnt(1)
	global_store_dword v[4:5], v61, off offset:172
	s_waitcnt vmcnt(1)
	global_store_dword v[66:67], v63, off
.LBB104_737:
	s_or_b64 exec, exec, s[12:13]
	v_mov_b32_e32 v61, v60
	v_mov_b32_e32 v63, v60
.LBB104_738:
	s_or_b64 exec, exec, s[2:3]
.LBB104_739:
	s_andn2_saveexec_b64 s[0:1], s[0:1]
	s_cbranch_execz .LBB104_741
; %bb.740:
	v_pk_mov_b32 v[66:67], v[14:15], v[16:17] op_sel:[1,0]
	ds_write2_b32 v59, v66, v67 offset0:44 offset1:45
	v_pk_mov_b32 v[66:67], v[16:17], v[8:9] op_sel:[1,0]
	ds_write2_b32 v59, v66, v67 offset0:46 offset1:47
	;; [unrolled: 2-line block ×3, first 2 shown]
	v_pk_mov_b32 v[66:67], v[0:1], v[12:13] op_sel:[1,0]
	v_mov_b32_e32 v63, 43
	ds_write2_b32 v59, v66, v67 offset0:50 offset1:51
	ds_write_b32 v59, v13 offset:208
.LBB104_741:
	s_or_b64 exec, exec, s[0:1]
	v_cmp_lt_i32_e32 vcc, 43, v63
	s_waitcnt lgkmcnt(0)
	s_barrier
	s_and_saveexec_b64 s[0:1], vcc
	s_cbranch_execz .LBB104_743
; %bb.742:
	ds_read_b32 v60, v59 offset:176
	ds_read2_b32 v[66:67], v59 offset0:45 offset1:46
	ds_read2_b32 v[68:69], v59 offset0:47 offset1:48
	;; [unrolled: 1-line block ×4, first 2 shown]
	v_mul_f32_e32 v14, v62, v14
	s_waitcnt lgkmcnt(4)
	v_fma_f32 v15, -v14, v60, v15
	s_waitcnt lgkmcnt(3)
	v_pk_fma_f32 v[16:17], v[14:15], v[66:67], v[16:17] op_sel_hi:[0,1,1] neg_lo:[1,0,0] neg_hi:[1,0,0]
	s_waitcnt lgkmcnt(2)
	v_pk_fma_f32 v[8:9], v[14:15], v[68:69], v[8:9] op_sel_hi:[0,1,1] neg_lo:[1,0,0] neg_hi:[1,0,0]
	;; [unrolled: 2-line block ×4, first 2 shown]
.LBB104_743:
	s_or_b64 exec, exec, s[0:1]
	v_lshl_add_u32 v60, v63, 2, v59
	s_barrier
	ds_write_b32 v60, v15
	s_waitcnt lgkmcnt(0)
	s_barrier
	ds_read_b32 v62, v59 offset:176
	s_cmp_lt_i32 s22, 46
	v_mov_b32_e32 v60, 44
	s_cbranch_scc1 .LBB104_746
; %bb.744:
	v_add_u32_e32 v65, 0xb4, v59
	v_mov_b32_e32 v60, 44
	s_mov_b32 s0, 45
.LBB104_745:                            ; =>This Inner Loop Header: Depth=1
	ds_read_b32 v66, v65
	v_mov_b32_e32 v67, s0
	s_add_i32 s0, s0, 1
	v_add_u32_e32 v65, 4, v65
	s_cmp_lg_u32 s22, s0
	s_waitcnt lgkmcnt(0)
	v_cmp_lt_f32_e64 vcc, |v62|, |v66|
	s_nop 1
	v_cndmask_b32_e32 v62, v62, v66, vcc
	v_cndmask_b32_e32 v60, v60, v67, vcc
	s_cbranch_scc1 .LBB104_745
.LBB104_746:
	s_waitcnt lgkmcnt(0)
	v_cmp_eq_f32_e32 vcc, 0, v62
	s_and_saveexec_b64 s[0:1], vcc
	s_xor_b64 s[0:1], exec, s[0:1]
; %bb.747:
	v_cmp_ne_u32_e32 vcc, 0, v64
	s_nop 1
	v_cndmask_b32_e32 v64, 45, v64, vcc
; %bb.748:
	s_andn2_saveexec_b64 s[0:1], s[0:1]
	s_cbranch_execz .LBB104_750
; %bb.749:
	v_div_scale_f32 v65, s[2:3], v62, v62, 1.0
	v_rcp_f32_e32 v66, v65
	v_div_scale_f32 v67, vcc, 1.0, v62, 1.0
	v_fma_f32 v68, -v65, v66, 1.0
	v_fmac_f32_e32 v66, v68, v66
	v_mul_f32_e32 v68, v67, v66
	v_fma_f32 v69, -v65, v68, v67
	v_fmac_f32_e32 v68, v69, v66
	v_fma_f32 v65, -v65, v68, v67
	v_div_fmas_f32 v65, v65, v66, v68
	v_div_fixup_f32 v62, v65, v62, 1.0
.LBB104_750:
	s_or_b64 exec, exec, s[0:1]
	v_cmp_ne_u32_e32 vcc, v63, v60
	s_and_saveexec_b64 s[0:1], vcc
	s_xor_b64 s[0:1], exec, s[0:1]
	s_cbranch_execz .LBB104_756
; %bb.751:
	v_cmp_eq_u32_e32 vcc, 44, v63
	s_and_saveexec_b64 s[2:3], vcc
	s_cbranch_execz .LBB104_755
; %bb.752:
	v_cmp_ne_u32_e32 vcc, 44, v60
	s_xor_b64 s[12:13], s[20:21], -1
	s_and_b64 s[14:15], s[12:13], vcc
	s_and_saveexec_b64 s[12:13], s[14:15]
	s_cbranch_execz .LBB104_754
; %bb.753:
	v_ashrrev_i32_e32 v61, 31, v60
	v_lshl_add_u64 v[66:67], v[60:61], 2, v[4:5]
	global_load_dword v61, v[66:67], off
	global_load_dword v63, v[4:5], off offset:176
	s_waitcnt vmcnt(1)
	global_store_dword v[4:5], v61, off offset:176
	s_waitcnt vmcnt(1)
	global_store_dword v[66:67], v63, off
.LBB104_754:
	s_or_b64 exec, exec, s[12:13]
	v_mov_b32_e32 v61, v60
	v_mov_b32_e32 v63, v60
.LBB104_755:
	s_or_b64 exec, exec, s[2:3]
.LBB104_756:
	s_andn2_saveexec_b64 s[0:1], s[0:1]
	s_cbranch_execz .LBB104_758
; %bb.757:
	v_mov_b32_e32 v63, 44
	ds_write2_b32 v59, v16, v17 offset0:45 offset1:46
	ds_write2_b32 v59, v8, v9 offset0:47 offset1:48
	ds_write2_b32 v59, v0, v1 offset0:49 offset1:50
	ds_write2_b32 v59, v12, v13 offset0:51 offset1:52
.LBB104_758:
	s_or_b64 exec, exec, s[0:1]
	v_cmp_lt_i32_e32 vcc, 44, v63
	s_waitcnt lgkmcnt(0)
	s_barrier
	s_and_saveexec_b64 s[0:1], vcc
	s_cbranch_execz .LBB104_760
; %bb.759:
	ds_read2_b32 v[66:67], v59 offset0:45 offset1:46
	v_mul_f32_e32 v60, v62, v15
	v_mov_b32_e32 v15, v60
	s_waitcnt lgkmcnt(0)
	v_pk_fma_f32 v[16:17], v[60:61], v[66:67], v[16:17] op_sel_hi:[0,1,1] neg_lo:[1,0,0] neg_hi:[1,0,0]
	ds_read2_b32 v[66:67], v59 offset0:47 offset1:48
	s_waitcnt lgkmcnt(0)
	v_pk_fma_f32 v[8:9], v[60:61], v[66:67], v[8:9] op_sel_hi:[0,1,1] neg_lo:[1,0,0] neg_hi:[1,0,0]
	ds_read2_b32 v[66:67], v59 offset0:49 offset1:50
	;; [unrolled: 3-line block ×3, first 2 shown]
	s_waitcnt lgkmcnt(0)
	v_pk_fma_f32 v[12:13], v[60:61], v[66:67], v[12:13] op_sel_hi:[0,1,1] neg_lo:[1,0,0] neg_hi:[1,0,0]
.LBB104_760:
	s_or_b64 exec, exec, s[0:1]
	v_lshl_add_u32 v60, v63, 2, v59
	s_barrier
	ds_write_b32 v60, v16
	s_waitcnt lgkmcnt(0)
	s_barrier
	ds_read_b32 v62, v59 offset:180
	s_cmp_lt_i32 s22, 47
	v_mov_b32_e32 v60, 45
	s_cbranch_scc1 .LBB104_763
; %bb.761:
	v_add_u32_e32 v65, 0xb8, v59
	v_mov_b32_e32 v60, 45
	s_mov_b32 s0, 46
.LBB104_762:                            ; =>This Inner Loop Header: Depth=1
	ds_read_b32 v66, v65
	v_mov_b32_e32 v67, s0
	s_add_i32 s0, s0, 1
	v_add_u32_e32 v65, 4, v65
	s_cmp_lg_u32 s22, s0
	s_waitcnt lgkmcnt(0)
	v_cmp_lt_f32_e64 vcc, |v62|, |v66|
	s_nop 1
	v_cndmask_b32_e32 v62, v62, v66, vcc
	v_cndmask_b32_e32 v60, v60, v67, vcc
	s_cbranch_scc1 .LBB104_762
.LBB104_763:
	s_waitcnt lgkmcnt(0)
	v_cmp_eq_f32_e32 vcc, 0, v62
	s_and_saveexec_b64 s[0:1], vcc
	s_xor_b64 s[0:1], exec, s[0:1]
; %bb.764:
	v_cmp_ne_u32_e32 vcc, 0, v64
	s_nop 1
	v_cndmask_b32_e32 v64, 46, v64, vcc
; %bb.765:
	s_andn2_saveexec_b64 s[0:1], s[0:1]
	s_cbranch_execz .LBB104_767
; %bb.766:
	v_div_scale_f32 v65, s[2:3], v62, v62, 1.0
	v_rcp_f32_e32 v66, v65
	v_div_scale_f32 v67, vcc, 1.0, v62, 1.0
	v_fma_f32 v68, -v65, v66, 1.0
	v_fmac_f32_e32 v66, v68, v66
	v_mul_f32_e32 v68, v67, v66
	v_fma_f32 v69, -v65, v68, v67
	v_fmac_f32_e32 v68, v69, v66
	v_fma_f32 v65, -v65, v68, v67
	v_div_fmas_f32 v65, v65, v66, v68
	v_div_fixup_f32 v62, v65, v62, 1.0
.LBB104_767:
	s_or_b64 exec, exec, s[0:1]
	v_cmp_ne_u32_e32 vcc, v63, v60
	s_and_saveexec_b64 s[0:1], vcc
	s_xor_b64 s[0:1], exec, s[0:1]
	s_cbranch_execz .LBB104_773
; %bb.768:
	v_cmp_eq_u32_e32 vcc, 45, v63
	s_and_saveexec_b64 s[2:3], vcc
	s_cbranch_execz .LBB104_772
; %bb.769:
	v_cmp_ne_u32_e32 vcc, 45, v60
	s_xor_b64 s[12:13], s[20:21], -1
	s_and_b64 s[14:15], s[12:13], vcc
	s_and_saveexec_b64 s[12:13], s[14:15]
	s_cbranch_execz .LBB104_771
; %bb.770:
	v_ashrrev_i32_e32 v61, 31, v60
	v_lshl_add_u64 v[66:67], v[60:61], 2, v[4:5]
	global_load_dword v61, v[66:67], off
	global_load_dword v63, v[4:5], off offset:180
	s_waitcnt vmcnt(1)
	global_store_dword v[4:5], v61, off offset:180
	s_waitcnt vmcnt(1)
	global_store_dword v[66:67], v63, off
.LBB104_771:
	s_or_b64 exec, exec, s[12:13]
	v_mov_b32_e32 v61, v60
	v_mov_b32_e32 v63, v60
.LBB104_772:
	s_or_b64 exec, exec, s[2:3]
.LBB104_773:
	s_andn2_saveexec_b64 s[0:1], s[0:1]
	s_cbranch_execz .LBB104_775
; %bb.774:
	v_pk_mov_b32 v[66:67], v[16:17], v[8:9] op_sel:[1,0]
	ds_write2_b32 v59, v66, v67 offset0:46 offset1:47
	v_pk_mov_b32 v[66:67], v[8:9], v[0:1] op_sel:[1,0]
	ds_write2_b32 v59, v66, v67 offset0:48 offset1:49
	v_pk_mov_b32 v[66:67], v[0:1], v[12:13] op_sel:[1,0]
	v_mov_b32_e32 v63, 45
	ds_write2_b32 v59, v66, v67 offset0:50 offset1:51
	ds_write_b32 v59, v13 offset:208
.LBB104_775:
	s_or_b64 exec, exec, s[0:1]
	v_cmp_lt_i32_e32 vcc, 45, v63
	s_waitcnt lgkmcnt(0)
	s_barrier
	s_and_saveexec_b64 s[0:1], vcc
	s_cbranch_execz .LBB104_777
; %bb.776:
	ds_read_b32 v60, v59 offset:184
	ds_read2_b32 v[66:67], v59 offset0:47 offset1:48
	ds_read2_b32 v[68:69], v59 offset0:49 offset1:50
	;; [unrolled: 1-line block ×3, first 2 shown]
	v_mul_f32_e32 v16, v62, v16
	s_waitcnt lgkmcnt(3)
	v_fma_f32 v17, -v16, v60, v17
	s_waitcnt lgkmcnt(2)
	v_pk_fma_f32 v[8:9], v[16:17], v[66:67], v[8:9] op_sel_hi:[0,1,1] neg_lo:[1,0,0] neg_hi:[1,0,0]
	s_waitcnt lgkmcnt(1)
	v_pk_fma_f32 v[0:1], v[16:17], v[68:69], v[0:1] op_sel_hi:[0,1,1] neg_lo:[1,0,0] neg_hi:[1,0,0]
	;; [unrolled: 2-line block ×3, first 2 shown]
.LBB104_777:
	s_or_b64 exec, exec, s[0:1]
	v_lshl_add_u32 v60, v63, 2, v59
	s_barrier
	ds_write_b32 v60, v17
	s_waitcnt lgkmcnt(0)
	s_barrier
	ds_read_b32 v62, v59 offset:184
	s_cmp_lt_i32 s22, 48
	v_mov_b32_e32 v60, 46
	s_cbranch_scc1 .LBB104_780
; %bb.778:
	v_add_u32_e32 v65, 0xbc, v59
	v_mov_b32_e32 v60, 46
	s_mov_b32 s0, 47
.LBB104_779:                            ; =>This Inner Loop Header: Depth=1
	ds_read_b32 v66, v65
	v_mov_b32_e32 v67, s0
	s_add_i32 s0, s0, 1
	v_add_u32_e32 v65, 4, v65
	s_cmp_lg_u32 s22, s0
	s_waitcnt lgkmcnt(0)
	v_cmp_lt_f32_e64 vcc, |v62|, |v66|
	s_nop 1
	v_cndmask_b32_e32 v62, v62, v66, vcc
	v_cndmask_b32_e32 v60, v60, v67, vcc
	s_cbranch_scc1 .LBB104_779
.LBB104_780:
	s_waitcnt lgkmcnt(0)
	v_cmp_eq_f32_e32 vcc, 0, v62
	s_and_saveexec_b64 s[0:1], vcc
	s_xor_b64 s[0:1], exec, s[0:1]
; %bb.781:
	v_cmp_ne_u32_e32 vcc, 0, v64
	s_nop 1
	v_cndmask_b32_e32 v64, 47, v64, vcc
; %bb.782:
	s_andn2_saveexec_b64 s[0:1], s[0:1]
	s_cbranch_execz .LBB104_784
; %bb.783:
	v_div_scale_f32 v65, s[2:3], v62, v62, 1.0
	v_rcp_f32_e32 v66, v65
	v_div_scale_f32 v67, vcc, 1.0, v62, 1.0
	v_fma_f32 v68, -v65, v66, 1.0
	v_fmac_f32_e32 v66, v68, v66
	v_mul_f32_e32 v68, v67, v66
	v_fma_f32 v69, -v65, v68, v67
	v_fmac_f32_e32 v68, v69, v66
	v_fma_f32 v65, -v65, v68, v67
	v_div_fmas_f32 v65, v65, v66, v68
	v_div_fixup_f32 v62, v65, v62, 1.0
.LBB104_784:
	s_or_b64 exec, exec, s[0:1]
	v_cmp_ne_u32_e32 vcc, v63, v60
	s_and_saveexec_b64 s[0:1], vcc
	s_xor_b64 s[0:1], exec, s[0:1]
	s_cbranch_execz .LBB104_790
; %bb.785:
	v_cmp_eq_u32_e32 vcc, 46, v63
	s_and_saveexec_b64 s[2:3], vcc
	s_cbranch_execz .LBB104_789
; %bb.786:
	v_cmp_ne_u32_e32 vcc, 46, v60
	s_xor_b64 s[12:13], s[20:21], -1
	s_and_b64 s[14:15], s[12:13], vcc
	s_and_saveexec_b64 s[12:13], s[14:15]
	s_cbranch_execz .LBB104_788
; %bb.787:
	v_ashrrev_i32_e32 v61, 31, v60
	v_lshl_add_u64 v[66:67], v[60:61], 2, v[4:5]
	global_load_dword v61, v[66:67], off
	global_load_dword v63, v[4:5], off offset:184
	s_waitcnt vmcnt(1)
	global_store_dword v[4:5], v61, off offset:184
	s_waitcnt vmcnt(1)
	global_store_dword v[66:67], v63, off
.LBB104_788:
	s_or_b64 exec, exec, s[12:13]
	v_mov_b32_e32 v61, v60
	v_mov_b32_e32 v63, v60
.LBB104_789:
	s_or_b64 exec, exec, s[2:3]
.LBB104_790:
	s_andn2_saveexec_b64 s[0:1], s[0:1]
	s_cbranch_execz .LBB104_792
; %bb.791:
	v_mov_b32_e32 v63, 46
	ds_write2_b32 v59, v8, v9 offset0:47 offset1:48
	ds_write2_b32 v59, v0, v1 offset0:49 offset1:50
	;; [unrolled: 1-line block ×3, first 2 shown]
.LBB104_792:
	s_or_b64 exec, exec, s[0:1]
	v_cmp_lt_i32_e32 vcc, 46, v63
	s_waitcnt lgkmcnt(0)
	s_barrier
	s_and_saveexec_b64 s[0:1], vcc
	s_cbranch_execz .LBB104_794
; %bb.793:
	ds_read2_b32 v[66:67], v59 offset0:47 offset1:48
	ds_read2_b32 v[68:69], v59 offset0:49 offset1:50
	;; [unrolled: 1-line block ×3, first 2 shown]
	v_mul_f32_e32 v60, v62, v17
	v_mov_b32_e32 v17, v60
	s_waitcnt lgkmcnt(2)
	v_pk_fma_f32 v[8:9], v[60:61], v[66:67], v[8:9] op_sel_hi:[0,1,1] neg_lo:[1,0,0] neg_hi:[1,0,0]
	s_waitcnt lgkmcnt(1)
	v_pk_fma_f32 v[0:1], v[60:61], v[68:69], v[0:1] op_sel_hi:[0,1,1] neg_lo:[1,0,0] neg_hi:[1,0,0]
	s_waitcnt lgkmcnt(0)
	v_pk_fma_f32 v[12:13], v[60:61], v[70:71], v[12:13] op_sel_hi:[0,1,1] neg_lo:[1,0,0] neg_hi:[1,0,0]
.LBB104_794:
	s_or_b64 exec, exec, s[0:1]
	v_lshl_add_u32 v60, v63, 2, v59
	s_barrier
	ds_write_b32 v60, v8
	s_waitcnt lgkmcnt(0)
	s_barrier
	ds_read_b32 v62, v59 offset:188
	s_cmp_lt_i32 s22, 49
	v_mov_b32_e32 v60, 47
	s_cbranch_scc1 .LBB104_797
; %bb.795:
	v_add_u32_e32 v65, 0xc0, v59
	v_mov_b32_e32 v60, 47
	s_mov_b32 s0, 48
.LBB104_796:                            ; =>This Inner Loop Header: Depth=1
	ds_read_b32 v66, v65
	v_mov_b32_e32 v67, s0
	s_add_i32 s0, s0, 1
	v_add_u32_e32 v65, 4, v65
	s_cmp_lg_u32 s22, s0
	s_waitcnt lgkmcnt(0)
	v_cmp_lt_f32_e64 vcc, |v62|, |v66|
	s_nop 1
	v_cndmask_b32_e32 v62, v62, v66, vcc
	v_cndmask_b32_e32 v60, v60, v67, vcc
	s_cbranch_scc1 .LBB104_796
.LBB104_797:
	s_waitcnt lgkmcnt(0)
	v_cmp_eq_f32_e32 vcc, 0, v62
	s_and_saveexec_b64 s[0:1], vcc
	s_xor_b64 s[0:1], exec, s[0:1]
; %bb.798:
	v_cmp_ne_u32_e32 vcc, 0, v64
	s_nop 1
	v_cndmask_b32_e32 v64, 48, v64, vcc
; %bb.799:
	s_andn2_saveexec_b64 s[0:1], s[0:1]
	s_cbranch_execz .LBB104_801
; %bb.800:
	v_div_scale_f32 v65, s[2:3], v62, v62, 1.0
	v_rcp_f32_e32 v66, v65
	v_div_scale_f32 v67, vcc, 1.0, v62, 1.0
	v_fma_f32 v68, -v65, v66, 1.0
	v_fmac_f32_e32 v66, v68, v66
	v_mul_f32_e32 v68, v67, v66
	v_fma_f32 v69, -v65, v68, v67
	v_fmac_f32_e32 v68, v69, v66
	v_fma_f32 v65, -v65, v68, v67
	v_div_fmas_f32 v65, v65, v66, v68
	v_div_fixup_f32 v62, v65, v62, 1.0
.LBB104_801:
	s_or_b64 exec, exec, s[0:1]
	v_cmp_ne_u32_e32 vcc, v63, v60
	s_and_saveexec_b64 s[0:1], vcc
	s_xor_b64 s[0:1], exec, s[0:1]
	s_cbranch_execz .LBB104_807
; %bb.802:
	v_cmp_eq_u32_e32 vcc, 47, v63
	s_and_saveexec_b64 s[2:3], vcc
	s_cbranch_execz .LBB104_806
; %bb.803:
	v_cmp_ne_u32_e32 vcc, 47, v60
	s_xor_b64 s[12:13], s[20:21], -1
	s_and_b64 s[14:15], s[12:13], vcc
	s_and_saveexec_b64 s[12:13], s[14:15]
	s_cbranch_execz .LBB104_805
; %bb.804:
	v_ashrrev_i32_e32 v61, 31, v60
	v_lshl_add_u64 v[66:67], v[60:61], 2, v[4:5]
	global_load_dword v61, v[66:67], off
	global_load_dword v63, v[4:5], off offset:188
	s_waitcnt vmcnt(1)
	global_store_dword v[4:5], v61, off offset:188
	s_waitcnt vmcnt(1)
	global_store_dword v[66:67], v63, off
.LBB104_805:
	s_or_b64 exec, exec, s[12:13]
	v_mov_b32_e32 v61, v60
	v_mov_b32_e32 v63, v60
.LBB104_806:
	s_or_b64 exec, exec, s[2:3]
.LBB104_807:
	s_andn2_saveexec_b64 s[0:1], s[0:1]
	s_cbranch_execz .LBB104_809
; %bb.808:
	v_pk_mov_b32 v[66:67], v[8:9], v[0:1] op_sel:[1,0]
	ds_write2_b32 v59, v66, v67 offset0:48 offset1:49
	v_pk_mov_b32 v[66:67], v[0:1], v[12:13] op_sel:[1,0]
	v_mov_b32_e32 v63, 47
	ds_write2_b32 v59, v66, v67 offset0:50 offset1:51
	ds_write_b32 v59, v13 offset:208
.LBB104_809:
	s_or_b64 exec, exec, s[0:1]
	v_cmp_lt_i32_e32 vcc, 47, v63
	s_waitcnt lgkmcnt(0)
	s_barrier
	s_and_saveexec_b64 s[0:1], vcc
	s_cbranch_execz .LBB104_811
; %bb.810:
	ds_read_b32 v60, v59 offset:192
	ds_read2_b32 v[66:67], v59 offset0:49 offset1:50
	ds_read2_b32 v[68:69], v59 offset0:51 offset1:52
	v_mul_f32_e32 v8, v62, v8
	s_waitcnt lgkmcnt(2)
	v_fma_f32 v9, -v8, v60, v9
	s_waitcnt lgkmcnt(1)
	v_pk_fma_f32 v[0:1], v[8:9], v[66:67], v[0:1] op_sel_hi:[0,1,1] neg_lo:[1,0,0] neg_hi:[1,0,0]
	s_waitcnt lgkmcnt(0)
	v_pk_fma_f32 v[12:13], v[8:9], v[68:69], v[12:13] op_sel_hi:[0,1,1] neg_lo:[1,0,0] neg_hi:[1,0,0]
.LBB104_811:
	s_or_b64 exec, exec, s[0:1]
	v_lshl_add_u32 v60, v63, 2, v59
	s_barrier
	ds_write_b32 v60, v9
	s_waitcnt lgkmcnt(0)
	s_barrier
	ds_read_b32 v62, v59 offset:192
	s_cmp_lt_i32 s22, 50
	v_mov_b32_e32 v60, 48
	s_cbranch_scc1 .LBB104_814
; %bb.812:
	v_add_u32_e32 v65, 0xc4, v59
	v_mov_b32_e32 v60, 48
	s_mov_b32 s0, 49
.LBB104_813:                            ; =>This Inner Loop Header: Depth=1
	ds_read_b32 v66, v65
	v_mov_b32_e32 v67, s0
	s_add_i32 s0, s0, 1
	v_add_u32_e32 v65, 4, v65
	s_cmp_lg_u32 s22, s0
	s_waitcnt lgkmcnt(0)
	v_cmp_lt_f32_e64 vcc, |v62|, |v66|
	s_nop 1
	v_cndmask_b32_e32 v62, v62, v66, vcc
	v_cndmask_b32_e32 v60, v60, v67, vcc
	s_cbranch_scc1 .LBB104_813
.LBB104_814:
	s_waitcnt lgkmcnt(0)
	v_cmp_eq_f32_e32 vcc, 0, v62
	s_and_saveexec_b64 s[0:1], vcc
	s_xor_b64 s[0:1], exec, s[0:1]
; %bb.815:
	v_cmp_ne_u32_e32 vcc, 0, v64
	s_nop 1
	v_cndmask_b32_e32 v64, 49, v64, vcc
; %bb.816:
	s_andn2_saveexec_b64 s[0:1], s[0:1]
	s_cbranch_execz .LBB104_818
; %bb.817:
	v_div_scale_f32 v65, s[2:3], v62, v62, 1.0
	v_rcp_f32_e32 v66, v65
	v_div_scale_f32 v67, vcc, 1.0, v62, 1.0
	v_fma_f32 v68, -v65, v66, 1.0
	v_fmac_f32_e32 v66, v68, v66
	v_mul_f32_e32 v68, v67, v66
	v_fma_f32 v69, -v65, v68, v67
	v_fmac_f32_e32 v68, v69, v66
	v_fma_f32 v65, -v65, v68, v67
	v_div_fmas_f32 v65, v65, v66, v68
	v_div_fixup_f32 v62, v65, v62, 1.0
.LBB104_818:
	s_or_b64 exec, exec, s[0:1]
	v_cmp_ne_u32_e32 vcc, v63, v60
	s_and_saveexec_b64 s[0:1], vcc
	s_xor_b64 s[0:1], exec, s[0:1]
	s_cbranch_execz .LBB104_824
; %bb.819:
	v_cmp_eq_u32_e32 vcc, 48, v63
	s_and_saveexec_b64 s[2:3], vcc
	s_cbranch_execz .LBB104_823
; %bb.820:
	v_cmp_ne_u32_e32 vcc, 48, v60
	s_xor_b64 s[12:13], s[20:21], -1
	s_and_b64 s[14:15], s[12:13], vcc
	s_and_saveexec_b64 s[12:13], s[14:15]
	s_cbranch_execz .LBB104_822
; %bb.821:
	v_ashrrev_i32_e32 v61, 31, v60
	v_lshl_add_u64 v[66:67], v[60:61], 2, v[4:5]
	global_load_dword v61, v[66:67], off
	global_load_dword v63, v[4:5], off offset:192
	s_waitcnt vmcnt(1)
	global_store_dword v[4:5], v61, off offset:192
	s_waitcnt vmcnt(1)
	global_store_dword v[66:67], v63, off
.LBB104_822:
	s_or_b64 exec, exec, s[12:13]
	v_mov_b32_e32 v61, v60
	v_mov_b32_e32 v63, v60
.LBB104_823:
	s_or_b64 exec, exec, s[2:3]
.LBB104_824:
	s_andn2_saveexec_b64 s[0:1], s[0:1]
	s_cbranch_execz .LBB104_826
; %bb.825:
	v_mov_b32_e32 v63, 48
	ds_write2_b32 v59, v0, v1 offset0:49 offset1:50
	ds_write2_b32 v59, v12, v13 offset0:51 offset1:52
.LBB104_826:
	s_or_b64 exec, exec, s[0:1]
	v_cmp_lt_i32_e32 vcc, 48, v63
	s_waitcnt lgkmcnt(0)
	s_barrier
	s_and_saveexec_b64 s[0:1], vcc
	s_cbranch_execz .LBB104_828
; %bb.827:
	ds_read2_b32 v[66:67], v59 offset0:49 offset1:50
	ds_read2_b32 v[68:69], v59 offset0:51 offset1:52
	v_mul_f32_e32 v60, v62, v9
	v_mov_b32_e32 v9, v60
	s_waitcnt lgkmcnt(1)
	v_pk_fma_f32 v[0:1], v[60:61], v[66:67], v[0:1] op_sel_hi:[0,1,1] neg_lo:[1,0,0] neg_hi:[1,0,0]
	s_waitcnt lgkmcnt(0)
	v_pk_fma_f32 v[12:13], v[60:61], v[68:69], v[12:13] op_sel_hi:[0,1,1] neg_lo:[1,0,0] neg_hi:[1,0,0]
.LBB104_828:
	s_or_b64 exec, exec, s[0:1]
	v_lshl_add_u32 v60, v63, 2, v59
	s_barrier
	ds_write_b32 v60, v0
	s_waitcnt lgkmcnt(0)
	s_barrier
	ds_read_b32 v62, v59 offset:196
	s_cmp_lt_i32 s22, 51
	v_mov_b32_e32 v60, 49
	s_cbranch_scc1 .LBB104_831
; %bb.829:
	v_add_u32_e32 v65, 0xc8, v59
	v_mov_b32_e32 v60, 49
	s_mov_b32 s0, 50
.LBB104_830:                            ; =>This Inner Loop Header: Depth=1
	ds_read_b32 v66, v65
	v_mov_b32_e32 v67, s0
	s_add_i32 s0, s0, 1
	v_add_u32_e32 v65, 4, v65
	s_cmp_lg_u32 s22, s0
	s_waitcnt lgkmcnt(0)
	v_cmp_lt_f32_e64 vcc, |v62|, |v66|
	s_nop 1
	v_cndmask_b32_e32 v62, v62, v66, vcc
	v_cndmask_b32_e32 v60, v60, v67, vcc
	s_cbranch_scc1 .LBB104_830
.LBB104_831:
	s_waitcnt lgkmcnt(0)
	v_cmp_eq_f32_e32 vcc, 0, v62
	s_and_saveexec_b64 s[0:1], vcc
	s_xor_b64 s[0:1], exec, s[0:1]
; %bb.832:
	v_cmp_ne_u32_e32 vcc, 0, v64
	s_nop 1
	v_cndmask_b32_e32 v64, 50, v64, vcc
; %bb.833:
	s_andn2_saveexec_b64 s[0:1], s[0:1]
	s_cbranch_execz .LBB104_835
; %bb.834:
	v_div_scale_f32 v65, s[2:3], v62, v62, 1.0
	v_rcp_f32_e32 v66, v65
	v_div_scale_f32 v67, vcc, 1.0, v62, 1.0
	v_fma_f32 v68, -v65, v66, 1.0
	v_fmac_f32_e32 v66, v68, v66
	v_mul_f32_e32 v68, v67, v66
	v_fma_f32 v69, -v65, v68, v67
	v_fmac_f32_e32 v68, v69, v66
	v_fma_f32 v65, -v65, v68, v67
	v_div_fmas_f32 v65, v65, v66, v68
	v_div_fixup_f32 v62, v65, v62, 1.0
.LBB104_835:
	s_or_b64 exec, exec, s[0:1]
	v_cmp_ne_u32_e32 vcc, v63, v60
	s_and_saveexec_b64 s[0:1], vcc
	s_xor_b64 s[0:1], exec, s[0:1]
	s_cbranch_execz .LBB104_841
; %bb.836:
	v_cmp_eq_u32_e32 vcc, 49, v63
	s_and_saveexec_b64 s[2:3], vcc
	s_cbranch_execz .LBB104_840
; %bb.837:
	v_cmp_ne_u32_e32 vcc, 49, v60
	s_xor_b64 s[12:13], s[20:21], -1
	s_and_b64 s[14:15], s[12:13], vcc
	s_and_saveexec_b64 s[12:13], s[14:15]
	s_cbranch_execz .LBB104_839
; %bb.838:
	v_ashrrev_i32_e32 v61, 31, v60
	v_lshl_add_u64 v[66:67], v[60:61], 2, v[4:5]
	global_load_dword v61, v[66:67], off
	global_load_dword v63, v[4:5], off offset:196
	s_waitcnt vmcnt(1)
	global_store_dword v[4:5], v61, off offset:196
	s_waitcnt vmcnt(1)
	global_store_dword v[66:67], v63, off
.LBB104_839:
	s_or_b64 exec, exec, s[12:13]
	v_mov_b32_e32 v61, v60
	v_mov_b32_e32 v63, v60
.LBB104_840:
	s_or_b64 exec, exec, s[2:3]
.LBB104_841:
	s_andn2_saveexec_b64 s[0:1], s[0:1]
	s_cbranch_execz .LBB104_843
; %bb.842:
	v_pk_mov_b32 v[66:67], v[0:1], v[12:13] op_sel:[1,0]
	v_mov_b32_e32 v63, 49
	ds_write2_b32 v59, v66, v67 offset0:50 offset1:51
	ds_write_b32 v59, v13 offset:208
.LBB104_843:
	s_or_b64 exec, exec, s[0:1]
	v_cmp_lt_i32_e32 vcc, 49, v63
	s_waitcnt lgkmcnt(0)
	s_barrier
	s_and_saveexec_b64 s[0:1], vcc
	s_cbranch_execz .LBB104_845
; %bb.844:
	ds_read_b32 v60, v59 offset:200
	ds_read2_b32 v[66:67], v59 offset0:51 offset1:52
	v_mul_f32_e32 v0, v62, v0
	s_waitcnt lgkmcnt(1)
	v_fma_f32 v1, -v0, v60, v1
	s_waitcnt lgkmcnt(0)
	v_pk_fma_f32 v[12:13], v[0:1], v[66:67], v[12:13] op_sel_hi:[0,1,1] neg_lo:[1,0,0] neg_hi:[1,0,0]
.LBB104_845:
	s_or_b64 exec, exec, s[0:1]
	v_lshl_add_u32 v60, v63, 2, v59
	s_barrier
	ds_write_b32 v60, v1
	s_waitcnt lgkmcnt(0)
	s_barrier
	ds_read_b32 v62, v59 offset:200
	s_cmp_lt_i32 s22, 52
	v_mov_b32_e32 v60, 50
	s_cbranch_scc1 .LBB104_848
; %bb.846:
	v_add_u32_e32 v65, 0xcc, v59
	v_mov_b32_e32 v60, 50
	s_mov_b32 s0, 51
.LBB104_847:                            ; =>This Inner Loop Header: Depth=1
	ds_read_b32 v66, v65
	v_mov_b32_e32 v67, s0
	s_add_i32 s0, s0, 1
	v_add_u32_e32 v65, 4, v65
	s_cmp_lg_u32 s22, s0
	s_waitcnt lgkmcnt(0)
	v_cmp_lt_f32_e64 vcc, |v62|, |v66|
	s_nop 1
	v_cndmask_b32_e32 v62, v62, v66, vcc
	v_cndmask_b32_e32 v60, v60, v67, vcc
	s_cbranch_scc1 .LBB104_847
.LBB104_848:
	s_waitcnt lgkmcnt(0)
	v_cmp_eq_f32_e32 vcc, 0, v62
	s_and_saveexec_b64 s[0:1], vcc
	s_xor_b64 s[0:1], exec, s[0:1]
; %bb.849:
	v_cmp_ne_u32_e32 vcc, 0, v64
	s_nop 1
	v_cndmask_b32_e32 v64, 51, v64, vcc
; %bb.850:
	s_andn2_saveexec_b64 s[0:1], s[0:1]
	s_cbranch_execz .LBB104_852
; %bb.851:
	v_div_scale_f32 v65, s[2:3], v62, v62, 1.0
	v_rcp_f32_e32 v66, v65
	v_div_scale_f32 v67, vcc, 1.0, v62, 1.0
	v_fma_f32 v68, -v65, v66, 1.0
	v_fmac_f32_e32 v66, v68, v66
	v_mul_f32_e32 v68, v67, v66
	v_fma_f32 v69, -v65, v68, v67
	v_fmac_f32_e32 v68, v69, v66
	v_fma_f32 v65, -v65, v68, v67
	v_div_fmas_f32 v65, v65, v66, v68
	v_div_fixup_f32 v62, v65, v62, 1.0
.LBB104_852:
	s_or_b64 exec, exec, s[0:1]
	v_cmp_ne_u32_e32 vcc, v63, v60
	s_and_saveexec_b64 s[0:1], vcc
	s_xor_b64 s[0:1], exec, s[0:1]
	s_cbranch_execz .LBB104_858
; %bb.853:
	v_cmp_eq_u32_e32 vcc, 50, v63
	s_and_saveexec_b64 s[2:3], vcc
	s_cbranch_execz .LBB104_857
; %bb.854:
	v_cmp_ne_u32_e32 vcc, 50, v60
	s_xor_b64 s[12:13], s[20:21], -1
	s_and_b64 s[14:15], s[12:13], vcc
	s_and_saveexec_b64 s[12:13], s[14:15]
	s_cbranch_execz .LBB104_856
; %bb.855:
	v_ashrrev_i32_e32 v61, 31, v60
	v_lshl_add_u64 v[66:67], v[60:61], 2, v[4:5]
	global_load_dword v61, v[66:67], off
	global_load_dword v63, v[4:5], off offset:200
	s_waitcnt vmcnt(1)
	global_store_dword v[4:5], v61, off offset:200
	s_waitcnt vmcnt(1)
	global_store_dword v[66:67], v63, off
.LBB104_856:
	s_or_b64 exec, exec, s[12:13]
	v_mov_b32_e32 v61, v60
	v_mov_b32_e32 v63, v60
.LBB104_857:
	s_or_b64 exec, exec, s[2:3]
.LBB104_858:
	s_andn2_saveexec_b64 s[0:1], s[0:1]
; %bb.859:
	v_mov_b32_e32 v63, 50
	ds_write2_b32 v59, v12, v13 offset0:51 offset1:52
; %bb.860:
	s_or_b64 exec, exec, s[0:1]
	v_cmp_lt_i32_e32 vcc, 50, v63
	s_waitcnt lgkmcnt(0)
	s_barrier
	s_and_saveexec_b64 s[0:1], vcc
	s_cbranch_execz .LBB104_862
; %bb.861:
	ds_read2_b32 v[66:67], v59 offset0:51 offset1:52
	v_mul_f32_e32 v60, v62, v1
	v_mov_b32_e32 v1, v60
	s_waitcnt lgkmcnt(0)
	v_pk_fma_f32 v[12:13], v[60:61], v[66:67], v[12:13] op_sel_hi:[0,1,1] neg_lo:[1,0,0] neg_hi:[1,0,0]
.LBB104_862:
	s_or_b64 exec, exec, s[0:1]
	v_lshl_add_u32 v60, v63, 2, v59
	s_barrier
	ds_write_b32 v60, v12
	s_waitcnt lgkmcnt(0)
	s_barrier
	ds_read_b32 v62, v59 offset:204
	s_cmp_lt_i32 s22, 53
	v_mov_b32_e32 v60, 51
	s_cbranch_scc1 .LBB104_865
; %bb.863:
	v_add_u32_e32 v65, 0xd0, v59
	v_mov_b32_e32 v60, 51
	s_mov_b32 s0, 52
.LBB104_864:                            ; =>This Inner Loop Header: Depth=1
	ds_read_b32 v66, v65
	v_mov_b32_e32 v67, s0
	s_add_i32 s0, s0, 1
	v_add_u32_e32 v65, 4, v65
	s_cmp_lg_u32 s22, s0
	s_waitcnt lgkmcnt(0)
	v_cmp_lt_f32_e64 vcc, |v62|, |v66|
	s_nop 1
	v_cndmask_b32_e32 v62, v62, v66, vcc
	v_cndmask_b32_e32 v60, v60, v67, vcc
	s_cbranch_scc1 .LBB104_864
.LBB104_865:
	s_waitcnt lgkmcnt(0)
	v_cmp_eq_f32_e32 vcc, 0, v62
	s_and_saveexec_b64 s[0:1], vcc
	s_xor_b64 s[0:1], exec, s[0:1]
; %bb.866:
	v_cmp_ne_u32_e32 vcc, 0, v64
	s_nop 1
	v_cndmask_b32_e32 v64, 52, v64, vcc
; %bb.867:
	s_andn2_saveexec_b64 s[0:1], s[0:1]
	s_cbranch_execz .LBB104_869
; %bb.868:
	v_div_scale_f32 v65, s[2:3], v62, v62, 1.0
	v_rcp_f32_e32 v66, v65
	v_div_scale_f32 v67, vcc, 1.0, v62, 1.0
	v_fma_f32 v68, -v65, v66, 1.0
	v_fmac_f32_e32 v66, v68, v66
	v_mul_f32_e32 v68, v67, v66
	v_fma_f32 v69, -v65, v68, v67
	v_fmac_f32_e32 v68, v69, v66
	v_fma_f32 v65, -v65, v68, v67
	v_div_fmas_f32 v65, v65, v66, v68
	v_div_fixup_f32 v62, v65, v62, 1.0
.LBB104_869:
	s_or_b64 exec, exec, s[0:1]
	v_cmp_ne_u32_e32 vcc, v63, v60
	s_and_saveexec_b64 s[0:1], vcc
	s_xor_b64 s[0:1], exec, s[0:1]
	s_cbranch_execz .LBB104_875
; %bb.870:
	v_cmp_eq_u32_e32 vcc, 51, v63
	s_and_saveexec_b64 s[2:3], vcc
	s_cbranch_execz .LBB104_874
; %bb.871:
	v_cmp_ne_u32_e32 vcc, 51, v60
	s_xor_b64 s[12:13], s[20:21], -1
	s_and_b64 s[14:15], s[12:13], vcc
	s_and_saveexec_b64 s[12:13], s[14:15]
	s_cbranch_execz .LBB104_873
; %bb.872:
	v_ashrrev_i32_e32 v61, 31, v60
	v_lshl_add_u64 v[66:67], v[60:61], 2, v[4:5]
	global_load_dword v61, v[66:67], off
	global_load_dword v63, v[4:5], off offset:204
	s_waitcnt vmcnt(1)
	global_store_dword v[4:5], v61, off offset:204
	s_waitcnt vmcnt(1)
	global_store_dword v[66:67], v63, off
.LBB104_873:
	s_or_b64 exec, exec, s[12:13]
	v_mov_b32_e32 v61, v60
	v_mov_b32_e32 v63, v60
.LBB104_874:
	s_or_b64 exec, exec, s[2:3]
.LBB104_875:
	s_andn2_saveexec_b64 s[0:1], s[0:1]
; %bb.876:
	v_mov_b32_e32 v63, 51
	ds_write_b32 v59, v13 offset:208
; %bb.877:
	s_or_b64 exec, exec, s[0:1]
	v_cmp_lt_i32_e32 vcc, 51, v63
	s_waitcnt lgkmcnt(0)
	s_barrier
	s_and_saveexec_b64 s[0:1], vcc
	s_cbranch_execz .LBB104_879
; %bb.878:
	ds_read_b32 v60, v59 offset:208
	v_mul_f32_e32 v12, v62, v12
	s_waitcnt lgkmcnt(0)
	v_fma_f32 v13, -v12, v60, v13
.LBB104_879:
	s_or_b64 exec, exec, s[0:1]
	v_lshl_add_u32 v60, v63, 2, v59
	s_barrier
	ds_write_b32 v60, v13
	s_waitcnt lgkmcnt(0)
	s_barrier
	ds_read_b32 v65, v59 offset:208
	s_cmp_lt_i32 s22, 54
	v_mov_b32_e32 v60, 52
	s_cbranch_scc1 .LBB104_882
; %bb.880:
	v_add_u32_e32 v59, 0xd4, v59
	v_mov_b32_e32 v60, 52
	s_mov_b32 s0, 53
.LBB104_881:                            ; =>This Inner Loop Header: Depth=1
	ds_read_b32 v62, v59
	v_mov_b32_e32 v66, s0
	s_add_i32 s0, s0, 1
	v_add_u32_e32 v59, 4, v59
	s_cmp_lg_u32 s22, s0
	s_waitcnt lgkmcnt(0)
	v_cmp_lt_f32_e64 vcc, |v65|, |v62|
	s_nop 1
	v_cndmask_b32_e32 v65, v65, v62, vcc
	v_cndmask_b32_e32 v60, v60, v66, vcc
	s_cbranch_scc1 .LBB104_881
.LBB104_882:
	s_waitcnt lgkmcnt(0)
	v_cmp_eq_f32_e32 vcc, 0, v65
	s_and_saveexec_b64 s[0:1], vcc
	s_xor_b64 s[0:1], exec, s[0:1]
; %bb.883:
	v_cmp_ne_u32_e32 vcc, 0, v64
	s_nop 1
	v_cndmask_b32_e32 v64, 53, v64, vcc
; %bb.884:
	s_andn2_saveexec_b64 s[0:1], s[0:1]
	s_cbranch_execz .LBB104_886
; %bb.885:
	v_div_scale_f32 v59, s[2:3], v65, v65, 1.0
	v_rcp_f32_e32 v62, v59
	v_div_scale_f32 v66, vcc, 1.0, v65, 1.0
	v_fma_f32 v67, -v59, v62, 1.0
	v_fmac_f32_e32 v62, v67, v62
	v_mul_f32_e32 v67, v66, v62
	v_fma_f32 v68, -v59, v67, v66
	v_fmac_f32_e32 v67, v68, v62
	v_fma_f32 v59, -v59, v67, v66
	v_div_fmas_f32 v59, v59, v62, v67
	v_div_fixup_f32 v65, v59, v65, 1.0
.LBB104_886:
	s_or_b64 exec, exec, s[0:1]
	v_cmp_ne_u32_e32 vcc, v63, v60
	v_mov_b32_e32 v62, 52
	s_and_saveexec_b64 s[0:1], vcc
	s_cbranch_execz .LBB104_892
; %bb.887:
	v_cmp_eq_u32_e32 vcc, 52, v63
	s_and_saveexec_b64 s[2:3], vcc
	s_cbranch_execz .LBB104_891
; %bb.888:
	v_cmp_ne_u32_e32 vcc, 52, v60
	s_xor_b64 s[12:13], s[20:21], -1
	s_and_b64 s[14:15], s[12:13], vcc
	s_and_saveexec_b64 s[12:13], s[14:15]
	s_cbranch_execz .LBB104_890
; %bb.889:
	v_ashrrev_i32_e32 v61, 31, v60
	v_lshl_add_u64 v[62:63], v[60:61], 2, v[4:5]
	global_load_dword v59, v[62:63], off
	global_load_dword v61, v[4:5], off offset:208
	s_waitcnt vmcnt(1)
	global_store_dword v[4:5], v59, off offset:208
	s_waitcnt vmcnt(1)
	global_store_dword v[62:63], v61, off
.LBB104_890:
	s_or_b64 exec, exec, s[12:13]
	v_mov_b32_e32 v61, v60
	v_mov_b32_e32 v63, v60
.LBB104_891:
	s_or_b64 exec, exec, s[2:3]
	v_mov_b32_e32 v62, v63
.LBB104_892:
	s_or_b64 exec, exec, s[0:1]
	v_cmp_gt_i32_e32 vcc, 53, v62
	v_ashrrev_i32_e32 v63, 31, v62
	s_barrier
	s_barrier
	s_and_saveexec_b64 s[0:1], vcc
	s_cbranch_execz .LBB104_894
; %bb.893:
	v_mul_lo_u32 v59, s11, v2
	v_mul_lo_u32 v60, s10, v3
	v_mad_u64_u32 v[66:67], s[2:3], s10, v2, 0
	v_mov_b32_e32 v4, s6
	v_mov_b32_e32 v5, s7
	v_add3_u32 v67, v67, v60, v59
	v_lshl_add_u64 v[4:5], v[66:67], 2, v[4:5]
	v_lshl_add_u64 v[4:5], s[8:9], 2, v[4:5]
	;; [unrolled: 1-line block ×3, first 2 shown]
	v_add3_u32 v59, v61, s19, 1
	global_store_dword v[4:5], v59, off
.LBB104_894:
	s_or_b64 exec, exec, s[0:1]
	v_cmp_eq_u32_e32 vcc, 0, v62
	s_and_saveexec_b64 s[2:3], vcc
	s_cbranch_execz .LBB104_897
; %bb.895:
	v_mov_b32_e32 v4, s4
	v_mov_b32_e32 v5, s5
	v_lshl_add_u64 v[2:3], v[2:3], 2, v[4:5]
	global_load_dword v4, v[2:3], off
	v_cmp_ne_u32_e64 s[0:1], 0, v64
	s_waitcnt vmcnt(0)
	v_cmp_eq_u32_e32 vcc, 0, v4
	s_and_b64 s[0:1], vcc, s[0:1]
	s_and_b64 exec, exec, s[0:1]
	s_cbranch_execz .LBB104_897
; %bb.896:
	v_add_u32_e32 v4, s19, v64
	global_store_dword v[2:3], v4, off
.LBB104_897:
	s_or_b64 exec, exec, s[2:3]
	v_mul_f32_e32 v2, v65, v13
	v_cmp_lt_i32_e32 vcc, 52, v62
	s_nop 1
	v_cndmask_b32_e32 v13, v13, v2, vcc
	v_lshl_add_u64 v[2:3], v[62:63], 2, v[6:7]
	global_store_dword v[2:3], v58, off
	v_lshl_add_u64 v[2:3], s[16:17], 2, v[2:3]
	global_store_dword v[2:3], v50, off
	v_add_u32_e32 v2, s18, v62
	v_ashrrev_i32_e32 v3, 31, v2
	v_lshl_add_u64 v[4:5], v[2:3], 2, v[6:7]
	v_add_u32_e32 v2, s16, v2
	v_ashrrev_i32_e32 v3, 31, v2
	global_store_dword v[4:5], v51, off
	v_lshl_add_u64 v[4:5], v[2:3], 2, v[6:7]
	v_add_u32_e32 v2, s16, v2
	v_ashrrev_i32_e32 v3, 31, v2
	global_store_dword v[4:5], v48, off
	;; [unrolled: 4-line block ×48, first 2 shown]
	v_lshl_add_u64 v[4:5], v[2:3], 2, v[6:7]
	v_add_u32_e32 v0, s16, v2
	global_store_dword v[4:5], v1, off
	v_ashrrev_i32_e32 v1, 31, v0
	v_lshl_add_u64 v[2:3], v[0:1], 2, v[6:7]
	v_add_u32_e32 v0, s16, v0
	v_ashrrev_i32_e32 v1, 31, v0
	v_lshl_add_u64 v[0:1], v[0:1], 2, v[6:7]
	global_store_dword v[2:3], v12, off
	global_store_dword v[0:1], v13, off
.LBB104_898:
	s_endpgm
	.section	.rodata,"a",@progbits
	.p2align	6, 0x0
	.amdhsa_kernel _ZN9rocsolver6v33100L18getf2_small_kernelILi53EfiiPfEEvT1_T3_lS3_lPS3_llPT2_S3_S3_S5_l
		.amdhsa_group_segment_fixed_size 0
		.amdhsa_private_segment_fixed_size 0
		.amdhsa_kernarg_size 352
		.amdhsa_user_sgpr_count 2
		.amdhsa_user_sgpr_dispatch_ptr 0
		.amdhsa_user_sgpr_queue_ptr 0
		.amdhsa_user_sgpr_kernarg_segment_ptr 1
		.amdhsa_user_sgpr_dispatch_id 0
		.amdhsa_user_sgpr_kernarg_preload_length 0
		.amdhsa_user_sgpr_kernarg_preload_offset 0
		.amdhsa_user_sgpr_private_segment_size 0
		.amdhsa_uses_dynamic_stack 0
		.amdhsa_enable_private_segment 0
		.amdhsa_system_sgpr_workgroup_id_x 1
		.amdhsa_system_sgpr_workgroup_id_y 1
		.amdhsa_system_sgpr_workgroup_id_z 0
		.amdhsa_system_sgpr_workgroup_info 0
		.amdhsa_system_vgpr_workitem_id 1
		.amdhsa_next_free_vgpr 78
		.amdhsa_next_free_sgpr 26
		.amdhsa_accum_offset 80
		.amdhsa_reserve_vcc 1
		.amdhsa_float_round_mode_32 0
		.amdhsa_float_round_mode_16_64 0
		.amdhsa_float_denorm_mode_32 3
		.amdhsa_float_denorm_mode_16_64 3
		.amdhsa_dx10_clamp 1
		.amdhsa_ieee_mode 1
		.amdhsa_fp16_overflow 0
		.amdhsa_tg_split 0
		.amdhsa_exception_fp_ieee_invalid_op 0
		.amdhsa_exception_fp_denorm_src 0
		.amdhsa_exception_fp_ieee_div_zero 0
		.amdhsa_exception_fp_ieee_overflow 0
		.amdhsa_exception_fp_ieee_underflow 0
		.amdhsa_exception_fp_ieee_inexact 0
		.amdhsa_exception_int_div_zero 0
	.end_amdhsa_kernel
	.section	.text._ZN9rocsolver6v33100L18getf2_small_kernelILi53EfiiPfEEvT1_T3_lS3_lPS3_llPT2_S3_S3_S5_l,"axG",@progbits,_ZN9rocsolver6v33100L18getf2_small_kernelILi53EfiiPfEEvT1_T3_lS3_lPS3_llPT2_S3_S3_S5_l,comdat
.Lfunc_end104:
	.size	_ZN9rocsolver6v33100L18getf2_small_kernelILi53EfiiPfEEvT1_T3_lS3_lPS3_llPT2_S3_S3_S5_l, .Lfunc_end104-_ZN9rocsolver6v33100L18getf2_small_kernelILi53EfiiPfEEvT1_T3_lS3_lPS3_llPT2_S3_S3_S5_l
                                        ; -- End function
	.set _ZN9rocsolver6v33100L18getf2_small_kernelILi53EfiiPfEEvT1_T3_lS3_lPS3_llPT2_S3_S3_S5_l.num_vgpr, 78
	.set _ZN9rocsolver6v33100L18getf2_small_kernelILi53EfiiPfEEvT1_T3_lS3_lPS3_llPT2_S3_S3_S5_l.num_agpr, 0
	.set _ZN9rocsolver6v33100L18getf2_small_kernelILi53EfiiPfEEvT1_T3_lS3_lPS3_llPT2_S3_S3_S5_l.numbered_sgpr, 26
	.set _ZN9rocsolver6v33100L18getf2_small_kernelILi53EfiiPfEEvT1_T3_lS3_lPS3_llPT2_S3_S3_S5_l.num_named_barrier, 0
	.set _ZN9rocsolver6v33100L18getf2_small_kernelILi53EfiiPfEEvT1_T3_lS3_lPS3_llPT2_S3_S3_S5_l.private_seg_size, 0
	.set _ZN9rocsolver6v33100L18getf2_small_kernelILi53EfiiPfEEvT1_T3_lS3_lPS3_llPT2_S3_S3_S5_l.uses_vcc, 1
	.set _ZN9rocsolver6v33100L18getf2_small_kernelILi53EfiiPfEEvT1_T3_lS3_lPS3_llPT2_S3_S3_S5_l.uses_flat_scratch, 0
	.set _ZN9rocsolver6v33100L18getf2_small_kernelILi53EfiiPfEEvT1_T3_lS3_lPS3_llPT2_S3_S3_S5_l.has_dyn_sized_stack, 0
	.set _ZN9rocsolver6v33100L18getf2_small_kernelILi53EfiiPfEEvT1_T3_lS3_lPS3_llPT2_S3_S3_S5_l.has_recursion, 0
	.set _ZN9rocsolver6v33100L18getf2_small_kernelILi53EfiiPfEEvT1_T3_lS3_lPS3_llPT2_S3_S3_S5_l.has_indirect_call, 0
	.section	.AMDGPU.csdata,"",@progbits
; Kernel info:
; codeLenInByte = 45904
; TotalNumSgprs: 32
; NumVgprs: 78
; NumAgprs: 0
; TotalNumVgprs: 78
; ScratchSize: 0
; MemoryBound: 0
; FloatMode: 240
; IeeeMode: 1
; LDSByteSize: 0 bytes/workgroup (compile time only)
; SGPRBlocks: 3
; VGPRBlocks: 9
; NumSGPRsForWavesPerEU: 32
; NumVGPRsForWavesPerEU: 78
; AccumOffset: 80
; Occupancy: 6
; WaveLimiterHint : 0
; COMPUTE_PGM_RSRC2:SCRATCH_EN: 0
; COMPUTE_PGM_RSRC2:USER_SGPR: 2
; COMPUTE_PGM_RSRC2:TRAP_HANDLER: 0
; COMPUTE_PGM_RSRC2:TGID_X_EN: 1
; COMPUTE_PGM_RSRC2:TGID_Y_EN: 1
; COMPUTE_PGM_RSRC2:TGID_Z_EN: 0
; COMPUTE_PGM_RSRC2:TIDIG_COMP_CNT: 1
; COMPUTE_PGM_RSRC3_GFX90A:ACCUM_OFFSET: 19
; COMPUTE_PGM_RSRC3_GFX90A:TG_SPLIT: 0
	.section	.text._ZN9rocsolver6v33100L23getf2_npvt_small_kernelILi53EfiiPfEEvT1_T3_lS3_lPT2_S3_S3_,"axG",@progbits,_ZN9rocsolver6v33100L23getf2_npvt_small_kernelILi53EfiiPfEEvT1_T3_lS3_lPT2_S3_S3_,comdat
	.globl	_ZN9rocsolver6v33100L23getf2_npvt_small_kernelILi53EfiiPfEEvT1_T3_lS3_lPT2_S3_S3_ ; -- Begin function _ZN9rocsolver6v33100L23getf2_npvt_small_kernelILi53EfiiPfEEvT1_T3_lS3_lPT2_S3_S3_
	.p2align	8
	.type	_ZN9rocsolver6v33100L23getf2_npvt_small_kernelILi53EfiiPfEEvT1_T3_lS3_lPT2_S3_S3_,@function
_ZN9rocsolver6v33100L23getf2_npvt_small_kernelILi53EfiiPfEEvT1_T3_lS3_lPT2_S3_S3_: ; @_ZN9rocsolver6v33100L23getf2_npvt_small_kernelILi53EfiiPfEEvT1_T3_lS3_lPT2_S3_S3_
; %bb.0:
	s_load_dword s2, s[0:1], 0x44
	s_load_dwordx2 s[8:9], s[0:1], 0x30
	v_bfe_u32 v162, v0, 10, 10
	s_waitcnt lgkmcnt(0)
	s_lshr_b32 s10, s2, 16
	s_mul_i32 s3, s3, s10
	v_add_u32_e32 v34, s3, v162
	v_cmp_gt_i32_e32 vcc, s8, v34
	s_and_saveexec_b64 s[2:3], vcc
	s_cbranch_execz .LBB105_294
; %bb.1:
	s_load_dwordx4 s[12:15], s[0:1], 0x8
	s_load_dword s2, s[0:1], 0x18
	s_load_dwordx4 s[4:7], s[0:1], 0x20
	v_and_b32_e32 v25, 0x3ff, v0
	v_ashrrev_i32_e32 v35, 31, v34
	s_waitcnt lgkmcnt(0)
	v_mov_b32_e32 v2, s12
	v_mov_b32_e32 v3, s13
	v_mad_u64_u32 v[0:1], s[0:1], s4, v34, 0
	s_add_i32 s0, s2, s2
	s_nop 0
	v_add_u32_e32 v6, s0, v25
	v_add_u32_e32 v8, s2, v6
	;; [unrolled: 1-line block ×45, first 2 shown]
	v_mul_lo_u32 v4, s5, v34
	v_mul_lo_u32 v5, s4, v35
	v_add_u32_e32 v148, s2, v138
	v_add3_u32 v1, v1, v5, v4
	v_add_u32_e32 v150, s2, v148
	v_lshl_add_u64 v[0:1], v[0:1], 2, v[2:3]
	v_add_u32_e32 v152, s2, v150
	v_lshl_add_u64 v[156:157], s[14:15], 2, v[0:1]
	v_lshlrev_b32_e32 v0, 2, v25
	v_mov_b32_e32 v1, 0
	v_ashrrev_i32_e32 v7, 31, v6
	v_ashrrev_i32_e32 v9, 31, v8
	;; [unrolled: 1-line block ×39, first 2 shown]
	v_add_u32_e32 v154, s2, v152
	s_ashr_i32 s3, s2, 31
	v_lshl_add_u64 v[0:1], v[156:157], 0, v[0:1]
	v_lshl_add_u64 v[4:5], v[6:7], 2, v[156:157]
	;; [unrolled: 1-line block ×40, first 2 shown]
	v_ashrrev_i32_e32 v129, 31, v128
	v_ashrrev_i32_e32 v131, 31, v130
	;; [unrolled: 1-line block ×7, first 2 shown]
	v_add_u32_e32 v158, s2, v154
	v_lshl_add_u64 v[2:3], s[2:3], 2, v[0:1]
	global_load_dword v24, v[0:1], off
	global_load_dword v18, v[2:3], off
	;; [unrolled: 1-line block ×40, first 2 shown]
	v_lshl_add_u64 v[126:127], v[128:129], 2, v[156:157]
	v_lshl_add_u64 v[128:129], v[130:131], 2, v[156:157]
	v_lshl_add_u64 v[130:131], v[132:133], 2, v[156:157]
	v_lshl_add_u64 v[132:133], v[134:135], 2, v[156:157]
	v_lshl_add_u64 v[134:135], v[136:137], 2, v[156:157]
	v_lshl_add_u64 v[136:137], v[138:139], 2, v[156:157]
	v_lshl_add_u64 v[138:139], v[148:149], 2, v[156:157]
	global_load_dword v121, v[124:125], off
	global_load_dword v146, v[126:127], off
	;; [unrolled: 1-line block ×8, first 2 shown]
	v_ashrrev_i32_e32 v151, 31, v150
	v_ashrrev_i32_e32 v153, 31, v152
	v_ashrrev_i32_e32 v155, 31, v154
	v_ashrrev_i32_e32 v159, 31, v158
	v_lshl_add_u64 v[148:149], v[150:151], 2, v[156:157]
	v_lshl_add_u64 v[150:151], v[152:153], 2, v[156:157]
	;; [unrolled: 1-line block ×4, first 2 shown]
	v_add_u32_e32 v158, s2, v158
	v_ashrrev_i32_e32 v159, 31, v158
	v_lshl_add_u64 v[156:157], v[158:159], 2, v[156:157]
	global_load_dword v145, v[148:149], off
	global_load_dword v158, v[150:151], off
	;; [unrolled: 1-line block ×5, first 2 shown]
	s_mulk_i32 s10, 0xd4
	v_cmp_eq_u32_e64 s[0:1], 0, v25
	v_cmp_ne_u32_e64 s[2:3], 0, v25
	s_movk_i32 s11, 0xd4
	s_add_i32 s8, s10, 0
	s_and_saveexec_b64 s[4:5], s[2:3]
	s_xor_b64 s[4:5], exec, s[4:5]
	s_or_saveexec_b64 s[4:5], s[4:5]
	v_mad_u32_u24 v163, v162, s11, 0
	v_lshl_add_u32 v162, v162, 2, s8
	s_xor_b64 exec, exec, s[4:5]
	s_cbranch_execz .LBB105_5
; %bb.2:
	s_waitcnt vmcnt(52)
	ds_write_b32 v162, v24
	s_waitcnt vmcnt(50)
	ds_write2_b32 v163, v18, v19 offset0:1 offset1:2
	s_waitcnt vmcnt(48)
	ds_write2_b32 v163, v20, v21 offset0:3 offset1:4
	;; [unrolled: 2-line block ×26, first 2 shown]
	ds_read_b32 v164, v162
	s_waitcnt lgkmcnt(0)
	v_cmp_neq_f32_e32 vcc, 0, v164
	s_and_saveexec_b64 s[10:11], vcc
	s_cbranch_execz .LBB105_4
; %bb.3:
	v_div_scale_f32 v165, s[12:13], v164, v164, 1.0
	v_rcp_f32_e32 v166, v165
	v_div_scale_f32 v167, vcc, 1.0, v164, 1.0
	v_fma_f32 v168, -v165, v166, 1.0
	v_fmac_f32_e32 v166, v168, v166
	v_mul_f32_e32 v168, v167, v166
	v_fma_f32 v169, -v165, v168, v167
	v_fmac_f32_e32 v168, v169, v166
	v_fma_f32 v165, -v165, v168, v167
	v_div_fmas_f32 v165, v165, v166, v168
	v_div_fixup_f32 v164, v165, v164, 1.0
	ds_write_b32 v162, v164
.LBB105_4:
	s_or_b64 exec, exec, s[10:11]
.LBB105_5:
	s_or_b64 exec, exec, s[4:5]
	s_waitcnt lgkmcnt(0)
	s_barrier
	ds_read_b32 v164, v162
	s_and_saveexec_b64 s[4:5], s[2:3]
	s_cbranch_execz .LBB105_7
; %bb.6:
	ds_read2_b32 v[166:167], v163 offset0:1 offset1:2
	ds_read2_b32 v[168:169], v163 offset0:3 offset1:4
	;; [unrolled: 1-line block ×4, first 2 shown]
	s_waitcnt vmcnt(52) lgkmcnt(4)
	v_mul_f32_e32 v24, v164, v24
	s_waitcnt vmcnt(50) lgkmcnt(3)
	v_pk_fma_f32 v[18:19], v[24:25], v[166:167], v[18:19] op_sel_hi:[0,1,1] neg_lo:[1,0,0] neg_hi:[1,0,0]
	s_waitcnt vmcnt(48) lgkmcnt(2)
	v_pk_fma_f32 v[20:21], v[24:25], v[168:169], v[20:21] op_sel_hi:[0,1,1] neg_lo:[1,0,0] neg_hi:[1,0,0]
	s_waitcnt vmcnt(46) lgkmcnt(1)
	v_pk_fma_f32 v[22:23], v[24:25], v[170:171], v[22:23] op_sel_hi:[0,1,1] neg_lo:[1,0,0] neg_hi:[1,0,0]
	ds_read2_b32 v[166:167], v163 offset0:9 offset1:10
	ds_read2_b32 v[168:169], v163 offset0:11 offset1:12
	ds_read2_b32 v[170:171], v163 offset0:13 offset1:14
	s_waitcnt vmcnt(44) lgkmcnt(3)
	v_pk_fma_f32 v[16:17], v[24:25], v[172:173], v[16:17] op_sel_hi:[0,1,1] neg_lo:[1,0,0] neg_hi:[1,0,0]
	ds_read2_b32 v[172:173], v163 offset0:15 offset1:16
	s_waitcnt vmcnt(42) lgkmcnt(3)
	v_pk_fma_f32 v[46:47], v[24:25], v[166:167], v[46:47] op_sel_hi:[0,1,1] neg_lo:[1,0,0] neg_hi:[1,0,0]
	s_waitcnt vmcnt(40) lgkmcnt(2)
	v_pk_fma_f32 v[50:51], v[24:25], v[168:169], v[50:51] op_sel_hi:[0,1,1] neg_lo:[1,0,0] neg_hi:[1,0,0]
	s_waitcnt vmcnt(38) lgkmcnt(1)
	v_pk_fma_f32 v[44:45], v[24:25], v[170:171], v[44:45] op_sel_hi:[0,1,1] neg_lo:[1,0,0] neg_hi:[1,0,0]
	ds_read2_b32 v[166:167], v163 offset0:17 offset1:18
	ds_read2_b32 v[168:169], v163 offset0:19 offset1:20
	ds_read2_b32 v[170:171], v163 offset0:21 offset1:22
	s_waitcnt vmcnt(36) lgkmcnt(3)
	v_pk_fma_f32 v[48:49], v[24:25], v[172:173], v[48:49] op_sel_hi:[0,1,1] neg_lo:[1,0,0] neg_hi:[1,0,0]
	ds_read2_b32 v[172:173], v163 offset0:23 offset1:24
	;; [unrolled: 12-line block ×4, first 2 shown]
	s_waitcnt vmcnt(18) lgkmcnt(3)
	v_pk_fma_f32 v[118:119], v[24:25], v[166:167], v[118:119] op_sel_hi:[0,1,1] neg_lo:[1,0,0] neg_hi:[1,0,0]
	ds_read2_b32 v[166:167], v163 offset0:41 offset1:42
	s_waitcnt vmcnt(16) lgkmcnt(3)
	v_pk_fma_f32 v[122:123], v[24:25], v[168:169], v[122:123] op_sel_hi:[0,1,1] neg_lo:[1,0,0] neg_hi:[1,0,0]
	s_waitcnt vmcnt(14) lgkmcnt(2)
	v_pk_fma_f32 v[116:117], v[24:25], v[170:171], v[116:117] op_sel_hi:[0,1,1] neg_lo:[1,0,0] neg_hi:[1,0,0]
	;; [unrolled: 2-line block ×3, first 2 shown]
	ds_read2_b32 v[168:169], v163 offset0:43 offset1:44
	ds_read2_b32 v[170:171], v163 offset0:45 offset1:46
	;; [unrolled: 1-line block ×3, first 2 shown]
	s_waitcnt vmcnt(10) lgkmcnt(3)
	v_pk_fma_f32 v[146:147], v[24:25], v[166:167], v[146:147] op_sel_hi:[0,1,1] neg_lo:[1,0,0] neg_hi:[1,0,0]
	ds_read2_b32 v[166:167], v163 offset0:49 offset1:50
	ds_read2_b32 v[174:175], v163 offset0:51 offset1:52
	s_waitcnt vmcnt(8) lgkmcnt(4)
	v_pk_fma_f32 v[140:141], v[24:25], v[168:169], v[140:141] op_sel_hi:[0,1,1] neg_lo:[1,0,0] neg_hi:[1,0,0]
	s_waitcnt vmcnt(6) lgkmcnt(3)
	v_pk_fma_f32 v[142:143], v[24:25], v[170:171], v[142:143] op_sel_hi:[0,1,1] neg_lo:[1,0,0] neg_hi:[1,0,0]
	;; [unrolled: 2-line block ×5, first 2 shown]
.LBB105_7:
	s_or_b64 exec, exec, s[4:5]
	v_cmp_eq_u32_e32 vcc, 1, v25
	s_waitcnt lgkmcnt(0)
	s_barrier
	s_and_saveexec_b64 s[2:3], vcc
	s_cbranch_execz .LBB105_10
; %bb.8:
	s_waitcnt vmcnt(48)
	v_pk_mov_b32 v[166:167], v[18:19], v[20:21] op_sel:[1,0]
	ds_write_b32 v162, v18
	ds_write2_b32 v163, v166, v167 offset0:2 offset1:3
	s_waitcnt vmcnt(46)
	v_pk_mov_b32 v[166:167], v[20:21], v[22:23] op_sel:[1,0]
	ds_write2_b32 v163, v166, v167 offset0:4 offset1:5
	s_waitcnt vmcnt(44)
	v_pk_mov_b32 v[166:167], v[22:23], v[16:17] op_sel:[1,0]
	;; [unrolled: 3-line block ×24, first 2 shown]
	ds_write2_b32 v163, v166, v167 offset0:50 offset1:51
	ds_write_b32 v163, v161 offset:208
	ds_read_b32 v165, v162
	s_waitcnt lgkmcnt(0)
	v_cmp_neq_f32_e32 vcc, 0, v165
	s_and_b64 exec, exec, vcc
	s_cbranch_execz .LBB105_10
; %bb.9:
	v_div_scale_f32 v166, s[4:5], v165, v165, 1.0
	v_rcp_f32_e32 v167, v166
	v_div_scale_f32 v168, vcc, 1.0, v165, 1.0
	v_fma_f32 v169, -v166, v167, 1.0
	v_fmac_f32_e32 v167, v169, v167
	v_mul_f32_e32 v169, v168, v167
	v_fma_f32 v170, -v166, v169, v168
	v_fmac_f32_e32 v169, v170, v167
	v_fma_f32 v166, -v166, v169, v168
	v_div_fmas_f32 v166, v166, v167, v169
	v_div_fixup_f32 v165, v166, v165, 1.0
	ds_write_b32 v162, v165
.LBB105_10:
	s_or_b64 exec, exec, s[2:3]
	s_waitcnt lgkmcnt(0)
	s_barrier
	ds_read_b32 v165, v162
	v_cmp_lt_u32_e32 vcc, 1, v25
	s_and_saveexec_b64 s[2:3], vcc
	s_cbranch_execz .LBB105_12
; %bb.11:
	ds_read_b32 v172, v163 offset:8
	ds_read2_b32 v[166:167], v163 offset0:3 offset1:4
	ds_read2_b32 v[168:169], v163 offset0:5 offset1:6
	s_waitcnt vmcnt(51) lgkmcnt(3)
	v_mul_f32_e32 v18, v165, v18
	ds_read2_b32 v[170:171], v163 offset0:7 offset1:8
	s_waitcnt vmcnt(50) lgkmcnt(3)
	v_fma_f32 v19, -v18, v172, v19
	s_waitcnt vmcnt(48) lgkmcnt(2)
	v_pk_fma_f32 v[20:21], v[18:19], v[166:167], v[20:21] op_sel_hi:[0,1,1] neg_lo:[1,0,0] neg_hi:[1,0,0]
	s_waitcnt vmcnt(46) lgkmcnt(1)
	v_pk_fma_f32 v[22:23], v[18:19], v[168:169], v[22:23] op_sel_hi:[0,1,1] neg_lo:[1,0,0] neg_hi:[1,0,0]
	ds_read2_b32 v[166:167], v163 offset0:9 offset1:10
	ds_read2_b32 v[168:169], v163 offset0:11 offset1:12
	ds_read2_b32 v[172:173], v163 offset0:13 offset1:14
	s_waitcnt vmcnt(44) lgkmcnt(3)
	v_pk_fma_f32 v[16:17], v[18:19], v[170:171], v[16:17] op_sel_hi:[0,1,1] neg_lo:[1,0,0] neg_hi:[1,0,0]
	ds_read2_b32 v[170:171], v163 offset0:15 offset1:16
	s_waitcnt vmcnt(42) lgkmcnt(3)
	v_pk_fma_f32 v[46:47], v[18:19], v[166:167], v[46:47] op_sel_hi:[0,1,1] neg_lo:[1,0,0] neg_hi:[1,0,0]
	s_waitcnt vmcnt(40) lgkmcnt(2)
	v_pk_fma_f32 v[50:51], v[18:19], v[168:169], v[50:51] op_sel_hi:[0,1,1] neg_lo:[1,0,0] neg_hi:[1,0,0]
	s_waitcnt vmcnt(38) lgkmcnt(1)
	v_pk_fma_f32 v[44:45], v[18:19], v[172:173], v[44:45] op_sel_hi:[0,1,1] neg_lo:[1,0,0] neg_hi:[1,0,0]
	ds_read2_b32 v[166:167], v163 offset0:17 offset1:18
	ds_read2_b32 v[168:169], v163 offset0:19 offset1:20
	ds_read2_b32 v[172:173], v163 offset0:21 offset1:22
	s_waitcnt vmcnt(36) lgkmcnt(3)
	v_pk_fma_f32 v[48:49], v[18:19], v[170:171], v[48:49] op_sel_hi:[0,1,1] neg_lo:[1,0,0] neg_hi:[1,0,0]
	ds_read2_b32 v[170:171], v163 offset0:23 offset1:24
	s_waitcnt vmcnt(34) lgkmcnt(3)
	v_pk_fma_f32 v[74:75], v[18:19], v[166:167], v[74:75] op_sel_hi:[0,1,1] neg_lo:[1,0,0] neg_hi:[1,0,0]
	;; [unrolled: 12-line block ×4, first 2 shown]
	ds_read2_b32 v[166:167], v163 offset0:41 offset1:42
	s_waitcnt vmcnt(16) lgkmcnt(3)
	v_pk_fma_f32 v[122:123], v[18:19], v[168:169], v[122:123] op_sel_hi:[0,1,1] neg_lo:[1,0,0] neg_hi:[1,0,0]
	s_waitcnt vmcnt(14) lgkmcnt(2)
	v_pk_fma_f32 v[116:117], v[18:19], v[172:173], v[116:117] op_sel_hi:[0,1,1] neg_lo:[1,0,0] neg_hi:[1,0,0]
	;; [unrolled: 2-line block ×3, first 2 shown]
	ds_read2_b32 v[168:169], v163 offset0:43 offset1:44
	ds_read2_b32 v[170:171], v163 offset0:45 offset1:46
	;; [unrolled: 1-line block ×3, first 2 shown]
	s_waitcnt vmcnt(10) lgkmcnt(3)
	v_pk_fma_f32 v[146:147], v[18:19], v[166:167], v[146:147] op_sel_hi:[0,1,1] neg_lo:[1,0,0] neg_hi:[1,0,0]
	ds_read2_b32 v[166:167], v163 offset0:49 offset1:50
	ds_read2_b32 v[174:175], v163 offset0:51 offset1:52
	s_waitcnt vmcnt(8) lgkmcnt(4)
	v_pk_fma_f32 v[140:141], v[18:19], v[168:169], v[140:141] op_sel_hi:[0,1,1] neg_lo:[1,0,0] neg_hi:[1,0,0]
	s_waitcnt vmcnt(6) lgkmcnt(3)
	v_pk_fma_f32 v[142:143], v[18:19], v[170:171], v[142:143] op_sel_hi:[0,1,1] neg_lo:[1,0,0] neg_hi:[1,0,0]
	;; [unrolled: 2-line block ×5, first 2 shown]
.LBB105_12:
	s_or_b64 exec, exec, s[2:3]
	v_cmp_eq_u32_e32 vcc, 2, v25
	s_waitcnt lgkmcnt(0)
	s_barrier
	s_and_saveexec_b64 s[2:3], vcc
	s_cbranch_execz .LBB105_15
; %bb.13:
	s_waitcnt vmcnt(50)
	ds_write_b32 v162, v19
	s_waitcnt vmcnt(48)
	ds_write2_b32 v163, v20, v21 offset0:3 offset1:4
	s_waitcnt vmcnt(46)
	ds_write2_b32 v163, v22, v23 offset0:5 offset1:6
	;; [unrolled: 2-line block ×25, first 2 shown]
	ds_read_b32 v166, v162
	s_waitcnt lgkmcnt(0)
	v_cmp_neq_f32_e32 vcc, 0, v166
	s_and_b64 exec, exec, vcc
	s_cbranch_execz .LBB105_15
; %bb.14:
	v_div_scale_f32 v167, s[4:5], v166, v166, 1.0
	v_rcp_f32_e32 v168, v167
	v_div_scale_f32 v169, vcc, 1.0, v166, 1.0
	v_fma_f32 v170, -v167, v168, 1.0
	v_fmac_f32_e32 v168, v170, v168
	v_mul_f32_e32 v170, v169, v168
	v_fma_f32 v171, -v167, v170, v169
	v_fmac_f32_e32 v170, v171, v168
	v_fma_f32 v167, -v167, v170, v169
	v_div_fmas_f32 v167, v167, v168, v170
	v_div_fixup_f32 v166, v167, v166, 1.0
	ds_write_b32 v162, v166
.LBB105_15:
	s_or_b64 exec, exec, s[2:3]
	s_waitcnt lgkmcnt(0)
	s_barrier
	ds_read_b32 v166, v162
	v_cmp_lt_u32_e32 vcc, 2, v25
	s_and_saveexec_b64 s[2:3], vcc
	s_cbranch_execz .LBB105_17
; %bb.16:
	ds_read2_b32 v[168:169], v163 offset0:3 offset1:4
	ds_read2_b32 v[170:171], v163 offset0:5 offset1:6
	;; [unrolled: 1-line block ×3, first 2 shown]
	s_waitcnt vmcnt(50) lgkmcnt(3)
	v_mul_f32_e32 v174, v166, v19
	ds_read2_b32 v[176:177], v163 offset0:9 offset1:10
	s_waitcnt vmcnt(48) lgkmcnt(3)
	v_pk_fma_f32 v[20:21], v[174:175], v[168:169], v[20:21] op_sel_hi:[0,1,1] neg_lo:[1,0,0] neg_hi:[1,0,0]
	s_waitcnt vmcnt(46) lgkmcnt(2)
	v_pk_fma_f32 v[22:23], v[174:175], v[170:171], v[22:23] op_sel_hi:[0,1,1] neg_lo:[1,0,0] neg_hi:[1,0,0]
	s_waitcnt vmcnt(44) lgkmcnt(1)
	v_pk_fma_f32 v[16:17], v[174:175], v[172:173], v[16:17] op_sel_hi:[0,1,1] neg_lo:[1,0,0] neg_hi:[1,0,0]
	ds_read2_b32 v[168:169], v163 offset0:11 offset1:12
	ds_read2_b32 v[170:171], v163 offset0:13 offset1:14
	ds_read2_b32 v[172:173], v163 offset0:15 offset1:16
	s_waitcnt vmcnt(42) lgkmcnt(3)
	v_pk_fma_f32 v[46:47], v[174:175], v[176:177], v[46:47] op_sel_hi:[0,1,1] neg_lo:[1,0,0] neg_hi:[1,0,0]
	ds_read2_b32 v[176:177], v163 offset0:17 offset1:18
	s_waitcnt vmcnt(40) lgkmcnt(3)
	v_pk_fma_f32 v[50:51], v[174:175], v[168:169], v[50:51] op_sel_hi:[0,1,1] neg_lo:[1,0,0] neg_hi:[1,0,0]
	s_waitcnt vmcnt(38) lgkmcnt(2)
	v_pk_fma_f32 v[44:45], v[174:175], v[170:171], v[44:45] op_sel_hi:[0,1,1] neg_lo:[1,0,0] neg_hi:[1,0,0]
	s_waitcnt vmcnt(36) lgkmcnt(1)
	v_pk_fma_f32 v[48:49], v[174:175], v[172:173], v[48:49] op_sel_hi:[0,1,1] neg_lo:[1,0,0] neg_hi:[1,0,0]
	ds_read2_b32 v[168:169], v163 offset0:19 offset1:20
	ds_read2_b32 v[170:171], v163 offset0:21 offset1:22
	ds_read2_b32 v[172:173], v163 offset0:23 offset1:24
	s_waitcnt vmcnt(34) lgkmcnt(3)
	v_pk_fma_f32 v[74:75], v[174:175], v[176:177], v[74:75] op_sel_hi:[0,1,1] neg_lo:[1,0,0] neg_hi:[1,0,0]
	;; [unrolled: 12-line block ×3, first 2 shown]
	ds_read2_b32 v[176:177], v163 offset0:33 offset1:34
	s_waitcnt vmcnt(24) lgkmcnt(3)
	v_pk_fma_f32 v[96:97], v[174:175], v[168:169], v[96:97] op_sel_hi:[0,1,1] neg_lo:[1,0,0] neg_hi:[1,0,0]
	s_waitcnt vmcnt(22) lgkmcnt(2)
	v_pk_fma_f32 v[98:99], v[174:175], v[170:171], v[98:99] op_sel_hi:[0,1,1] neg_lo:[1,0,0] neg_hi:[1,0,0]
	;; [unrolled: 2-line block ×3, first 2 shown]
	ds_read2_b32 v[168:169], v163 offset0:35 offset1:36
	ds_read2_b32 v[170:171], v163 offset0:37 offset1:38
	;; [unrolled: 1-line block ×4, first 2 shown]
	s_waitcnt vmcnt(18) lgkmcnt(4)
	v_pk_fma_f32 v[118:119], v[174:175], v[176:177], v[118:119] op_sel_hi:[0,1,1] neg_lo:[1,0,0] neg_hi:[1,0,0]
	s_waitcnt vmcnt(16) lgkmcnt(3)
	v_pk_fma_f32 v[122:123], v[174:175], v[168:169], v[122:123] op_sel_hi:[0,1,1] neg_lo:[1,0,0] neg_hi:[1,0,0]
	;; [unrolled: 2-line block ×5, first 2 shown]
	ds_read2_b32 v[168:169], v163 offset0:43 offset1:44
	ds_read2_b32 v[170:171], v163 offset0:45 offset1:46
	ds_read2_b32 v[172:173], v163 offset0:47 offset1:48
	ds_read2_b32 v[176:177], v163 offset0:49 offset1:50
	ds_read2_b32 v[178:179], v163 offset0:51 offset1:52
	s_waitcnt vmcnt(8) lgkmcnt(4)
	v_pk_fma_f32 v[140:141], v[174:175], v[168:169], v[140:141] op_sel_hi:[0,1,1] neg_lo:[1,0,0] neg_hi:[1,0,0]
	s_waitcnt vmcnt(6) lgkmcnt(3)
	v_pk_fma_f32 v[142:143], v[174:175], v[170:171], v[142:143] op_sel_hi:[0,1,1] neg_lo:[1,0,0] neg_hi:[1,0,0]
	;; [unrolled: 2-line block ×5, first 2 shown]
	v_mov_b32_e32 v19, v174
.LBB105_17:
	s_or_b64 exec, exec, s[2:3]
	v_cmp_eq_u32_e32 vcc, 3, v25
	s_waitcnt lgkmcnt(0)
	s_barrier
	s_and_saveexec_b64 s[2:3], vcc
	s_cbranch_execz .LBB105_20
; %bb.18:
	s_waitcnt vmcnt(46)
	v_pk_mov_b32 v[168:169], v[20:21], v[22:23] op_sel:[1,0]
	ds_write_b32 v162, v20
	ds_write2_b32 v163, v168, v169 offset0:4 offset1:5
	s_waitcnt vmcnt(44)
	v_pk_mov_b32 v[168:169], v[22:23], v[16:17] op_sel:[1,0]
	ds_write2_b32 v163, v168, v169 offset0:6 offset1:7
	s_waitcnt vmcnt(42)
	v_pk_mov_b32 v[168:169], v[16:17], v[46:47] op_sel:[1,0]
	;; [unrolled: 3-line block ×23, first 2 shown]
	ds_write2_b32 v163, v168, v169 offset0:50 offset1:51
	ds_write_b32 v163, v161 offset:208
	ds_read_b32 v167, v162
	s_waitcnt lgkmcnt(0)
	v_cmp_neq_f32_e32 vcc, 0, v167
	s_and_b64 exec, exec, vcc
	s_cbranch_execz .LBB105_20
; %bb.19:
	v_div_scale_f32 v168, s[4:5], v167, v167, 1.0
	v_rcp_f32_e32 v169, v168
	v_div_scale_f32 v170, vcc, 1.0, v167, 1.0
	v_fma_f32 v171, -v168, v169, 1.0
	v_fmac_f32_e32 v169, v171, v169
	v_mul_f32_e32 v171, v170, v169
	v_fma_f32 v172, -v168, v171, v170
	v_fmac_f32_e32 v171, v172, v169
	v_fma_f32 v168, -v168, v171, v170
	v_div_fmas_f32 v168, v168, v169, v171
	v_div_fixup_f32 v167, v168, v167, 1.0
	ds_write_b32 v162, v167
.LBB105_20:
	s_or_b64 exec, exec, s[2:3]
	s_waitcnt lgkmcnt(0)
	s_barrier
	ds_read_b32 v167, v162
	v_cmp_lt_u32_e32 vcc, 3, v25
	s_and_saveexec_b64 s[2:3], vcc
	s_cbranch_execz .LBB105_22
; %bb.21:
	ds_read_b32 v174, v163 offset:16
	ds_read2_b32 v[168:169], v163 offset0:5 offset1:6
	ds_read2_b32 v[170:171], v163 offset0:7 offset1:8
	s_waitcnt vmcnt(49) lgkmcnt(3)
	v_mul_f32_e32 v20, v167, v20
	ds_read2_b32 v[172:173], v163 offset0:9 offset1:10
	s_waitcnt vmcnt(48) lgkmcnt(3)
	v_fma_f32 v21, -v20, v174, v21
	s_waitcnt vmcnt(46) lgkmcnt(2)
	v_pk_fma_f32 v[22:23], v[20:21], v[168:169], v[22:23] op_sel_hi:[0,1,1] neg_lo:[1,0,0] neg_hi:[1,0,0]
	s_waitcnt vmcnt(44) lgkmcnt(1)
	v_pk_fma_f32 v[16:17], v[20:21], v[170:171], v[16:17] op_sel_hi:[0,1,1] neg_lo:[1,0,0] neg_hi:[1,0,0]
	ds_read2_b32 v[168:169], v163 offset0:11 offset1:12
	ds_read2_b32 v[170:171], v163 offset0:13 offset1:14
	ds_read2_b32 v[174:175], v163 offset0:15 offset1:16
	s_waitcnt vmcnt(42) lgkmcnt(3)
	v_pk_fma_f32 v[46:47], v[20:21], v[172:173], v[46:47] op_sel_hi:[0,1,1] neg_lo:[1,0,0] neg_hi:[1,0,0]
	ds_read2_b32 v[172:173], v163 offset0:17 offset1:18
	s_waitcnt vmcnt(40) lgkmcnt(3)
	v_pk_fma_f32 v[50:51], v[20:21], v[168:169], v[50:51] op_sel_hi:[0,1,1] neg_lo:[1,0,0] neg_hi:[1,0,0]
	s_waitcnt vmcnt(38) lgkmcnt(2)
	v_pk_fma_f32 v[44:45], v[20:21], v[170:171], v[44:45] op_sel_hi:[0,1,1] neg_lo:[1,0,0] neg_hi:[1,0,0]
	s_waitcnt vmcnt(36) lgkmcnt(1)
	v_pk_fma_f32 v[48:49], v[20:21], v[174:175], v[48:49] op_sel_hi:[0,1,1] neg_lo:[1,0,0] neg_hi:[1,0,0]
	ds_read2_b32 v[168:169], v163 offset0:19 offset1:20
	ds_read2_b32 v[170:171], v163 offset0:21 offset1:22
	ds_read2_b32 v[174:175], v163 offset0:23 offset1:24
	s_waitcnt vmcnt(34) lgkmcnt(3)
	v_pk_fma_f32 v[74:75], v[20:21], v[172:173], v[74:75] op_sel_hi:[0,1,1] neg_lo:[1,0,0] neg_hi:[1,0,0]
	ds_read2_b32 v[172:173], v163 offset0:25 offset1:26
	s_waitcnt vmcnt(32) lgkmcnt(3)
	v_pk_fma_f32 v[68:69], v[20:21], v[168:169], v[68:69] op_sel_hi:[0,1,1] neg_lo:[1,0,0] neg_hi:[1,0,0]
	;; [unrolled: 12-line block ×3, first 2 shown]
	s_waitcnt vmcnt(22) lgkmcnt(2)
	v_pk_fma_f32 v[98:99], v[20:21], v[170:171], v[98:99] op_sel_hi:[0,1,1] neg_lo:[1,0,0] neg_hi:[1,0,0]
	s_waitcnt vmcnt(20) lgkmcnt(1)
	v_pk_fma_f32 v[92:93], v[20:21], v[174:175], v[92:93] op_sel_hi:[0,1,1] neg_lo:[1,0,0] neg_hi:[1,0,0]
	ds_read2_b32 v[168:169], v163 offset0:35 offset1:36
	ds_read2_b32 v[170:171], v163 offset0:37 offset1:38
	;; [unrolled: 1-line block ×4, first 2 shown]
	s_waitcnt vmcnt(18) lgkmcnt(4)
	v_pk_fma_f32 v[118:119], v[20:21], v[172:173], v[118:119] op_sel_hi:[0,1,1] neg_lo:[1,0,0] neg_hi:[1,0,0]
	s_waitcnt vmcnt(16) lgkmcnt(3)
	v_pk_fma_f32 v[122:123], v[20:21], v[168:169], v[122:123] op_sel_hi:[0,1,1] neg_lo:[1,0,0] neg_hi:[1,0,0]
	;; [unrolled: 2-line block ×5, first 2 shown]
	ds_read2_b32 v[168:169], v163 offset0:43 offset1:44
	ds_read2_b32 v[170:171], v163 offset0:45 offset1:46
	;; [unrolled: 1-line block ×5, first 2 shown]
	s_waitcnt vmcnt(8) lgkmcnt(4)
	v_pk_fma_f32 v[140:141], v[20:21], v[168:169], v[140:141] op_sel_hi:[0,1,1] neg_lo:[1,0,0] neg_hi:[1,0,0]
	s_waitcnt vmcnt(6) lgkmcnt(3)
	v_pk_fma_f32 v[142:143], v[20:21], v[170:171], v[142:143] op_sel_hi:[0,1,1] neg_lo:[1,0,0] neg_hi:[1,0,0]
	;; [unrolled: 2-line block ×5, first 2 shown]
.LBB105_22:
	s_or_b64 exec, exec, s[2:3]
	v_cmp_ne_u32_e32 vcc, 4, v25
	s_waitcnt lgkmcnt(0)
	s_barrier
	s_and_saveexec_b64 s[2:3], vcc
	s_xor_b64 s[2:3], exec, s[2:3]
	s_andn2_saveexec_b64 s[2:3], s[2:3]
	s_cbranch_execz .LBB105_26
; %bb.23:
	s_waitcnt vmcnt(48)
	ds_write_b32 v162, v21
	s_waitcnt vmcnt(46)
	ds_write2_b32 v163, v22, v23 offset0:5 offset1:6
	s_waitcnt vmcnt(44)
	ds_write2_b32 v163, v16, v17 offset0:7 offset1:8
	s_waitcnt vmcnt(42)
	ds_write2_b32 v163, v46, v47 offset0:9 offset1:10
	s_waitcnt vmcnt(40)
	ds_write2_b32 v163, v50, v51 offset0:11 offset1:12
	s_waitcnt vmcnt(38)
	ds_write2_b32 v163, v44, v45 offset0:13 offset1:14
	s_waitcnt vmcnt(36)
	ds_write2_b32 v163, v48, v49 offset0:15 offset1:16
	s_waitcnt vmcnt(34)
	ds_write2_b32 v163, v74, v75 offset0:17 offset1:18
	s_waitcnt vmcnt(32)
	ds_write2_b32 v163, v68, v69 offset0:19 offset1:20
	s_waitcnt vmcnt(30)
	ds_write2_b32 v163, v70, v71 offset0:21 offset1:22
	s_waitcnt vmcnt(28)
	ds_write2_b32 v163, v72, v73 offset0:23 offset1:24
	s_waitcnt vmcnt(26)
	ds_write2_b32 v163, v94, v95 offset0:25 offset1:26
	s_waitcnt vmcnt(24)
	ds_write2_b32 v163, v96, v97 offset0:27 offset1:28
	s_waitcnt vmcnt(22)
	ds_write2_b32 v163, v98, v99 offset0:29 offset1:30
	s_waitcnt vmcnt(20)
	ds_write2_b32 v163, v92, v93 offset0:31 offset1:32
	s_waitcnt vmcnt(18)
	ds_write2_b32 v163, v118, v119 offset0:33 offset1:34
	s_waitcnt vmcnt(16)
	ds_write2_b32 v163, v122, v123 offset0:35 offset1:36
	s_waitcnt vmcnt(14)
	ds_write2_b32 v163, v116, v117 offset0:37 offset1:38
	s_waitcnt vmcnt(12)
	ds_write2_b32 v163, v120, v121 offset0:39 offset1:40
	s_waitcnt vmcnt(10)
	ds_write2_b32 v163, v146, v147 offset0:41 offset1:42
	s_waitcnt vmcnt(8)
	ds_write2_b32 v163, v140, v141 offset0:43 offset1:44
	s_waitcnt vmcnt(6)
	ds_write2_b32 v163, v142, v143 offset0:45 offset1:46
	s_waitcnt vmcnt(4)
	ds_write2_b32 v163, v144, v145 offset0:47 offset1:48
	s_waitcnt vmcnt(2)
	ds_write2_b32 v163, v158, v159 offset0:49 offset1:50
	s_waitcnt vmcnt(0)
	ds_write2_b32 v163, v160, v161 offset0:51 offset1:52
	ds_read_b32 v168, v162
	s_waitcnt lgkmcnt(0)
	v_cmp_neq_f32_e32 vcc, 0, v168
	s_and_saveexec_b64 s[4:5], vcc
	s_cbranch_execz .LBB105_25
; %bb.24:
	v_div_scale_f32 v169, s[10:11], v168, v168, 1.0
	v_rcp_f32_e32 v170, v169
	v_div_scale_f32 v171, vcc, 1.0, v168, 1.0
	v_fma_f32 v172, -v169, v170, 1.0
	v_fmac_f32_e32 v170, v172, v170
	v_mul_f32_e32 v172, v171, v170
	v_fma_f32 v173, -v169, v172, v171
	v_fmac_f32_e32 v172, v173, v170
	v_fma_f32 v169, -v169, v172, v171
	v_div_fmas_f32 v169, v169, v170, v172
	v_div_fixup_f32 v168, v169, v168, 1.0
	ds_write_b32 v162, v168
.LBB105_25:
	s_or_b64 exec, exec, s[4:5]
.LBB105_26:
	s_or_b64 exec, exec, s[2:3]
	s_waitcnt lgkmcnt(0)
	s_barrier
	ds_read_b32 v168, v162
	v_cmp_lt_u32_e32 vcc, 4, v25
	s_and_saveexec_b64 s[2:3], vcc
	s_cbranch_execz .LBB105_28
; %bb.27:
	ds_read2_b32 v[170:171], v163 offset0:5 offset1:6
	ds_read2_b32 v[172:173], v163 offset0:7 offset1:8
	;; [unrolled: 1-line block ×3, first 2 shown]
	s_waitcnt vmcnt(48) lgkmcnt(3)
	v_mul_f32_e32 v176, v168, v21
	ds_read2_b32 v[178:179], v163 offset0:11 offset1:12
	s_waitcnt vmcnt(46) lgkmcnt(3)
	v_pk_fma_f32 v[22:23], v[176:177], v[170:171], v[22:23] op_sel_hi:[0,1,1] neg_lo:[1,0,0] neg_hi:[1,0,0]
	s_waitcnt vmcnt(44) lgkmcnt(2)
	v_pk_fma_f32 v[16:17], v[176:177], v[172:173], v[16:17] op_sel_hi:[0,1,1] neg_lo:[1,0,0] neg_hi:[1,0,0]
	s_waitcnt vmcnt(42) lgkmcnt(1)
	v_pk_fma_f32 v[46:47], v[176:177], v[174:175], v[46:47] op_sel_hi:[0,1,1] neg_lo:[1,0,0] neg_hi:[1,0,0]
	ds_read2_b32 v[170:171], v163 offset0:13 offset1:14
	ds_read2_b32 v[172:173], v163 offset0:15 offset1:16
	ds_read2_b32 v[174:175], v163 offset0:17 offset1:18
	s_waitcnt vmcnt(40) lgkmcnt(3)
	v_pk_fma_f32 v[50:51], v[176:177], v[178:179], v[50:51] op_sel_hi:[0,1,1] neg_lo:[1,0,0] neg_hi:[1,0,0]
	ds_read2_b32 v[178:179], v163 offset0:19 offset1:20
	s_waitcnt vmcnt(38) lgkmcnt(3)
	v_pk_fma_f32 v[44:45], v[176:177], v[170:171], v[44:45] op_sel_hi:[0,1,1] neg_lo:[1,0,0] neg_hi:[1,0,0]
	s_waitcnt vmcnt(36) lgkmcnt(2)
	v_pk_fma_f32 v[48:49], v[176:177], v[172:173], v[48:49] op_sel_hi:[0,1,1] neg_lo:[1,0,0] neg_hi:[1,0,0]
	s_waitcnt vmcnt(34) lgkmcnt(1)
	v_pk_fma_f32 v[74:75], v[176:177], v[174:175], v[74:75] op_sel_hi:[0,1,1] neg_lo:[1,0,0] neg_hi:[1,0,0]
	ds_read2_b32 v[170:171], v163 offset0:21 offset1:22
	ds_read2_b32 v[172:173], v163 offset0:23 offset1:24
	ds_read2_b32 v[174:175], v163 offset0:25 offset1:26
	s_waitcnt vmcnt(32) lgkmcnt(3)
	v_pk_fma_f32 v[68:69], v[176:177], v[178:179], v[68:69] op_sel_hi:[0,1,1] neg_lo:[1,0,0] neg_hi:[1,0,0]
	;; [unrolled: 12-line block ×4, first 2 shown]
	ds_read2_b32 v[178:179], v163 offset0:43 offset1:44
	s_waitcnt vmcnt(14) lgkmcnt(3)
	v_pk_fma_f32 v[116:117], v[176:177], v[170:171], v[116:117] op_sel_hi:[0,1,1] neg_lo:[1,0,0] neg_hi:[1,0,0]
	s_waitcnt vmcnt(12) lgkmcnt(2)
	v_pk_fma_f32 v[120:121], v[176:177], v[172:173], v[120:121] op_sel_hi:[0,1,1] neg_lo:[1,0,0] neg_hi:[1,0,0]
	;; [unrolled: 2-line block ×3, first 2 shown]
	ds_read2_b32 v[170:171], v163 offset0:45 offset1:46
	ds_read2_b32 v[172:173], v163 offset0:47 offset1:48
	;; [unrolled: 1-line block ×4, first 2 shown]
	s_waitcnt vmcnt(8) lgkmcnt(4)
	v_pk_fma_f32 v[140:141], v[176:177], v[178:179], v[140:141] op_sel_hi:[0,1,1] neg_lo:[1,0,0] neg_hi:[1,0,0]
	s_waitcnt vmcnt(6) lgkmcnt(3)
	v_pk_fma_f32 v[142:143], v[176:177], v[170:171], v[142:143] op_sel_hi:[0,1,1] neg_lo:[1,0,0] neg_hi:[1,0,0]
	s_waitcnt vmcnt(4) lgkmcnt(2)
	v_pk_fma_f32 v[144:145], v[176:177], v[172:173], v[144:145] op_sel_hi:[0,1,1] neg_lo:[1,0,0] neg_hi:[1,0,0]
	s_waitcnt vmcnt(2) lgkmcnt(1)
	v_pk_fma_f32 v[158:159], v[176:177], v[174:175], v[158:159] op_sel_hi:[0,1,1] neg_lo:[1,0,0] neg_hi:[1,0,0]
	s_waitcnt vmcnt(0) lgkmcnt(0)
	v_pk_fma_f32 v[160:161], v[176:177], v[180:181], v[160:161] op_sel_hi:[0,1,1] neg_lo:[1,0,0] neg_hi:[1,0,0]
	v_mov_b32_e32 v21, v176
.LBB105_28:
	s_or_b64 exec, exec, s[2:3]
	v_cmp_eq_u32_e32 vcc, 5, v25
	s_waitcnt lgkmcnt(0)
	s_barrier
	s_and_saveexec_b64 s[2:3], vcc
	s_cbranch_execz .LBB105_31
; %bb.29:
	s_waitcnt vmcnt(44)
	v_pk_mov_b32 v[170:171], v[22:23], v[16:17] op_sel:[1,0]
	ds_write_b32 v162, v22
	ds_write2_b32 v163, v170, v171 offset0:6 offset1:7
	s_waitcnt vmcnt(42)
	v_pk_mov_b32 v[170:171], v[16:17], v[46:47] op_sel:[1,0]
	ds_write2_b32 v163, v170, v171 offset0:8 offset1:9
	s_waitcnt vmcnt(40)
	v_pk_mov_b32 v[170:171], v[46:47], v[50:51] op_sel:[1,0]
	;; [unrolled: 3-line block ×22, first 2 shown]
	ds_write2_b32 v163, v170, v171 offset0:50 offset1:51
	ds_write_b32 v163, v161 offset:208
	ds_read_b32 v169, v162
	s_waitcnt lgkmcnt(0)
	v_cmp_neq_f32_e32 vcc, 0, v169
	s_and_b64 exec, exec, vcc
	s_cbranch_execz .LBB105_31
; %bb.30:
	v_div_scale_f32 v170, s[4:5], v169, v169, 1.0
	v_rcp_f32_e32 v171, v170
	v_div_scale_f32 v172, vcc, 1.0, v169, 1.0
	v_fma_f32 v173, -v170, v171, 1.0
	v_fmac_f32_e32 v171, v173, v171
	v_mul_f32_e32 v173, v172, v171
	v_fma_f32 v174, -v170, v173, v172
	v_fmac_f32_e32 v173, v174, v171
	v_fma_f32 v170, -v170, v173, v172
	v_div_fmas_f32 v170, v170, v171, v173
	v_div_fixup_f32 v169, v170, v169, 1.0
	ds_write_b32 v162, v169
.LBB105_31:
	s_or_b64 exec, exec, s[2:3]
	s_waitcnt lgkmcnt(0)
	s_barrier
	ds_read_b32 v169, v162
	v_cmp_lt_u32_e32 vcc, 5, v25
	s_and_saveexec_b64 s[2:3], vcc
	s_cbranch_execz .LBB105_33
; %bb.32:
	ds_read_b32 v176, v163 offset:24
	ds_read2_b32 v[170:171], v163 offset0:7 offset1:8
	ds_read2_b32 v[172:173], v163 offset0:9 offset1:10
	s_waitcnt vmcnt(47) lgkmcnt(3)
	v_mul_f32_e32 v22, v169, v22
	ds_read2_b32 v[174:175], v163 offset0:11 offset1:12
	s_waitcnt vmcnt(46) lgkmcnt(3)
	v_fma_f32 v23, -v22, v176, v23
	s_waitcnt vmcnt(44) lgkmcnt(2)
	v_pk_fma_f32 v[16:17], v[22:23], v[170:171], v[16:17] op_sel_hi:[0,1,1] neg_lo:[1,0,0] neg_hi:[1,0,0]
	s_waitcnt vmcnt(42) lgkmcnt(1)
	v_pk_fma_f32 v[46:47], v[22:23], v[172:173], v[46:47] op_sel_hi:[0,1,1] neg_lo:[1,0,0] neg_hi:[1,0,0]
	ds_read2_b32 v[170:171], v163 offset0:13 offset1:14
	ds_read2_b32 v[172:173], v163 offset0:15 offset1:16
	ds_read2_b32 v[176:177], v163 offset0:17 offset1:18
	s_waitcnt vmcnt(40) lgkmcnt(3)
	v_pk_fma_f32 v[50:51], v[22:23], v[174:175], v[50:51] op_sel_hi:[0,1,1] neg_lo:[1,0,0] neg_hi:[1,0,0]
	ds_read2_b32 v[174:175], v163 offset0:19 offset1:20
	s_waitcnt vmcnt(38) lgkmcnt(3)
	v_pk_fma_f32 v[44:45], v[22:23], v[170:171], v[44:45] op_sel_hi:[0,1,1] neg_lo:[1,0,0] neg_hi:[1,0,0]
	s_waitcnt vmcnt(36) lgkmcnt(2)
	v_pk_fma_f32 v[48:49], v[22:23], v[172:173], v[48:49] op_sel_hi:[0,1,1] neg_lo:[1,0,0] neg_hi:[1,0,0]
	s_waitcnt vmcnt(34) lgkmcnt(1)
	v_pk_fma_f32 v[74:75], v[22:23], v[176:177], v[74:75] op_sel_hi:[0,1,1] neg_lo:[1,0,0] neg_hi:[1,0,0]
	ds_read2_b32 v[170:171], v163 offset0:21 offset1:22
	ds_read2_b32 v[172:173], v163 offset0:23 offset1:24
	ds_read2_b32 v[176:177], v163 offset0:25 offset1:26
	s_waitcnt vmcnt(32) lgkmcnt(3)
	v_pk_fma_f32 v[68:69], v[22:23], v[174:175], v[68:69] op_sel_hi:[0,1,1] neg_lo:[1,0,0] neg_hi:[1,0,0]
	ds_read2_b32 v[174:175], v163 offset0:27 offset1:28
	s_waitcnt vmcnt(30) lgkmcnt(3)
	v_pk_fma_f32 v[70:71], v[22:23], v[170:171], v[70:71] op_sel_hi:[0,1,1] neg_lo:[1,0,0] neg_hi:[1,0,0]
	;; [unrolled: 12-line block ×4, first 2 shown]
	s_waitcnt vmcnt(12) lgkmcnt(2)
	v_pk_fma_f32 v[120:121], v[22:23], v[172:173], v[120:121] op_sel_hi:[0,1,1] neg_lo:[1,0,0] neg_hi:[1,0,0]
	s_waitcnt vmcnt(10) lgkmcnt(1)
	v_pk_fma_f32 v[146:147], v[22:23], v[176:177], v[146:147] op_sel_hi:[0,1,1] neg_lo:[1,0,0] neg_hi:[1,0,0]
	ds_read2_b32 v[170:171], v163 offset0:45 offset1:46
	ds_read2_b32 v[172:173], v163 offset0:47 offset1:48
	;; [unrolled: 1-line block ×4, first 2 shown]
	s_waitcnt vmcnt(8) lgkmcnt(4)
	v_pk_fma_f32 v[140:141], v[22:23], v[174:175], v[140:141] op_sel_hi:[0,1,1] neg_lo:[1,0,0] neg_hi:[1,0,0]
	s_waitcnt vmcnt(6) lgkmcnt(3)
	v_pk_fma_f32 v[142:143], v[22:23], v[170:171], v[142:143] op_sel_hi:[0,1,1] neg_lo:[1,0,0] neg_hi:[1,0,0]
	;; [unrolled: 2-line block ×5, first 2 shown]
.LBB105_33:
	s_or_b64 exec, exec, s[2:3]
	v_cmp_ne_u32_e32 vcc, 6, v25
	s_waitcnt lgkmcnt(0)
	s_barrier
	s_and_saveexec_b64 s[2:3], vcc
	s_xor_b64 s[2:3], exec, s[2:3]
	s_andn2_saveexec_b64 s[2:3], s[2:3]
	s_cbranch_execz .LBB105_37
; %bb.34:
	s_waitcnt vmcnt(46)
	ds_write_b32 v162, v23
	s_waitcnt vmcnt(44)
	ds_write2_b32 v163, v16, v17 offset0:7 offset1:8
	s_waitcnt vmcnt(42)
	ds_write2_b32 v163, v46, v47 offset0:9 offset1:10
	;; [unrolled: 2-line block ×23, first 2 shown]
	ds_read_b32 v170, v162
	s_waitcnt lgkmcnt(0)
	v_cmp_neq_f32_e32 vcc, 0, v170
	s_and_saveexec_b64 s[4:5], vcc
	s_cbranch_execz .LBB105_36
; %bb.35:
	v_div_scale_f32 v171, s[10:11], v170, v170, 1.0
	v_rcp_f32_e32 v172, v171
	v_div_scale_f32 v173, vcc, 1.0, v170, 1.0
	v_fma_f32 v174, -v171, v172, 1.0
	v_fmac_f32_e32 v172, v174, v172
	v_mul_f32_e32 v174, v173, v172
	v_fma_f32 v175, -v171, v174, v173
	v_fmac_f32_e32 v174, v175, v172
	v_fma_f32 v171, -v171, v174, v173
	v_div_fmas_f32 v171, v171, v172, v174
	v_div_fixup_f32 v170, v171, v170, 1.0
	ds_write_b32 v162, v170
.LBB105_36:
	s_or_b64 exec, exec, s[4:5]
.LBB105_37:
	s_or_b64 exec, exec, s[2:3]
	s_waitcnt lgkmcnt(0)
	s_barrier
	ds_read_b32 v170, v162
	v_cmp_lt_u32_e32 vcc, 6, v25
	s_and_saveexec_b64 s[2:3], vcc
	s_cbranch_execz .LBB105_39
; %bb.38:
	ds_read2_b32 v[172:173], v163 offset0:7 offset1:8
	ds_read2_b32 v[174:175], v163 offset0:9 offset1:10
	;; [unrolled: 1-line block ×3, first 2 shown]
	s_waitcnt vmcnt(46) lgkmcnt(3)
	v_mul_f32_e32 v178, v170, v23
	ds_read2_b32 v[180:181], v163 offset0:13 offset1:14
	s_waitcnt vmcnt(44) lgkmcnt(3)
	v_pk_fma_f32 v[16:17], v[178:179], v[172:173], v[16:17] op_sel_hi:[0,1,1] neg_lo:[1,0,0] neg_hi:[1,0,0]
	s_waitcnt vmcnt(42) lgkmcnt(2)
	v_pk_fma_f32 v[46:47], v[178:179], v[174:175], v[46:47] op_sel_hi:[0,1,1] neg_lo:[1,0,0] neg_hi:[1,0,0]
	s_waitcnt vmcnt(40) lgkmcnt(1)
	v_pk_fma_f32 v[50:51], v[178:179], v[176:177], v[50:51] op_sel_hi:[0,1,1] neg_lo:[1,0,0] neg_hi:[1,0,0]
	ds_read2_b32 v[172:173], v163 offset0:15 offset1:16
	ds_read2_b32 v[174:175], v163 offset0:17 offset1:18
	ds_read2_b32 v[176:177], v163 offset0:19 offset1:20
	s_waitcnt vmcnt(38) lgkmcnt(3)
	v_pk_fma_f32 v[44:45], v[178:179], v[180:181], v[44:45] op_sel_hi:[0,1,1] neg_lo:[1,0,0] neg_hi:[1,0,0]
	ds_read2_b32 v[180:181], v163 offset0:21 offset1:22
	s_waitcnt vmcnt(36) lgkmcnt(3)
	v_pk_fma_f32 v[48:49], v[178:179], v[172:173], v[48:49] op_sel_hi:[0,1,1] neg_lo:[1,0,0] neg_hi:[1,0,0]
	s_waitcnt vmcnt(34) lgkmcnt(2)
	v_pk_fma_f32 v[74:75], v[178:179], v[174:175], v[74:75] op_sel_hi:[0,1,1] neg_lo:[1,0,0] neg_hi:[1,0,0]
	s_waitcnt vmcnt(32) lgkmcnt(1)
	v_pk_fma_f32 v[68:69], v[178:179], v[176:177], v[68:69] op_sel_hi:[0,1,1] neg_lo:[1,0,0] neg_hi:[1,0,0]
	ds_read2_b32 v[172:173], v163 offset0:23 offset1:24
	ds_read2_b32 v[174:175], v163 offset0:25 offset1:26
	ds_read2_b32 v[176:177], v163 offset0:27 offset1:28
	s_waitcnt vmcnt(30) lgkmcnt(3)
	v_pk_fma_f32 v[70:71], v[178:179], v[180:181], v[70:71] op_sel_hi:[0,1,1] neg_lo:[1,0,0] neg_hi:[1,0,0]
	;; [unrolled: 12-line block ×3, first 2 shown]
	ds_read2_b32 v[180:181], v163 offset0:37 offset1:38
	s_waitcnt vmcnt(20) lgkmcnt(3)
	v_pk_fma_f32 v[92:93], v[178:179], v[172:173], v[92:93] op_sel_hi:[0,1,1] neg_lo:[1,0,0] neg_hi:[1,0,0]
	s_waitcnt vmcnt(18) lgkmcnt(2)
	v_pk_fma_f32 v[118:119], v[178:179], v[174:175], v[118:119] op_sel_hi:[0,1,1] neg_lo:[1,0,0] neg_hi:[1,0,0]
	ds_read2_b32 v[172:173], v163 offset0:39 offset1:40
	ds_read2_b32 v[174:175], v163 offset0:41 offset1:42
	s_waitcnt vmcnt(16) lgkmcnt(3)
	v_pk_fma_f32 v[122:123], v[178:179], v[176:177], v[122:123] op_sel_hi:[0,1,1] neg_lo:[1,0,0] neg_hi:[1,0,0]
	s_waitcnt vmcnt(14) lgkmcnt(2)
	v_pk_fma_f32 v[116:117], v[178:179], v[180:181], v[116:117] op_sel_hi:[0,1,1] neg_lo:[1,0,0] neg_hi:[1,0,0]
	ds_read2_b32 v[176:177], v163 offset0:43 offset1:44
	;; [unrolled: 6-line block ×3, first 2 shown]
	ds_read2_b32 v[174:175], v163 offset0:49 offset1:50
	ds_read2_b32 v[182:183], v163 offset0:51 offset1:52
	s_waitcnt vmcnt(8) lgkmcnt(4)
	v_pk_fma_f32 v[140:141], v[178:179], v[176:177], v[140:141] op_sel_hi:[0,1,1] neg_lo:[1,0,0] neg_hi:[1,0,0]
	s_waitcnt vmcnt(6) lgkmcnt(3)
	v_pk_fma_f32 v[142:143], v[178:179], v[180:181], v[142:143] op_sel_hi:[0,1,1] neg_lo:[1,0,0] neg_hi:[1,0,0]
	;; [unrolled: 2-line block ×5, first 2 shown]
	v_mov_b32_e32 v23, v178
.LBB105_39:
	s_or_b64 exec, exec, s[2:3]
	v_cmp_eq_u32_e32 vcc, 7, v25
	s_waitcnt lgkmcnt(0)
	s_barrier
	s_and_saveexec_b64 s[2:3], vcc
	s_cbranch_execz .LBB105_42
; %bb.40:
	s_waitcnt vmcnt(42)
	v_pk_mov_b32 v[172:173], v[16:17], v[46:47] op_sel:[1,0]
	ds_write_b32 v162, v16
	ds_write2_b32 v163, v172, v173 offset0:8 offset1:9
	s_waitcnt vmcnt(40)
	v_pk_mov_b32 v[172:173], v[46:47], v[50:51] op_sel:[1,0]
	ds_write2_b32 v163, v172, v173 offset0:10 offset1:11
	s_waitcnt vmcnt(38)
	v_pk_mov_b32 v[172:173], v[50:51], v[44:45] op_sel:[1,0]
	;; [unrolled: 3-line block ×21, first 2 shown]
	ds_write2_b32 v163, v172, v173 offset0:50 offset1:51
	ds_write_b32 v163, v161 offset:208
	ds_read_b32 v171, v162
	s_waitcnt lgkmcnt(0)
	v_cmp_neq_f32_e32 vcc, 0, v171
	s_and_b64 exec, exec, vcc
	s_cbranch_execz .LBB105_42
; %bb.41:
	v_div_scale_f32 v172, s[4:5], v171, v171, 1.0
	v_rcp_f32_e32 v173, v172
	v_div_scale_f32 v174, vcc, 1.0, v171, 1.0
	v_fma_f32 v175, -v172, v173, 1.0
	v_fmac_f32_e32 v173, v175, v173
	v_mul_f32_e32 v175, v174, v173
	v_fma_f32 v176, -v172, v175, v174
	v_fmac_f32_e32 v175, v176, v173
	v_fma_f32 v172, -v172, v175, v174
	v_div_fmas_f32 v172, v172, v173, v175
	v_div_fixup_f32 v171, v172, v171, 1.0
	ds_write_b32 v162, v171
.LBB105_42:
	s_or_b64 exec, exec, s[2:3]
	s_waitcnt lgkmcnt(0)
	s_barrier
	ds_read_b32 v171, v162
	v_cmp_lt_u32_e32 vcc, 7, v25
	s_and_saveexec_b64 s[2:3], vcc
	s_cbranch_execz .LBB105_44
; %bb.43:
	ds_read_b32 v178, v163 offset:32
	ds_read2_b32 v[172:173], v163 offset0:9 offset1:10
	ds_read2_b32 v[174:175], v163 offset0:11 offset1:12
	s_waitcnt vmcnt(45) lgkmcnt(3)
	v_mul_f32_e32 v16, v171, v16
	ds_read2_b32 v[176:177], v163 offset0:13 offset1:14
	s_waitcnt vmcnt(44) lgkmcnt(3)
	v_fma_f32 v17, -v16, v178, v17
	s_waitcnt vmcnt(42) lgkmcnt(2)
	v_pk_fma_f32 v[46:47], v[16:17], v[172:173], v[46:47] op_sel_hi:[0,1,1] neg_lo:[1,0,0] neg_hi:[1,0,0]
	s_waitcnt vmcnt(40) lgkmcnt(1)
	v_pk_fma_f32 v[50:51], v[16:17], v[174:175], v[50:51] op_sel_hi:[0,1,1] neg_lo:[1,0,0] neg_hi:[1,0,0]
	ds_read2_b32 v[172:173], v163 offset0:15 offset1:16
	ds_read2_b32 v[174:175], v163 offset0:17 offset1:18
	ds_read2_b32 v[178:179], v163 offset0:19 offset1:20
	s_waitcnt vmcnt(38) lgkmcnt(3)
	v_pk_fma_f32 v[44:45], v[16:17], v[176:177], v[44:45] op_sel_hi:[0,1,1] neg_lo:[1,0,0] neg_hi:[1,0,0]
	ds_read2_b32 v[176:177], v163 offset0:21 offset1:22
	s_waitcnt vmcnt(36) lgkmcnt(3)
	v_pk_fma_f32 v[48:49], v[16:17], v[172:173], v[48:49] op_sel_hi:[0,1,1] neg_lo:[1,0,0] neg_hi:[1,0,0]
	s_waitcnt vmcnt(34) lgkmcnt(2)
	v_pk_fma_f32 v[74:75], v[16:17], v[174:175], v[74:75] op_sel_hi:[0,1,1] neg_lo:[1,0,0] neg_hi:[1,0,0]
	s_waitcnt vmcnt(32) lgkmcnt(1)
	v_pk_fma_f32 v[68:69], v[16:17], v[178:179], v[68:69] op_sel_hi:[0,1,1] neg_lo:[1,0,0] neg_hi:[1,0,0]
	ds_read2_b32 v[172:173], v163 offset0:23 offset1:24
	ds_read2_b32 v[174:175], v163 offset0:25 offset1:26
	ds_read2_b32 v[178:179], v163 offset0:27 offset1:28
	s_waitcnt vmcnt(30) lgkmcnt(3)
	v_pk_fma_f32 v[70:71], v[16:17], v[176:177], v[70:71] op_sel_hi:[0,1,1] neg_lo:[1,0,0] neg_hi:[1,0,0]
	ds_read2_b32 v[176:177], v163 offset0:29 offset1:30
	s_waitcnt vmcnt(28) lgkmcnt(3)
	v_pk_fma_f32 v[72:73], v[16:17], v[172:173], v[72:73] op_sel_hi:[0,1,1] neg_lo:[1,0,0] neg_hi:[1,0,0]
	;; [unrolled: 12-line block ×3, first 2 shown]
	s_waitcnt vmcnt(18) lgkmcnt(2)
	v_pk_fma_f32 v[118:119], v[16:17], v[174:175], v[118:119] op_sel_hi:[0,1,1] neg_lo:[1,0,0] neg_hi:[1,0,0]
	ds_read2_b32 v[172:173], v163 offset0:39 offset1:40
	ds_read2_b32 v[174:175], v163 offset0:41 offset1:42
	s_waitcnt vmcnt(16) lgkmcnt(3)
	v_pk_fma_f32 v[122:123], v[16:17], v[178:179], v[122:123] op_sel_hi:[0,1,1] neg_lo:[1,0,0] neg_hi:[1,0,0]
	s_waitcnt vmcnt(14) lgkmcnt(2)
	v_pk_fma_f32 v[116:117], v[16:17], v[176:177], v[116:117] op_sel_hi:[0,1,1] neg_lo:[1,0,0] neg_hi:[1,0,0]
	ds_read2_b32 v[176:177], v163 offset0:43 offset1:44
	ds_read2_b32 v[178:179], v163 offset0:45 offset1:46
	s_waitcnt vmcnt(12) lgkmcnt(3)
	v_pk_fma_f32 v[120:121], v[16:17], v[172:173], v[120:121] op_sel_hi:[0,1,1] neg_lo:[1,0,0] neg_hi:[1,0,0]
	s_waitcnt vmcnt(10) lgkmcnt(2)
	v_pk_fma_f32 v[146:147], v[16:17], v[174:175], v[146:147] op_sel_hi:[0,1,1] neg_lo:[1,0,0] neg_hi:[1,0,0]
	ds_read2_b32 v[172:173], v163 offset0:47 offset1:48
	ds_read2_b32 v[174:175], v163 offset0:49 offset1:50
	ds_read2_b32 v[180:181], v163 offset0:51 offset1:52
	s_waitcnt vmcnt(8) lgkmcnt(4)
	v_pk_fma_f32 v[140:141], v[16:17], v[176:177], v[140:141] op_sel_hi:[0,1,1] neg_lo:[1,0,0] neg_hi:[1,0,0]
	s_waitcnt vmcnt(6) lgkmcnt(3)
	v_pk_fma_f32 v[142:143], v[16:17], v[178:179], v[142:143] op_sel_hi:[0,1,1] neg_lo:[1,0,0] neg_hi:[1,0,0]
	;; [unrolled: 2-line block ×5, first 2 shown]
.LBB105_44:
	s_or_b64 exec, exec, s[2:3]
	v_cmp_ne_u32_e32 vcc, 8, v25
	s_waitcnt lgkmcnt(0)
	s_barrier
	s_and_saveexec_b64 s[2:3], vcc
	s_xor_b64 s[2:3], exec, s[2:3]
	s_andn2_saveexec_b64 s[2:3], s[2:3]
	s_cbranch_execz .LBB105_48
; %bb.45:
	s_waitcnt vmcnt(44)
	ds_write_b32 v162, v17
	s_waitcnt vmcnt(42)
	ds_write2_b32 v163, v46, v47 offset0:9 offset1:10
	s_waitcnt vmcnt(40)
	ds_write2_b32 v163, v50, v51 offset0:11 offset1:12
	;; [unrolled: 2-line block ×22, first 2 shown]
	ds_read_b32 v172, v162
	s_waitcnt lgkmcnt(0)
	v_cmp_neq_f32_e32 vcc, 0, v172
	s_and_saveexec_b64 s[4:5], vcc
	s_cbranch_execz .LBB105_47
; %bb.46:
	v_div_scale_f32 v173, s[10:11], v172, v172, 1.0
	v_rcp_f32_e32 v174, v173
	v_div_scale_f32 v175, vcc, 1.0, v172, 1.0
	v_fma_f32 v176, -v173, v174, 1.0
	v_fmac_f32_e32 v174, v176, v174
	v_mul_f32_e32 v176, v175, v174
	v_fma_f32 v177, -v173, v176, v175
	v_fmac_f32_e32 v176, v177, v174
	v_fma_f32 v173, -v173, v176, v175
	v_div_fmas_f32 v173, v173, v174, v176
	v_div_fixup_f32 v172, v173, v172, 1.0
	ds_write_b32 v162, v172
.LBB105_47:
	s_or_b64 exec, exec, s[4:5]
.LBB105_48:
	s_or_b64 exec, exec, s[2:3]
	s_waitcnt lgkmcnt(0)
	s_barrier
	ds_read_b32 v172, v162
	v_cmp_lt_u32_e32 vcc, 8, v25
	s_and_saveexec_b64 s[2:3], vcc
	s_cbranch_execz .LBB105_50
; %bb.49:
	ds_read2_b32 v[174:175], v163 offset0:9 offset1:10
	ds_read2_b32 v[176:177], v163 offset0:11 offset1:12
	;; [unrolled: 1-line block ×4, first 2 shown]
	s_waitcnt vmcnt(44) lgkmcnt(4)
	v_mul_f32_e32 v180, v172, v17
	s_waitcnt vmcnt(42) lgkmcnt(3)
	v_pk_fma_f32 v[46:47], v[180:181], v[174:175], v[46:47] op_sel_hi:[0,1,1] neg_lo:[1,0,0] neg_hi:[1,0,0]
	s_waitcnt vmcnt(40) lgkmcnt(2)
	v_pk_fma_f32 v[50:51], v[180:181], v[176:177], v[50:51] op_sel_hi:[0,1,1] neg_lo:[1,0,0] neg_hi:[1,0,0]
	s_waitcnt vmcnt(38) lgkmcnt(1)
	v_pk_fma_f32 v[44:45], v[180:181], v[178:179], v[44:45] op_sel_hi:[0,1,1] neg_lo:[1,0,0] neg_hi:[1,0,0]
	ds_read2_b32 v[174:175], v163 offset0:17 offset1:18
	ds_read2_b32 v[176:177], v163 offset0:19 offset1:20
	ds_read2_b32 v[178:179], v163 offset0:21 offset1:22
	s_waitcnt vmcnt(36) lgkmcnt(3)
	v_pk_fma_f32 v[48:49], v[180:181], v[182:183], v[48:49] op_sel_hi:[0,1,1] neg_lo:[1,0,0] neg_hi:[1,0,0]
	ds_read2_b32 v[182:183], v163 offset0:23 offset1:24
	s_waitcnt vmcnt(34) lgkmcnt(3)
	v_pk_fma_f32 v[74:75], v[180:181], v[174:175], v[74:75] op_sel_hi:[0,1,1] neg_lo:[1,0,0] neg_hi:[1,0,0]
	s_waitcnt vmcnt(32) lgkmcnt(2)
	v_pk_fma_f32 v[68:69], v[180:181], v[176:177], v[68:69] op_sel_hi:[0,1,1] neg_lo:[1,0,0] neg_hi:[1,0,0]
	s_waitcnt vmcnt(30) lgkmcnt(1)
	v_pk_fma_f32 v[70:71], v[180:181], v[178:179], v[70:71] op_sel_hi:[0,1,1] neg_lo:[1,0,0] neg_hi:[1,0,0]
	ds_read2_b32 v[174:175], v163 offset0:25 offset1:26
	ds_read2_b32 v[176:177], v163 offset0:27 offset1:28
	ds_read2_b32 v[178:179], v163 offset0:29 offset1:30
	s_waitcnt vmcnt(28) lgkmcnt(3)
	v_pk_fma_f32 v[72:73], v[180:181], v[182:183], v[72:73] op_sel_hi:[0,1,1] neg_lo:[1,0,0] neg_hi:[1,0,0]
	ds_read2_b32 v[182:183], v163 offset0:31 offset1:32
	;; [unrolled: 12-line block ×3, first 2 shown]
	s_waitcnt vmcnt(18) lgkmcnt(3)
	v_pk_fma_f32 v[118:119], v[180:181], v[174:175], v[118:119] op_sel_hi:[0,1,1] neg_lo:[1,0,0] neg_hi:[1,0,0]
	ds_read2_b32 v[174:175], v163 offset0:41 offset1:42
	s_waitcnt vmcnt(16) lgkmcnt(3)
	v_pk_fma_f32 v[122:123], v[180:181], v[176:177], v[122:123] op_sel_hi:[0,1,1] neg_lo:[1,0,0] neg_hi:[1,0,0]
	s_waitcnt vmcnt(14) lgkmcnt(2)
	v_pk_fma_f32 v[116:117], v[180:181], v[178:179], v[116:117] op_sel_hi:[0,1,1] neg_lo:[1,0,0] neg_hi:[1,0,0]
	;; [unrolled: 2-line block ×3, first 2 shown]
	ds_read2_b32 v[176:177], v163 offset0:43 offset1:44
	ds_read2_b32 v[178:179], v163 offset0:45 offset1:46
	;; [unrolled: 1-line block ×3, first 2 shown]
	s_waitcnt vmcnt(10) lgkmcnt(3)
	v_pk_fma_f32 v[146:147], v[180:181], v[174:175], v[146:147] op_sel_hi:[0,1,1] neg_lo:[1,0,0] neg_hi:[1,0,0]
	ds_read2_b32 v[174:175], v163 offset0:49 offset1:50
	ds_read2_b32 v[184:185], v163 offset0:51 offset1:52
	s_waitcnt vmcnt(8) lgkmcnt(4)
	v_pk_fma_f32 v[140:141], v[180:181], v[176:177], v[140:141] op_sel_hi:[0,1,1] neg_lo:[1,0,0] neg_hi:[1,0,0]
	s_waitcnt vmcnt(6) lgkmcnt(3)
	v_pk_fma_f32 v[142:143], v[180:181], v[178:179], v[142:143] op_sel_hi:[0,1,1] neg_lo:[1,0,0] neg_hi:[1,0,0]
	;; [unrolled: 2-line block ×5, first 2 shown]
	v_mov_b32_e32 v17, v180
.LBB105_50:
	s_or_b64 exec, exec, s[2:3]
	v_cmp_eq_u32_e32 vcc, 9, v25
	s_waitcnt lgkmcnt(0)
	s_barrier
	s_and_saveexec_b64 s[2:3], vcc
	s_cbranch_execz .LBB105_53
; %bb.51:
	s_waitcnt vmcnt(40)
	v_pk_mov_b32 v[174:175], v[46:47], v[50:51] op_sel:[1,0]
	ds_write_b32 v162, v46
	ds_write2_b32 v163, v174, v175 offset0:10 offset1:11
	s_waitcnt vmcnt(38)
	v_pk_mov_b32 v[174:175], v[50:51], v[44:45] op_sel:[1,0]
	ds_write2_b32 v163, v174, v175 offset0:12 offset1:13
	s_waitcnt vmcnt(36)
	v_pk_mov_b32 v[174:175], v[44:45], v[48:49] op_sel:[1,0]
	;; [unrolled: 3-line block ×20, first 2 shown]
	ds_write2_b32 v163, v174, v175 offset0:50 offset1:51
	ds_write_b32 v163, v161 offset:208
	ds_read_b32 v173, v162
	s_waitcnt lgkmcnt(0)
	v_cmp_neq_f32_e32 vcc, 0, v173
	s_and_b64 exec, exec, vcc
	s_cbranch_execz .LBB105_53
; %bb.52:
	v_div_scale_f32 v174, s[4:5], v173, v173, 1.0
	v_rcp_f32_e32 v175, v174
	v_div_scale_f32 v176, vcc, 1.0, v173, 1.0
	v_fma_f32 v177, -v174, v175, 1.0
	v_fmac_f32_e32 v175, v177, v175
	v_mul_f32_e32 v177, v176, v175
	v_fma_f32 v178, -v174, v177, v176
	v_fmac_f32_e32 v177, v178, v175
	v_fma_f32 v174, -v174, v177, v176
	v_div_fmas_f32 v174, v174, v175, v177
	v_div_fixup_f32 v173, v174, v173, 1.0
	ds_write_b32 v162, v173
.LBB105_53:
	s_or_b64 exec, exec, s[2:3]
	s_waitcnt lgkmcnt(0)
	s_barrier
	ds_read_b32 v173, v162
	v_cmp_lt_u32_e32 vcc, 9, v25
	s_and_saveexec_b64 s[2:3], vcc
	s_cbranch_execz .LBB105_55
; %bb.54:
	ds_read_b32 v180, v163 offset:40
	ds_read2_b32 v[174:175], v163 offset0:11 offset1:12
	ds_read2_b32 v[176:177], v163 offset0:13 offset1:14
	s_waitcnt vmcnt(43) lgkmcnt(3)
	v_mul_f32_e32 v46, v173, v46
	ds_read2_b32 v[178:179], v163 offset0:15 offset1:16
	s_waitcnt vmcnt(42) lgkmcnt(3)
	v_fma_f32 v47, -v46, v180, v47
	s_waitcnt vmcnt(40) lgkmcnt(2)
	v_pk_fma_f32 v[50:51], v[46:47], v[174:175], v[50:51] op_sel_hi:[0,1,1] neg_lo:[1,0,0] neg_hi:[1,0,0]
	s_waitcnt vmcnt(38) lgkmcnt(1)
	v_pk_fma_f32 v[44:45], v[46:47], v[176:177], v[44:45] op_sel_hi:[0,1,1] neg_lo:[1,0,0] neg_hi:[1,0,0]
	ds_read2_b32 v[174:175], v163 offset0:17 offset1:18
	ds_read2_b32 v[176:177], v163 offset0:19 offset1:20
	ds_read2_b32 v[180:181], v163 offset0:21 offset1:22
	s_waitcnt vmcnt(36) lgkmcnt(3)
	v_pk_fma_f32 v[48:49], v[46:47], v[178:179], v[48:49] op_sel_hi:[0,1,1] neg_lo:[1,0,0] neg_hi:[1,0,0]
	ds_read2_b32 v[178:179], v163 offset0:23 offset1:24
	s_waitcnt vmcnt(34) lgkmcnt(3)
	v_pk_fma_f32 v[74:75], v[46:47], v[174:175], v[74:75] op_sel_hi:[0,1,1] neg_lo:[1,0,0] neg_hi:[1,0,0]
	s_waitcnt vmcnt(32) lgkmcnt(2)
	v_pk_fma_f32 v[68:69], v[46:47], v[176:177], v[68:69] op_sel_hi:[0,1,1] neg_lo:[1,0,0] neg_hi:[1,0,0]
	s_waitcnt vmcnt(30) lgkmcnt(1)
	v_pk_fma_f32 v[70:71], v[46:47], v[180:181], v[70:71] op_sel_hi:[0,1,1] neg_lo:[1,0,0] neg_hi:[1,0,0]
	ds_read2_b32 v[174:175], v163 offset0:25 offset1:26
	ds_read2_b32 v[176:177], v163 offset0:27 offset1:28
	ds_read2_b32 v[180:181], v163 offset0:29 offset1:30
	s_waitcnt vmcnt(28) lgkmcnt(3)
	v_pk_fma_f32 v[72:73], v[46:47], v[178:179], v[72:73] op_sel_hi:[0,1,1] neg_lo:[1,0,0] neg_hi:[1,0,0]
	ds_read2_b32 v[178:179], v163 offset0:31 offset1:32
	s_waitcnt vmcnt(26) lgkmcnt(3)
	v_pk_fma_f32 v[94:95], v[46:47], v[174:175], v[94:95] op_sel_hi:[0,1,1] neg_lo:[1,0,0] neg_hi:[1,0,0]
	;; [unrolled: 12-line block ×3, first 2 shown]
	ds_read2_b32 v[174:175], v163 offset0:41 offset1:42
	s_waitcnt vmcnt(16) lgkmcnt(3)
	v_pk_fma_f32 v[122:123], v[46:47], v[176:177], v[122:123] op_sel_hi:[0,1,1] neg_lo:[1,0,0] neg_hi:[1,0,0]
	s_waitcnt vmcnt(14) lgkmcnt(2)
	v_pk_fma_f32 v[116:117], v[46:47], v[180:181], v[116:117] op_sel_hi:[0,1,1] neg_lo:[1,0,0] neg_hi:[1,0,0]
	;; [unrolled: 2-line block ×3, first 2 shown]
	ds_read2_b32 v[176:177], v163 offset0:43 offset1:44
	ds_read2_b32 v[178:179], v163 offset0:45 offset1:46
	;; [unrolled: 1-line block ×3, first 2 shown]
	s_waitcnt vmcnt(10) lgkmcnt(3)
	v_pk_fma_f32 v[146:147], v[46:47], v[174:175], v[146:147] op_sel_hi:[0,1,1] neg_lo:[1,0,0] neg_hi:[1,0,0]
	ds_read2_b32 v[174:175], v163 offset0:49 offset1:50
	ds_read2_b32 v[182:183], v163 offset0:51 offset1:52
	s_waitcnt vmcnt(8) lgkmcnt(4)
	v_pk_fma_f32 v[140:141], v[46:47], v[176:177], v[140:141] op_sel_hi:[0,1,1] neg_lo:[1,0,0] neg_hi:[1,0,0]
	s_waitcnt vmcnt(6) lgkmcnt(3)
	v_pk_fma_f32 v[142:143], v[46:47], v[178:179], v[142:143] op_sel_hi:[0,1,1] neg_lo:[1,0,0] neg_hi:[1,0,0]
	;; [unrolled: 2-line block ×5, first 2 shown]
.LBB105_55:
	s_or_b64 exec, exec, s[2:3]
	v_cmp_ne_u32_e32 vcc, 10, v25
	s_waitcnt lgkmcnt(0)
	s_barrier
	s_and_saveexec_b64 s[2:3], vcc
	s_xor_b64 s[2:3], exec, s[2:3]
	s_andn2_saveexec_b64 s[2:3], s[2:3]
	s_cbranch_execz .LBB105_59
; %bb.56:
	s_waitcnt vmcnt(42)
	ds_write_b32 v162, v47
	s_waitcnt vmcnt(40)
	ds_write2_b32 v163, v50, v51 offset0:11 offset1:12
	s_waitcnt vmcnt(38)
	ds_write2_b32 v163, v44, v45 offset0:13 offset1:14
	;; [unrolled: 2-line block ×21, first 2 shown]
	ds_read_b32 v174, v162
	s_waitcnt lgkmcnt(0)
	v_cmp_neq_f32_e32 vcc, 0, v174
	s_and_saveexec_b64 s[4:5], vcc
	s_cbranch_execz .LBB105_58
; %bb.57:
	v_div_scale_f32 v175, s[10:11], v174, v174, 1.0
	v_rcp_f32_e32 v176, v175
	v_div_scale_f32 v177, vcc, 1.0, v174, 1.0
	v_fma_f32 v178, -v175, v176, 1.0
	v_fmac_f32_e32 v176, v178, v176
	v_mul_f32_e32 v178, v177, v176
	v_fma_f32 v179, -v175, v178, v177
	v_fmac_f32_e32 v178, v179, v176
	v_fma_f32 v175, -v175, v178, v177
	v_div_fmas_f32 v175, v175, v176, v178
	v_div_fixup_f32 v174, v175, v174, 1.0
	ds_write_b32 v162, v174
.LBB105_58:
	s_or_b64 exec, exec, s[4:5]
.LBB105_59:
	s_or_b64 exec, exec, s[2:3]
	s_waitcnt lgkmcnt(0)
	s_barrier
	ds_read_b32 v174, v162
	v_cmp_lt_u32_e32 vcc, 10, v25
	s_and_saveexec_b64 s[2:3], vcc
	s_cbranch_execz .LBB105_61
; %bb.60:
	ds_read2_b32 v[176:177], v163 offset0:11 offset1:12
	ds_read2_b32 v[178:179], v163 offset0:13 offset1:14
	;; [unrolled: 1-line block ×3, first 2 shown]
	s_waitcnt vmcnt(42) lgkmcnt(3)
	v_mul_f32_e32 v182, v174, v47
	ds_read2_b32 v[184:185], v163 offset0:17 offset1:18
	s_waitcnt vmcnt(40) lgkmcnt(3)
	v_pk_fma_f32 v[50:51], v[182:183], v[176:177], v[50:51] op_sel_hi:[0,1,1] neg_lo:[1,0,0] neg_hi:[1,0,0]
	s_waitcnt vmcnt(38) lgkmcnt(2)
	v_pk_fma_f32 v[44:45], v[182:183], v[178:179], v[44:45] op_sel_hi:[0,1,1] neg_lo:[1,0,0] neg_hi:[1,0,0]
	;; [unrolled: 2-line block ×3, first 2 shown]
	ds_read2_b32 v[176:177], v163 offset0:19 offset1:20
	ds_read2_b32 v[178:179], v163 offset0:21 offset1:22
	;; [unrolled: 1-line block ×3, first 2 shown]
	s_waitcnt vmcnt(34) lgkmcnt(3)
	v_pk_fma_f32 v[74:75], v[182:183], v[184:185], v[74:75] op_sel_hi:[0,1,1] neg_lo:[1,0,0] neg_hi:[1,0,0]
	ds_read2_b32 v[184:185], v163 offset0:25 offset1:26
	s_waitcnt vmcnt(32) lgkmcnt(3)
	v_pk_fma_f32 v[68:69], v[182:183], v[176:177], v[68:69] op_sel_hi:[0,1,1] neg_lo:[1,0,0] neg_hi:[1,0,0]
	s_waitcnt vmcnt(30) lgkmcnt(2)
	v_pk_fma_f32 v[70:71], v[182:183], v[178:179], v[70:71] op_sel_hi:[0,1,1] neg_lo:[1,0,0] neg_hi:[1,0,0]
	;; [unrolled: 2-line block ×3, first 2 shown]
	ds_read2_b32 v[176:177], v163 offset0:27 offset1:28
	ds_read2_b32 v[178:179], v163 offset0:29 offset1:30
	;; [unrolled: 1-line block ×3, first 2 shown]
	s_waitcnt vmcnt(26) lgkmcnt(3)
	v_pk_fma_f32 v[94:95], v[182:183], v[184:185], v[94:95] op_sel_hi:[0,1,1] neg_lo:[1,0,0] neg_hi:[1,0,0]
	ds_read2_b32 v[184:185], v163 offset0:33 offset1:34
	s_waitcnt vmcnt(24) lgkmcnt(3)
	v_pk_fma_f32 v[96:97], v[182:183], v[176:177], v[96:97] op_sel_hi:[0,1,1] neg_lo:[1,0,0] neg_hi:[1,0,0]
	s_waitcnt vmcnt(22) lgkmcnt(2)
	v_pk_fma_f32 v[98:99], v[182:183], v[178:179], v[98:99] op_sel_hi:[0,1,1] neg_lo:[1,0,0] neg_hi:[1,0,0]
	;; [unrolled: 2-line block ×3, first 2 shown]
	ds_read2_b32 v[176:177], v163 offset0:35 offset1:36
	ds_read2_b32 v[178:179], v163 offset0:37 offset1:38
	;; [unrolled: 1-line block ×4, first 2 shown]
	s_waitcnt vmcnt(18) lgkmcnt(4)
	v_pk_fma_f32 v[118:119], v[182:183], v[184:185], v[118:119] op_sel_hi:[0,1,1] neg_lo:[1,0,0] neg_hi:[1,0,0]
	s_waitcnt vmcnt(16) lgkmcnt(3)
	v_pk_fma_f32 v[122:123], v[182:183], v[176:177], v[122:123] op_sel_hi:[0,1,1] neg_lo:[1,0,0] neg_hi:[1,0,0]
	;; [unrolled: 2-line block ×5, first 2 shown]
	ds_read2_b32 v[176:177], v163 offset0:43 offset1:44
	ds_read2_b32 v[178:179], v163 offset0:45 offset1:46
	;; [unrolled: 1-line block ×5, first 2 shown]
	s_waitcnt vmcnt(8) lgkmcnt(4)
	v_pk_fma_f32 v[140:141], v[182:183], v[176:177], v[140:141] op_sel_hi:[0,1,1] neg_lo:[1,0,0] neg_hi:[1,0,0]
	s_waitcnt vmcnt(6) lgkmcnt(3)
	v_pk_fma_f32 v[142:143], v[182:183], v[178:179], v[142:143] op_sel_hi:[0,1,1] neg_lo:[1,0,0] neg_hi:[1,0,0]
	;; [unrolled: 2-line block ×5, first 2 shown]
	v_mov_b32_e32 v47, v182
.LBB105_61:
	s_or_b64 exec, exec, s[2:3]
	v_cmp_eq_u32_e32 vcc, 11, v25
	s_waitcnt lgkmcnt(0)
	s_barrier
	s_and_saveexec_b64 s[2:3], vcc
	s_cbranch_execz .LBB105_64
; %bb.62:
	s_waitcnt vmcnt(38)
	v_pk_mov_b32 v[176:177], v[50:51], v[44:45] op_sel:[1,0]
	ds_write_b32 v162, v50
	ds_write2_b32 v163, v176, v177 offset0:12 offset1:13
	s_waitcnt vmcnt(36)
	v_pk_mov_b32 v[176:177], v[44:45], v[48:49] op_sel:[1,0]
	ds_write2_b32 v163, v176, v177 offset0:14 offset1:15
	s_waitcnt vmcnt(34)
	v_pk_mov_b32 v[176:177], v[48:49], v[74:75] op_sel:[1,0]
	;; [unrolled: 3-line block ×19, first 2 shown]
	ds_write2_b32 v163, v176, v177 offset0:50 offset1:51
	ds_write_b32 v163, v161 offset:208
	ds_read_b32 v175, v162
	s_waitcnt lgkmcnt(0)
	v_cmp_neq_f32_e32 vcc, 0, v175
	s_and_b64 exec, exec, vcc
	s_cbranch_execz .LBB105_64
; %bb.63:
	v_div_scale_f32 v176, s[4:5], v175, v175, 1.0
	v_rcp_f32_e32 v177, v176
	v_div_scale_f32 v178, vcc, 1.0, v175, 1.0
	v_fma_f32 v179, -v176, v177, 1.0
	v_fmac_f32_e32 v177, v179, v177
	v_mul_f32_e32 v179, v178, v177
	v_fma_f32 v180, -v176, v179, v178
	v_fmac_f32_e32 v179, v180, v177
	v_fma_f32 v176, -v176, v179, v178
	v_div_fmas_f32 v176, v176, v177, v179
	v_div_fixup_f32 v175, v176, v175, 1.0
	ds_write_b32 v162, v175
.LBB105_64:
	s_or_b64 exec, exec, s[2:3]
	s_waitcnt lgkmcnt(0)
	s_barrier
	ds_read_b32 v175, v162
	v_cmp_lt_u32_e32 vcc, 11, v25
	s_and_saveexec_b64 s[2:3], vcc
	s_cbranch_execz .LBB105_66
; %bb.65:
	ds_read_b32 v182, v163 offset:48
	ds_read2_b32 v[176:177], v163 offset0:13 offset1:14
	ds_read2_b32 v[178:179], v163 offset0:15 offset1:16
	s_waitcnt vmcnt(41) lgkmcnt(3)
	v_mul_f32_e32 v50, v175, v50
	ds_read2_b32 v[180:181], v163 offset0:17 offset1:18
	s_waitcnt vmcnt(40) lgkmcnt(3)
	v_fma_f32 v51, -v50, v182, v51
	s_waitcnt vmcnt(38) lgkmcnt(2)
	v_pk_fma_f32 v[44:45], v[50:51], v[176:177], v[44:45] op_sel_hi:[0,1,1] neg_lo:[1,0,0] neg_hi:[1,0,0]
	s_waitcnt vmcnt(36) lgkmcnt(1)
	v_pk_fma_f32 v[48:49], v[50:51], v[178:179], v[48:49] op_sel_hi:[0,1,1] neg_lo:[1,0,0] neg_hi:[1,0,0]
	ds_read2_b32 v[176:177], v163 offset0:19 offset1:20
	ds_read2_b32 v[178:179], v163 offset0:21 offset1:22
	;; [unrolled: 1-line block ×3, first 2 shown]
	s_waitcnt vmcnt(34) lgkmcnt(3)
	v_pk_fma_f32 v[74:75], v[50:51], v[180:181], v[74:75] op_sel_hi:[0,1,1] neg_lo:[1,0,0] neg_hi:[1,0,0]
	ds_read2_b32 v[180:181], v163 offset0:25 offset1:26
	s_waitcnt vmcnt(32) lgkmcnt(3)
	v_pk_fma_f32 v[68:69], v[50:51], v[176:177], v[68:69] op_sel_hi:[0,1,1] neg_lo:[1,0,0] neg_hi:[1,0,0]
	s_waitcnt vmcnt(30) lgkmcnt(2)
	v_pk_fma_f32 v[70:71], v[50:51], v[178:179], v[70:71] op_sel_hi:[0,1,1] neg_lo:[1,0,0] neg_hi:[1,0,0]
	;; [unrolled: 2-line block ×3, first 2 shown]
	ds_read2_b32 v[176:177], v163 offset0:27 offset1:28
	ds_read2_b32 v[178:179], v163 offset0:29 offset1:30
	;; [unrolled: 1-line block ×3, first 2 shown]
	s_waitcnt vmcnt(26) lgkmcnt(3)
	v_pk_fma_f32 v[94:95], v[50:51], v[180:181], v[94:95] op_sel_hi:[0,1,1] neg_lo:[1,0,0] neg_hi:[1,0,0]
	ds_read2_b32 v[180:181], v163 offset0:33 offset1:34
	s_waitcnt vmcnt(24) lgkmcnt(3)
	v_pk_fma_f32 v[96:97], v[50:51], v[176:177], v[96:97] op_sel_hi:[0,1,1] neg_lo:[1,0,0] neg_hi:[1,0,0]
	s_waitcnt vmcnt(22) lgkmcnt(2)
	v_pk_fma_f32 v[98:99], v[50:51], v[178:179], v[98:99] op_sel_hi:[0,1,1] neg_lo:[1,0,0] neg_hi:[1,0,0]
	;; [unrolled: 2-line block ×3, first 2 shown]
	ds_read2_b32 v[176:177], v163 offset0:35 offset1:36
	ds_read2_b32 v[178:179], v163 offset0:37 offset1:38
	;; [unrolled: 1-line block ×4, first 2 shown]
	s_waitcnt vmcnt(18) lgkmcnt(4)
	v_pk_fma_f32 v[118:119], v[50:51], v[180:181], v[118:119] op_sel_hi:[0,1,1] neg_lo:[1,0,0] neg_hi:[1,0,0]
	s_waitcnt vmcnt(16) lgkmcnt(3)
	v_pk_fma_f32 v[122:123], v[50:51], v[176:177], v[122:123] op_sel_hi:[0,1,1] neg_lo:[1,0,0] neg_hi:[1,0,0]
	;; [unrolled: 2-line block ×5, first 2 shown]
	ds_read2_b32 v[176:177], v163 offset0:43 offset1:44
	ds_read2_b32 v[178:179], v163 offset0:45 offset1:46
	;; [unrolled: 1-line block ×5, first 2 shown]
	s_waitcnt vmcnt(8) lgkmcnt(4)
	v_pk_fma_f32 v[140:141], v[50:51], v[176:177], v[140:141] op_sel_hi:[0,1,1] neg_lo:[1,0,0] neg_hi:[1,0,0]
	s_waitcnt vmcnt(6) lgkmcnt(3)
	v_pk_fma_f32 v[142:143], v[50:51], v[178:179], v[142:143] op_sel_hi:[0,1,1] neg_lo:[1,0,0] neg_hi:[1,0,0]
	;; [unrolled: 2-line block ×5, first 2 shown]
.LBB105_66:
	s_or_b64 exec, exec, s[2:3]
	v_cmp_ne_u32_e32 vcc, 12, v25
	s_waitcnt lgkmcnt(0)
	s_barrier
	s_and_saveexec_b64 s[2:3], vcc
	s_xor_b64 s[2:3], exec, s[2:3]
	s_andn2_saveexec_b64 s[2:3], s[2:3]
	s_cbranch_execz .LBB105_70
; %bb.67:
	s_waitcnt vmcnt(40)
	ds_write_b32 v162, v51
	s_waitcnt vmcnt(38)
	ds_write2_b32 v163, v44, v45 offset0:13 offset1:14
	s_waitcnt vmcnt(36)
	ds_write2_b32 v163, v48, v49 offset0:15 offset1:16
	s_waitcnt vmcnt(34)
	ds_write2_b32 v163, v74, v75 offset0:17 offset1:18
	s_waitcnt vmcnt(32)
	ds_write2_b32 v163, v68, v69 offset0:19 offset1:20
	s_waitcnt vmcnt(30)
	ds_write2_b32 v163, v70, v71 offset0:21 offset1:22
	s_waitcnt vmcnt(28)
	ds_write2_b32 v163, v72, v73 offset0:23 offset1:24
	s_waitcnt vmcnt(26)
	ds_write2_b32 v163, v94, v95 offset0:25 offset1:26
	s_waitcnt vmcnt(24)
	ds_write2_b32 v163, v96, v97 offset0:27 offset1:28
	s_waitcnt vmcnt(22)
	ds_write2_b32 v163, v98, v99 offset0:29 offset1:30
	s_waitcnt vmcnt(20)
	ds_write2_b32 v163, v92, v93 offset0:31 offset1:32
	s_waitcnt vmcnt(18)
	ds_write2_b32 v163, v118, v119 offset0:33 offset1:34
	s_waitcnt vmcnt(16)
	ds_write2_b32 v163, v122, v123 offset0:35 offset1:36
	s_waitcnt vmcnt(14)
	ds_write2_b32 v163, v116, v117 offset0:37 offset1:38
	s_waitcnt vmcnt(12)
	ds_write2_b32 v163, v120, v121 offset0:39 offset1:40
	s_waitcnt vmcnt(10)
	ds_write2_b32 v163, v146, v147 offset0:41 offset1:42
	s_waitcnt vmcnt(8)
	ds_write2_b32 v163, v140, v141 offset0:43 offset1:44
	s_waitcnt vmcnt(6)
	ds_write2_b32 v163, v142, v143 offset0:45 offset1:46
	s_waitcnt vmcnt(4)
	ds_write2_b32 v163, v144, v145 offset0:47 offset1:48
	s_waitcnt vmcnt(2)
	ds_write2_b32 v163, v158, v159 offset0:49 offset1:50
	s_waitcnt vmcnt(0)
	ds_write2_b32 v163, v160, v161 offset0:51 offset1:52
	ds_read_b32 v176, v162
	s_waitcnt lgkmcnt(0)
	v_cmp_neq_f32_e32 vcc, 0, v176
	s_and_saveexec_b64 s[4:5], vcc
	s_cbranch_execz .LBB105_69
; %bb.68:
	v_div_scale_f32 v177, s[10:11], v176, v176, 1.0
	v_rcp_f32_e32 v178, v177
	v_div_scale_f32 v179, vcc, 1.0, v176, 1.0
	v_fma_f32 v180, -v177, v178, 1.0
	v_fmac_f32_e32 v178, v180, v178
	v_mul_f32_e32 v180, v179, v178
	v_fma_f32 v181, -v177, v180, v179
	v_fmac_f32_e32 v180, v181, v178
	v_fma_f32 v177, -v177, v180, v179
	v_div_fmas_f32 v177, v177, v178, v180
	v_div_fixup_f32 v176, v177, v176, 1.0
	ds_write_b32 v162, v176
.LBB105_69:
	s_or_b64 exec, exec, s[4:5]
.LBB105_70:
	s_or_b64 exec, exec, s[2:3]
	s_waitcnt lgkmcnt(0)
	s_barrier
	ds_read_b32 v176, v162
	v_cmp_lt_u32_e32 vcc, 12, v25
	s_and_saveexec_b64 s[2:3], vcc
	s_cbranch_execz .LBB105_72
; %bb.71:
	ds_read2_b32 v[178:179], v163 offset0:13 offset1:14
	ds_read2_b32 v[180:181], v163 offset0:15 offset1:16
	;; [unrolled: 1-line block ×3, first 2 shown]
	s_waitcnt vmcnt(40) lgkmcnt(3)
	v_mul_f32_e32 v184, v176, v51
	ds_read2_b32 v[186:187], v163 offset0:19 offset1:20
	s_waitcnt vmcnt(38) lgkmcnt(3)
	v_pk_fma_f32 v[44:45], v[184:185], v[178:179], v[44:45] op_sel_hi:[0,1,1] neg_lo:[1,0,0] neg_hi:[1,0,0]
	s_waitcnt vmcnt(36) lgkmcnt(2)
	v_pk_fma_f32 v[48:49], v[184:185], v[180:181], v[48:49] op_sel_hi:[0,1,1] neg_lo:[1,0,0] neg_hi:[1,0,0]
	s_waitcnt vmcnt(34) lgkmcnt(1)
	v_pk_fma_f32 v[74:75], v[184:185], v[182:183], v[74:75] op_sel_hi:[0,1,1] neg_lo:[1,0,0] neg_hi:[1,0,0]
	ds_read2_b32 v[178:179], v163 offset0:21 offset1:22
	ds_read2_b32 v[180:181], v163 offset0:23 offset1:24
	ds_read2_b32 v[182:183], v163 offset0:25 offset1:26
	s_waitcnt vmcnt(32) lgkmcnt(3)
	v_pk_fma_f32 v[68:69], v[184:185], v[186:187], v[68:69] op_sel_hi:[0,1,1] neg_lo:[1,0,0] neg_hi:[1,0,0]
	ds_read2_b32 v[186:187], v163 offset0:27 offset1:28
	s_waitcnt vmcnt(30) lgkmcnt(3)
	v_pk_fma_f32 v[70:71], v[184:185], v[178:179], v[70:71] op_sel_hi:[0,1,1] neg_lo:[1,0,0] neg_hi:[1,0,0]
	s_waitcnt vmcnt(28) lgkmcnt(2)
	v_pk_fma_f32 v[72:73], v[184:185], v[180:181], v[72:73] op_sel_hi:[0,1,1] neg_lo:[1,0,0] neg_hi:[1,0,0]
	s_waitcnt vmcnt(26) lgkmcnt(1)
	v_pk_fma_f32 v[94:95], v[184:185], v[182:183], v[94:95] op_sel_hi:[0,1,1] neg_lo:[1,0,0] neg_hi:[1,0,0]
	ds_read2_b32 v[178:179], v163 offset0:29 offset1:30
	ds_read2_b32 v[180:181], v163 offset0:31 offset1:32
	ds_read2_b32 v[182:183], v163 offset0:33 offset1:34
	s_waitcnt vmcnt(24) lgkmcnt(3)
	v_pk_fma_f32 v[96:97], v[184:185], v[186:187], v[96:97] op_sel_hi:[0,1,1] neg_lo:[1,0,0] neg_hi:[1,0,0]
	;; [unrolled: 12-line block ×3, first 2 shown]
	ds_read2_b32 v[186:187], v163 offset0:43 offset1:44
	s_waitcnt vmcnt(14) lgkmcnt(3)
	v_pk_fma_f32 v[116:117], v[184:185], v[178:179], v[116:117] op_sel_hi:[0,1,1] neg_lo:[1,0,0] neg_hi:[1,0,0]
	s_waitcnt vmcnt(12) lgkmcnt(2)
	v_pk_fma_f32 v[120:121], v[184:185], v[180:181], v[120:121] op_sel_hi:[0,1,1] neg_lo:[1,0,0] neg_hi:[1,0,0]
	;; [unrolled: 2-line block ×3, first 2 shown]
	ds_read2_b32 v[178:179], v163 offset0:45 offset1:46
	ds_read2_b32 v[180:181], v163 offset0:47 offset1:48
	;; [unrolled: 1-line block ×4, first 2 shown]
	s_waitcnt vmcnt(8) lgkmcnt(4)
	v_pk_fma_f32 v[140:141], v[184:185], v[186:187], v[140:141] op_sel_hi:[0,1,1] neg_lo:[1,0,0] neg_hi:[1,0,0]
	s_waitcnt vmcnt(6) lgkmcnt(3)
	v_pk_fma_f32 v[142:143], v[184:185], v[178:179], v[142:143] op_sel_hi:[0,1,1] neg_lo:[1,0,0] neg_hi:[1,0,0]
	;; [unrolled: 2-line block ×5, first 2 shown]
	v_mov_b32_e32 v51, v184
.LBB105_72:
	s_or_b64 exec, exec, s[2:3]
	v_cmp_eq_u32_e32 vcc, 13, v25
	s_waitcnt lgkmcnt(0)
	s_barrier
	s_and_saveexec_b64 s[2:3], vcc
	s_cbranch_execz .LBB105_75
; %bb.73:
	s_waitcnt vmcnt(36)
	v_pk_mov_b32 v[178:179], v[44:45], v[48:49] op_sel:[1,0]
	ds_write_b32 v162, v44
	ds_write2_b32 v163, v178, v179 offset0:14 offset1:15
	s_waitcnt vmcnt(34)
	v_pk_mov_b32 v[178:179], v[48:49], v[74:75] op_sel:[1,0]
	ds_write2_b32 v163, v178, v179 offset0:16 offset1:17
	s_waitcnt vmcnt(32)
	v_pk_mov_b32 v[178:179], v[74:75], v[68:69] op_sel:[1,0]
	;; [unrolled: 3-line block ×18, first 2 shown]
	ds_write2_b32 v163, v178, v179 offset0:50 offset1:51
	ds_write_b32 v163, v161 offset:208
	ds_read_b32 v177, v162
	s_waitcnt lgkmcnt(0)
	v_cmp_neq_f32_e32 vcc, 0, v177
	s_and_b64 exec, exec, vcc
	s_cbranch_execz .LBB105_75
; %bb.74:
	v_div_scale_f32 v178, s[4:5], v177, v177, 1.0
	v_rcp_f32_e32 v179, v178
	v_div_scale_f32 v180, vcc, 1.0, v177, 1.0
	v_fma_f32 v181, -v178, v179, 1.0
	v_fmac_f32_e32 v179, v181, v179
	v_mul_f32_e32 v181, v180, v179
	v_fma_f32 v182, -v178, v181, v180
	v_fmac_f32_e32 v181, v182, v179
	v_fma_f32 v178, -v178, v181, v180
	v_div_fmas_f32 v178, v178, v179, v181
	v_div_fixup_f32 v177, v178, v177, 1.0
	ds_write_b32 v162, v177
.LBB105_75:
	s_or_b64 exec, exec, s[2:3]
	s_waitcnt lgkmcnt(0)
	s_barrier
	ds_read_b32 v177, v162
	v_cmp_lt_u32_e32 vcc, 13, v25
	s_and_saveexec_b64 s[2:3], vcc
	s_cbranch_execz .LBB105_77
; %bb.76:
	ds_read_b32 v184, v163 offset:56
	ds_read2_b32 v[178:179], v163 offset0:15 offset1:16
	ds_read2_b32 v[180:181], v163 offset0:17 offset1:18
	s_waitcnt vmcnt(39) lgkmcnt(3)
	v_mul_f32_e32 v44, v177, v44
	ds_read2_b32 v[182:183], v163 offset0:19 offset1:20
	s_waitcnt vmcnt(38) lgkmcnt(3)
	v_fma_f32 v45, -v44, v184, v45
	s_waitcnt vmcnt(36) lgkmcnt(2)
	v_pk_fma_f32 v[48:49], v[44:45], v[178:179], v[48:49] op_sel_hi:[0,1,1] neg_lo:[1,0,0] neg_hi:[1,0,0]
	s_waitcnt vmcnt(34) lgkmcnt(1)
	v_pk_fma_f32 v[74:75], v[44:45], v[180:181], v[74:75] op_sel_hi:[0,1,1] neg_lo:[1,0,0] neg_hi:[1,0,0]
	ds_read2_b32 v[178:179], v163 offset0:21 offset1:22
	ds_read2_b32 v[180:181], v163 offset0:23 offset1:24
	ds_read2_b32 v[184:185], v163 offset0:25 offset1:26
	s_waitcnt vmcnt(32) lgkmcnt(3)
	v_pk_fma_f32 v[68:69], v[44:45], v[182:183], v[68:69] op_sel_hi:[0,1,1] neg_lo:[1,0,0] neg_hi:[1,0,0]
	ds_read2_b32 v[182:183], v163 offset0:27 offset1:28
	s_waitcnt vmcnt(30) lgkmcnt(3)
	v_pk_fma_f32 v[70:71], v[44:45], v[178:179], v[70:71] op_sel_hi:[0,1,1] neg_lo:[1,0,0] neg_hi:[1,0,0]
	s_waitcnt vmcnt(28) lgkmcnt(2)
	v_pk_fma_f32 v[72:73], v[44:45], v[180:181], v[72:73] op_sel_hi:[0,1,1] neg_lo:[1,0,0] neg_hi:[1,0,0]
	s_waitcnt vmcnt(26) lgkmcnt(1)
	v_pk_fma_f32 v[94:95], v[44:45], v[184:185], v[94:95] op_sel_hi:[0,1,1] neg_lo:[1,0,0] neg_hi:[1,0,0]
	ds_read2_b32 v[178:179], v163 offset0:29 offset1:30
	ds_read2_b32 v[180:181], v163 offset0:31 offset1:32
	ds_read2_b32 v[184:185], v163 offset0:33 offset1:34
	s_waitcnt vmcnt(24) lgkmcnt(3)
	v_pk_fma_f32 v[96:97], v[44:45], v[182:183], v[96:97] op_sel_hi:[0,1,1] neg_lo:[1,0,0] neg_hi:[1,0,0]
	ds_read2_b32 v[182:183], v163 offset0:35 offset1:36
	s_waitcnt vmcnt(22) lgkmcnt(3)
	v_pk_fma_f32 v[98:99], v[44:45], v[178:179], v[98:99] op_sel_hi:[0,1,1] neg_lo:[1,0,0] neg_hi:[1,0,0]
	;; [unrolled: 12-line block ×3, first 2 shown]
	s_waitcnt vmcnt(12) lgkmcnt(2)
	v_pk_fma_f32 v[120:121], v[44:45], v[180:181], v[120:121] op_sel_hi:[0,1,1] neg_lo:[1,0,0] neg_hi:[1,0,0]
	s_waitcnt vmcnt(10) lgkmcnt(1)
	v_pk_fma_f32 v[146:147], v[44:45], v[184:185], v[146:147] op_sel_hi:[0,1,1] neg_lo:[1,0,0] neg_hi:[1,0,0]
	ds_read2_b32 v[178:179], v163 offset0:45 offset1:46
	ds_read2_b32 v[180:181], v163 offset0:47 offset1:48
	;; [unrolled: 1-line block ×4, first 2 shown]
	s_waitcnt vmcnt(8) lgkmcnt(4)
	v_pk_fma_f32 v[140:141], v[44:45], v[182:183], v[140:141] op_sel_hi:[0,1,1] neg_lo:[1,0,0] neg_hi:[1,0,0]
	s_waitcnt vmcnt(6) lgkmcnt(3)
	v_pk_fma_f32 v[142:143], v[44:45], v[178:179], v[142:143] op_sel_hi:[0,1,1] neg_lo:[1,0,0] neg_hi:[1,0,0]
	;; [unrolled: 2-line block ×5, first 2 shown]
.LBB105_77:
	s_or_b64 exec, exec, s[2:3]
	v_cmp_ne_u32_e32 vcc, 14, v25
	s_waitcnt lgkmcnt(0)
	s_barrier
	s_and_saveexec_b64 s[2:3], vcc
	s_xor_b64 s[2:3], exec, s[2:3]
	s_andn2_saveexec_b64 s[2:3], s[2:3]
	s_cbranch_execz .LBB105_81
; %bb.78:
	s_waitcnt vmcnt(38)
	ds_write_b32 v162, v45
	s_waitcnt vmcnt(36)
	ds_write2_b32 v163, v48, v49 offset0:15 offset1:16
	s_waitcnt vmcnt(34)
	ds_write2_b32 v163, v74, v75 offset0:17 offset1:18
	;; [unrolled: 2-line block ×19, first 2 shown]
	ds_read_b32 v178, v162
	s_waitcnt lgkmcnt(0)
	v_cmp_neq_f32_e32 vcc, 0, v178
	s_and_saveexec_b64 s[4:5], vcc
	s_cbranch_execz .LBB105_80
; %bb.79:
	v_div_scale_f32 v179, s[10:11], v178, v178, 1.0
	v_rcp_f32_e32 v180, v179
	v_div_scale_f32 v181, vcc, 1.0, v178, 1.0
	v_fma_f32 v182, -v179, v180, 1.0
	v_fmac_f32_e32 v180, v182, v180
	v_mul_f32_e32 v182, v181, v180
	v_fma_f32 v183, -v179, v182, v181
	v_fmac_f32_e32 v182, v183, v180
	v_fma_f32 v179, -v179, v182, v181
	v_div_fmas_f32 v179, v179, v180, v182
	v_div_fixup_f32 v178, v179, v178, 1.0
	ds_write_b32 v162, v178
.LBB105_80:
	s_or_b64 exec, exec, s[4:5]
.LBB105_81:
	s_or_b64 exec, exec, s[2:3]
	s_waitcnt lgkmcnt(0)
	s_barrier
	ds_read_b32 v178, v162
	v_cmp_lt_u32_e32 vcc, 14, v25
	s_and_saveexec_b64 s[2:3], vcc
	s_cbranch_execz .LBB105_83
; %bb.82:
	ds_read2_b32 v[180:181], v163 offset0:15 offset1:16
	ds_read2_b32 v[182:183], v163 offset0:17 offset1:18
	;; [unrolled: 1-line block ×3, first 2 shown]
	s_waitcnt vmcnt(38) lgkmcnt(3)
	v_mul_f32_e32 v186, v178, v45
	ds_read2_b32 v[188:189], v163 offset0:21 offset1:22
	s_waitcnt vmcnt(36) lgkmcnt(3)
	v_pk_fma_f32 v[48:49], v[186:187], v[180:181], v[48:49] op_sel_hi:[0,1,1] neg_lo:[1,0,0] neg_hi:[1,0,0]
	s_waitcnt vmcnt(34) lgkmcnt(2)
	v_pk_fma_f32 v[74:75], v[186:187], v[182:183], v[74:75] op_sel_hi:[0,1,1] neg_lo:[1,0,0] neg_hi:[1,0,0]
	;; [unrolled: 2-line block ×3, first 2 shown]
	ds_read2_b32 v[180:181], v163 offset0:23 offset1:24
	ds_read2_b32 v[182:183], v163 offset0:25 offset1:26
	ds_read2_b32 v[184:185], v163 offset0:27 offset1:28
	s_waitcnt vmcnt(30) lgkmcnt(3)
	v_pk_fma_f32 v[70:71], v[186:187], v[188:189], v[70:71] op_sel_hi:[0,1,1] neg_lo:[1,0,0] neg_hi:[1,0,0]
	ds_read2_b32 v[188:189], v163 offset0:29 offset1:30
	s_waitcnt vmcnt(28) lgkmcnt(3)
	v_pk_fma_f32 v[72:73], v[186:187], v[180:181], v[72:73] op_sel_hi:[0,1,1] neg_lo:[1,0,0] neg_hi:[1,0,0]
	s_waitcnt vmcnt(26) lgkmcnt(2)
	v_pk_fma_f32 v[94:95], v[186:187], v[182:183], v[94:95] op_sel_hi:[0,1,1] neg_lo:[1,0,0] neg_hi:[1,0,0]
	;; [unrolled: 2-line block ×3, first 2 shown]
	ds_read2_b32 v[180:181], v163 offset0:31 offset1:32
	ds_read2_b32 v[182:183], v163 offset0:33 offset1:34
	;; [unrolled: 1-line block ×3, first 2 shown]
	s_waitcnt vmcnt(22) lgkmcnt(3)
	v_pk_fma_f32 v[98:99], v[186:187], v[188:189], v[98:99] op_sel_hi:[0,1,1] neg_lo:[1,0,0] neg_hi:[1,0,0]
	ds_read2_b32 v[188:189], v163 offset0:37 offset1:38
	s_waitcnt vmcnt(20) lgkmcnt(3)
	v_pk_fma_f32 v[92:93], v[186:187], v[180:181], v[92:93] op_sel_hi:[0,1,1] neg_lo:[1,0,0] neg_hi:[1,0,0]
	s_waitcnt vmcnt(18) lgkmcnt(2)
	v_pk_fma_f32 v[118:119], v[186:187], v[182:183], v[118:119] op_sel_hi:[0,1,1] neg_lo:[1,0,0] neg_hi:[1,0,0]
	ds_read2_b32 v[180:181], v163 offset0:39 offset1:40
	ds_read2_b32 v[182:183], v163 offset0:41 offset1:42
	s_waitcnt vmcnt(16) lgkmcnt(3)
	v_pk_fma_f32 v[122:123], v[186:187], v[184:185], v[122:123] op_sel_hi:[0,1,1] neg_lo:[1,0,0] neg_hi:[1,0,0]
	s_waitcnt vmcnt(14) lgkmcnt(2)
	v_pk_fma_f32 v[116:117], v[186:187], v[188:189], v[116:117] op_sel_hi:[0,1,1] neg_lo:[1,0,0] neg_hi:[1,0,0]
	ds_read2_b32 v[184:185], v163 offset0:43 offset1:44
	;; [unrolled: 6-line block ×3, first 2 shown]
	ds_read2_b32 v[182:183], v163 offset0:49 offset1:50
	ds_read2_b32 v[190:191], v163 offset0:51 offset1:52
	s_waitcnt vmcnt(8) lgkmcnt(4)
	v_pk_fma_f32 v[140:141], v[186:187], v[184:185], v[140:141] op_sel_hi:[0,1,1] neg_lo:[1,0,0] neg_hi:[1,0,0]
	s_waitcnt vmcnt(6) lgkmcnt(3)
	v_pk_fma_f32 v[142:143], v[186:187], v[188:189], v[142:143] op_sel_hi:[0,1,1] neg_lo:[1,0,0] neg_hi:[1,0,0]
	;; [unrolled: 2-line block ×5, first 2 shown]
	v_mov_b32_e32 v45, v186
.LBB105_83:
	s_or_b64 exec, exec, s[2:3]
	v_cmp_eq_u32_e32 vcc, 15, v25
	s_waitcnt lgkmcnt(0)
	s_barrier
	s_and_saveexec_b64 s[2:3], vcc
	s_cbranch_execz .LBB105_86
; %bb.84:
	s_waitcnt vmcnt(34)
	v_pk_mov_b32 v[180:181], v[48:49], v[74:75] op_sel:[1,0]
	ds_write_b32 v162, v48
	ds_write2_b32 v163, v180, v181 offset0:16 offset1:17
	s_waitcnt vmcnt(32)
	v_pk_mov_b32 v[180:181], v[74:75], v[68:69] op_sel:[1,0]
	ds_write2_b32 v163, v180, v181 offset0:18 offset1:19
	s_waitcnt vmcnt(30)
	v_pk_mov_b32 v[180:181], v[68:69], v[70:71] op_sel:[1,0]
	ds_write2_b32 v163, v180, v181 offset0:20 offset1:21
	s_waitcnt vmcnt(28)
	v_pk_mov_b32 v[180:181], v[70:71], v[72:73] op_sel:[1,0]
	ds_write2_b32 v163, v180, v181 offset0:22 offset1:23
	s_waitcnt vmcnt(26)
	v_pk_mov_b32 v[180:181], v[72:73], v[94:95] op_sel:[1,0]
	ds_write2_b32 v163, v180, v181 offset0:24 offset1:25
	s_waitcnt vmcnt(24)
	v_pk_mov_b32 v[180:181], v[94:95], v[96:97] op_sel:[1,0]
	ds_write2_b32 v163, v180, v181 offset0:26 offset1:27
	s_waitcnt vmcnt(22)
	v_pk_mov_b32 v[180:181], v[96:97], v[98:99] op_sel:[1,0]
	ds_write2_b32 v163, v180, v181 offset0:28 offset1:29
	s_waitcnt vmcnt(20)
	v_pk_mov_b32 v[180:181], v[98:99], v[92:93] op_sel:[1,0]
	ds_write2_b32 v163, v180, v181 offset0:30 offset1:31
	s_waitcnt vmcnt(18)
	v_pk_mov_b32 v[180:181], v[92:93], v[118:119] op_sel:[1,0]
	ds_write2_b32 v163, v180, v181 offset0:32 offset1:33
	s_waitcnt vmcnt(16)
	v_pk_mov_b32 v[180:181], v[118:119], v[122:123] op_sel:[1,0]
	ds_write2_b32 v163, v180, v181 offset0:34 offset1:35
	s_waitcnt vmcnt(14)
	v_pk_mov_b32 v[180:181], v[122:123], v[116:117] op_sel:[1,0]
	ds_write2_b32 v163, v180, v181 offset0:36 offset1:37
	s_waitcnt vmcnt(12)
	v_pk_mov_b32 v[180:181], v[116:117], v[120:121] op_sel:[1,0]
	ds_write2_b32 v163, v180, v181 offset0:38 offset1:39
	s_waitcnt vmcnt(10)
	v_pk_mov_b32 v[180:181], v[120:121], v[146:147] op_sel:[1,0]
	ds_write2_b32 v163, v180, v181 offset0:40 offset1:41
	s_waitcnt vmcnt(8)
	v_pk_mov_b32 v[180:181], v[146:147], v[140:141] op_sel:[1,0]
	ds_write2_b32 v163, v180, v181 offset0:42 offset1:43
	s_waitcnt vmcnt(6)
	v_pk_mov_b32 v[180:181], v[140:141], v[142:143] op_sel:[1,0]
	ds_write2_b32 v163, v180, v181 offset0:44 offset1:45
	s_waitcnt vmcnt(4)
	v_pk_mov_b32 v[180:181], v[142:143], v[144:145] op_sel:[1,0]
	ds_write2_b32 v163, v180, v181 offset0:46 offset1:47
	s_waitcnt vmcnt(2)
	v_pk_mov_b32 v[180:181], v[144:145], v[158:159] op_sel:[1,0]
	ds_write2_b32 v163, v180, v181 offset0:48 offset1:49
	s_waitcnt vmcnt(0)
	v_pk_mov_b32 v[180:181], v[158:159], v[160:161] op_sel:[1,0]
	ds_write2_b32 v163, v180, v181 offset0:50 offset1:51
	ds_write_b32 v163, v161 offset:208
	ds_read_b32 v179, v162
	s_waitcnt lgkmcnt(0)
	v_cmp_neq_f32_e32 vcc, 0, v179
	s_and_b64 exec, exec, vcc
	s_cbranch_execz .LBB105_86
; %bb.85:
	v_div_scale_f32 v180, s[4:5], v179, v179, 1.0
	v_rcp_f32_e32 v181, v180
	v_div_scale_f32 v182, vcc, 1.0, v179, 1.0
	v_fma_f32 v183, -v180, v181, 1.0
	v_fmac_f32_e32 v181, v183, v181
	v_mul_f32_e32 v183, v182, v181
	v_fma_f32 v184, -v180, v183, v182
	v_fmac_f32_e32 v183, v184, v181
	v_fma_f32 v180, -v180, v183, v182
	v_div_fmas_f32 v180, v180, v181, v183
	v_div_fixup_f32 v179, v180, v179, 1.0
	ds_write_b32 v162, v179
.LBB105_86:
	s_or_b64 exec, exec, s[2:3]
	s_waitcnt lgkmcnt(0)
	s_barrier
	ds_read_b32 v179, v162
	v_cmp_lt_u32_e32 vcc, 15, v25
	s_and_saveexec_b64 s[2:3], vcc
	s_cbranch_execz .LBB105_88
; %bb.87:
	ds_read_b32 v186, v163 offset:64
	ds_read2_b32 v[180:181], v163 offset0:17 offset1:18
	ds_read2_b32 v[182:183], v163 offset0:19 offset1:20
	s_waitcnt vmcnt(37) lgkmcnt(3)
	v_mul_f32_e32 v48, v179, v48
	ds_read2_b32 v[184:185], v163 offset0:21 offset1:22
	s_waitcnt vmcnt(36) lgkmcnt(3)
	v_fma_f32 v49, -v48, v186, v49
	s_waitcnt vmcnt(34) lgkmcnt(2)
	v_pk_fma_f32 v[74:75], v[48:49], v[180:181], v[74:75] op_sel_hi:[0,1,1] neg_lo:[1,0,0] neg_hi:[1,0,0]
	s_waitcnt vmcnt(32) lgkmcnt(1)
	v_pk_fma_f32 v[68:69], v[48:49], v[182:183], v[68:69] op_sel_hi:[0,1,1] neg_lo:[1,0,0] neg_hi:[1,0,0]
	ds_read2_b32 v[180:181], v163 offset0:23 offset1:24
	ds_read2_b32 v[182:183], v163 offset0:25 offset1:26
	;; [unrolled: 1-line block ×3, first 2 shown]
	s_waitcnt vmcnt(30) lgkmcnt(3)
	v_pk_fma_f32 v[70:71], v[48:49], v[184:185], v[70:71] op_sel_hi:[0,1,1] neg_lo:[1,0,0] neg_hi:[1,0,0]
	ds_read2_b32 v[184:185], v163 offset0:29 offset1:30
	s_waitcnt vmcnt(28) lgkmcnt(3)
	v_pk_fma_f32 v[72:73], v[48:49], v[180:181], v[72:73] op_sel_hi:[0,1,1] neg_lo:[1,0,0] neg_hi:[1,0,0]
	s_waitcnt vmcnt(26) lgkmcnt(2)
	v_pk_fma_f32 v[94:95], v[48:49], v[182:183], v[94:95] op_sel_hi:[0,1,1] neg_lo:[1,0,0] neg_hi:[1,0,0]
	;; [unrolled: 2-line block ×3, first 2 shown]
	ds_read2_b32 v[180:181], v163 offset0:31 offset1:32
	ds_read2_b32 v[182:183], v163 offset0:33 offset1:34
	;; [unrolled: 1-line block ×3, first 2 shown]
	s_waitcnt vmcnt(22) lgkmcnt(3)
	v_pk_fma_f32 v[98:99], v[48:49], v[184:185], v[98:99] op_sel_hi:[0,1,1] neg_lo:[1,0,0] neg_hi:[1,0,0]
	ds_read2_b32 v[184:185], v163 offset0:37 offset1:38
	s_waitcnt vmcnt(20) lgkmcnt(3)
	v_pk_fma_f32 v[92:93], v[48:49], v[180:181], v[92:93] op_sel_hi:[0,1,1] neg_lo:[1,0,0] neg_hi:[1,0,0]
	s_waitcnt vmcnt(18) lgkmcnt(2)
	v_pk_fma_f32 v[118:119], v[48:49], v[182:183], v[118:119] op_sel_hi:[0,1,1] neg_lo:[1,0,0] neg_hi:[1,0,0]
	ds_read2_b32 v[180:181], v163 offset0:39 offset1:40
	ds_read2_b32 v[182:183], v163 offset0:41 offset1:42
	s_waitcnt vmcnt(16) lgkmcnt(3)
	v_pk_fma_f32 v[122:123], v[48:49], v[186:187], v[122:123] op_sel_hi:[0,1,1] neg_lo:[1,0,0] neg_hi:[1,0,0]
	s_waitcnt vmcnt(14) lgkmcnt(2)
	v_pk_fma_f32 v[116:117], v[48:49], v[184:185], v[116:117] op_sel_hi:[0,1,1] neg_lo:[1,0,0] neg_hi:[1,0,0]
	ds_read2_b32 v[184:185], v163 offset0:43 offset1:44
	ds_read2_b32 v[186:187], v163 offset0:45 offset1:46
	s_waitcnt vmcnt(12) lgkmcnt(3)
	v_pk_fma_f32 v[120:121], v[48:49], v[180:181], v[120:121] op_sel_hi:[0,1,1] neg_lo:[1,0,0] neg_hi:[1,0,0]
	s_waitcnt vmcnt(10) lgkmcnt(2)
	v_pk_fma_f32 v[146:147], v[48:49], v[182:183], v[146:147] op_sel_hi:[0,1,1] neg_lo:[1,0,0] neg_hi:[1,0,0]
	ds_read2_b32 v[180:181], v163 offset0:47 offset1:48
	ds_read2_b32 v[182:183], v163 offset0:49 offset1:50
	ds_read2_b32 v[188:189], v163 offset0:51 offset1:52
	s_waitcnt vmcnt(8) lgkmcnt(4)
	v_pk_fma_f32 v[140:141], v[48:49], v[184:185], v[140:141] op_sel_hi:[0,1,1] neg_lo:[1,0,0] neg_hi:[1,0,0]
	s_waitcnt vmcnt(6) lgkmcnt(3)
	v_pk_fma_f32 v[142:143], v[48:49], v[186:187], v[142:143] op_sel_hi:[0,1,1] neg_lo:[1,0,0] neg_hi:[1,0,0]
	;; [unrolled: 2-line block ×5, first 2 shown]
.LBB105_88:
	s_or_b64 exec, exec, s[2:3]
	v_cmp_ne_u32_e32 vcc, 16, v25
	s_waitcnt lgkmcnt(0)
	s_barrier
	s_and_saveexec_b64 s[2:3], vcc
	s_xor_b64 s[2:3], exec, s[2:3]
	s_andn2_saveexec_b64 s[2:3], s[2:3]
	s_cbranch_execz .LBB105_92
; %bb.89:
	s_waitcnt vmcnt(36)
	ds_write_b32 v162, v49
	s_waitcnt vmcnt(34)
	ds_write2_b32 v163, v74, v75 offset0:17 offset1:18
	s_waitcnt vmcnt(32)
	ds_write2_b32 v163, v68, v69 offset0:19 offset1:20
	;; [unrolled: 2-line block ×18, first 2 shown]
	ds_read_b32 v180, v162
	s_waitcnt lgkmcnt(0)
	v_cmp_neq_f32_e32 vcc, 0, v180
	s_and_saveexec_b64 s[4:5], vcc
	s_cbranch_execz .LBB105_91
; %bb.90:
	v_div_scale_f32 v181, s[10:11], v180, v180, 1.0
	v_rcp_f32_e32 v182, v181
	v_div_scale_f32 v183, vcc, 1.0, v180, 1.0
	v_fma_f32 v184, -v181, v182, 1.0
	v_fmac_f32_e32 v182, v184, v182
	v_mul_f32_e32 v184, v183, v182
	v_fma_f32 v185, -v181, v184, v183
	v_fmac_f32_e32 v184, v185, v182
	v_fma_f32 v181, -v181, v184, v183
	v_div_fmas_f32 v181, v181, v182, v184
	v_div_fixup_f32 v180, v181, v180, 1.0
	ds_write_b32 v162, v180
.LBB105_91:
	s_or_b64 exec, exec, s[4:5]
.LBB105_92:
	s_or_b64 exec, exec, s[2:3]
	s_waitcnt lgkmcnt(0)
	s_barrier
	ds_read_b32 v180, v162
	v_cmp_lt_u32_e32 vcc, 16, v25
	s_and_saveexec_b64 s[2:3], vcc
	s_cbranch_execz .LBB105_94
; %bb.93:
	ds_read2_b32 v[182:183], v163 offset0:17 offset1:18
	ds_read2_b32 v[184:185], v163 offset0:19 offset1:20
	;; [unrolled: 1-line block ×4, first 2 shown]
	s_waitcnt vmcnt(36) lgkmcnt(4)
	v_mul_f32_e32 v188, v180, v49
	s_waitcnt vmcnt(34) lgkmcnt(3)
	v_pk_fma_f32 v[74:75], v[188:189], v[182:183], v[74:75] op_sel_hi:[0,1,1] neg_lo:[1,0,0] neg_hi:[1,0,0]
	s_waitcnt vmcnt(32) lgkmcnt(2)
	v_pk_fma_f32 v[68:69], v[188:189], v[184:185], v[68:69] op_sel_hi:[0,1,1] neg_lo:[1,0,0] neg_hi:[1,0,0]
	s_waitcnt vmcnt(30) lgkmcnt(1)
	v_pk_fma_f32 v[70:71], v[188:189], v[186:187], v[70:71] op_sel_hi:[0,1,1] neg_lo:[1,0,0] neg_hi:[1,0,0]
	ds_read2_b32 v[182:183], v163 offset0:25 offset1:26
	ds_read2_b32 v[184:185], v163 offset0:27 offset1:28
	ds_read2_b32 v[186:187], v163 offset0:29 offset1:30
	s_waitcnt vmcnt(28) lgkmcnt(3)
	v_pk_fma_f32 v[72:73], v[188:189], v[190:191], v[72:73] op_sel_hi:[0,1,1] neg_lo:[1,0,0] neg_hi:[1,0,0]
	ds_read2_b32 v[190:191], v163 offset0:31 offset1:32
	s_waitcnt vmcnt(26) lgkmcnt(3)
	v_pk_fma_f32 v[94:95], v[188:189], v[182:183], v[94:95] op_sel_hi:[0,1,1] neg_lo:[1,0,0] neg_hi:[1,0,0]
	s_waitcnt vmcnt(24) lgkmcnt(2)
	v_pk_fma_f32 v[96:97], v[188:189], v[184:185], v[96:97] op_sel_hi:[0,1,1] neg_lo:[1,0,0] neg_hi:[1,0,0]
	;; [unrolled: 2-line block ×3, first 2 shown]
	ds_read2_b32 v[182:183], v163 offset0:33 offset1:34
	ds_read2_b32 v[184:185], v163 offset0:35 offset1:36
	;; [unrolled: 1-line block ×3, first 2 shown]
	s_waitcnt vmcnt(20) lgkmcnt(3)
	v_pk_fma_f32 v[92:93], v[188:189], v[190:191], v[92:93] op_sel_hi:[0,1,1] neg_lo:[1,0,0] neg_hi:[1,0,0]
	ds_read2_b32 v[190:191], v163 offset0:39 offset1:40
	s_waitcnt vmcnt(18) lgkmcnt(3)
	v_pk_fma_f32 v[118:119], v[188:189], v[182:183], v[118:119] op_sel_hi:[0,1,1] neg_lo:[1,0,0] neg_hi:[1,0,0]
	ds_read2_b32 v[182:183], v163 offset0:41 offset1:42
	s_waitcnt vmcnt(16) lgkmcnt(3)
	v_pk_fma_f32 v[122:123], v[188:189], v[184:185], v[122:123] op_sel_hi:[0,1,1] neg_lo:[1,0,0] neg_hi:[1,0,0]
	s_waitcnt vmcnt(14) lgkmcnt(2)
	v_pk_fma_f32 v[116:117], v[188:189], v[186:187], v[116:117] op_sel_hi:[0,1,1] neg_lo:[1,0,0] neg_hi:[1,0,0]
	;; [unrolled: 2-line block ×3, first 2 shown]
	ds_read2_b32 v[184:185], v163 offset0:43 offset1:44
	ds_read2_b32 v[186:187], v163 offset0:45 offset1:46
	;; [unrolled: 1-line block ×3, first 2 shown]
	s_waitcnt vmcnt(10) lgkmcnt(3)
	v_pk_fma_f32 v[146:147], v[188:189], v[182:183], v[146:147] op_sel_hi:[0,1,1] neg_lo:[1,0,0] neg_hi:[1,0,0]
	ds_read2_b32 v[182:183], v163 offset0:49 offset1:50
	ds_read2_b32 v[192:193], v163 offset0:51 offset1:52
	s_waitcnt vmcnt(8) lgkmcnt(4)
	v_pk_fma_f32 v[140:141], v[188:189], v[184:185], v[140:141] op_sel_hi:[0,1,1] neg_lo:[1,0,0] neg_hi:[1,0,0]
	s_waitcnt vmcnt(6) lgkmcnt(3)
	v_pk_fma_f32 v[142:143], v[188:189], v[186:187], v[142:143] op_sel_hi:[0,1,1] neg_lo:[1,0,0] neg_hi:[1,0,0]
	;; [unrolled: 2-line block ×5, first 2 shown]
	v_mov_b32_e32 v49, v188
.LBB105_94:
	s_or_b64 exec, exec, s[2:3]
	v_cmp_eq_u32_e32 vcc, 17, v25
	s_waitcnt lgkmcnt(0)
	s_barrier
	s_and_saveexec_b64 s[2:3], vcc
	s_cbranch_execz .LBB105_97
; %bb.95:
	s_waitcnt vmcnt(32)
	v_pk_mov_b32 v[182:183], v[74:75], v[68:69] op_sel:[1,0]
	ds_write_b32 v162, v74
	ds_write2_b32 v163, v182, v183 offset0:18 offset1:19
	s_waitcnt vmcnt(30)
	v_pk_mov_b32 v[182:183], v[68:69], v[70:71] op_sel:[1,0]
	ds_write2_b32 v163, v182, v183 offset0:20 offset1:21
	s_waitcnt vmcnt(28)
	v_pk_mov_b32 v[182:183], v[70:71], v[72:73] op_sel:[1,0]
	;; [unrolled: 3-line block ×16, first 2 shown]
	ds_write2_b32 v163, v182, v183 offset0:50 offset1:51
	ds_write_b32 v163, v161 offset:208
	ds_read_b32 v181, v162
	s_waitcnt lgkmcnt(0)
	v_cmp_neq_f32_e32 vcc, 0, v181
	s_and_b64 exec, exec, vcc
	s_cbranch_execz .LBB105_97
; %bb.96:
	v_div_scale_f32 v182, s[4:5], v181, v181, 1.0
	v_rcp_f32_e32 v183, v182
	v_div_scale_f32 v184, vcc, 1.0, v181, 1.0
	v_fma_f32 v185, -v182, v183, 1.0
	v_fmac_f32_e32 v183, v185, v183
	v_mul_f32_e32 v185, v184, v183
	v_fma_f32 v186, -v182, v185, v184
	v_fmac_f32_e32 v185, v186, v183
	v_fma_f32 v182, -v182, v185, v184
	v_div_fmas_f32 v182, v182, v183, v185
	v_div_fixup_f32 v181, v182, v181, 1.0
	ds_write_b32 v162, v181
.LBB105_97:
	s_or_b64 exec, exec, s[2:3]
	s_waitcnt lgkmcnt(0)
	s_barrier
	ds_read_b32 v181, v162
	v_cmp_lt_u32_e32 vcc, 17, v25
	s_and_saveexec_b64 s[2:3], vcc
	s_cbranch_execz .LBB105_99
; %bb.98:
	ds_read_b32 v188, v163 offset:72
	ds_read2_b32 v[182:183], v163 offset0:19 offset1:20
	ds_read2_b32 v[184:185], v163 offset0:21 offset1:22
	s_waitcnt vmcnt(35) lgkmcnt(3)
	v_mul_f32_e32 v74, v181, v74
	ds_read2_b32 v[186:187], v163 offset0:23 offset1:24
	s_waitcnt vmcnt(34) lgkmcnt(3)
	v_fma_f32 v75, -v74, v188, v75
	s_waitcnt vmcnt(32) lgkmcnt(2)
	v_pk_fma_f32 v[68:69], v[74:75], v[182:183], v[68:69] op_sel_hi:[0,1,1] neg_lo:[1,0,0] neg_hi:[1,0,0]
	s_waitcnt vmcnt(30) lgkmcnt(1)
	v_pk_fma_f32 v[70:71], v[74:75], v[184:185], v[70:71] op_sel_hi:[0,1,1] neg_lo:[1,0,0] neg_hi:[1,0,0]
	ds_read2_b32 v[182:183], v163 offset0:25 offset1:26
	ds_read2_b32 v[184:185], v163 offset0:27 offset1:28
	;; [unrolled: 1-line block ×3, first 2 shown]
	s_waitcnt vmcnt(28) lgkmcnt(3)
	v_pk_fma_f32 v[72:73], v[74:75], v[186:187], v[72:73] op_sel_hi:[0,1,1] neg_lo:[1,0,0] neg_hi:[1,0,0]
	ds_read2_b32 v[186:187], v163 offset0:31 offset1:32
	s_waitcnt vmcnt(26) lgkmcnt(3)
	v_pk_fma_f32 v[94:95], v[74:75], v[182:183], v[94:95] op_sel_hi:[0,1,1] neg_lo:[1,0,0] neg_hi:[1,0,0]
	s_waitcnt vmcnt(24) lgkmcnt(2)
	v_pk_fma_f32 v[96:97], v[74:75], v[184:185], v[96:97] op_sel_hi:[0,1,1] neg_lo:[1,0,0] neg_hi:[1,0,0]
	;; [unrolled: 2-line block ×3, first 2 shown]
	ds_read2_b32 v[182:183], v163 offset0:33 offset1:34
	ds_read2_b32 v[184:185], v163 offset0:35 offset1:36
	;; [unrolled: 1-line block ×3, first 2 shown]
	s_waitcnt vmcnt(20) lgkmcnt(3)
	v_pk_fma_f32 v[92:93], v[74:75], v[186:187], v[92:93] op_sel_hi:[0,1,1] neg_lo:[1,0,0] neg_hi:[1,0,0]
	ds_read2_b32 v[186:187], v163 offset0:39 offset1:40
	s_waitcnt vmcnt(18) lgkmcnt(3)
	v_pk_fma_f32 v[118:119], v[74:75], v[182:183], v[118:119] op_sel_hi:[0,1,1] neg_lo:[1,0,0] neg_hi:[1,0,0]
	ds_read2_b32 v[182:183], v163 offset0:41 offset1:42
	s_waitcnt vmcnt(16) lgkmcnt(3)
	v_pk_fma_f32 v[122:123], v[74:75], v[184:185], v[122:123] op_sel_hi:[0,1,1] neg_lo:[1,0,0] neg_hi:[1,0,0]
	s_waitcnt vmcnt(14) lgkmcnt(2)
	v_pk_fma_f32 v[116:117], v[74:75], v[188:189], v[116:117] op_sel_hi:[0,1,1] neg_lo:[1,0,0] neg_hi:[1,0,0]
	;; [unrolled: 2-line block ×3, first 2 shown]
	ds_read2_b32 v[184:185], v163 offset0:43 offset1:44
	ds_read2_b32 v[186:187], v163 offset0:45 offset1:46
	;; [unrolled: 1-line block ×3, first 2 shown]
	s_waitcnt vmcnt(10) lgkmcnt(3)
	v_pk_fma_f32 v[146:147], v[74:75], v[182:183], v[146:147] op_sel_hi:[0,1,1] neg_lo:[1,0,0] neg_hi:[1,0,0]
	ds_read2_b32 v[182:183], v163 offset0:49 offset1:50
	ds_read2_b32 v[190:191], v163 offset0:51 offset1:52
	s_waitcnt vmcnt(8) lgkmcnt(4)
	v_pk_fma_f32 v[140:141], v[74:75], v[184:185], v[140:141] op_sel_hi:[0,1,1] neg_lo:[1,0,0] neg_hi:[1,0,0]
	s_waitcnt vmcnt(6) lgkmcnt(3)
	v_pk_fma_f32 v[142:143], v[74:75], v[186:187], v[142:143] op_sel_hi:[0,1,1] neg_lo:[1,0,0] neg_hi:[1,0,0]
	;; [unrolled: 2-line block ×5, first 2 shown]
.LBB105_99:
	s_or_b64 exec, exec, s[2:3]
	v_cmp_ne_u32_e32 vcc, 18, v25
	s_waitcnt lgkmcnt(0)
	s_barrier
	s_and_saveexec_b64 s[2:3], vcc
	s_xor_b64 s[2:3], exec, s[2:3]
	s_andn2_saveexec_b64 s[2:3], s[2:3]
	s_cbranch_execz .LBB105_103
; %bb.100:
	s_waitcnt vmcnt(34)
	ds_write_b32 v162, v75
	s_waitcnt vmcnt(32)
	ds_write2_b32 v163, v68, v69 offset0:19 offset1:20
	s_waitcnt vmcnt(30)
	ds_write2_b32 v163, v70, v71 offset0:21 offset1:22
	;; [unrolled: 2-line block ×17, first 2 shown]
	ds_read_b32 v182, v162
	s_waitcnt lgkmcnt(0)
	v_cmp_neq_f32_e32 vcc, 0, v182
	s_and_saveexec_b64 s[4:5], vcc
	s_cbranch_execz .LBB105_102
; %bb.101:
	v_div_scale_f32 v183, s[10:11], v182, v182, 1.0
	v_rcp_f32_e32 v184, v183
	v_div_scale_f32 v185, vcc, 1.0, v182, 1.0
	v_fma_f32 v186, -v183, v184, 1.0
	v_fmac_f32_e32 v184, v186, v184
	v_mul_f32_e32 v186, v185, v184
	v_fma_f32 v187, -v183, v186, v185
	v_fmac_f32_e32 v186, v187, v184
	v_fma_f32 v183, -v183, v186, v185
	v_div_fmas_f32 v183, v183, v184, v186
	v_div_fixup_f32 v182, v183, v182, 1.0
	ds_write_b32 v162, v182
.LBB105_102:
	s_or_b64 exec, exec, s[4:5]
.LBB105_103:
	s_or_b64 exec, exec, s[2:3]
	s_waitcnt lgkmcnt(0)
	s_barrier
	ds_read_b32 v182, v162
	v_cmp_lt_u32_e32 vcc, 18, v25
	s_and_saveexec_b64 s[2:3], vcc
	s_cbranch_execz .LBB105_105
; %bb.104:
	ds_read2_b32 v[184:185], v163 offset0:19 offset1:20
	ds_read2_b32 v[186:187], v163 offset0:21 offset1:22
	;; [unrolled: 1-line block ×3, first 2 shown]
	s_waitcnt vmcnt(34) lgkmcnt(3)
	v_mul_f32_e32 v190, v182, v75
	ds_read2_b32 v[192:193], v163 offset0:25 offset1:26
	s_waitcnt vmcnt(32) lgkmcnt(3)
	v_pk_fma_f32 v[68:69], v[190:191], v[184:185], v[68:69] op_sel_hi:[0,1,1] neg_lo:[1,0,0] neg_hi:[1,0,0]
	s_waitcnt vmcnt(30) lgkmcnt(2)
	v_pk_fma_f32 v[70:71], v[190:191], v[186:187], v[70:71] op_sel_hi:[0,1,1] neg_lo:[1,0,0] neg_hi:[1,0,0]
	;; [unrolled: 2-line block ×3, first 2 shown]
	ds_read2_b32 v[184:185], v163 offset0:27 offset1:28
	ds_read2_b32 v[186:187], v163 offset0:29 offset1:30
	ds_read2_b32 v[188:189], v163 offset0:31 offset1:32
	s_waitcnt vmcnt(26) lgkmcnt(3)
	v_pk_fma_f32 v[94:95], v[190:191], v[192:193], v[94:95] op_sel_hi:[0,1,1] neg_lo:[1,0,0] neg_hi:[1,0,0]
	ds_read2_b32 v[192:193], v163 offset0:33 offset1:34
	s_waitcnt vmcnt(24) lgkmcnt(3)
	v_pk_fma_f32 v[96:97], v[190:191], v[184:185], v[96:97] op_sel_hi:[0,1,1] neg_lo:[1,0,0] neg_hi:[1,0,0]
	s_waitcnt vmcnt(22) lgkmcnt(2)
	v_pk_fma_f32 v[98:99], v[190:191], v[186:187], v[98:99] op_sel_hi:[0,1,1] neg_lo:[1,0,0] neg_hi:[1,0,0]
	;; [unrolled: 2-line block ×3, first 2 shown]
	ds_read2_b32 v[184:185], v163 offset0:35 offset1:36
	ds_read2_b32 v[186:187], v163 offset0:37 offset1:38
	ds_read2_b32 v[188:189], v163 offset0:39 offset1:40
	ds_read2_b32 v[194:195], v163 offset0:41 offset1:42
	s_waitcnt vmcnt(18) lgkmcnt(4)
	v_pk_fma_f32 v[118:119], v[190:191], v[192:193], v[118:119] op_sel_hi:[0,1,1] neg_lo:[1,0,0] neg_hi:[1,0,0]
	s_waitcnt vmcnt(16) lgkmcnt(3)
	v_pk_fma_f32 v[122:123], v[190:191], v[184:185], v[122:123] op_sel_hi:[0,1,1] neg_lo:[1,0,0] neg_hi:[1,0,0]
	s_waitcnt vmcnt(14) lgkmcnt(2)
	v_pk_fma_f32 v[116:117], v[190:191], v[186:187], v[116:117] op_sel_hi:[0,1,1] neg_lo:[1,0,0] neg_hi:[1,0,0]
	s_waitcnt vmcnt(12) lgkmcnt(1)
	v_pk_fma_f32 v[120:121], v[190:191], v[188:189], v[120:121] op_sel_hi:[0,1,1] neg_lo:[1,0,0] neg_hi:[1,0,0]
	s_waitcnt vmcnt(10) lgkmcnt(0)
	v_pk_fma_f32 v[146:147], v[190:191], v[194:195], v[146:147] op_sel_hi:[0,1,1] neg_lo:[1,0,0] neg_hi:[1,0,0]
	ds_read2_b32 v[184:185], v163 offset0:43 offset1:44
	ds_read2_b32 v[186:187], v163 offset0:45 offset1:46
	;; [unrolled: 1-line block ×5, first 2 shown]
	s_waitcnt vmcnt(8) lgkmcnt(4)
	v_pk_fma_f32 v[140:141], v[190:191], v[184:185], v[140:141] op_sel_hi:[0,1,1] neg_lo:[1,0,0] neg_hi:[1,0,0]
	s_waitcnt vmcnt(6) lgkmcnt(3)
	v_pk_fma_f32 v[142:143], v[190:191], v[186:187], v[142:143] op_sel_hi:[0,1,1] neg_lo:[1,0,0] neg_hi:[1,0,0]
	;; [unrolled: 2-line block ×5, first 2 shown]
	v_mov_b32_e32 v75, v190
.LBB105_105:
	s_or_b64 exec, exec, s[2:3]
	v_cmp_eq_u32_e32 vcc, 19, v25
	s_waitcnt lgkmcnt(0)
	s_barrier
	s_and_saveexec_b64 s[2:3], vcc
	s_cbranch_execz .LBB105_108
; %bb.106:
	s_waitcnt vmcnt(30)
	v_pk_mov_b32 v[184:185], v[68:69], v[70:71] op_sel:[1,0]
	ds_write_b32 v162, v68
	ds_write2_b32 v163, v184, v185 offset0:20 offset1:21
	s_waitcnt vmcnt(28)
	v_pk_mov_b32 v[184:185], v[70:71], v[72:73] op_sel:[1,0]
	ds_write2_b32 v163, v184, v185 offset0:22 offset1:23
	s_waitcnt vmcnt(26)
	v_pk_mov_b32 v[184:185], v[72:73], v[94:95] op_sel:[1,0]
	;; [unrolled: 3-line block ×15, first 2 shown]
	ds_write2_b32 v163, v184, v185 offset0:50 offset1:51
	ds_write_b32 v163, v161 offset:208
	ds_read_b32 v183, v162
	s_waitcnt lgkmcnt(0)
	v_cmp_neq_f32_e32 vcc, 0, v183
	s_and_b64 exec, exec, vcc
	s_cbranch_execz .LBB105_108
; %bb.107:
	v_div_scale_f32 v184, s[4:5], v183, v183, 1.0
	v_rcp_f32_e32 v185, v184
	v_div_scale_f32 v186, vcc, 1.0, v183, 1.0
	v_fma_f32 v187, -v184, v185, 1.0
	v_fmac_f32_e32 v185, v187, v185
	v_mul_f32_e32 v187, v186, v185
	v_fma_f32 v188, -v184, v187, v186
	v_fmac_f32_e32 v187, v188, v185
	v_fma_f32 v184, -v184, v187, v186
	v_div_fmas_f32 v184, v184, v185, v187
	v_div_fixup_f32 v183, v184, v183, 1.0
	ds_write_b32 v162, v183
.LBB105_108:
	s_or_b64 exec, exec, s[2:3]
	s_waitcnt lgkmcnt(0)
	s_barrier
	ds_read_b32 v183, v162
	v_cmp_lt_u32_e32 vcc, 19, v25
	s_and_saveexec_b64 s[2:3], vcc
	s_cbranch_execz .LBB105_110
; %bb.109:
	ds_read_b32 v190, v163 offset:80
	ds_read2_b32 v[184:185], v163 offset0:21 offset1:22
	ds_read2_b32 v[186:187], v163 offset0:23 offset1:24
	s_waitcnt vmcnt(33) lgkmcnt(3)
	v_mul_f32_e32 v68, v183, v68
	ds_read2_b32 v[188:189], v163 offset0:25 offset1:26
	s_waitcnt vmcnt(32) lgkmcnt(3)
	v_fma_f32 v69, -v68, v190, v69
	s_waitcnt vmcnt(30) lgkmcnt(2)
	v_pk_fma_f32 v[70:71], v[68:69], v[184:185], v[70:71] op_sel_hi:[0,1,1] neg_lo:[1,0,0] neg_hi:[1,0,0]
	s_waitcnt vmcnt(28) lgkmcnt(1)
	v_pk_fma_f32 v[72:73], v[68:69], v[186:187], v[72:73] op_sel_hi:[0,1,1] neg_lo:[1,0,0] neg_hi:[1,0,0]
	ds_read2_b32 v[184:185], v163 offset0:27 offset1:28
	ds_read2_b32 v[186:187], v163 offset0:29 offset1:30
	;; [unrolled: 1-line block ×3, first 2 shown]
	s_waitcnt vmcnt(26) lgkmcnt(3)
	v_pk_fma_f32 v[94:95], v[68:69], v[188:189], v[94:95] op_sel_hi:[0,1,1] neg_lo:[1,0,0] neg_hi:[1,0,0]
	ds_read2_b32 v[188:189], v163 offset0:33 offset1:34
	s_waitcnt vmcnt(24) lgkmcnt(3)
	v_pk_fma_f32 v[96:97], v[68:69], v[184:185], v[96:97] op_sel_hi:[0,1,1] neg_lo:[1,0,0] neg_hi:[1,0,0]
	s_waitcnt vmcnt(22) lgkmcnt(2)
	v_pk_fma_f32 v[98:99], v[68:69], v[186:187], v[98:99] op_sel_hi:[0,1,1] neg_lo:[1,0,0] neg_hi:[1,0,0]
	;; [unrolled: 2-line block ×3, first 2 shown]
	ds_read2_b32 v[184:185], v163 offset0:35 offset1:36
	ds_read2_b32 v[186:187], v163 offset0:37 offset1:38
	;; [unrolled: 1-line block ×4, first 2 shown]
	s_waitcnt vmcnt(18) lgkmcnt(4)
	v_pk_fma_f32 v[118:119], v[68:69], v[188:189], v[118:119] op_sel_hi:[0,1,1] neg_lo:[1,0,0] neg_hi:[1,0,0]
	s_waitcnt vmcnt(16) lgkmcnt(3)
	v_pk_fma_f32 v[122:123], v[68:69], v[184:185], v[122:123] op_sel_hi:[0,1,1] neg_lo:[1,0,0] neg_hi:[1,0,0]
	s_waitcnt vmcnt(14) lgkmcnt(2)
	v_pk_fma_f32 v[116:117], v[68:69], v[186:187], v[116:117] op_sel_hi:[0,1,1] neg_lo:[1,0,0] neg_hi:[1,0,0]
	s_waitcnt vmcnt(12) lgkmcnt(1)
	v_pk_fma_f32 v[120:121], v[68:69], v[190:191], v[120:121] op_sel_hi:[0,1,1] neg_lo:[1,0,0] neg_hi:[1,0,0]
	s_waitcnt vmcnt(10) lgkmcnt(0)
	v_pk_fma_f32 v[146:147], v[68:69], v[192:193], v[146:147] op_sel_hi:[0,1,1] neg_lo:[1,0,0] neg_hi:[1,0,0]
	ds_read2_b32 v[184:185], v163 offset0:43 offset1:44
	ds_read2_b32 v[186:187], v163 offset0:45 offset1:46
	;; [unrolled: 1-line block ×5, first 2 shown]
	s_waitcnt vmcnt(8) lgkmcnt(4)
	v_pk_fma_f32 v[140:141], v[68:69], v[184:185], v[140:141] op_sel_hi:[0,1,1] neg_lo:[1,0,0] neg_hi:[1,0,0]
	s_waitcnt vmcnt(6) lgkmcnt(3)
	v_pk_fma_f32 v[142:143], v[68:69], v[186:187], v[142:143] op_sel_hi:[0,1,1] neg_lo:[1,0,0] neg_hi:[1,0,0]
	;; [unrolled: 2-line block ×5, first 2 shown]
.LBB105_110:
	s_or_b64 exec, exec, s[2:3]
	v_cmp_ne_u32_e32 vcc, 20, v25
	s_waitcnt lgkmcnt(0)
	s_barrier
	s_and_saveexec_b64 s[2:3], vcc
	s_xor_b64 s[2:3], exec, s[2:3]
	s_andn2_saveexec_b64 s[2:3], s[2:3]
	s_cbranch_execz .LBB105_114
; %bb.111:
	s_waitcnt vmcnt(32)
	ds_write_b32 v162, v69
	s_waitcnt vmcnt(30)
	ds_write2_b32 v163, v70, v71 offset0:21 offset1:22
	s_waitcnt vmcnt(28)
	ds_write2_b32 v163, v72, v73 offset0:23 offset1:24
	;; [unrolled: 2-line block ×16, first 2 shown]
	ds_read_b32 v184, v162
	s_waitcnt lgkmcnt(0)
	v_cmp_neq_f32_e32 vcc, 0, v184
	s_and_saveexec_b64 s[4:5], vcc
	s_cbranch_execz .LBB105_113
; %bb.112:
	v_div_scale_f32 v185, s[10:11], v184, v184, 1.0
	v_rcp_f32_e32 v186, v185
	v_div_scale_f32 v187, vcc, 1.0, v184, 1.0
	v_fma_f32 v188, -v185, v186, 1.0
	v_fmac_f32_e32 v186, v188, v186
	v_mul_f32_e32 v188, v187, v186
	v_fma_f32 v189, -v185, v188, v187
	v_fmac_f32_e32 v188, v189, v186
	v_fma_f32 v185, -v185, v188, v187
	v_div_fmas_f32 v185, v185, v186, v188
	v_div_fixup_f32 v184, v185, v184, 1.0
	ds_write_b32 v162, v184
.LBB105_113:
	s_or_b64 exec, exec, s[4:5]
.LBB105_114:
	s_or_b64 exec, exec, s[2:3]
	s_waitcnt lgkmcnt(0)
	s_barrier
	ds_read_b32 v184, v162
	v_cmp_lt_u32_e32 vcc, 20, v25
	s_and_saveexec_b64 s[2:3], vcc
	s_cbranch_execz .LBB105_116
; %bb.115:
	ds_read2_b32 v[186:187], v163 offset0:21 offset1:22
	ds_read2_b32 v[188:189], v163 offset0:23 offset1:24
	;; [unrolled: 1-line block ×3, first 2 shown]
	s_waitcnt vmcnt(32) lgkmcnt(3)
	v_mul_f32_e32 v192, v184, v69
	ds_read2_b32 v[194:195], v163 offset0:27 offset1:28
	s_waitcnt vmcnt(30) lgkmcnt(3)
	v_pk_fma_f32 v[70:71], v[192:193], v[186:187], v[70:71] op_sel_hi:[0,1,1] neg_lo:[1,0,0] neg_hi:[1,0,0]
	s_waitcnt vmcnt(28) lgkmcnt(2)
	v_pk_fma_f32 v[72:73], v[192:193], v[188:189], v[72:73] op_sel_hi:[0,1,1] neg_lo:[1,0,0] neg_hi:[1,0,0]
	;; [unrolled: 2-line block ×3, first 2 shown]
	ds_read2_b32 v[186:187], v163 offset0:29 offset1:30
	ds_read2_b32 v[188:189], v163 offset0:31 offset1:32
	;; [unrolled: 1-line block ×3, first 2 shown]
	s_waitcnt vmcnt(24) lgkmcnt(3)
	v_pk_fma_f32 v[96:97], v[192:193], v[194:195], v[96:97] op_sel_hi:[0,1,1] neg_lo:[1,0,0] neg_hi:[1,0,0]
	ds_read2_b32 v[194:195], v163 offset0:35 offset1:36
	s_waitcnt vmcnt(22) lgkmcnt(3)
	v_pk_fma_f32 v[98:99], v[192:193], v[186:187], v[98:99] op_sel_hi:[0,1,1] neg_lo:[1,0,0] neg_hi:[1,0,0]
	s_waitcnt vmcnt(20) lgkmcnt(2)
	v_pk_fma_f32 v[92:93], v[192:193], v[188:189], v[92:93] op_sel_hi:[0,1,1] neg_lo:[1,0,0] neg_hi:[1,0,0]
	;; [unrolled: 2-line block ×3, first 2 shown]
	ds_read2_b32 v[186:187], v163 offset0:37 offset1:38
	ds_read2_b32 v[188:189], v163 offset0:39 offset1:40
	;; [unrolled: 1-line block ×3, first 2 shown]
	s_waitcnt vmcnt(16) lgkmcnt(3)
	v_pk_fma_f32 v[122:123], v[192:193], v[194:195], v[122:123] op_sel_hi:[0,1,1] neg_lo:[1,0,0] neg_hi:[1,0,0]
	ds_read2_b32 v[194:195], v163 offset0:43 offset1:44
	s_waitcnt vmcnt(14) lgkmcnt(3)
	v_pk_fma_f32 v[116:117], v[192:193], v[186:187], v[116:117] op_sel_hi:[0,1,1] neg_lo:[1,0,0] neg_hi:[1,0,0]
	s_waitcnt vmcnt(12) lgkmcnt(2)
	v_pk_fma_f32 v[120:121], v[192:193], v[188:189], v[120:121] op_sel_hi:[0,1,1] neg_lo:[1,0,0] neg_hi:[1,0,0]
	;; [unrolled: 2-line block ×3, first 2 shown]
	ds_read2_b32 v[186:187], v163 offset0:45 offset1:46
	ds_read2_b32 v[188:189], v163 offset0:47 offset1:48
	ds_read2_b32 v[190:191], v163 offset0:49 offset1:50
	ds_read2_b32 v[196:197], v163 offset0:51 offset1:52
	s_waitcnt vmcnt(8) lgkmcnt(4)
	v_pk_fma_f32 v[140:141], v[192:193], v[194:195], v[140:141] op_sel_hi:[0,1,1] neg_lo:[1,0,0] neg_hi:[1,0,0]
	s_waitcnt vmcnt(6) lgkmcnt(3)
	v_pk_fma_f32 v[142:143], v[192:193], v[186:187], v[142:143] op_sel_hi:[0,1,1] neg_lo:[1,0,0] neg_hi:[1,0,0]
	;; [unrolled: 2-line block ×5, first 2 shown]
	v_mov_b32_e32 v69, v192
.LBB105_116:
	s_or_b64 exec, exec, s[2:3]
	v_cmp_eq_u32_e32 vcc, 21, v25
	s_waitcnt lgkmcnt(0)
	s_barrier
	s_and_saveexec_b64 s[2:3], vcc
	s_cbranch_execz .LBB105_119
; %bb.117:
	s_waitcnt vmcnt(28)
	v_pk_mov_b32 v[186:187], v[70:71], v[72:73] op_sel:[1,0]
	ds_write_b32 v162, v70
	ds_write2_b32 v163, v186, v187 offset0:22 offset1:23
	s_waitcnt vmcnt(26)
	v_pk_mov_b32 v[186:187], v[72:73], v[94:95] op_sel:[1,0]
	ds_write2_b32 v163, v186, v187 offset0:24 offset1:25
	s_waitcnt vmcnt(24)
	v_pk_mov_b32 v[186:187], v[94:95], v[96:97] op_sel:[1,0]
	;; [unrolled: 3-line block ×14, first 2 shown]
	ds_write2_b32 v163, v186, v187 offset0:50 offset1:51
	ds_write_b32 v163, v161 offset:208
	ds_read_b32 v185, v162
	s_waitcnt lgkmcnt(0)
	v_cmp_neq_f32_e32 vcc, 0, v185
	s_and_b64 exec, exec, vcc
	s_cbranch_execz .LBB105_119
; %bb.118:
	v_div_scale_f32 v186, s[4:5], v185, v185, 1.0
	v_rcp_f32_e32 v187, v186
	v_div_scale_f32 v188, vcc, 1.0, v185, 1.0
	v_fma_f32 v189, -v186, v187, 1.0
	v_fmac_f32_e32 v187, v189, v187
	v_mul_f32_e32 v189, v188, v187
	v_fma_f32 v190, -v186, v189, v188
	v_fmac_f32_e32 v189, v190, v187
	v_fma_f32 v186, -v186, v189, v188
	v_div_fmas_f32 v186, v186, v187, v189
	v_div_fixup_f32 v185, v186, v185, 1.0
	ds_write_b32 v162, v185
.LBB105_119:
	s_or_b64 exec, exec, s[2:3]
	s_waitcnt lgkmcnt(0)
	s_barrier
	ds_read_b32 v185, v162
	v_cmp_lt_u32_e32 vcc, 21, v25
	s_and_saveexec_b64 s[2:3], vcc
	s_cbranch_execz .LBB105_121
; %bb.120:
	ds_read_b32 v192, v163 offset:88
	ds_read2_b32 v[186:187], v163 offset0:23 offset1:24
	ds_read2_b32 v[188:189], v163 offset0:25 offset1:26
	s_waitcnt vmcnt(31) lgkmcnt(3)
	v_mul_f32_e32 v70, v185, v70
	ds_read2_b32 v[190:191], v163 offset0:27 offset1:28
	s_waitcnt vmcnt(30) lgkmcnt(3)
	v_fma_f32 v71, -v70, v192, v71
	s_waitcnt vmcnt(28) lgkmcnt(2)
	v_pk_fma_f32 v[72:73], v[70:71], v[186:187], v[72:73] op_sel_hi:[0,1,1] neg_lo:[1,0,0] neg_hi:[1,0,0]
	s_waitcnt vmcnt(26) lgkmcnt(1)
	v_pk_fma_f32 v[94:95], v[70:71], v[188:189], v[94:95] op_sel_hi:[0,1,1] neg_lo:[1,0,0] neg_hi:[1,0,0]
	ds_read2_b32 v[186:187], v163 offset0:29 offset1:30
	ds_read2_b32 v[188:189], v163 offset0:31 offset1:32
	;; [unrolled: 1-line block ×3, first 2 shown]
	s_waitcnt vmcnt(24) lgkmcnt(3)
	v_pk_fma_f32 v[96:97], v[70:71], v[190:191], v[96:97] op_sel_hi:[0,1,1] neg_lo:[1,0,0] neg_hi:[1,0,0]
	ds_read2_b32 v[190:191], v163 offset0:35 offset1:36
	s_waitcnt vmcnt(22) lgkmcnt(3)
	v_pk_fma_f32 v[98:99], v[70:71], v[186:187], v[98:99] op_sel_hi:[0,1,1] neg_lo:[1,0,0] neg_hi:[1,0,0]
	s_waitcnt vmcnt(20) lgkmcnt(2)
	v_pk_fma_f32 v[92:93], v[70:71], v[188:189], v[92:93] op_sel_hi:[0,1,1] neg_lo:[1,0,0] neg_hi:[1,0,0]
	s_waitcnt vmcnt(18) lgkmcnt(1)
	v_pk_fma_f32 v[118:119], v[70:71], v[192:193], v[118:119] op_sel_hi:[0,1,1] neg_lo:[1,0,0] neg_hi:[1,0,0]
	ds_read2_b32 v[186:187], v163 offset0:37 offset1:38
	ds_read2_b32 v[188:189], v163 offset0:39 offset1:40
	;; [unrolled: 1-line block ×3, first 2 shown]
	s_waitcnt vmcnt(16) lgkmcnt(3)
	v_pk_fma_f32 v[122:123], v[70:71], v[190:191], v[122:123] op_sel_hi:[0,1,1] neg_lo:[1,0,0] neg_hi:[1,0,0]
	ds_read2_b32 v[190:191], v163 offset0:43 offset1:44
	s_waitcnt vmcnt(14) lgkmcnt(3)
	v_pk_fma_f32 v[116:117], v[70:71], v[186:187], v[116:117] op_sel_hi:[0,1,1] neg_lo:[1,0,0] neg_hi:[1,0,0]
	s_waitcnt vmcnt(12) lgkmcnt(2)
	v_pk_fma_f32 v[120:121], v[70:71], v[188:189], v[120:121] op_sel_hi:[0,1,1] neg_lo:[1,0,0] neg_hi:[1,0,0]
	s_waitcnt vmcnt(10) lgkmcnt(1)
	v_pk_fma_f32 v[146:147], v[70:71], v[192:193], v[146:147] op_sel_hi:[0,1,1] neg_lo:[1,0,0] neg_hi:[1,0,0]
	ds_read2_b32 v[186:187], v163 offset0:45 offset1:46
	ds_read2_b32 v[188:189], v163 offset0:47 offset1:48
	;; [unrolled: 1-line block ×4, first 2 shown]
	s_waitcnt vmcnt(8) lgkmcnt(4)
	v_pk_fma_f32 v[140:141], v[70:71], v[190:191], v[140:141] op_sel_hi:[0,1,1] neg_lo:[1,0,0] neg_hi:[1,0,0]
	s_waitcnt vmcnt(6) lgkmcnt(3)
	v_pk_fma_f32 v[142:143], v[70:71], v[186:187], v[142:143] op_sel_hi:[0,1,1] neg_lo:[1,0,0] neg_hi:[1,0,0]
	;; [unrolled: 2-line block ×5, first 2 shown]
.LBB105_121:
	s_or_b64 exec, exec, s[2:3]
	v_cmp_ne_u32_e32 vcc, 22, v25
	s_waitcnt lgkmcnt(0)
	s_barrier
	s_and_saveexec_b64 s[2:3], vcc
	s_xor_b64 s[2:3], exec, s[2:3]
	s_andn2_saveexec_b64 s[2:3], s[2:3]
	s_cbranch_execz .LBB105_125
; %bb.122:
	s_waitcnt vmcnt(30)
	ds_write_b32 v162, v71
	s_waitcnt vmcnt(28)
	ds_write2_b32 v163, v72, v73 offset0:23 offset1:24
	s_waitcnt vmcnt(26)
	ds_write2_b32 v163, v94, v95 offset0:25 offset1:26
	;; [unrolled: 2-line block ×15, first 2 shown]
	ds_read_b32 v186, v162
	s_waitcnt lgkmcnt(0)
	v_cmp_neq_f32_e32 vcc, 0, v186
	s_and_saveexec_b64 s[4:5], vcc
	s_cbranch_execz .LBB105_124
; %bb.123:
	v_div_scale_f32 v187, s[10:11], v186, v186, 1.0
	v_rcp_f32_e32 v188, v187
	v_div_scale_f32 v189, vcc, 1.0, v186, 1.0
	v_fma_f32 v190, -v187, v188, 1.0
	v_fmac_f32_e32 v188, v190, v188
	v_mul_f32_e32 v190, v189, v188
	v_fma_f32 v191, -v187, v190, v189
	v_fmac_f32_e32 v190, v191, v188
	v_fma_f32 v187, -v187, v190, v189
	v_div_fmas_f32 v187, v187, v188, v190
	v_div_fixup_f32 v186, v187, v186, 1.0
	ds_write_b32 v162, v186
.LBB105_124:
	s_or_b64 exec, exec, s[4:5]
.LBB105_125:
	s_or_b64 exec, exec, s[2:3]
	s_waitcnt lgkmcnt(0)
	s_barrier
	ds_read_b32 v186, v162
	v_cmp_lt_u32_e32 vcc, 22, v25
	s_and_saveexec_b64 s[2:3], vcc
	s_cbranch_execz .LBB105_127
; %bb.126:
	ds_read2_b32 v[188:189], v163 offset0:23 offset1:24
	ds_read2_b32 v[190:191], v163 offset0:25 offset1:26
	;; [unrolled: 1-line block ×3, first 2 shown]
	s_waitcnt vmcnt(30) lgkmcnt(3)
	v_mul_f32_e32 v194, v186, v71
	ds_read2_b32 v[196:197], v163 offset0:29 offset1:30
	s_waitcnt vmcnt(28) lgkmcnt(3)
	v_pk_fma_f32 v[72:73], v[194:195], v[188:189], v[72:73] op_sel_hi:[0,1,1] neg_lo:[1,0,0] neg_hi:[1,0,0]
	s_waitcnt vmcnt(26) lgkmcnt(2)
	v_pk_fma_f32 v[94:95], v[194:195], v[190:191], v[94:95] op_sel_hi:[0,1,1] neg_lo:[1,0,0] neg_hi:[1,0,0]
	;; [unrolled: 2-line block ×3, first 2 shown]
	ds_read2_b32 v[188:189], v163 offset0:31 offset1:32
	ds_read2_b32 v[190:191], v163 offset0:33 offset1:34
	;; [unrolled: 1-line block ×3, first 2 shown]
	s_waitcnt vmcnt(22) lgkmcnt(3)
	v_pk_fma_f32 v[98:99], v[194:195], v[196:197], v[98:99] op_sel_hi:[0,1,1] neg_lo:[1,0,0] neg_hi:[1,0,0]
	ds_read2_b32 v[196:197], v163 offset0:37 offset1:38
	s_waitcnt vmcnt(20) lgkmcnt(3)
	v_pk_fma_f32 v[92:93], v[194:195], v[188:189], v[92:93] op_sel_hi:[0,1,1] neg_lo:[1,0,0] neg_hi:[1,0,0]
	s_waitcnt vmcnt(18) lgkmcnt(2)
	v_pk_fma_f32 v[118:119], v[194:195], v[190:191], v[118:119] op_sel_hi:[0,1,1] neg_lo:[1,0,0] neg_hi:[1,0,0]
	ds_read2_b32 v[188:189], v163 offset0:39 offset1:40
	ds_read2_b32 v[190:191], v163 offset0:41 offset1:42
	s_waitcnt vmcnt(16) lgkmcnt(3)
	v_pk_fma_f32 v[122:123], v[194:195], v[192:193], v[122:123] op_sel_hi:[0,1,1] neg_lo:[1,0,0] neg_hi:[1,0,0]
	s_waitcnt vmcnt(14) lgkmcnt(2)
	v_pk_fma_f32 v[116:117], v[194:195], v[196:197], v[116:117] op_sel_hi:[0,1,1] neg_lo:[1,0,0] neg_hi:[1,0,0]
	ds_read2_b32 v[192:193], v163 offset0:43 offset1:44
	;; [unrolled: 6-line block ×3, first 2 shown]
	ds_read2_b32 v[190:191], v163 offset0:49 offset1:50
	ds_read2_b32 v[198:199], v163 offset0:51 offset1:52
	s_waitcnt vmcnt(8) lgkmcnt(4)
	v_pk_fma_f32 v[140:141], v[194:195], v[192:193], v[140:141] op_sel_hi:[0,1,1] neg_lo:[1,0,0] neg_hi:[1,0,0]
	s_waitcnt vmcnt(6) lgkmcnt(3)
	v_pk_fma_f32 v[142:143], v[194:195], v[196:197], v[142:143] op_sel_hi:[0,1,1] neg_lo:[1,0,0] neg_hi:[1,0,0]
	;; [unrolled: 2-line block ×5, first 2 shown]
	v_mov_b32_e32 v71, v194
.LBB105_127:
	s_or_b64 exec, exec, s[2:3]
	v_cmp_eq_u32_e32 vcc, 23, v25
	s_waitcnt lgkmcnt(0)
	s_barrier
	s_and_saveexec_b64 s[2:3], vcc
	s_cbranch_execz .LBB105_130
; %bb.128:
	s_waitcnt vmcnt(26)
	v_pk_mov_b32 v[188:189], v[72:73], v[94:95] op_sel:[1,0]
	ds_write_b32 v162, v72
	ds_write2_b32 v163, v188, v189 offset0:24 offset1:25
	s_waitcnt vmcnt(24)
	v_pk_mov_b32 v[188:189], v[94:95], v[96:97] op_sel:[1,0]
	ds_write2_b32 v163, v188, v189 offset0:26 offset1:27
	s_waitcnt vmcnt(22)
	v_pk_mov_b32 v[188:189], v[96:97], v[98:99] op_sel:[1,0]
	;; [unrolled: 3-line block ×13, first 2 shown]
	ds_write2_b32 v163, v188, v189 offset0:50 offset1:51
	ds_write_b32 v163, v161 offset:208
	ds_read_b32 v187, v162
	s_waitcnt lgkmcnt(0)
	v_cmp_neq_f32_e32 vcc, 0, v187
	s_and_b64 exec, exec, vcc
	s_cbranch_execz .LBB105_130
; %bb.129:
	v_div_scale_f32 v188, s[4:5], v187, v187, 1.0
	v_rcp_f32_e32 v189, v188
	v_div_scale_f32 v190, vcc, 1.0, v187, 1.0
	v_fma_f32 v191, -v188, v189, 1.0
	v_fmac_f32_e32 v189, v191, v189
	v_mul_f32_e32 v191, v190, v189
	v_fma_f32 v192, -v188, v191, v190
	v_fmac_f32_e32 v191, v192, v189
	v_fma_f32 v188, -v188, v191, v190
	v_div_fmas_f32 v188, v188, v189, v191
	v_div_fixup_f32 v187, v188, v187, 1.0
	ds_write_b32 v162, v187
.LBB105_130:
	s_or_b64 exec, exec, s[2:3]
	s_waitcnt lgkmcnt(0)
	s_barrier
	ds_read_b32 v187, v162
	v_cmp_lt_u32_e32 vcc, 23, v25
	s_and_saveexec_b64 s[2:3], vcc
	s_cbranch_execz .LBB105_132
; %bb.131:
	ds_read_b32 v194, v163 offset:96
	ds_read2_b32 v[188:189], v163 offset0:25 offset1:26
	ds_read2_b32 v[190:191], v163 offset0:27 offset1:28
	s_waitcnt vmcnt(29) lgkmcnt(3)
	v_mul_f32_e32 v72, v187, v72
	ds_read2_b32 v[192:193], v163 offset0:29 offset1:30
	s_waitcnt vmcnt(28) lgkmcnt(3)
	v_fma_f32 v73, -v72, v194, v73
	s_waitcnt vmcnt(26) lgkmcnt(2)
	v_pk_fma_f32 v[94:95], v[72:73], v[188:189], v[94:95] op_sel_hi:[0,1,1] neg_lo:[1,0,0] neg_hi:[1,0,0]
	s_waitcnt vmcnt(24) lgkmcnt(1)
	v_pk_fma_f32 v[96:97], v[72:73], v[190:191], v[96:97] op_sel_hi:[0,1,1] neg_lo:[1,0,0] neg_hi:[1,0,0]
	ds_read2_b32 v[188:189], v163 offset0:31 offset1:32
	ds_read2_b32 v[190:191], v163 offset0:33 offset1:34
	;; [unrolled: 1-line block ×3, first 2 shown]
	s_waitcnt vmcnt(22) lgkmcnt(3)
	v_pk_fma_f32 v[98:99], v[72:73], v[192:193], v[98:99] op_sel_hi:[0,1,1] neg_lo:[1,0,0] neg_hi:[1,0,0]
	ds_read2_b32 v[192:193], v163 offset0:37 offset1:38
	s_waitcnt vmcnt(20) lgkmcnt(3)
	v_pk_fma_f32 v[92:93], v[72:73], v[188:189], v[92:93] op_sel_hi:[0,1,1] neg_lo:[1,0,0] neg_hi:[1,0,0]
	s_waitcnt vmcnt(18) lgkmcnt(2)
	v_pk_fma_f32 v[118:119], v[72:73], v[190:191], v[118:119] op_sel_hi:[0,1,1] neg_lo:[1,0,0] neg_hi:[1,0,0]
	ds_read2_b32 v[188:189], v163 offset0:39 offset1:40
	ds_read2_b32 v[190:191], v163 offset0:41 offset1:42
	s_waitcnt vmcnt(16) lgkmcnt(3)
	v_pk_fma_f32 v[122:123], v[72:73], v[194:195], v[122:123] op_sel_hi:[0,1,1] neg_lo:[1,0,0] neg_hi:[1,0,0]
	s_waitcnt vmcnt(14) lgkmcnt(2)
	v_pk_fma_f32 v[116:117], v[72:73], v[192:193], v[116:117] op_sel_hi:[0,1,1] neg_lo:[1,0,0] neg_hi:[1,0,0]
	ds_read2_b32 v[192:193], v163 offset0:43 offset1:44
	;; [unrolled: 6-line block ×3, first 2 shown]
	ds_read2_b32 v[190:191], v163 offset0:49 offset1:50
	ds_read2_b32 v[196:197], v163 offset0:51 offset1:52
	s_waitcnt vmcnt(8) lgkmcnt(4)
	v_pk_fma_f32 v[140:141], v[72:73], v[192:193], v[140:141] op_sel_hi:[0,1,1] neg_lo:[1,0,0] neg_hi:[1,0,0]
	s_waitcnt vmcnt(6) lgkmcnt(3)
	v_pk_fma_f32 v[142:143], v[72:73], v[194:195], v[142:143] op_sel_hi:[0,1,1] neg_lo:[1,0,0] neg_hi:[1,0,0]
	s_waitcnt vmcnt(4) lgkmcnt(2)
	v_pk_fma_f32 v[144:145], v[72:73], v[188:189], v[144:145] op_sel_hi:[0,1,1] neg_lo:[1,0,0] neg_hi:[1,0,0]
	s_waitcnt vmcnt(2) lgkmcnt(1)
	v_pk_fma_f32 v[158:159], v[72:73], v[190:191], v[158:159] op_sel_hi:[0,1,1] neg_lo:[1,0,0] neg_hi:[1,0,0]
	s_waitcnt vmcnt(0) lgkmcnt(0)
	v_pk_fma_f32 v[160:161], v[72:73], v[196:197], v[160:161] op_sel_hi:[0,1,1] neg_lo:[1,0,0] neg_hi:[1,0,0]
.LBB105_132:
	s_or_b64 exec, exec, s[2:3]
	v_cmp_ne_u32_e32 vcc, 24, v25
	s_waitcnt lgkmcnt(0)
	s_barrier
	s_and_saveexec_b64 s[2:3], vcc
	s_xor_b64 s[2:3], exec, s[2:3]
	s_andn2_saveexec_b64 s[2:3], s[2:3]
	s_cbranch_execz .LBB105_136
; %bb.133:
	s_waitcnt vmcnt(28)
	ds_write_b32 v162, v73
	s_waitcnt vmcnt(26)
	ds_write2_b32 v163, v94, v95 offset0:25 offset1:26
	s_waitcnt vmcnt(24)
	ds_write2_b32 v163, v96, v97 offset0:27 offset1:28
	;; [unrolled: 2-line block ×14, first 2 shown]
	ds_read_b32 v188, v162
	s_waitcnt lgkmcnt(0)
	v_cmp_neq_f32_e32 vcc, 0, v188
	s_and_saveexec_b64 s[4:5], vcc
	s_cbranch_execz .LBB105_135
; %bb.134:
	v_div_scale_f32 v189, s[10:11], v188, v188, 1.0
	v_rcp_f32_e32 v190, v189
	v_div_scale_f32 v191, vcc, 1.0, v188, 1.0
	v_fma_f32 v192, -v189, v190, 1.0
	v_fmac_f32_e32 v190, v192, v190
	v_mul_f32_e32 v192, v191, v190
	v_fma_f32 v193, -v189, v192, v191
	v_fmac_f32_e32 v192, v193, v190
	v_fma_f32 v189, -v189, v192, v191
	v_div_fmas_f32 v189, v189, v190, v192
	v_div_fixup_f32 v188, v189, v188, 1.0
	ds_write_b32 v162, v188
.LBB105_135:
	s_or_b64 exec, exec, s[4:5]
.LBB105_136:
	s_or_b64 exec, exec, s[2:3]
	s_waitcnt lgkmcnt(0)
	s_barrier
	ds_read_b32 v188, v162
	v_cmp_lt_u32_e32 vcc, 24, v25
	s_and_saveexec_b64 s[2:3], vcc
	s_cbranch_execz .LBB105_138
; %bb.137:
	ds_read2_b32 v[190:191], v163 offset0:25 offset1:26
	ds_read2_b32 v[192:193], v163 offset0:27 offset1:28
	;; [unrolled: 1-line block ×4, first 2 shown]
	s_waitcnt vmcnt(28) lgkmcnt(4)
	v_mul_f32_e32 v196, v188, v73
	s_waitcnt vmcnt(26) lgkmcnt(3)
	v_pk_fma_f32 v[94:95], v[196:197], v[190:191], v[94:95] op_sel_hi:[0,1,1] neg_lo:[1,0,0] neg_hi:[1,0,0]
	s_waitcnt vmcnt(24) lgkmcnt(2)
	v_pk_fma_f32 v[96:97], v[196:197], v[192:193], v[96:97] op_sel_hi:[0,1,1] neg_lo:[1,0,0] neg_hi:[1,0,0]
	;; [unrolled: 2-line block ×3, first 2 shown]
	ds_read2_b32 v[190:191], v163 offset0:33 offset1:34
	ds_read2_b32 v[192:193], v163 offset0:35 offset1:36
	;; [unrolled: 1-line block ×3, first 2 shown]
	s_waitcnt vmcnt(20) lgkmcnt(3)
	v_pk_fma_f32 v[92:93], v[196:197], v[198:199], v[92:93] op_sel_hi:[0,1,1] neg_lo:[1,0,0] neg_hi:[1,0,0]
	ds_read2_b32 v[198:199], v163 offset0:39 offset1:40
	s_waitcnt vmcnt(18) lgkmcnt(3)
	v_pk_fma_f32 v[118:119], v[196:197], v[190:191], v[118:119] op_sel_hi:[0,1,1] neg_lo:[1,0,0] neg_hi:[1,0,0]
	ds_read2_b32 v[190:191], v163 offset0:41 offset1:42
	s_waitcnt vmcnt(16) lgkmcnt(3)
	v_pk_fma_f32 v[122:123], v[196:197], v[192:193], v[122:123] op_sel_hi:[0,1,1] neg_lo:[1,0,0] neg_hi:[1,0,0]
	s_waitcnt vmcnt(14) lgkmcnt(2)
	v_pk_fma_f32 v[116:117], v[196:197], v[194:195], v[116:117] op_sel_hi:[0,1,1] neg_lo:[1,0,0] neg_hi:[1,0,0]
	;; [unrolled: 2-line block ×3, first 2 shown]
	ds_read2_b32 v[192:193], v163 offset0:43 offset1:44
	ds_read2_b32 v[194:195], v163 offset0:45 offset1:46
	;; [unrolled: 1-line block ×3, first 2 shown]
	s_waitcnt vmcnt(10) lgkmcnt(3)
	v_pk_fma_f32 v[146:147], v[196:197], v[190:191], v[146:147] op_sel_hi:[0,1,1] neg_lo:[1,0,0] neg_hi:[1,0,0]
	ds_read2_b32 v[190:191], v163 offset0:49 offset1:50
	ds_read2_b32 v[200:201], v163 offset0:51 offset1:52
	s_waitcnt vmcnt(8) lgkmcnt(4)
	v_pk_fma_f32 v[140:141], v[196:197], v[192:193], v[140:141] op_sel_hi:[0,1,1] neg_lo:[1,0,0] neg_hi:[1,0,0]
	s_waitcnt vmcnt(6) lgkmcnt(3)
	v_pk_fma_f32 v[142:143], v[196:197], v[194:195], v[142:143] op_sel_hi:[0,1,1] neg_lo:[1,0,0] neg_hi:[1,0,0]
	;; [unrolled: 2-line block ×5, first 2 shown]
	v_mov_b32_e32 v73, v196
.LBB105_138:
	s_or_b64 exec, exec, s[2:3]
	v_cmp_eq_u32_e32 vcc, 25, v25
	s_waitcnt lgkmcnt(0)
	s_barrier
	s_and_saveexec_b64 s[2:3], vcc
	s_cbranch_execz .LBB105_141
; %bb.139:
	s_waitcnt vmcnt(24)
	v_pk_mov_b32 v[190:191], v[94:95], v[96:97] op_sel:[1,0]
	ds_write_b32 v162, v94
	ds_write2_b32 v163, v190, v191 offset0:26 offset1:27
	s_waitcnt vmcnt(22)
	v_pk_mov_b32 v[190:191], v[96:97], v[98:99] op_sel:[1,0]
	ds_write2_b32 v163, v190, v191 offset0:28 offset1:29
	s_waitcnt vmcnt(20)
	v_pk_mov_b32 v[190:191], v[98:99], v[92:93] op_sel:[1,0]
	;; [unrolled: 3-line block ×12, first 2 shown]
	ds_write2_b32 v163, v190, v191 offset0:50 offset1:51
	ds_write_b32 v163, v161 offset:208
	ds_read_b32 v189, v162
	s_waitcnt lgkmcnt(0)
	v_cmp_neq_f32_e32 vcc, 0, v189
	s_and_b64 exec, exec, vcc
	s_cbranch_execz .LBB105_141
; %bb.140:
	v_div_scale_f32 v190, s[4:5], v189, v189, 1.0
	v_rcp_f32_e32 v191, v190
	v_div_scale_f32 v192, vcc, 1.0, v189, 1.0
	v_fma_f32 v193, -v190, v191, 1.0
	v_fmac_f32_e32 v191, v193, v191
	v_mul_f32_e32 v193, v192, v191
	v_fma_f32 v194, -v190, v193, v192
	v_fmac_f32_e32 v193, v194, v191
	v_fma_f32 v190, -v190, v193, v192
	v_div_fmas_f32 v190, v190, v191, v193
	v_div_fixup_f32 v189, v190, v189, 1.0
	ds_write_b32 v162, v189
.LBB105_141:
	s_or_b64 exec, exec, s[2:3]
	s_waitcnt lgkmcnt(0)
	s_barrier
	ds_read_b32 v189, v162
	v_cmp_lt_u32_e32 vcc, 25, v25
	s_and_saveexec_b64 s[2:3], vcc
	s_cbranch_execz .LBB105_143
; %bb.142:
	ds_read_b32 v196, v163 offset:104
	ds_read2_b32 v[190:191], v163 offset0:27 offset1:28
	ds_read2_b32 v[192:193], v163 offset0:29 offset1:30
	s_waitcnt vmcnt(27) lgkmcnt(3)
	v_mul_f32_e32 v94, v189, v94
	ds_read2_b32 v[194:195], v163 offset0:31 offset1:32
	s_waitcnt vmcnt(26) lgkmcnt(3)
	v_fma_f32 v95, -v94, v196, v95
	s_waitcnt vmcnt(24) lgkmcnt(2)
	v_pk_fma_f32 v[96:97], v[94:95], v[190:191], v[96:97] op_sel_hi:[0,1,1] neg_lo:[1,0,0] neg_hi:[1,0,0]
	s_waitcnt vmcnt(22) lgkmcnt(1)
	v_pk_fma_f32 v[98:99], v[94:95], v[192:193], v[98:99] op_sel_hi:[0,1,1] neg_lo:[1,0,0] neg_hi:[1,0,0]
	ds_read2_b32 v[190:191], v163 offset0:33 offset1:34
	ds_read2_b32 v[192:193], v163 offset0:35 offset1:36
	;; [unrolled: 1-line block ×3, first 2 shown]
	s_waitcnt vmcnt(20) lgkmcnt(3)
	v_pk_fma_f32 v[92:93], v[94:95], v[194:195], v[92:93] op_sel_hi:[0,1,1] neg_lo:[1,0,0] neg_hi:[1,0,0]
	ds_read2_b32 v[194:195], v163 offset0:39 offset1:40
	s_waitcnt vmcnt(18) lgkmcnt(3)
	v_pk_fma_f32 v[118:119], v[94:95], v[190:191], v[118:119] op_sel_hi:[0,1,1] neg_lo:[1,0,0] neg_hi:[1,0,0]
	ds_read2_b32 v[190:191], v163 offset0:41 offset1:42
	s_waitcnt vmcnt(16) lgkmcnt(3)
	v_pk_fma_f32 v[122:123], v[94:95], v[192:193], v[122:123] op_sel_hi:[0,1,1] neg_lo:[1,0,0] neg_hi:[1,0,0]
	s_waitcnt vmcnt(14) lgkmcnt(2)
	v_pk_fma_f32 v[116:117], v[94:95], v[196:197], v[116:117] op_sel_hi:[0,1,1] neg_lo:[1,0,0] neg_hi:[1,0,0]
	;; [unrolled: 2-line block ×3, first 2 shown]
	ds_read2_b32 v[192:193], v163 offset0:43 offset1:44
	ds_read2_b32 v[194:195], v163 offset0:45 offset1:46
	;; [unrolled: 1-line block ×3, first 2 shown]
	s_waitcnt vmcnt(10) lgkmcnt(3)
	v_pk_fma_f32 v[146:147], v[94:95], v[190:191], v[146:147] op_sel_hi:[0,1,1] neg_lo:[1,0,0] neg_hi:[1,0,0]
	ds_read2_b32 v[190:191], v163 offset0:49 offset1:50
	ds_read2_b32 v[198:199], v163 offset0:51 offset1:52
	s_waitcnt vmcnt(8) lgkmcnt(4)
	v_pk_fma_f32 v[140:141], v[94:95], v[192:193], v[140:141] op_sel_hi:[0,1,1] neg_lo:[1,0,0] neg_hi:[1,0,0]
	s_waitcnt vmcnt(6) lgkmcnt(3)
	v_pk_fma_f32 v[142:143], v[94:95], v[194:195], v[142:143] op_sel_hi:[0,1,1] neg_lo:[1,0,0] neg_hi:[1,0,0]
	;; [unrolled: 2-line block ×5, first 2 shown]
.LBB105_143:
	s_or_b64 exec, exec, s[2:3]
	v_cmp_ne_u32_e32 vcc, 26, v25
	s_waitcnt lgkmcnt(0)
	s_barrier
	s_and_saveexec_b64 s[2:3], vcc
	s_xor_b64 s[2:3], exec, s[2:3]
	s_andn2_saveexec_b64 s[2:3], s[2:3]
	s_cbranch_execz .LBB105_147
; %bb.144:
	s_waitcnt vmcnt(26)
	ds_write_b32 v162, v95
	s_waitcnt vmcnt(24)
	ds_write2_b32 v163, v96, v97 offset0:27 offset1:28
	s_waitcnt vmcnt(22)
	ds_write2_b32 v163, v98, v99 offset0:29 offset1:30
	;; [unrolled: 2-line block ×13, first 2 shown]
	ds_read_b32 v190, v162
	s_waitcnt lgkmcnt(0)
	v_cmp_neq_f32_e32 vcc, 0, v190
	s_and_saveexec_b64 s[4:5], vcc
	s_cbranch_execz .LBB105_146
; %bb.145:
	v_div_scale_f32 v191, s[10:11], v190, v190, 1.0
	v_rcp_f32_e32 v192, v191
	v_div_scale_f32 v193, vcc, 1.0, v190, 1.0
	v_fma_f32 v194, -v191, v192, 1.0
	v_fmac_f32_e32 v192, v194, v192
	v_mul_f32_e32 v194, v193, v192
	v_fma_f32 v195, -v191, v194, v193
	v_fmac_f32_e32 v194, v195, v192
	v_fma_f32 v191, -v191, v194, v193
	v_div_fmas_f32 v191, v191, v192, v194
	v_div_fixup_f32 v190, v191, v190, 1.0
	ds_write_b32 v162, v190
.LBB105_146:
	s_or_b64 exec, exec, s[4:5]
.LBB105_147:
	s_or_b64 exec, exec, s[2:3]
	s_waitcnt lgkmcnt(0)
	s_barrier
	ds_read_b32 v190, v162
	v_cmp_lt_u32_e32 vcc, 26, v25
	s_and_saveexec_b64 s[2:3], vcc
	s_cbranch_execz .LBB105_149
; %bb.148:
	ds_read2_b32 v[192:193], v163 offset0:27 offset1:28
	ds_read2_b32 v[194:195], v163 offset0:29 offset1:30
	;; [unrolled: 1-line block ×3, first 2 shown]
	s_waitcnt vmcnt(26) lgkmcnt(3)
	v_mul_f32_e32 v198, v190, v95
	ds_read2_b32 v[200:201], v163 offset0:33 offset1:34
	s_waitcnt vmcnt(24) lgkmcnt(3)
	v_pk_fma_f32 v[96:97], v[198:199], v[192:193], v[96:97] op_sel_hi:[0,1,1] neg_lo:[1,0,0] neg_hi:[1,0,0]
	s_waitcnt vmcnt(22) lgkmcnt(2)
	v_pk_fma_f32 v[98:99], v[198:199], v[194:195], v[98:99] op_sel_hi:[0,1,1] neg_lo:[1,0,0] neg_hi:[1,0,0]
	;; [unrolled: 2-line block ×3, first 2 shown]
	ds_read2_b32 v[192:193], v163 offset0:35 offset1:36
	ds_read2_b32 v[194:195], v163 offset0:37 offset1:38
	;; [unrolled: 1-line block ×4, first 2 shown]
	s_waitcnt vmcnt(18) lgkmcnt(4)
	v_pk_fma_f32 v[118:119], v[198:199], v[200:201], v[118:119] op_sel_hi:[0,1,1] neg_lo:[1,0,0] neg_hi:[1,0,0]
	s_waitcnt vmcnt(16) lgkmcnt(3)
	v_pk_fma_f32 v[122:123], v[198:199], v[192:193], v[122:123] op_sel_hi:[0,1,1] neg_lo:[1,0,0] neg_hi:[1,0,0]
	;; [unrolled: 2-line block ×5, first 2 shown]
	ds_read2_b32 v[192:193], v163 offset0:43 offset1:44
	ds_read2_b32 v[194:195], v163 offset0:45 offset1:46
	;; [unrolled: 1-line block ×5, first 2 shown]
	s_waitcnt vmcnt(8) lgkmcnt(4)
	v_pk_fma_f32 v[140:141], v[198:199], v[192:193], v[140:141] op_sel_hi:[0,1,1] neg_lo:[1,0,0] neg_hi:[1,0,0]
	s_waitcnt vmcnt(6) lgkmcnt(3)
	v_pk_fma_f32 v[142:143], v[198:199], v[194:195], v[142:143] op_sel_hi:[0,1,1] neg_lo:[1,0,0] neg_hi:[1,0,0]
	;; [unrolled: 2-line block ×5, first 2 shown]
	v_mov_b32_e32 v95, v198
.LBB105_149:
	s_or_b64 exec, exec, s[2:3]
	v_cmp_eq_u32_e32 vcc, 27, v25
	s_waitcnt lgkmcnt(0)
	s_barrier
	s_and_saveexec_b64 s[2:3], vcc
	s_cbranch_execz .LBB105_152
; %bb.150:
	s_waitcnt vmcnt(22)
	v_pk_mov_b32 v[192:193], v[96:97], v[98:99] op_sel:[1,0]
	ds_write_b32 v162, v96
	ds_write2_b32 v163, v192, v193 offset0:28 offset1:29
	s_waitcnt vmcnt(20)
	v_pk_mov_b32 v[192:193], v[98:99], v[92:93] op_sel:[1,0]
	ds_write2_b32 v163, v192, v193 offset0:30 offset1:31
	s_waitcnt vmcnt(18)
	v_pk_mov_b32 v[192:193], v[92:93], v[118:119] op_sel:[1,0]
	;; [unrolled: 3-line block ×11, first 2 shown]
	ds_write2_b32 v163, v192, v193 offset0:50 offset1:51
	ds_write_b32 v163, v161 offset:208
	ds_read_b32 v191, v162
	s_waitcnt lgkmcnt(0)
	v_cmp_neq_f32_e32 vcc, 0, v191
	s_and_b64 exec, exec, vcc
	s_cbranch_execz .LBB105_152
; %bb.151:
	v_div_scale_f32 v192, s[4:5], v191, v191, 1.0
	v_rcp_f32_e32 v193, v192
	v_div_scale_f32 v194, vcc, 1.0, v191, 1.0
	v_fma_f32 v195, -v192, v193, 1.0
	v_fmac_f32_e32 v193, v195, v193
	v_mul_f32_e32 v195, v194, v193
	v_fma_f32 v196, -v192, v195, v194
	v_fmac_f32_e32 v195, v196, v193
	v_fma_f32 v192, -v192, v195, v194
	v_div_fmas_f32 v192, v192, v193, v195
	v_div_fixup_f32 v191, v192, v191, 1.0
	ds_write_b32 v162, v191
.LBB105_152:
	s_or_b64 exec, exec, s[2:3]
	s_waitcnt lgkmcnt(0)
	s_barrier
	ds_read_b32 v191, v162
	v_cmp_lt_u32_e32 vcc, 27, v25
	s_and_saveexec_b64 s[2:3], vcc
	s_cbranch_execz .LBB105_154
; %bb.153:
	ds_read_b32 v198, v163 offset:112
	ds_read2_b32 v[192:193], v163 offset0:29 offset1:30
	ds_read2_b32 v[194:195], v163 offset0:31 offset1:32
	s_waitcnt vmcnt(25) lgkmcnt(3)
	v_mul_f32_e32 v96, v191, v96
	ds_read2_b32 v[196:197], v163 offset0:33 offset1:34
	s_waitcnt vmcnt(24) lgkmcnt(3)
	v_fma_f32 v97, -v96, v198, v97
	s_waitcnt vmcnt(22) lgkmcnt(2)
	v_pk_fma_f32 v[98:99], v[96:97], v[192:193], v[98:99] op_sel_hi:[0,1,1] neg_lo:[1,0,0] neg_hi:[1,0,0]
	s_waitcnt vmcnt(20) lgkmcnt(1)
	v_pk_fma_f32 v[92:93], v[96:97], v[194:195], v[92:93] op_sel_hi:[0,1,1] neg_lo:[1,0,0] neg_hi:[1,0,0]
	ds_read2_b32 v[192:193], v163 offset0:35 offset1:36
	ds_read2_b32 v[194:195], v163 offset0:37 offset1:38
	;; [unrolled: 1-line block ×4, first 2 shown]
	s_waitcnt vmcnt(18) lgkmcnt(4)
	v_pk_fma_f32 v[118:119], v[96:97], v[196:197], v[118:119] op_sel_hi:[0,1,1] neg_lo:[1,0,0] neg_hi:[1,0,0]
	s_waitcnt vmcnt(16) lgkmcnt(3)
	v_pk_fma_f32 v[122:123], v[96:97], v[192:193], v[122:123] op_sel_hi:[0,1,1] neg_lo:[1,0,0] neg_hi:[1,0,0]
	;; [unrolled: 2-line block ×5, first 2 shown]
	ds_read2_b32 v[192:193], v163 offset0:43 offset1:44
	ds_read2_b32 v[194:195], v163 offset0:45 offset1:46
	;; [unrolled: 1-line block ×5, first 2 shown]
	s_waitcnt vmcnt(8) lgkmcnt(4)
	v_pk_fma_f32 v[140:141], v[96:97], v[192:193], v[140:141] op_sel_hi:[0,1,1] neg_lo:[1,0,0] neg_hi:[1,0,0]
	s_waitcnt vmcnt(6) lgkmcnt(3)
	v_pk_fma_f32 v[142:143], v[96:97], v[194:195], v[142:143] op_sel_hi:[0,1,1] neg_lo:[1,0,0] neg_hi:[1,0,0]
	;; [unrolled: 2-line block ×5, first 2 shown]
.LBB105_154:
	s_or_b64 exec, exec, s[2:3]
	v_cmp_ne_u32_e32 vcc, 28, v25
	s_waitcnt lgkmcnt(0)
	s_barrier
	s_and_saveexec_b64 s[2:3], vcc
	s_xor_b64 s[2:3], exec, s[2:3]
	s_andn2_saveexec_b64 s[2:3], s[2:3]
	s_cbranch_execz .LBB105_158
; %bb.155:
	s_waitcnt vmcnt(24)
	ds_write_b32 v162, v97
	s_waitcnt vmcnt(22)
	ds_write2_b32 v163, v98, v99 offset0:29 offset1:30
	s_waitcnt vmcnt(20)
	ds_write2_b32 v163, v92, v93 offset0:31 offset1:32
	;; [unrolled: 2-line block ×12, first 2 shown]
	ds_read_b32 v192, v162
	s_waitcnt lgkmcnt(0)
	v_cmp_neq_f32_e32 vcc, 0, v192
	s_and_saveexec_b64 s[4:5], vcc
	s_cbranch_execz .LBB105_157
; %bb.156:
	v_div_scale_f32 v193, s[10:11], v192, v192, 1.0
	v_rcp_f32_e32 v194, v193
	v_div_scale_f32 v195, vcc, 1.0, v192, 1.0
	v_fma_f32 v196, -v193, v194, 1.0
	v_fmac_f32_e32 v194, v196, v194
	v_mul_f32_e32 v196, v195, v194
	v_fma_f32 v197, -v193, v196, v195
	v_fmac_f32_e32 v196, v197, v194
	v_fma_f32 v193, -v193, v196, v195
	v_div_fmas_f32 v193, v193, v194, v196
	v_div_fixup_f32 v192, v193, v192, 1.0
	ds_write_b32 v162, v192
.LBB105_157:
	s_or_b64 exec, exec, s[4:5]
.LBB105_158:
	s_or_b64 exec, exec, s[2:3]
	s_waitcnt lgkmcnt(0)
	s_barrier
	ds_read_b32 v192, v162
	v_cmp_lt_u32_e32 vcc, 28, v25
	s_and_saveexec_b64 s[2:3], vcc
	s_cbranch_execz .LBB105_160
; %bb.159:
	ds_read2_b32 v[194:195], v163 offset0:29 offset1:30
	ds_read2_b32 v[196:197], v163 offset0:31 offset1:32
	;; [unrolled: 1-line block ×3, first 2 shown]
	s_waitcnt vmcnt(24) lgkmcnt(3)
	v_mul_f32_e32 v200, v192, v97
	ds_read2_b32 v[202:203], v163 offset0:35 offset1:36
	s_waitcnt vmcnt(22) lgkmcnt(3)
	v_pk_fma_f32 v[98:99], v[200:201], v[194:195], v[98:99] op_sel_hi:[0,1,1] neg_lo:[1,0,0] neg_hi:[1,0,0]
	s_waitcnt vmcnt(20) lgkmcnt(2)
	v_pk_fma_f32 v[92:93], v[200:201], v[196:197], v[92:93] op_sel_hi:[0,1,1] neg_lo:[1,0,0] neg_hi:[1,0,0]
	;; [unrolled: 2-line block ×3, first 2 shown]
	ds_read2_b32 v[194:195], v163 offset0:37 offset1:38
	ds_read2_b32 v[196:197], v163 offset0:39 offset1:40
	;; [unrolled: 1-line block ×3, first 2 shown]
	s_waitcnt vmcnt(16) lgkmcnt(3)
	v_pk_fma_f32 v[122:123], v[200:201], v[202:203], v[122:123] op_sel_hi:[0,1,1] neg_lo:[1,0,0] neg_hi:[1,0,0]
	ds_read2_b32 v[202:203], v163 offset0:43 offset1:44
	s_waitcnt vmcnt(14) lgkmcnt(3)
	v_pk_fma_f32 v[116:117], v[200:201], v[194:195], v[116:117] op_sel_hi:[0,1,1] neg_lo:[1,0,0] neg_hi:[1,0,0]
	s_waitcnt vmcnt(12) lgkmcnt(2)
	v_pk_fma_f32 v[120:121], v[200:201], v[196:197], v[120:121] op_sel_hi:[0,1,1] neg_lo:[1,0,0] neg_hi:[1,0,0]
	;; [unrolled: 2-line block ×3, first 2 shown]
	ds_read2_b32 v[194:195], v163 offset0:45 offset1:46
	ds_read2_b32 v[196:197], v163 offset0:47 offset1:48
	;; [unrolled: 1-line block ×4, first 2 shown]
	s_waitcnt vmcnt(8) lgkmcnt(4)
	v_pk_fma_f32 v[140:141], v[200:201], v[202:203], v[140:141] op_sel_hi:[0,1,1] neg_lo:[1,0,0] neg_hi:[1,0,0]
	s_waitcnt vmcnt(6) lgkmcnt(3)
	v_pk_fma_f32 v[142:143], v[200:201], v[194:195], v[142:143] op_sel_hi:[0,1,1] neg_lo:[1,0,0] neg_hi:[1,0,0]
	s_waitcnt vmcnt(4) lgkmcnt(2)
	v_pk_fma_f32 v[144:145], v[200:201], v[196:197], v[144:145] op_sel_hi:[0,1,1] neg_lo:[1,0,0] neg_hi:[1,0,0]
	s_waitcnt vmcnt(2) lgkmcnt(1)
	v_pk_fma_f32 v[158:159], v[200:201], v[198:199], v[158:159] op_sel_hi:[0,1,1] neg_lo:[1,0,0] neg_hi:[1,0,0]
	s_waitcnt vmcnt(0) lgkmcnt(0)
	v_pk_fma_f32 v[160:161], v[200:201], v[204:205], v[160:161] op_sel_hi:[0,1,1] neg_lo:[1,0,0] neg_hi:[1,0,0]
	v_mov_b32_e32 v97, v200
.LBB105_160:
	s_or_b64 exec, exec, s[2:3]
	v_cmp_eq_u32_e32 vcc, 29, v25
	s_waitcnt lgkmcnt(0)
	s_barrier
	s_and_saveexec_b64 s[2:3], vcc
	s_cbranch_execz .LBB105_163
; %bb.161:
	s_waitcnt vmcnt(20)
	v_pk_mov_b32 v[194:195], v[98:99], v[92:93] op_sel:[1,0]
	ds_write_b32 v162, v98
	ds_write2_b32 v163, v194, v195 offset0:30 offset1:31
	s_waitcnt vmcnt(18)
	v_pk_mov_b32 v[194:195], v[92:93], v[118:119] op_sel:[1,0]
	ds_write2_b32 v163, v194, v195 offset0:32 offset1:33
	s_waitcnt vmcnt(16)
	v_pk_mov_b32 v[194:195], v[118:119], v[122:123] op_sel:[1,0]
	;; [unrolled: 3-line block ×10, first 2 shown]
	ds_write2_b32 v163, v194, v195 offset0:50 offset1:51
	ds_write_b32 v163, v161 offset:208
	ds_read_b32 v193, v162
	s_waitcnt lgkmcnt(0)
	v_cmp_neq_f32_e32 vcc, 0, v193
	s_and_b64 exec, exec, vcc
	s_cbranch_execz .LBB105_163
; %bb.162:
	v_div_scale_f32 v194, s[4:5], v193, v193, 1.0
	v_rcp_f32_e32 v195, v194
	v_div_scale_f32 v196, vcc, 1.0, v193, 1.0
	v_fma_f32 v197, -v194, v195, 1.0
	v_fmac_f32_e32 v195, v197, v195
	v_mul_f32_e32 v197, v196, v195
	v_fma_f32 v198, -v194, v197, v196
	v_fmac_f32_e32 v197, v198, v195
	v_fma_f32 v194, -v194, v197, v196
	v_div_fmas_f32 v194, v194, v195, v197
	v_div_fixup_f32 v193, v194, v193, 1.0
	ds_write_b32 v162, v193
.LBB105_163:
	s_or_b64 exec, exec, s[2:3]
	s_waitcnt lgkmcnt(0)
	s_barrier
	ds_read_b32 v193, v162
	v_cmp_lt_u32_e32 vcc, 29, v25
	s_and_saveexec_b64 s[2:3], vcc
	s_cbranch_execz .LBB105_165
; %bb.164:
	ds_read_b32 v200, v163 offset:120
	ds_read2_b32 v[194:195], v163 offset0:31 offset1:32
	ds_read2_b32 v[196:197], v163 offset0:33 offset1:34
	s_waitcnt vmcnt(23) lgkmcnt(3)
	v_mul_f32_e32 v98, v193, v98
	ds_read2_b32 v[198:199], v163 offset0:35 offset1:36
	s_waitcnt vmcnt(22) lgkmcnt(3)
	v_fma_f32 v99, -v98, v200, v99
	s_waitcnt vmcnt(20) lgkmcnt(2)
	v_pk_fma_f32 v[92:93], v[98:99], v[194:195], v[92:93] op_sel_hi:[0,1,1] neg_lo:[1,0,0] neg_hi:[1,0,0]
	s_waitcnt vmcnt(18) lgkmcnt(1)
	v_pk_fma_f32 v[118:119], v[98:99], v[196:197], v[118:119] op_sel_hi:[0,1,1] neg_lo:[1,0,0] neg_hi:[1,0,0]
	ds_read2_b32 v[194:195], v163 offset0:37 offset1:38
	ds_read2_b32 v[196:197], v163 offset0:39 offset1:40
	;; [unrolled: 1-line block ×3, first 2 shown]
	s_waitcnt vmcnt(16) lgkmcnt(3)
	v_pk_fma_f32 v[122:123], v[98:99], v[198:199], v[122:123] op_sel_hi:[0,1,1] neg_lo:[1,0,0] neg_hi:[1,0,0]
	ds_read2_b32 v[198:199], v163 offset0:43 offset1:44
	s_waitcnt vmcnt(14) lgkmcnt(3)
	v_pk_fma_f32 v[116:117], v[98:99], v[194:195], v[116:117] op_sel_hi:[0,1,1] neg_lo:[1,0,0] neg_hi:[1,0,0]
	s_waitcnt vmcnt(12) lgkmcnt(2)
	v_pk_fma_f32 v[120:121], v[98:99], v[196:197], v[120:121] op_sel_hi:[0,1,1] neg_lo:[1,0,0] neg_hi:[1,0,0]
	;; [unrolled: 2-line block ×3, first 2 shown]
	ds_read2_b32 v[194:195], v163 offset0:45 offset1:46
	ds_read2_b32 v[196:197], v163 offset0:47 offset1:48
	;; [unrolled: 1-line block ×4, first 2 shown]
	s_waitcnt vmcnt(8) lgkmcnt(4)
	v_pk_fma_f32 v[140:141], v[98:99], v[198:199], v[140:141] op_sel_hi:[0,1,1] neg_lo:[1,0,0] neg_hi:[1,0,0]
	s_waitcnt vmcnt(6) lgkmcnt(3)
	v_pk_fma_f32 v[142:143], v[98:99], v[194:195], v[142:143] op_sel_hi:[0,1,1] neg_lo:[1,0,0] neg_hi:[1,0,0]
	;; [unrolled: 2-line block ×5, first 2 shown]
.LBB105_165:
	s_or_b64 exec, exec, s[2:3]
	v_cmp_ne_u32_e32 vcc, 30, v25
	s_waitcnt lgkmcnt(0)
	s_barrier
	s_and_saveexec_b64 s[2:3], vcc
	s_xor_b64 s[2:3], exec, s[2:3]
	s_andn2_saveexec_b64 s[2:3], s[2:3]
	s_cbranch_execz .LBB105_169
; %bb.166:
	s_waitcnt vmcnt(22)
	ds_write_b32 v162, v99
	s_waitcnt vmcnt(20)
	ds_write2_b32 v163, v92, v93 offset0:31 offset1:32
	s_waitcnt vmcnt(18)
	ds_write2_b32 v163, v118, v119 offset0:33 offset1:34
	s_waitcnt vmcnt(16)
	ds_write2_b32 v163, v122, v123 offset0:35 offset1:36
	s_waitcnt vmcnt(14)
	ds_write2_b32 v163, v116, v117 offset0:37 offset1:38
	s_waitcnt vmcnt(12)
	ds_write2_b32 v163, v120, v121 offset0:39 offset1:40
	s_waitcnt vmcnt(10)
	ds_write2_b32 v163, v146, v147 offset0:41 offset1:42
	s_waitcnt vmcnt(8)
	ds_write2_b32 v163, v140, v141 offset0:43 offset1:44
	s_waitcnt vmcnt(6)
	ds_write2_b32 v163, v142, v143 offset0:45 offset1:46
	s_waitcnt vmcnt(4)
	ds_write2_b32 v163, v144, v145 offset0:47 offset1:48
	s_waitcnt vmcnt(2)
	ds_write2_b32 v163, v158, v159 offset0:49 offset1:50
	s_waitcnt vmcnt(0)
	ds_write2_b32 v163, v160, v161 offset0:51 offset1:52
	ds_read_b32 v194, v162
	s_waitcnt lgkmcnt(0)
	v_cmp_neq_f32_e32 vcc, 0, v194
	s_and_saveexec_b64 s[4:5], vcc
	s_cbranch_execz .LBB105_168
; %bb.167:
	v_div_scale_f32 v195, s[10:11], v194, v194, 1.0
	v_rcp_f32_e32 v196, v195
	v_div_scale_f32 v197, vcc, 1.0, v194, 1.0
	v_fma_f32 v198, -v195, v196, 1.0
	v_fmac_f32_e32 v196, v198, v196
	v_mul_f32_e32 v198, v197, v196
	v_fma_f32 v199, -v195, v198, v197
	v_fmac_f32_e32 v198, v199, v196
	v_fma_f32 v195, -v195, v198, v197
	v_div_fmas_f32 v195, v195, v196, v198
	v_div_fixup_f32 v194, v195, v194, 1.0
	ds_write_b32 v162, v194
.LBB105_168:
	s_or_b64 exec, exec, s[4:5]
.LBB105_169:
	s_or_b64 exec, exec, s[2:3]
	s_waitcnt lgkmcnt(0)
	s_barrier
	ds_read_b32 v194, v162
	v_cmp_lt_u32_e32 vcc, 30, v25
	s_and_saveexec_b64 s[2:3], vcc
	s_cbranch_execz .LBB105_171
; %bb.170:
	ds_read2_b32 v[196:197], v163 offset0:31 offset1:32
	ds_read2_b32 v[198:199], v163 offset0:33 offset1:34
	;; [unrolled: 1-line block ×3, first 2 shown]
	s_waitcnt vmcnt(22) lgkmcnt(3)
	v_mul_f32_e32 v202, v194, v99
	ds_read2_b32 v[204:205], v163 offset0:37 offset1:38
	s_waitcnt vmcnt(20) lgkmcnt(3)
	v_pk_fma_f32 v[92:93], v[202:203], v[196:197], v[92:93] op_sel_hi:[0,1,1] neg_lo:[1,0,0] neg_hi:[1,0,0]
	s_waitcnt vmcnt(18) lgkmcnt(2)
	v_pk_fma_f32 v[118:119], v[202:203], v[198:199], v[118:119] op_sel_hi:[0,1,1] neg_lo:[1,0,0] neg_hi:[1,0,0]
	ds_read2_b32 v[196:197], v163 offset0:39 offset1:40
	ds_read2_b32 v[198:199], v163 offset0:41 offset1:42
	s_waitcnt vmcnt(16) lgkmcnt(3)
	v_pk_fma_f32 v[122:123], v[202:203], v[200:201], v[122:123] op_sel_hi:[0,1,1] neg_lo:[1,0,0] neg_hi:[1,0,0]
	s_waitcnt vmcnt(14) lgkmcnt(2)
	v_pk_fma_f32 v[116:117], v[202:203], v[204:205], v[116:117] op_sel_hi:[0,1,1] neg_lo:[1,0,0] neg_hi:[1,0,0]
	ds_read2_b32 v[200:201], v163 offset0:43 offset1:44
	;; [unrolled: 6-line block ×3, first 2 shown]
	ds_read2_b32 v[198:199], v163 offset0:49 offset1:50
	ds_read2_b32 v[206:207], v163 offset0:51 offset1:52
	s_waitcnt vmcnt(8) lgkmcnt(4)
	v_pk_fma_f32 v[140:141], v[202:203], v[200:201], v[140:141] op_sel_hi:[0,1,1] neg_lo:[1,0,0] neg_hi:[1,0,0]
	s_waitcnt vmcnt(6) lgkmcnt(3)
	v_pk_fma_f32 v[142:143], v[202:203], v[204:205], v[142:143] op_sel_hi:[0,1,1] neg_lo:[1,0,0] neg_hi:[1,0,0]
	;; [unrolled: 2-line block ×5, first 2 shown]
	v_mov_b32_e32 v99, v202
.LBB105_171:
	s_or_b64 exec, exec, s[2:3]
	v_cmp_eq_u32_e32 vcc, 31, v25
	s_waitcnt lgkmcnt(0)
	s_barrier
	s_and_saveexec_b64 s[2:3], vcc
	s_cbranch_execz .LBB105_174
; %bb.172:
	s_waitcnt vmcnt(18)
	v_pk_mov_b32 v[196:197], v[92:93], v[118:119] op_sel:[1,0]
	ds_write_b32 v162, v92
	ds_write2_b32 v163, v196, v197 offset0:32 offset1:33
	s_waitcnt vmcnt(16)
	v_pk_mov_b32 v[196:197], v[118:119], v[122:123] op_sel:[1,0]
	ds_write2_b32 v163, v196, v197 offset0:34 offset1:35
	s_waitcnt vmcnt(14)
	v_pk_mov_b32 v[196:197], v[122:123], v[116:117] op_sel:[1,0]
	;; [unrolled: 3-line block ×9, first 2 shown]
	ds_write2_b32 v163, v196, v197 offset0:50 offset1:51
	ds_write_b32 v163, v161 offset:208
	ds_read_b32 v195, v162
	s_waitcnt lgkmcnt(0)
	v_cmp_neq_f32_e32 vcc, 0, v195
	s_and_b64 exec, exec, vcc
	s_cbranch_execz .LBB105_174
; %bb.173:
	v_div_scale_f32 v196, s[4:5], v195, v195, 1.0
	v_rcp_f32_e32 v197, v196
	v_div_scale_f32 v198, vcc, 1.0, v195, 1.0
	v_fma_f32 v199, -v196, v197, 1.0
	v_fmac_f32_e32 v197, v199, v197
	v_mul_f32_e32 v199, v198, v197
	v_fma_f32 v200, -v196, v199, v198
	v_fmac_f32_e32 v199, v200, v197
	v_fma_f32 v196, -v196, v199, v198
	v_div_fmas_f32 v196, v196, v197, v199
	v_div_fixup_f32 v195, v196, v195, 1.0
	ds_write_b32 v162, v195
.LBB105_174:
	s_or_b64 exec, exec, s[2:3]
	s_waitcnt lgkmcnt(0)
	s_barrier
	ds_read_b32 v195, v162
	v_cmp_lt_u32_e32 vcc, 31, v25
	s_and_saveexec_b64 s[2:3], vcc
	s_cbranch_execz .LBB105_176
; %bb.175:
	ds_read_b32 v202, v163 offset:128
	ds_read2_b32 v[196:197], v163 offset0:33 offset1:34
	ds_read2_b32 v[198:199], v163 offset0:35 offset1:36
	s_waitcnt vmcnt(21) lgkmcnt(3)
	v_mul_f32_e32 v92, v195, v92
	ds_read2_b32 v[200:201], v163 offset0:37 offset1:38
	s_waitcnt vmcnt(20) lgkmcnt(3)
	v_fma_f32 v93, -v92, v202, v93
	s_waitcnt vmcnt(18) lgkmcnt(2)
	v_pk_fma_f32 v[118:119], v[92:93], v[196:197], v[118:119] op_sel_hi:[0,1,1] neg_lo:[1,0,0] neg_hi:[1,0,0]
	s_waitcnt vmcnt(16) lgkmcnt(1)
	v_pk_fma_f32 v[122:123], v[92:93], v[198:199], v[122:123] op_sel_hi:[0,1,1] neg_lo:[1,0,0] neg_hi:[1,0,0]
	ds_read2_b32 v[196:197], v163 offset0:39 offset1:40
	ds_read2_b32 v[198:199], v163 offset0:41 offset1:42
	s_waitcnt vmcnt(14) lgkmcnt(2)
	v_pk_fma_f32 v[116:117], v[92:93], v[200:201], v[116:117] op_sel_hi:[0,1,1] neg_lo:[1,0,0] neg_hi:[1,0,0]
	ds_read2_b32 v[200:201], v163 offset0:43 offset1:44
	ds_read2_b32 v[202:203], v163 offset0:45 offset1:46
	s_waitcnt vmcnt(12) lgkmcnt(3)
	v_pk_fma_f32 v[120:121], v[92:93], v[196:197], v[120:121] op_sel_hi:[0,1,1] neg_lo:[1,0,0] neg_hi:[1,0,0]
	s_waitcnt vmcnt(10) lgkmcnt(2)
	v_pk_fma_f32 v[146:147], v[92:93], v[198:199], v[146:147] op_sel_hi:[0,1,1] neg_lo:[1,0,0] neg_hi:[1,0,0]
	ds_read2_b32 v[196:197], v163 offset0:47 offset1:48
	ds_read2_b32 v[198:199], v163 offset0:49 offset1:50
	;; [unrolled: 1-line block ×3, first 2 shown]
	s_waitcnt vmcnt(8) lgkmcnt(4)
	v_pk_fma_f32 v[140:141], v[92:93], v[200:201], v[140:141] op_sel_hi:[0,1,1] neg_lo:[1,0,0] neg_hi:[1,0,0]
	s_waitcnt vmcnt(6) lgkmcnt(3)
	v_pk_fma_f32 v[142:143], v[92:93], v[202:203], v[142:143] op_sel_hi:[0,1,1] neg_lo:[1,0,0] neg_hi:[1,0,0]
	;; [unrolled: 2-line block ×5, first 2 shown]
.LBB105_176:
	s_or_b64 exec, exec, s[2:3]
	v_cmp_ne_u32_e32 vcc, 32, v25
	s_waitcnt lgkmcnt(0)
	s_barrier
	s_and_saveexec_b64 s[2:3], vcc
	s_xor_b64 s[2:3], exec, s[2:3]
	s_andn2_saveexec_b64 s[2:3], s[2:3]
	s_cbranch_execz .LBB105_180
; %bb.177:
	s_waitcnt vmcnt(20)
	ds_write_b32 v162, v93
	s_waitcnt vmcnt(18)
	ds_write2_b32 v163, v118, v119 offset0:33 offset1:34
	s_waitcnt vmcnt(16)
	ds_write2_b32 v163, v122, v123 offset0:35 offset1:36
	;; [unrolled: 2-line block ×10, first 2 shown]
	ds_read_b32 v196, v162
	s_waitcnt lgkmcnt(0)
	v_cmp_neq_f32_e32 vcc, 0, v196
	s_and_saveexec_b64 s[4:5], vcc
	s_cbranch_execz .LBB105_179
; %bb.178:
	v_div_scale_f32 v197, s[10:11], v196, v196, 1.0
	v_rcp_f32_e32 v198, v197
	v_div_scale_f32 v199, vcc, 1.0, v196, 1.0
	v_fma_f32 v200, -v197, v198, 1.0
	v_fmac_f32_e32 v198, v200, v198
	v_mul_f32_e32 v200, v199, v198
	v_fma_f32 v201, -v197, v200, v199
	v_fmac_f32_e32 v200, v201, v198
	v_fma_f32 v197, -v197, v200, v199
	v_div_fmas_f32 v197, v197, v198, v200
	v_div_fixup_f32 v196, v197, v196, 1.0
	ds_write_b32 v162, v196
.LBB105_179:
	s_or_b64 exec, exec, s[4:5]
.LBB105_180:
	s_or_b64 exec, exec, s[2:3]
	s_waitcnt lgkmcnt(0)
	s_barrier
	ds_read_b32 v196, v162
	v_cmp_lt_u32_e32 vcc, 32, v25
	s_and_saveexec_b64 s[2:3], vcc
	s_cbranch_execz .LBB105_182
; %bb.181:
	ds_read2_b32 v[198:199], v163 offset0:33 offset1:34
	ds_read2_b32 v[200:201], v163 offset0:35 offset1:36
	;; [unrolled: 1-line block ×3, first 2 shown]
	s_waitcnt vmcnt(20) lgkmcnt(3)
	v_mul_f32_e32 v204, v196, v93
	ds_read2_b32 v[206:207], v163 offset0:39 offset1:40
	s_waitcnt vmcnt(18) lgkmcnt(3)
	v_pk_fma_f32 v[118:119], v[204:205], v[198:199], v[118:119] op_sel_hi:[0,1,1] neg_lo:[1,0,0] neg_hi:[1,0,0]
	ds_read2_b32 v[198:199], v163 offset0:41 offset1:42
	s_waitcnt vmcnt(16) lgkmcnt(3)
	v_pk_fma_f32 v[122:123], v[204:205], v[200:201], v[122:123] op_sel_hi:[0,1,1] neg_lo:[1,0,0] neg_hi:[1,0,0]
	s_waitcnt vmcnt(14) lgkmcnt(2)
	v_pk_fma_f32 v[116:117], v[204:205], v[202:203], v[116:117] op_sel_hi:[0,1,1] neg_lo:[1,0,0] neg_hi:[1,0,0]
	;; [unrolled: 2-line block ×3, first 2 shown]
	ds_read2_b32 v[200:201], v163 offset0:43 offset1:44
	ds_read2_b32 v[202:203], v163 offset0:45 offset1:46
	;; [unrolled: 1-line block ×3, first 2 shown]
	s_waitcnt vmcnt(10) lgkmcnt(3)
	v_pk_fma_f32 v[146:147], v[204:205], v[198:199], v[146:147] op_sel_hi:[0,1,1] neg_lo:[1,0,0] neg_hi:[1,0,0]
	ds_read2_b32 v[198:199], v163 offset0:49 offset1:50
	ds_read2_b32 v[208:209], v163 offset0:51 offset1:52
	s_waitcnt vmcnt(8) lgkmcnt(4)
	v_pk_fma_f32 v[140:141], v[204:205], v[200:201], v[140:141] op_sel_hi:[0,1,1] neg_lo:[1,0,0] neg_hi:[1,0,0]
	s_waitcnt vmcnt(6) lgkmcnt(3)
	v_pk_fma_f32 v[142:143], v[204:205], v[202:203], v[142:143] op_sel_hi:[0,1,1] neg_lo:[1,0,0] neg_hi:[1,0,0]
	s_waitcnt vmcnt(4) lgkmcnt(2)
	v_pk_fma_f32 v[144:145], v[204:205], v[206:207], v[144:145] op_sel_hi:[0,1,1] neg_lo:[1,0,0] neg_hi:[1,0,0]
	s_waitcnt vmcnt(2) lgkmcnt(1)
	v_pk_fma_f32 v[158:159], v[204:205], v[198:199], v[158:159] op_sel_hi:[0,1,1] neg_lo:[1,0,0] neg_hi:[1,0,0]
	s_waitcnt vmcnt(0) lgkmcnt(0)
	v_pk_fma_f32 v[160:161], v[204:205], v[208:209], v[160:161] op_sel_hi:[0,1,1] neg_lo:[1,0,0] neg_hi:[1,0,0]
	v_mov_b32_e32 v93, v204
.LBB105_182:
	s_or_b64 exec, exec, s[2:3]
	v_cmp_eq_u32_e32 vcc, 33, v25
	s_waitcnt lgkmcnt(0)
	s_barrier
	s_and_saveexec_b64 s[2:3], vcc
	s_cbranch_execz .LBB105_185
; %bb.183:
	s_waitcnt vmcnt(16)
	v_pk_mov_b32 v[198:199], v[118:119], v[122:123] op_sel:[1,0]
	ds_write_b32 v162, v118
	ds_write2_b32 v163, v198, v199 offset0:34 offset1:35
	s_waitcnt vmcnt(14)
	v_pk_mov_b32 v[198:199], v[122:123], v[116:117] op_sel:[1,0]
	ds_write2_b32 v163, v198, v199 offset0:36 offset1:37
	s_waitcnt vmcnt(12)
	v_pk_mov_b32 v[198:199], v[116:117], v[120:121] op_sel:[1,0]
	ds_write2_b32 v163, v198, v199 offset0:38 offset1:39
	s_waitcnt vmcnt(10)
	v_pk_mov_b32 v[198:199], v[120:121], v[146:147] op_sel:[1,0]
	ds_write2_b32 v163, v198, v199 offset0:40 offset1:41
	s_waitcnt vmcnt(8)
	v_pk_mov_b32 v[198:199], v[146:147], v[140:141] op_sel:[1,0]
	ds_write2_b32 v163, v198, v199 offset0:42 offset1:43
	s_waitcnt vmcnt(6)
	v_pk_mov_b32 v[198:199], v[140:141], v[142:143] op_sel:[1,0]
	ds_write2_b32 v163, v198, v199 offset0:44 offset1:45
	s_waitcnt vmcnt(4)
	v_pk_mov_b32 v[198:199], v[142:143], v[144:145] op_sel:[1,0]
	ds_write2_b32 v163, v198, v199 offset0:46 offset1:47
	s_waitcnt vmcnt(2)
	v_pk_mov_b32 v[198:199], v[144:145], v[158:159] op_sel:[1,0]
	ds_write2_b32 v163, v198, v199 offset0:48 offset1:49
	s_waitcnt vmcnt(0)
	v_pk_mov_b32 v[198:199], v[158:159], v[160:161] op_sel:[1,0]
	ds_write2_b32 v163, v198, v199 offset0:50 offset1:51
	ds_write_b32 v163, v161 offset:208
	ds_read_b32 v197, v162
	s_waitcnt lgkmcnt(0)
	v_cmp_neq_f32_e32 vcc, 0, v197
	s_and_b64 exec, exec, vcc
	s_cbranch_execz .LBB105_185
; %bb.184:
	v_div_scale_f32 v198, s[4:5], v197, v197, 1.0
	v_rcp_f32_e32 v199, v198
	v_div_scale_f32 v200, vcc, 1.0, v197, 1.0
	v_fma_f32 v201, -v198, v199, 1.0
	v_fmac_f32_e32 v199, v201, v199
	v_mul_f32_e32 v201, v200, v199
	v_fma_f32 v202, -v198, v201, v200
	v_fmac_f32_e32 v201, v202, v199
	v_fma_f32 v198, -v198, v201, v200
	v_div_fmas_f32 v198, v198, v199, v201
	v_div_fixup_f32 v197, v198, v197, 1.0
	ds_write_b32 v162, v197
.LBB105_185:
	s_or_b64 exec, exec, s[2:3]
	s_waitcnt lgkmcnt(0)
	s_barrier
	ds_read_b32 v197, v162
	v_cmp_lt_u32_e32 vcc, 33, v25
	s_and_saveexec_b64 s[2:3], vcc
	s_cbranch_execz .LBB105_187
; %bb.186:
	ds_read_b32 v204, v163 offset:136
	ds_read2_b32 v[198:199], v163 offset0:35 offset1:36
	ds_read2_b32 v[200:201], v163 offset0:37 offset1:38
	s_waitcnt vmcnt(19) lgkmcnt(3)
	v_mul_f32_e32 v118, v197, v118
	ds_read2_b32 v[202:203], v163 offset0:39 offset1:40
	s_waitcnt vmcnt(18) lgkmcnt(3)
	v_fma_f32 v119, -v118, v204, v119
	s_waitcnt vmcnt(16) lgkmcnt(2)
	v_pk_fma_f32 v[122:123], v[118:119], v[198:199], v[122:123] op_sel_hi:[0,1,1] neg_lo:[1,0,0] neg_hi:[1,0,0]
	ds_read2_b32 v[198:199], v163 offset0:41 offset1:42
	s_waitcnt vmcnt(14) lgkmcnt(2)
	v_pk_fma_f32 v[116:117], v[118:119], v[200:201], v[116:117] op_sel_hi:[0,1,1] neg_lo:[1,0,0] neg_hi:[1,0,0]
	s_waitcnt vmcnt(12) lgkmcnt(1)
	v_pk_fma_f32 v[120:121], v[118:119], v[202:203], v[120:121] op_sel_hi:[0,1,1] neg_lo:[1,0,0] neg_hi:[1,0,0]
	ds_read2_b32 v[200:201], v163 offset0:43 offset1:44
	ds_read2_b32 v[202:203], v163 offset0:45 offset1:46
	;; [unrolled: 1-line block ×3, first 2 shown]
	s_waitcnt vmcnt(10) lgkmcnt(3)
	v_pk_fma_f32 v[146:147], v[118:119], v[198:199], v[146:147] op_sel_hi:[0,1,1] neg_lo:[1,0,0] neg_hi:[1,0,0]
	ds_read2_b32 v[198:199], v163 offset0:49 offset1:50
	ds_read2_b32 v[206:207], v163 offset0:51 offset1:52
	s_waitcnt vmcnt(8) lgkmcnt(4)
	v_pk_fma_f32 v[140:141], v[118:119], v[200:201], v[140:141] op_sel_hi:[0,1,1] neg_lo:[1,0,0] neg_hi:[1,0,0]
	s_waitcnt vmcnt(6) lgkmcnt(3)
	v_pk_fma_f32 v[142:143], v[118:119], v[202:203], v[142:143] op_sel_hi:[0,1,1] neg_lo:[1,0,0] neg_hi:[1,0,0]
	;; [unrolled: 2-line block ×5, first 2 shown]
.LBB105_187:
	s_or_b64 exec, exec, s[2:3]
	v_cmp_ne_u32_e32 vcc, 34, v25
	s_waitcnt lgkmcnt(0)
	s_barrier
	s_and_saveexec_b64 s[2:3], vcc
	s_xor_b64 s[2:3], exec, s[2:3]
	s_andn2_saveexec_b64 s[2:3], s[2:3]
	s_cbranch_execz .LBB105_191
; %bb.188:
	s_waitcnt vmcnt(18)
	ds_write_b32 v162, v119
	s_waitcnt vmcnt(16)
	ds_write2_b32 v163, v122, v123 offset0:35 offset1:36
	s_waitcnt vmcnt(14)
	ds_write2_b32 v163, v116, v117 offset0:37 offset1:38
	;; [unrolled: 2-line block ×9, first 2 shown]
	ds_read_b32 v198, v162
	s_waitcnt lgkmcnt(0)
	v_cmp_neq_f32_e32 vcc, 0, v198
	s_and_saveexec_b64 s[4:5], vcc
	s_cbranch_execz .LBB105_190
; %bb.189:
	v_div_scale_f32 v199, s[10:11], v198, v198, 1.0
	v_rcp_f32_e32 v200, v199
	v_div_scale_f32 v201, vcc, 1.0, v198, 1.0
	v_fma_f32 v202, -v199, v200, 1.0
	v_fmac_f32_e32 v200, v202, v200
	v_mul_f32_e32 v202, v201, v200
	v_fma_f32 v203, -v199, v202, v201
	v_fmac_f32_e32 v202, v203, v200
	v_fma_f32 v199, -v199, v202, v201
	v_div_fmas_f32 v199, v199, v200, v202
	v_div_fixup_f32 v198, v199, v198, 1.0
	ds_write_b32 v162, v198
.LBB105_190:
	s_or_b64 exec, exec, s[4:5]
.LBB105_191:
	s_or_b64 exec, exec, s[2:3]
	s_waitcnt lgkmcnt(0)
	s_barrier
	ds_read_b32 v198, v162
	v_cmp_lt_u32_e32 vcc, 34, v25
	s_and_saveexec_b64 s[2:3], vcc
	s_cbranch_execz .LBB105_193
; %bb.192:
	ds_read2_b32 v[200:201], v163 offset0:35 offset1:36
	ds_read2_b32 v[202:203], v163 offset0:37 offset1:38
	;; [unrolled: 1-line block ×4, first 2 shown]
	s_waitcnt vmcnt(18) lgkmcnt(4)
	v_mul_f32_e32 v208, v198, v119
	s_waitcnt vmcnt(16) lgkmcnt(3)
	v_pk_fma_f32 v[122:123], v[208:209], v[200:201], v[122:123] op_sel_hi:[0,1,1] neg_lo:[1,0,0] neg_hi:[1,0,0]
	s_waitcnt vmcnt(14) lgkmcnt(2)
	v_pk_fma_f32 v[116:117], v[208:209], v[202:203], v[116:117] op_sel_hi:[0,1,1] neg_lo:[1,0,0] neg_hi:[1,0,0]
	;; [unrolled: 2-line block ×4, first 2 shown]
	ds_read2_b32 v[200:201], v163 offset0:43 offset1:44
	ds_read2_b32 v[202:203], v163 offset0:45 offset1:46
	;; [unrolled: 1-line block ×5, first 2 shown]
	s_waitcnt vmcnt(8) lgkmcnt(4)
	v_pk_fma_f32 v[140:141], v[208:209], v[200:201], v[140:141] op_sel_hi:[0,1,1] neg_lo:[1,0,0] neg_hi:[1,0,0]
	s_waitcnt vmcnt(6) lgkmcnt(3)
	v_pk_fma_f32 v[142:143], v[208:209], v[202:203], v[142:143] op_sel_hi:[0,1,1] neg_lo:[1,0,0] neg_hi:[1,0,0]
	s_waitcnt vmcnt(4) lgkmcnt(2)
	v_pk_fma_f32 v[144:145], v[208:209], v[204:205], v[144:145] op_sel_hi:[0,1,1] neg_lo:[1,0,0] neg_hi:[1,0,0]
	s_waitcnt vmcnt(2) lgkmcnt(1)
	v_pk_fma_f32 v[158:159], v[208:209], v[206:207], v[158:159] op_sel_hi:[0,1,1] neg_lo:[1,0,0] neg_hi:[1,0,0]
	s_waitcnt vmcnt(0) lgkmcnt(0)
	v_pk_fma_f32 v[160:161], v[208:209], v[210:211], v[160:161] op_sel_hi:[0,1,1] neg_lo:[1,0,0] neg_hi:[1,0,0]
	v_mov_b32_e32 v119, v208
.LBB105_193:
	s_or_b64 exec, exec, s[2:3]
	v_cmp_eq_u32_e32 vcc, 35, v25
	s_waitcnt lgkmcnt(0)
	s_barrier
	s_and_saveexec_b64 s[2:3], vcc
	s_cbranch_execz .LBB105_196
; %bb.194:
	s_waitcnt vmcnt(14)
	v_pk_mov_b32 v[200:201], v[122:123], v[116:117] op_sel:[1,0]
	ds_write_b32 v162, v122
	ds_write2_b32 v163, v200, v201 offset0:36 offset1:37
	s_waitcnt vmcnt(12)
	v_pk_mov_b32 v[200:201], v[116:117], v[120:121] op_sel:[1,0]
	ds_write2_b32 v163, v200, v201 offset0:38 offset1:39
	s_waitcnt vmcnt(10)
	v_pk_mov_b32 v[200:201], v[120:121], v[146:147] op_sel:[1,0]
	;; [unrolled: 3-line block ×7, first 2 shown]
	ds_write2_b32 v163, v200, v201 offset0:50 offset1:51
	ds_write_b32 v163, v161 offset:208
	ds_read_b32 v199, v162
	s_waitcnt lgkmcnt(0)
	v_cmp_neq_f32_e32 vcc, 0, v199
	s_and_b64 exec, exec, vcc
	s_cbranch_execz .LBB105_196
; %bb.195:
	v_div_scale_f32 v200, s[4:5], v199, v199, 1.0
	v_rcp_f32_e32 v201, v200
	v_div_scale_f32 v202, vcc, 1.0, v199, 1.0
	v_fma_f32 v203, -v200, v201, 1.0
	v_fmac_f32_e32 v201, v203, v201
	v_mul_f32_e32 v203, v202, v201
	v_fma_f32 v204, -v200, v203, v202
	v_fmac_f32_e32 v203, v204, v201
	v_fma_f32 v200, -v200, v203, v202
	v_div_fmas_f32 v200, v200, v201, v203
	v_div_fixup_f32 v199, v200, v199, 1.0
	ds_write_b32 v162, v199
.LBB105_196:
	s_or_b64 exec, exec, s[2:3]
	s_waitcnt lgkmcnt(0)
	s_barrier
	ds_read_b32 v199, v162
	v_cmp_lt_u32_e32 vcc, 35, v25
	s_and_saveexec_b64 s[2:3], vcc
	s_cbranch_execz .LBB105_198
; %bb.197:
	ds_read_b32 v206, v163 offset:144
	ds_read2_b32 v[200:201], v163 offset0:37 offset1:38
	ds_read2_b32 v[202:203], v163 offset0:39 offset1:40
	;; [unrolled: 1-line block ×3, first 2 shown]
	s_waitcnt vmcnt(17) lgkmcnt(4)
	v_mul_f32_e32 v122, v199, v122
	s_waitcnt vmcnt(16) lgkmcnt(3)
	v_fma_f32 v123, -v122, v206, v123
	s_waitcnt vmcnt(14) lgkmcnt(2)
	v_pk_fma_f32 v[116:117], v[122:123], v[200:201], v[116:117] op_sel_hi:[0,1,1] neg_lo:[1,0,0] neg_hi:[1,0,0]
	s_waitcnt vmcnt(12) lgkmcnt(1)
	v_pk_fma_f32 v[120:121], v[122:123], v[202:203], v[120:121] op_sel_hi:[0,1,1] neg_lo:[1,0,0] neg_hi:[1,0,0]
	;; [unrolled: 2-line block ×3, first 2 shown]
	ds_read2_b32 v[200:201], v163 offset0:43 offset1:44
	ds_read2_b32 v[202:203], v163 offset0:45 offset1:46
	;; [unrolled: 1-line block ×5, first 2 shown]
	s_waitcnt vmcnt(8) lgkmcnt(4)
	v_pk_fma_f32 v[140:141], v[122:123], v[200:201], v[140:141] op_sel_hi:[0,1,1] neg_lo:[1,0,0] neg_hi:[1,0,0]
	s_waitcnt vmcnt(6) lgkmcnt(3)
	v_pk_fma_f32 v[142:143], v[122:123], v[202:203], v[142:143] op_sel_hi:[0,1,1] neg_lo:[1,0,0] neg_hi:[1,0,0]
	s_waitcnt vmcnt(4) lgkmcnt(2)
	v_pk_fma_f32 v[144:145], v[122:123], v[204:205], v[144:145] op_sel_hi:[0,1,1] neg_lo:[1,0,0] neg_hi:[1,0,0]
	s_waitcnt vmcnt(2) lgkmcnt(1)
	v_pk_fma_f32 v[158:159], v[122:123], v[206:207], v[158:159] op_sel_hi:[0,1,1] neg_lo:[1,0,0] neg_hi:[1,0,0]
	s_waitcnt vmcnt(0) lgkmcnt(0)
	v_pk_fma_f32 v[160:161], v[122:123], v[208:209], v[160:161] op_sel_hi:[0,1,1] neg_lo:[1,0,0] neg_hi:[1,0,0]
.LBB105_198:
	s_or_b64 exec, exec, s[2:3]
	v_cmp_ne_u32_e32 vcc, 36, v25
	s_waitcnt lgkmcnt(0)
	s_barrier
	s_and_saveexec_b64 s[2:3], vcc
	s_xor_b64 s[2:3], exec, s[2:3]
	s_andn2_saveexec_b64 s[2:3], s[2:3]
	s_cbranch_execz .LBB105_202
; %bb.199:
	s_waitcnt vmcnt(16)
	ds_write_b32 v162, v123
	s_waitcnt vmcnt(14)
	ds_write2_b32 v163, v116, v117 offset0:37 offset1:38
	s_waitcnt vmcnt(12)
	ds_write2_b32 v163, v120, v121 offset0:39 offset1:40
	;; [unrolled: 2-line block ×8, first 2 shown]
	ds_read_b32 v200, v162
	s_waitcnt lgkmcnt(0)
	v_cmp_neq_f32_e32 vcc, 0, v200
	s_and_saveexec_b64 s[4:5], vcc
	s_cbranch_execz .LBB105_201
; %bb.200:
	v_div_scale_f32 v201, s[10:11], v200, v200, 1.0
	v_rcp_f32_e32 v202, v201
	v_div_scale_f32 v203, vcc, 1.0, v200, 1.0
	v_fma_f32 v204, -v201, v202, 1.0
	v_fmac_f32_e32 v202, v204, v202
	v_mul_f32_e32 v204, v203, v202
	v_fma_f32 v205, -v201, v204, v203
	v_fmac_f32_e32 v204, v205, v202
	v_fma_f32 v201, -v201, v204, v203
	v_div_fmas_f32 v201, v201, v202, v204
	v_div_fixup_f32 v200, v201, v200, 1.0
	ds_write_b32 v162, v200
.LBB105_201:
	s_or_b64 exec, exec, s[4:5]
.LBB105_202:
	s_or_b64 exec, exec, s[2:3]
	s_waitcnt lgkmcnt(0)
	s_barrier
	ds_read_b32 v200, v162
	v_cmp_lt_u32_e32 vcc, 36, v25
	s_and_saveexec_b64 s[2:3], vcc
	s_cbranch_execz .LBB105_204
; %bb.203:
	ds_read2_b32 v[202:203], v163 offset0:37 offset1:38
	ds_read2_b32 v[204:205], v163 offset0:39 offset1:40
	;; [unrolled: 1-line block ×3, first 2 shown]
	s_waitcnt vmcnt(16) lgkmcnt(3)
	v_mul_f32_e32 v208, v200, v123
	ds_read2_b32 v[210:211], v163 offset0:43 offset1:44
	s_waitcnt vmcnt(14) lgkmcnt(3)
	v_pk_fma_f32 v[116:117], v[208:209], v[202:203], v[116:117] op_sel_hi:[0,1,1] neg_lo:[1,0,0] neg_hi:[1,0,0]
	s_waitcnt vmcnt(12) lgkmcnt(2)
	v_pk_fma_f32 v[120:121], v[208:209], v[204:205], v[120:121] op_sel_hi:[0,1,1] neg_lo:[1,0,0] neg_hi:[1,0,0]
	;; [unrolled: 2-line block ×3, first 2 shown]
	ds_read2_b32 v[202:203], v163 offset0:45 offset1:46
	ds_read2_b32 v[204:205], v163 offset0:47 offset1:48
	;; [unrolled: 1-line block ×4, first 2 shown]
	s_waitcnt vmcnt(8) lgkmcnt(4)
	v_pk_fma_f32 v[140:141], v[208:209], v[210:211], v[140:141] op_sel_hi:[0,1,1] neg_lo:[1,0,0] neg_hi:[1,0,0]
	s_waitcnt vmcnt(6) lgkmcnt(3)
	v_pk_fma_f32 v[142:143], v[208:209], v[202:203], v[142:143] op_sel_hi:[0,1,1] neg_lo:[1,0,0] neg_hi:[1,0,0]
	;; [unrolled: 2-line block ×5, first 2 shown]
	v_mov_b32_e32 v123, v208
.LBB105_204:
	s_or_b64 exec, exec, s[2:3]
	v_cmp_eq_u32_e32 vcc, 37, v25
	s_waitcnt lgkmcnt(0)
	s_barrier
	s_and_saveexec_b64 s[2:3], vcc
	s_cbranch_execz .LBB105_207
; %bb.205:
	s_waitcnt vmcnt(12)
	v_pk_mov_b32 v[202:203], v[116:117], v[120:121] op_sel:[1,0]
	ds_write_b32 v162, v116
	ds_write2_b32 v163, v202, v203 offset0:38 offset1:39
	s_waitcnt vmcnt(10)
	v_pk_mov_b32 v[202:203], v[120:121], v[146:147] op_sel:[1,0]
	ds_write2_b32 v163, v202, v203 offset0:40 offset1:41
	s_waitcnt vmcnt(8)
	v_pk_mov_b32 v[202:203], v[146:147], v[140:141] op_sel:[1,0]
	ds_write2_b32 v163, v202, v203 offset0:42 offset1:43
	s_waitcnt vmcnt(6)
	v_pk_mov_b32 v[202:203], v[140:141], v[142:143] op_sel:[1,0]
	ds_write2_b32 v163, v202, v203 offset0:44 offset1:45
	s_waitcnt vmcnt(4)
	v_pk_mov_b32 v[202:203], v[142:143], v[144:145] op_sel:[1,0]
	ds_write2_b32 v163, v202, v203 offset0:46 offset1:47
	s_waitcnt vmcnt(2)
	v_pk_mov_b32 v[202:203], v[144:145], v[158:159] op_sel:[1,0]
	ds_write2_b32 v163, v202, v203 offset0:48 offset1:49
	s_waitcnt vmcnt(0)
	v_pk_mov_b32 v[202:203], v[158:159], v[160:161] op_sel:[1,0]
	ds_write2_b32 v163, v202, v203 offset0:50 offset1:51
	ds_write_b32 v163, v161 offset:208
	ds_read_b32 v201, v162
	s_waitcnt lgkmcnt(0)
	v_cmp_neq_f32_e32 vcc, 0, v201
	s_and_b64 exec, exec, vcc
	s_cbranch_execz .LBB105_207
; %bb.206:
	v_div_scale_f32 v202, s[4:5], v201, v201, 1.0
	v_rcp_f32_e32 v203, v202
	v_div_scale_f32 v204, vcc, 1.0, v201, 1.0
	v_fma_f32 v205, -v202, v203, 1.0
	v_fmac_f32_e32 v203, v205, v203
	v_mul_f32_e32 v205, v204, v203
	v_fma_f32 v206, -v202, v205, v204
	v_fmac_f32_e32 v205, v206, v203
	v_fma_f32 v202, -v202, v205, v204
	v_div_fmas_f32 v202, v202, v203, v205
	v_div_fixup_f32 v201, v202, v201, 1.0
	ds_write_b32 v162, v201
.LBB105_207:
	s_or_b64 exec, exec, s[2:3]
	s_waitcnt lgkmcnt(0)
	s_barrier
	ds_read_b32 v201, v162
	v_cmp_lt_u32_e32 vcc, 37, v25
	s_and_saveexec_b64 s[2:3], vcc
	s_cbranch_execz .LBB105_209
; %bb.208:
	ds_read_b32 v208, v163 offset:152
	ds_read2_b32 v[202:203], v163 offset0:39 offset1:40
	ds_read2_b32 v[204:205], v163 offset0:41 offset1:42
	s_waitcnt vmcnt(15) lgkmcnt(3)
	v_mul_f32_e32 v116, v201, v116
	ds_read2_b32 v[206:207], v163 offset0:43 offset1:44
	s_waitcnt vmcnt(14) lgkmcnt(3)
	v_fma_f32 v117, -v116, v208, v117
	s_waitcnt vmcnt(12) lgkmcnt(2)
	v_pk_fma_f32 v[120:121], v[116:117], v[202:203], v[120:121] op_sel_hi:[0,1,1] neg_lo:[1,0,0] neg_hi:[1,0,0]
	s_waitcnt vmcnt(10) lgkmcnt(1)
	v_pk_fma_f32 v[146:147], v[116:117], v[204:205], v[146:147] op_sel_hi:[0,1,1] neg_lo:[1,0,0] neg_hi:[1,0,0]
	ds_read2_b32 v[202:203], v163 offset0:45 offset1:46
	ds_read2_b32 v[204:205], v163 offset0:47 offset1:48
	ds_read2_b32 v[208:209], v163 offset0:49 offset1:50
	ds_read2_b32 v[210:211], v163 offset0:51 offset1:52
	s_waitcnt vmcnt(8) lgkmcnt(4)
	v_pk_fma_f32 v[140:141], v[116:117], v[206:207], v[140:141] op_sel_hi:[0,1,1] neg_lo:[1,0,0] neg_hi:[1,0,0]
	s_waitcnt vmcnt(6) lgkmcnt(3)
	v_pk_fma_f32 v[142:143], v[116:117], v[202:203], v[142:143] op_sel_hi:[0,1,1] neg_lo:[1,0,0] neg_hi:[1,0,0]
	;; [unrolled: 2-line block ×5, first 2 shown]
.LBB105_209:
	s_or_b64 exec, exec, s[2:3]
	v_cmp_ne_u32_e32 vcc, 38, v25
	s_waitcnt lgkmcnt(0)
	s_barrier
	s_and_saveexec_b64 s[2:3], vcc
	s_xor_b64 s[2:3], exec, s[2:3]
	s_andn2_saveexec_b64 s[2:3], s[2:3]
	s_cbranch_execz .LBB105_213
; %bb.210:
	s_waitcnt vmcnt(14)
	ds_write_b32 v162, v117
	s_waitcnt vmcnt(12)
	ds_write2_b32 v163, v120, v121 offset0:39 offset1:40
	s_waitcnt vmcnt(10)
	ds_write2_b32 v163, v146, v147 offset0:41 offset1:42
	;; [unrolled: 2-line block ×7, first 2 shown]
	ds_read_b32 v202, v162
	s_waitcnt lgkmcnt(0)
	v_cmp_neq_f32_e32 vcc, 0, v202
	s_and_saveexec_b64 s[4:5], vcc
	s_cbranch_execz .LBB105_212
; %bb.211:
	v_div_scale_f32 v203, s[10:11], v202, v202, 1.0
	v_rcp_f32_e32 v204, v203
	v_div_scale_f32 v205, vcc, 1.0, v202, 1.0
	v_fma_f32 v206, -v203, v204, 1.0
	v_fmac_f32_e32 v204, v206, v204
	v_mul_f32_e32 v206, v205, v204
	v_fma_f32 v207, -v203, v206, v205
	v_fmac_f32_e32 v206, v207, v204
	v_fma_f32 v203, -v203, v206, v205
	v_div_fmas_f32 v203, v203, v204, v206
	v_div_fixup_f32 v202, v203, v202, 1.0
	ds_write_b32 v162, v202
.LBB105_212:
	s_or_b64 exec, exec, s[4:5]
.LBB105_213:
	s_or_b64 exec, exec, s[2:3]
	s_waitcnt lgkmcnt(0)
	s_barrier
	ds_read_b32 v202, v162
	v_cmp_lt_u32_e32 vcc, 38, v25
	s_and_saveexec_b64 s[2:3], vcc
	s_cbranch_execz .LBB105_215
; %bb.214:
	ds_read2_b32 v[204:205], v163 offset0:39 offset1:40
	ds_read2_b32 v[206:207], v163 offset0:41 offset1:42
	s_waitcnt vmcnt(14) lgkmcnt(2)
	v_mul_f32_e32 v208, v202, v117
	ds_read2_b32 v[210:211], v163 offset0:43 offset1:44
	ds_read2_b32 v[212:213], v163 offset0:45 offset1:46
	v_mov_b32_e32 v117, v208
	s_waitcnt vmcnt(12) lgkmcnt(3)
	v_pk_fma_f32 v[120:121], v[208:209], v[204:205], v[120:121] op_sel_hi:[0,1,1] neg_lo:[1,0,0] neg_hi:[1,0,0]
	s_waitcnt vmcnt(10) lgkmcnt(2)
	v_pk_fma_f32 v[146:147], v[208:209], v[206:207], v[146:147] op_sel_hi:[0,1,1] neg_lo:[1,0,0] neg_hi:[1,0,0]
	ds_read2_b32 v[204:205], v163 offset0:47 offset1:48
	ds_read2_b32 v[206:207], v163 offset0:49 offset1:50
	;; [unrolled: 1-line block ×3, first 2 shown]
	s_waitcnt vmcnt(8) lgkmcnt(4)
	v_pk_fma_f32 v[140:141], v[208:209], v[210:211], v[140:141] op_sel_hi:[0,1,1] neg_lo:[1,0,0] neg_hi:[1,0,0]
	s_waitcnt vmcnt(6) lgkmcnt(3)
	v_pk_fma_f32 v[142:143], v[208:209], v[212:213], v[142:143] op_sel_hi:[0,1,1] neg_lo:[1,0,0] neg_hi:[1,0,0]
	;; [unrolled: 2-line block ×5, first 2 shown]
.LBB105_215:
	s_or_b64 exec, exec, s[2:3]
	v_cmp_eq_u32_e32 vcc, 39, v25
	s_waitcnt lgkmcnt(0)
	s_barrier
	s_and_saveexec_b64 s[2:3], vcc
	s_cbranch_execz .LBB105_218
; %bb.216:
	s_waitcnt vmcnt(10)
	v_pk_mov_b32 v[204:205], v[120:121], v[146:147] op_sel:[1,0]
	ds_write_b32 v162, v120
	ds_write2_b32 v163, v204, v205 offset0:40 offset1:41
	s_waitcnt vmcnt(8)
	v_pk_mov_b32 v[204:205], v[146:147], v[140:141] op_sel:[1,0]
	ds_write2_b32 v163, v204, v205 offset0:42 offset1:43
	s_waitcnt vmcnt(6)
	v_pk_mov_b32 v[204:205], v[140:141], v[142:143] op_sel:[1,0]
	;; [unrolled: 3-line block ×5, first 2 shown]
	ds_write2_b32 v163, v204, v205 offset0:50 offset1:51
	ds_write_b32 v163, v161 offset:208
	ds_read_b32 v203, v162
	s_waitcnt lgkmcnt(0)
	v_cmp_neq_f32_e32 vcc, 0, v203
	s_and_b64 exec, exec, vcc
	s_cbranch_execz .LBB105_218
; %bb.217:
	v_div_scale_f32 v204, s[4:5], v203, v203, 1.0
	v_rcp_f32_e32 v205, v204
	v_div_scale_f32 v206, vcc, 1.0, v203, 1.0
	v_fma_f32 v207, -v204, v205, 1.0
	v_fmac_f32_e32 v205, v207, v205
	v_mul_f32_e32 v207, v206, v205
	v_fma_f32 v208, -v204, v207, v206
	v_fmac_f32_e32 v207, v208, v205
	v_fma_f32 v204, -v204, v207, v206
	v_div_fmas_f32 v204, v204, v205, v207
	v_div_fixup_f32 v203, v204, v203, 1.0
	ds_write_b32 v162, v203
.LBB105_218:
	s_or_b64 exec, exec, s[2:3]
	s_waitcnt lgkmcnt(0)
	s_barrier
	ds_read_b32 v203, v162
	v_cmp_lt_u32_e32 vcc, 39, v25
	s_and_saveexec_b64 s[2:3], vcc
	s_cbranch_execz .LBB105_220
; %bb.219:
	ds_read_b32 v210, v163 offset:160
	ds_read2_b32 v[204:205], v163 offset0:41 offset1:42
	s_waitcnt vmcnt(13) lgkmcnt(2)
	v_mul_f32_e32 v120, v203, v120
	ds_read2_b32 v[206:207], v163 offset0:43 offset1:44
	ds_read2_b32 v[208:209], v163 offset0:45 offset1:46
	s_waitcnt vmcnt(12) lgkmcnt(3)
	v_fma_f32 v121, -v120, v210, v121
	s_waitcnt vmcnt(10) lgkmcnt(2)
	v_pk_fma_f32 v[146:147], v[120:121], v[204:205], v[146:147] op_sel_hi:[0,1,1] neg_lo:[1,0,0] neg_hi:[1,0,0]
	ds_read2_b32 v[204:205], v163 offset0:47 offset1:48
	ds_read2_b32 v[210:211], v163 offset0:49 offset1:50
	;; [unrolled: 1-line block ×3, first 2 shown]
	s_waitcnt vmcnt(8) lgkmcnt(4)
	v_pk_fma_f32 v[140:141], v[120:121], v[206:207], v[140:141] op_sel_hi:[0,1,1] neg_lo:[1,0,0] neg_hi:[1,0,0]
	s_waitcnt vmcnt(6) lgkmcnt(3)
	v_pk_fma_f32 v[142:143], v[120:121], v[208:209], v[142:143] op_sel_hi:[0,1,1] neg_lo:[1,0,0] neg_hi:[1,0,0]
	;; [unrolled: 2-line block ×5, first 2 shown]
.LBB105_220:
	s_or_b64 exec, exec, s[2:3]
	v_cmp_ne_u32_e32 vcc, 40, v25
	s_waitcnt lgkmcnt(0)
	s_barrier
	s_and_saveexec_b64 s[2:3], vcc
	s_xor_b64 s[2:3], exec, s[2:3]
	s_andn2_saveexec_b64 s[2:3], s[2:3]
	s_cbranch_execz .LBB105_224
; %bb.221:
	s_waitcnt vmcnt(12)
	ds_write_b32 v162, v121
	s_waitcnt vmcnt(10)
	ds_write2_b32 v163, v146, v147 offset0:41 offset1:42
	s_waitcnt vmcnt(8)
	ds_write2_b32 v163, v140, v141 offset0:43 offset1:44
	;; [unrolled: 2-line block ×6, first 2 shown]
	ds_read_b32 v204, v162
	s_waitcnt lgkmcnt(0)
	v_cmp_neq_f32_e32 vcc, 0, v204
	s_and_saveexec_b64 s[4:5], vcc
	s_cbranch_execz .LBB105_223
; %bb.222:
	v_div_scale_f32 v205, s[10:11], v204, v204, 1.0
	v_rcp_f32_e32 v206, v205
	v_div_scale_f32 v207, vcc, 1.0, v204, 1.0
	v_fma_f32 v208, -v205, v206, 1.0
	v_fmac_f32_e32 v206, v208, v206
	v_mul_f32_e32 v208, v207, v206
	v_fma_f32 v209, -v205, v208, v207
	v_fmac_f32_e32 v208, v209, v206
	v_fma_f32 v205, -v205, v208, v207
	v_div_fmas_f32 v205, v205, v206, v208
	v_div_fixup_f32 v204, v205, v204, 1.0
	ds_write_b32 v162, v204
.LBB105_223:
	s_or_b64 exec, exec, s[4:5]
.LBB105_224:
	s_or_b64 exec, exec, s[2:3]
	s_waitcnt lgkmcnt(0)
	s_barrier
	ds_read_b32 v204, v162
	v_cmp_lt_u32_e32 vcc, 40, v25
	s_and_saveexec_b64 s[2:3], vcc
	s_cbranch_execz .LBB105_226
; %bb.225:
	ds_read2_b32 v[206:207], v163 offset0:41 offset1:42
	s_waitcnt vmcnt(12) lgkmcnt(1)
	v_mul_f32_e32 v208, v204, v121
	ds_read2_b32 v[210:211], v163 offset0:43 offset1:44
	ds_read2_b32 v[212:213], v163 offset0:45 offset1:46
	;; [unrolled: 1-line block ×3, first 2 shown]
	v_mov_b32_e32 v121, v208
	s_waitcnt vmcnt(8) lgkmcnt(2)
	v_pk_fma_f32 v[140:141], v[208:209], v[210:211], v[140:141] op_sel_hi:[0,1,1] neg_lo:[1,0,0] neg_hi:[1,0,0]
	v_pk_fma_f32 v[146:147], v[208:209], v[206:207], v[146:147] op_sel_hi:[0,1,1] neg_lo:[1,0,0] neg_hi:[1,0,0]
	ds_read2_b32 v[206:207], v163 offset0:49 offset1:50
	ds_read2_b32 v[216:217], v163 offset0:51 offset1:52
	s_waitcnt vmcnt(6) lgkmcnt(3)
	v_pk_fma_f32 v[142:143], v[208:209], v[212:213], v[142:143] op_sel_hi:[0,1,1] neg_lo:[1,0,0] neg_hi:[1,0,0]
	s_waitcnt vmcnt(4) lgkmcnt(2)
	v_pk_fma_f32 v[144:145], v[208:209], v[214:215], v[144:145] op_sel_hi:[0,1,1] neg_lo:[1,0,0] neg_hi:[1,0,0]
	;; [unrolled: 2-line block ×4, first 2 shown]
.LBB105_226:
	s_or_b64 exec, exec, s[2:3]
	v_cmp_eq_u32_e32 vcc, 41, v25
	s_waitcnt lgkmcnt(0)
	s_barrier
	s_and_saveexec_b64 s[2:3], vcc
	s_cbranch_execz .LBB105_229
; %bb.227:
	s_waitcnt vmcnt(8)
	v_pk_mov_b32 v[206:207], v[146:147], v[140:141] op_sel:[1,0]
	ds_write_b32 v162, v146
	ds_write2_b32 v163, v206, v207 offset0:42 offset1:43
	s_waitcnt vmcnt(6)
	v_pk_mov_b32 v[206:207], v[140:141], v[142:143] op_sel:[1,0]
	ds_write2_b32 v163, v206, v207 offset0:44 offset1:45
	s_waitcnt vmcnt(4)
	v_pk_mov_b32 v[206:207], v[142:143], v[144:145] op_sel:[1,0]
	;; [unrolled: 3-line block ×4, first 2 shown]
	ds_write2_b32 v163, v206, v207 offset0:50 offset1:51
	ds_write_b32 v163, v161 offset:208
	ds_read_b32 v205, v162
	s_waitcnt lgkmcnt(0)
	v_cmp_neq_f32_e32 vcc, 0, v205
	s_and_b64 exec, exec, vcc
	s_cbranch_execz .LBB105_229
; %bb.228:
	v_div_scale_f32 v206, s[4:5], v205, v205, 1.0
	v_rcp_f32_e32 v207, v206
	v_div_scale_f32 v208, vcc, 1.0, v205, 1.0
	v_fma_f32 v209, -v206, v207, 1.0
	v_fmac_f32_e32 v207, v209, v207
	v_mul_f32_e32 v209, v208, v207
	v_fma_f32 v210, -v206, v209, v208
	v_fmac_f32_e32 v209, v210, v207
	v_fma_f32 v206, -v206, v209, v208
	v_div_fmas_f32 v206, v206, v207, v209
	v_div_fixup_f32 v205, v206, v205, 1.0
	ds_write_b32 v162, v205
.LBB105_229:
	s_or_b64 exec, exec, s[2:3]
	s_waitcnt lgkmcnt(0)
	s_barrier
	ds_read_b32 v205, v162
	v_cmp_lt_u32_e32 vcc, 41, v25
	s_and_saveexec_b64 s[2:3], vcc
	s_cbranch_execz .LBB105_231
; %bb.230:
	ds_read_b32 v212, v163 offset:168
	s_waitcnt vmcnt(11) lgkmcnt(1)
	v_mul_f32_e32 v146, v205, v146
	ds_read2_b32 v[206:207], v163 offset0:43 offset1:44
	ds_read2_b32 v[208:209], v163 offset0:45 offset1:46
	;; [unrolled: 1-line block ×3, first 2 shown]
	s_waitcnt vmcnt(10) lgkmcnt(3)
	v_fma_f32 v147, -v146, v212, v147
	ds_read2_b32 v[212:213], v163 offset0:49 offset1:50
	ds_read2_b32 v[214:215], v163 offset0:51 offset1:52
	s_waitcnt vmcnt(8) lgkmcnt(4)
	v_pk_fma_f32 v[140:141], v[146:147], v[206:207], v[140:141] op_sel_hi:[0,1,1] neg_lo:[1,0,0] neg_hi:[1,0,0]
	s_waitcnt vmcnt(6) lgkmcnt(3)
	v_pk_fma_f32 v[142:143], v[146:147], v[208:209], v[142:143] op_sel_hi:[0,1,1] neg_lo:[1,0,0] neg_hi:[1,0,0]
	;; [unrolled: 2-line block ×5, first 2 shown]
.LBB105_231:
	s_or_b64 exec, exec, s[2:3]
	v_cmp_ne_u32_e32 vcc, 42, v25
	s_waitcnt lgkmcnt(0)
	s_barrier
	s_and_saveexec_b64 s[2:3], vcc
	s_xor_b64 s[2:3], exec, s[2:3]
	s_andn2_saveexec_b64 s[2:3], s[2:3]
	s_cbranch_execz .LBB105_235
; %bb.232:
	s_waitcnt vmcnt(10)
	ds_write_b32 v162, v147
	s_waitcnt vmcnt(8)
	ds_write2_b32 v163, v140, v141 offset0:43 offset1:44
	s_waitcnt vmcnt(6)
	ds_write2_b32 v163, v142, v143 offset0:45 offset1:46
	;; [unrolled: 2-line block ×5, first 2 shown]
	ds_read_b32 v206, v162
	s_waitcnt lgkmcnt(0)
	v_cmp_neq_f32_e32 vcc, 0, v206
	s_and_saveexec_b64 s[4:5], vcc
	s_cbranch_execz .LBB105_234
; %bb.233:
	v_div_scale_f32 v207, s[10:11], v206, v206, 1.0
	v_rcp_f32_e32 v208, v207
	v_div_scale_f32 v209, vcc, 1.0, v206, 1.0
	v_fma_f32 v210, -v207, v208, 1.0
	v_fmac_f32_e32 v208, v210, v208
	v_mul_f32_e32 v210, v209, v208
	v_fma_f32 v211, -v207, v210, v209
	v_fmac_f32_e32 v210, v211, v208
	v_fma_f32 v207, -v207, v210, v209
	v_div_fmas_f32 v207, v207, v208, v210
	v_div_fixup_f32 v206, v207, v206, 1.0
	ds_write_b32 v162, v206
.LBB105_234:
	s_or_b64 exec, exec, s[4:5]
.LBB105_235:
	s_or_b64 exec, exec, s[2:3]
	s_waitcnt lgkmcnt(0)
	s_barrier
	ds_read_b32 v206, v162
	v_cmp_lt_u32_e32 vcc, 42, v25
	s_and_saveexec_b64 s[2:3], vcc
	s_cbranch_execz .LBB105_237
; %bb.236:
	ds_read2_b32 v[210:211], v163 offset0:43 offset1:44
	ds_read2_b32 v[212:213], v163 offset0:45 offset1:46
	;; [unrolled: 1-line block ×5, first 2 shown]
	s_waitcnt vmcnt(10) lgkmcnt(5)
	v_mul_f32_e32 v208, v206, v147
	s_waitcnt vmcnt(8) lgkmcnt(4)
	v_pk_fma_f32 v[140:141], v[208:209], v[210:211], v[140:141] op_sel_hi:[0,1,1] neg_lo:[1,0,0] neg_hi:[1,0,0]
	s_waitcnt vmcnt(6) lgkmcnt(3)
	v_pk_fma_f32 v[142:143], v[208:209], v[212:213], v[142:143] op_sel_hi:[0,1,1] neg_lo:[1,0,0] neg_hi:[1,0,0]
	;; [unrolled: 2-line block ×5, first 2 shown]
	v_mov_b32_e32 v147, v208
.LBB105_237:
	s_or_b64 exec, exec, s[2:3]
	v_cmp_eq_u32_e32 vcc, 43, v25
	s_waitcnt lgkmcnt(0)
	s_barrier
	s_and_saveexec_b64 s[2:3], vcc
	s_cbranch_execz .LBB105_240
; %bb.238:
	s_waitcnt vmcnt(6)
	v_pk_mov_b32 v[208:209], v[140:141], v[142:143] op_sel:[1,0]
	ds_write_b32 v162, v140
	ds_write2_b32 v163, v208, v209 offset0:44 offset1:45
	s_waitcnt vmcnt(4)
	v_pk_mov_b32 v[208:209], v[142:143], v[144:145] op_sel:[1,0]
	ds_write2_b32 v163, v208, v209 offset0:46 offset1:47
	s_waitcnt vmcnt(2)
	v_pk_mov_b32 v[208:209], v[144:145], v[158:159] op_sel:[1,0]
	;; [unrolled: 3-line block ×3, first 2 shown]
	ds_write2_b32 v163, v208, v209 offset0:50 offset1:51
	ds_write_b32 v163, v161 offset:208
	ds_read_b32 v207, v162
	s_waitcnt lgkmcnt(0)
	v_cmp_neq_f32_e32 vcc, 0, v207
	s_and_b64 exec, exec, vcc
	s_cbranch_execz .LBB105_240
; %bb.239:
	v_div_scale_f32 v208, s[4:5], v207, v207, 1.0
	v_rcp_f32_e32 v209, v208
	v_div_scale_f32 v210, vcc, 1.0, v207, 1.0
	v_fma_f32 v211, -v208, v209, 1.0
	v_fmac_f32_e32 v209, v211, v209
	v_mul_f32_e32 v211, v210, v209
	v_fma_f32 v212, -v208, v211, v210
	v_fmac_f32_e32 v211, v212, v209
	v_fma_f32 v208, -v208, v211, v210
	v_div_fmas_f32 v208, v208, v209, v211
	v_div_fixup_f32 v207, v208, v207, 1.0
	ds_write_b32 v162, v207
.LBB105_240:
	s_or_b64 exec, exec, s[2:3]
	s_waitcnt lgkmcnt(0)
	s_barrier
	ds_read_b32 v207, v162
	v_cmp_lt_u32_e32 vcc, 43, v25
	s_and_saveexec_b64 s[2:3], vcc
	s_cbranch_execz .LBB105_242
; %bb.241:
	ds_read_b32 v216, v163 offset:176
	ds_read2_b32 v[208:209], v163 offset0:45 offset1:46
	ds_read2_b32 v[210:211], v163 offset0:47 offset1:48
	;; [unrolled: 1-line block ×4, first 2 shown]
	s_waitcnt vmcnt(9) lgkmcnt(5)
	v_mul_f32_e32 v140, v207, v140
	s_waitcnt vmcnt(8) lgkmcnt(4)
	v_fma_f32 v141, -v140, v216, v141
	s_waitcnt vmcnt(6) lgkmcnt(3)
	v_pk_fma_f32 v[142:143], v[140:141], v[208:209], v[142:143] op_sel_hi:[0,1,1] neg_lo:[1,0,0] neg_hi:[1,0,0]
	s_waitcnt vmcnt(4) lgkmcnt(2)
	v_pk_fma_f32 v[144:145], v[140:141], v[210:211], v[144:145] op_sel_hi:[0,1,1] neg_lo:[1,0,0] neg_hi:[1,0,0]
	;; [unrolled: 2-line block ×4, first 2 shown]
.LBB105_242:
	s_or_b64 exec, exec, s[2:3]
	v_cmp_ne_u32_e32 vcc, 44, v25
	s_waitcnt lgkmcnt(0)
	s_barrier
	s_and_saveexec_b64 s[2:3], vcc
	s_xor_b64 s[2:3], exec, s[2:3]
	s_andn2_saveexec_b64 s[2:3], s[2:3]
	s_cbranch_execz .LBB105_246
; %bb.243:
	s_waitcnt vmcnt(8)
	ds_write_b32 v162, v141
	s_waitcnt vmcnt(6)
	ds_write2_b32 v163, v142, v143 offset0:45 offset1:46
	s_waitcnt vmcnt(4)
	ds_write2_b32 v163, v144, v145 offset0:47 offset1:48
	;; [unrolled: 2-line block ×4, first 2 shown]
	ds_read_b32 v208, v162
	s_waitcnt lgkmcnt(0)
	v_cmp_neq_f32_e32 vcc, 0, v208
	s_and_saveexec_b64 s[4:5], vcc
	s_cbranch_execz .LBB105_245
; %bb.244:
	v_div_scale_f32 v209, s[10:11], v208, v208, 1.0
	v_rcp_f32_e32 v210, v209
	v_div_scale_f32 v211, vcc, 1.0, v208, 1.0
	v_fma_f32 v212, -v209, v210, 1.0
	v_fmac_f32_e32 v210, v212, v210
	v_mul_f32_e32 v212, v211, v210
	v_fma_f32 v213, -v209, v212, v211
	v_fmac_f32_e32 v212, v213, v210
	v_fma_f32 v209, -v209, v212, v211
	v_div_fmas_f32 v209, v209, v210, v212
	v_div_fixup_f32 v208, v209, v208, 1.0
	ds_write_b32 v162, v208
.LBB105_245:
	s_or_b64 exec, exec, s[4:5]
.LBB105_246:
	s_or_b64 exec, exec, s[2:3]
	s_waitcnt lgkmcnt(0)
	s_barrier
	ds_read_b32 v208, v162
	v_cmp_lt_u32_e32 vcc, 44, v25
	s_and_saveexec_b64 s[2:3], vcc
	s_cbranch_execz .LBB105_248
; %bb.247:
	ds_read2_b32 v[210:211], v163 offset0:45 offset1:46
	ds_read2_b32 v[212:213], v163 offset0:47 offset1:48
	;; [unrolled: 1-line block ×4, first 2 shown]
	s_waitcnt vmcnt(8) lgkmcnt(4)
	v_mul_f32_e32 v218, v208, v141
	s_waitcnt vmcnt(6) lgkmcnt(3)
	v_pk_fma_f32 v[142:143], v[218:219], v[210:211], v[142:143] op_sel_hi:[0,1,1] neg_lo:[1,0,0] neg_hi:[1,0,0]
	s_waitcnt vmcnt(4) lgkmcnt(2)
	v_pk_fma_f32 v[144:145], v[218:219], v[212:213], v[144:145] op_sel_hi:[0,1,1] neg_lo:[1,0,0] neg_hi:[1,0,0]
	;; [unrolled: 2-line block ×4, first 2 shown]
	v_mov_b32_e32 v141, v218
.LBB105_248:
	s_or_b64 exec, exec, s[2:3]
	v_cmp_eq_u32_e32 vcc, 45, v25
	s_waitcnt lgkmcnt(0)
	s_barrier
	s_and_saveexec_b64 s[2:3], vcc
	s_cbranch_execz .LBB105_251
; %bb.249:
	s_waitcnt vmcnt(4)
	v_pk_mov_b32 v[210:211], v[142:143], v[144:145] op_sel:[1,0]
	ds_write_b32 v162, v142
	ds_write2_b32 v163, v210, v211 offset0:46 offset1:47
	s_waitcnt vmcnt(2)
	v_pk_mov_b32 v[210:211], v[144:145], v[158:159] op_sel:[1,0]
	ds_write2_b32 v163, v210, v211 offset0:48 offset1:49
	s_waitcnt vmcnt(0)
	v_pk_mov_b32 v[210:211], v[158:159], v[160:161] op_sel:[1,0]
	ds_write2_b32 v163, v210, v211 offset0:50 offset1:51
	ds_write_b32 v163, v161 offset:208
	ds_read_b32 v209, v162
	s_waitcnt lgkmcnt(0)
	v_cmp_neq_f32_e32 vcc, 0, v209
	s_and_b64 exec, exec, vcc
	s_cbranch_execz .LBB105_251
; %bb.250:
	v_div_scale_f32 v210, s[4:5], v209, v209, 1.0
	v_rcp_f32_e32 v211, v210
	v_div_scale_f32 v212, vcc, 1.0, v209, 1.0
	v_fma_f32 v213, -v210, v211, 1.0
	v_fmac_f32_e32 v211, v213, v211
	v_mul_f32_e32 v213, v212, v211
	v_fma_f32 v214, -v210, v213, v212
	v_fmac_f32_e32 v213, v214, v211
	v_fma_f32 v210, -v210, v213, v212
	v_div_fmas_f32 v210, v210, v211, v213
	v_div_fixup_f32 v209, v210, v209, 1.0
	ds_write_b32 v162, v209
.LBB105_251:
	s_or_b64 exec, exec, s[2:3]
	s_waitcnt lgkmcnt(0)
	s_barrier
	ds_read_b32 v209, v162
	v_cmp_lt_u32_e32 vcc, 45, v25
	s_and_saveexec_b64 s[2:3], vcc
	s_cbranch_execz .LBB105_253
; %bb.252:
	ds_read_b32 v216, v163 offset:184
	ds_read2_b32 v[210:211], v163 offset0:47 offset1:48
	ds_read2_b32 v[212:213], v163 offset0:49 offset1:50
	;; [unrolled: 1-line block ×3, first 2 shown]
	s_waitcnt vmcnt(7) lgkmcnt(4)
	v_mul_f32_e32 v142, v209, v142
	s_waitcnt vmcnt(6) lgkmcnt(3)
	v_fma_f32 v143, -v142, v216, v143
	s_waitcnt vmcnt(4) lgkmcnt(2)
	v_pk_fma_f32 v[144:145], v[142:143], v[210:211], v[144:145] op_sel_hi:[0,1,1] neg_lo:[1,0,0] neg_hi:[1,0,0]
	s_waitcnt vmcnt(2) lgkmcnt(1)
	v_pk_fma_f32 v[158:159], v[142:143], v[212:213], v[158:159] op_sel_hi:[0,1,1] neg_lo:[1,0,0] neg_hi:[1,0,0]
	;; [unrolled: 2-line block ×3, first 2 shown]
.LBB105_253:
	s_or_b64 exec, exec, s[2:3]
	v_cmp_ne_u32_e32 vcc, 46, v25
	s_waitcnt lgkmcnt(0)
	s_barrier
	s_and_saveexec_b64 s[2:3], vcc
	s_xor_b64 s[2:3], exec, s[2:3]
	s_andn2_saveexec_b64 s[2:3], s[2:3]
	s_cbranch_execz .LBB105_257
; %bb.254:
	s_waitcnt vmcnt(6)
	ds_write_b32 v162, v143
	s_waitcnt vmcnt(4)
	ds_write2_b32 v163, v144, v145 offset0:47 offset1:48
	s_waitcnt vmcnt(2)
	ds_write2_b32 v163, v158, v159 offset0:49 offset1:50
	;; [unrolled: 2-line block ×3, first 2 shown]
	ds_read_b32 v210, v162
	s_waitcnt lgkmcnt(0)
	v_cmp_neq_f32_e32 vcc, 0, v210
	s_and_saveexec_b64 s[4:5], vcc
	s_cbranch_execz .LBB105_256
; %bb.255:
	v_div_scale_f32 v211, s[10:11], v210, v210, 1.0
	v_rcp_f32_e32 v212, v211
	v_div_scale_f32 v213, vcc, 1.0, v210, 1.0
	v_fma_f32 v214, -v211, v212, 1.0
	v_fmac_f32_e32 v212, v214, v212
	v_mul_f32_e32 v214, v213, v212
	v_fma_f32 v215, -v211, v214, v213
	v_fmac_f32_e32 v214, v215, v212
	v_fma_f32 v211, -v211, v214, v213
	v_div_fmas_f32 v211, v211, v212, v214
	v_div_fixup_f32 v210, v211, v210, 1.0
	ds_write_b32 v162, v210
.LBB105_256:
	s_or_b64 exec, exec, s[4:5]
.LBB105_257:
	s_or_b64 exec, exec, s[2:3]
	s_waitcnt lgkmcnt(0)
	s_barrier
	ds_read_b32 v210, v162
	v_cmp_lt_u32_e32 vcc, 46, v25
	s_and_saveexec_b64 s[2:3], vcc
	s_cbranch_execz .LBB105_259
; %bb.258:
	ds_read2_b32 v[212:213], v163 offset0:47 offset1:48
	ds_read2_b32 v[214:215], v163 offset0:49 offset1:50
	;; [unrolled: 1-line block ×3, first 2 shown]
	s_waitcnt vmcnt(6) lgkmcnt(3)
	v_mul_f32_e32 v218, v210, v143
	v_mov_b32_e32 v143, v218
	s_waitcnt vmcnt(4) lgkmcnt(2)
	v_pk_fma_f32 v[144:145], v[218:219], v[212:213], v[144:145] op_sel_hi:[0,1,1] neg_lo:[1,0,0] neg_hi:[1,0,0]
	s_waitcnt vmcnt(2) lgkmcnt(1)
	v_pk_fma_f32 v[158:159], v[218:219], v[214:215], v[158:159] op_sel_hi:[0,1,1] neg_lo:[1,0,0] neg_hi:[1,0,0]
	;; [unrolled: 2-line block ×3, first 2 shown]
.LBB105_259:
	s_or_b64 exec, exec, s[2:3]
	v_cmp_eq_u32_e32 vcc, 47, v25
	s_waitcnt lgkmcnt(0)
	s_barrier
	s_and_saveexec_b64 s[2:3], vcc
	s_cbranch_execz .LBB105_262
; %bb.260:
	s_waitcnt vmcnt(2)
	v_pk_mov_b32 v[212:213], v[144:145], v[158:159] op_sel:[1,0]
	ds_write_b32 v162, v144
	ds_write2_b32 v163, v212, v213 offset0:48 offset1:49
	s_waitcnt vmcnt(0)
	v_pk_mov_b32 v[212:213], v[158:159], v[160:161] op_sel:[1,0]
	ds_write2_b32 v163, v212, v213 offset0:50 offset1:51
	ds_write_b32 v163, v161 offset:208
	ds_read_b32 v211, v162
	s_waitcnt lgkmcnt(0)
	v_cmp_neq_f32_e32 vcc, 0, v211
	s_and_b64 exec, exec, vcc
	s_cbranch_execz .LBB105_262
; %bb.261:
	v_div_scale_f32 v212, s[4:5], v211, v211, 1.0
	v_rcp_f32_e32 v213, v212
	v_div_scale_f32 v214, vcc, 1.0, v211, 1.0
	v_fma_f32 v215, -v212, v213, 1.0
	v_fmac_f32_e32 v213, v215, v213
	v_mul_f32_e32 v215, v214, v213
	v_fma_f32 v216, -v212, v215, v214
	v_fmac_f32_e32 v215, v216, v213
	v_fma_f32 v212, -v212, v215, v214
	v_div_fmas_f32 v212, v212, v213, v215
	v_div_fixup_f32 v211, v212, v211, 1.0
	ds_write_b32 v162, v211
.LBB105_262:
	s_or_b64 exec, exec, s[2:3]
	s_waitcnt lgkmcnt(0)
	s_barrier
	ds_read_b32 v211, v162
	v_cmp_lt_u32_e32 vcc, 47, v25
	s_and_saveexec_b64 s[2:3], vcc
	s_cbranch_execz .LBB105_264
; %bb.263:
	ds_read_b32 v216, v163 offset:192
	ds_read2_b32 v[212:213], v163 offset0:49 offset1:50
	ds_read2_b32 v[214:215], v163 offset0:51 offset1:52
	s_waitcnt vmcnt(5) lgkmcnt(3)
	v_mul_f32_e32 v144, v211, v144
	s_waitcnt vmcnt(4) lgkmcnt(2)
	v_fma_f32 v145, -v144, v216, v145
	s_waitcnt vmcnt(2) lgkmcnt(1)
	v_pk_fma_f32 v[158:159], v[144:145], v[212:213], v[158:159] op_sel_hi:[0,1,1] neg_lo:[1,0,0] neg_hi:[1,0,0]
	s_waitcnt vmcnt(0) lgkmcnt(0)
	v_pk_fma_f32 v[160:161], v[144:145], v[214:215], v[160:161] op_sel_hi:[0,1,1] neg_lo:[1,0,0] neg_hi:[1,0,0]
.LBB105_264:
	s_or_b64 exec, exec, s[2:3]
	v_cmp_ne_u32_e32 vcc, 48, v25
	s_waitcnt lgkmcnt(0)
	s_barrier
	s_and_saveexec_b64 s[2:3], vcc
	s_xor_b64 s[2:3], exec, s[2:3]
	s_andn2_saveexec_b64 s[2:3], s[2:3]
	s_cbranch_execz .LBB105_268
; %bb.265:
	s_waitcnt vmcnt(4)
	ds_write_b32 v162, v145
	s_waitcnt vmcnt(2)
	ds_write2_b32 v163, v158, v159 offset0:49 offset1:50
	s_waitcnt vmcnt(0)
	ds_write2_b32 v163, v160, v161 offset0:51 offset1:52
	ds_read_b32 v212, v162
	s_waitcnt lgkmcnt(0)
	v_cmp_neq_f32_e32 vcc, 0, v212
	s_and_saveexec_b64 s[4:5], vcc
	s_cbranch_execz .LBB105_267
; %bb.266:
	v_div_scale_f32 v213, s[10:11], v212, v212, 1.0
	v_rcp_f32_e32 v214, v213
	v_div_scale_f32 v215, vcc, 1.0, v212, 1.0
	v_fma_f32 v216, -v213, v214, 1.0
	v_fmac_f32_e32 v214, v216, v214
	v_mul_f32_e32 v216, v215, v214
	v_fma_f32 v217, -v213, v216, v215
	v_fmac_f32_e32 v216, v217, v214
	v_fma_f32 v213, -v213, v216, v215
	v_div_fmas_f32 v213, v213, v214, v216
	v_div_fixup_f32 v212, v213, v212, 1.0
	ds_write_b32 v162, v212
.LBB105_267:
	s_or_b64 exec, exec, s[4:5]
.LBB105_268:
	s_or_b64 exec, exec, s[2:3]
	s_waitcnt lgkmcnt(0)
	s_barrier
	ds_read_b32 v212, v162
	v_cmp_lt_u32_e32 vcc, 48, v25
	s_and_saveexec_b64 s[2:3], vcc
	s_cbranch_execz .LBB105_270
; %bb.269:
	ds_read2_b32 v[214:215], v163 offset0:49 offset1:50
	ds_read2_b32 v[216:217], v163 offset0:51 offset1:52
	s_waitcnt vmcnt(4) lgkmcnt(2)
	v_mul_f32_e32 v218, v212, v145
	v_mov_b32_e32 v145, v218
	s_waitcnt vmcnt(2) lgkmcnt(1)
	v_pk_fma_f32 v[158:159], v[218:219], v[214:215], v[158:159] op_sel_hi:[0,1,1] neg_lo:[1,0,0] neg_hi:[1,0,0]
	s_waitcnt vmcnt(0) lgkmcnt(0)
	v_pk_fma_f32 v[160:161], v[218:219], v[216:217], v[160:161] op_sel_hi:[0,1,1] neg_lo:[1,0,0] neg_hi:[1,0,0]
.LBB105_270:
	s_or_b64 exec, exec, s[2:3]
	v_cmp_eq_u32_e32 vcc, 49, v25
	s_waitcnt lgkmcnt(0)
	s_barrier
	s_and_saveexec_b64 s[2:3], vcc
	s_cbranch_execz .LBB105_273
; %bb.271:
	s_waitcnt vmcnt(0)
	v_pk_mov_b32 v[214:215], v[158:159], v[160:161] op_sel:[1,0]
	ds_write_b32 v162, v158
	ds_write2_b32 v163, v214, v215 offset0:50 offset1:51
	ds_write_b32 v163, v161 offset:208
	ds_read_b32 v213, v162
	s_waitcnt lgkmcnt(0)
	v_cmp_neq_f32_e32 vcc, 0, v213
	s_and_b64 exec, exec, vcc
	s_cbranch_execz .LBB105_273
; %bb.272:
	v_div_scale_f32 v214, s[4:5], v213, v213, 1.0
	v_rcp_f32_e32 v215, v214
	v_div_scale_f32 v216, vcc, 1.0, v213, 1.0
	v_fma_f32 v217, -v214, v215, 1.0
	v_fmac_f32_e32 v215, v217, v215
	v_mul_f32_e32 v217, v216, v215
	v_fma_f32 v218, -v214, v217, v216
	v_fmac_f32_e32 v217, v218, v215
	v_fma_f32 v214, -v214, v217, v216
	v_div_fmas_f32 v214, v214, v215, v217
	v_div_fixup_f32 v213, v214, v213, 1.0
	ds_write_b32 v162, v213
.LBB105_273:
	s_or_b64 exec, exec, s[2:3]
	s_waitcnt lgkmcnt(0)
	s_barrier
	ds_read_b32 v213, v162
	v_cmp_lt_u32_e32 vcc, 49, v25
	s_and_saveexec_b64 s[2:3], vcc
	s_cbranch_execz .LBB105_275
; %bb.274:
	ds_read_b32 v216, v163 offset:200
	ds_read2_b32 v[214:215], v163 offset0:51 offset1:52
	s_waitcnt vmcnt(3) lgkmcnt(2)
	v_mul_f32_e32 v158, v213, v158
	s_waitcnt vmcnt(2) lgkmcnt(1)
	v_fma_f32 v159, -v158, v216, v159
	s_waitcnt vmcnt(0) lgkmcnt(0)
	v_pk_fma_f32 v[160:161], v[158:159], v[214:215], v[160:161] op_sel_hi:[0,1,1] neg_lo:[1,0,0] neg_hi:[1,0,0]
.LBB105_275:
	s_or_b64 exec, exec, s[2:3]
	v_cmp_ne_u32_e32 vcc, 50, v25
	s_waitcnt lgkmcnt(0)
	s_barrier
	s_and_saveexec_b64 s[2:3], vcc
	s_xor_b64 s[2:3], exec, s[2:3]
	s_andn2_saveexec_b64 s[2:3], s[2:3]
	s_cbranch_execz .LBB105_279
; %bb.276:
	s_waitcnt vmcnt(2)
	ds_write_b32 v162, v159
	s_waitcnt vmcnt(0)
	ds_write2_b32 v163, v160, v161 offset0:51 offset1:52
	ds_read_b32 v214, v162
	s_waitcnt lgkmcnt(0)
	v_cmp_neq_f32_e32 vcc, 0, v214
	s_and_saveexec_b64 s[4:5], vcc
	s_cbranch_execz .LBB105_278
; %bb.277:
	v_div_scale_f32 v215, s[10:11], v214, v214, 1.0
	v_rcp_f32_e32 v216, v215
	v_div_scale_f32 v217, vcc, 1.0, v214, 1.0
	v_fma_f32 v218, -v215, v216, 1.0
	v_fmac_f32_e32 v216, v218, v216
	v_mul_f32_e32 v218, v217, v216
	v_fma_f32 v219, -v215, v218, v217
	v_fmac_f32_e32 v218, v219, v216
	v_fma_f32 v215, -v215, v218, v217
	v_div_fmas_f32 v215, v215, v216, v218
	v_div_fixup_f32 v214, v215, v214, 1.0
	ds_write_b32 v162, v214
.LBB105_278:
	s_or_b64 exec, exec, s[4:5]
.LBB105_279:
	s_or_b64 exec, exec, s[2:3]
	s_waitcnt lgkmcnt(0)
	s_barrier
	ds_read_b32 v214, v162
	v_cmp_lt_u32_e32 vcc, 50, v25
	s_and_saveexec_b64 s[2:3], vcc
	s_cbranch_execz .LBB105_281
; %bb.280:
	ds_read2_b32 v[216:217], v163 offset0:51 offset1:52
	s_waitcnt vmcnt(2) lgkmcnt(1)
	v_mul_f32_e32 v218, v214, v159
	v_mov_b32_e32 v159, v218
	s_waitcnt vmcnt(0) lgkmcnt(0)
	v_pk_fma_f32 v[160:161], v[218:219], v[216:217], v[160:161] op_sel_hi:[0,1,1] neg_lo:[1,0,0] neg_hi:[1,0,0]
.LBB105_281:
	s_or_b64 exec, exec, s[2:3]
	v_cmp_eq_u32_e32 vcc, 51, v25
	s_waitcnt lgkmcnt(0)
	s_barrier
	s_and_saveexec_b64 s[2:3], vcc
	s_cbranch_execz .LBB105_284
; %bb.282:
	s_waitcnt vmcnt(1)
	ds_write_b32 v162, v160
	s_waitcnt vmcnt(0)
	ds_write_b32 v163, v161 offset:208
	ds_read_b32 v215, v162
	s_waitcnt lgkmcnt(0)
	v_cmp_neq_f32_e32 vcc, 0, v215
	s_and_b64 exec, exec, vcc
	s_cbranch_execz .LBB105_284
; %bb.283:
	v_div_scale_f32 v216, s[4:5], v215, v215, 1.0
	v_rcp_f32_e32 v217, v216
	v_div_scale_f32 v218, vcc, 1.0, v215, 1.0
	v_fma_f32 v219, -v216, v217, 1.0
	v_fmac_f32_e32 v217, v219, v217
	v_mul_f32_e32 v219, v218, v217
	v_fma_f32 v220, -v216, v219, v218
	v_fmac_f32_e32 v219, v220, v217
	v_fma_f32 v216, -v216, v219, v218
	v_div_fmas_f32 v216, v216, v217, v219
	v_div_fixup_f32 v215, v216, v215, 1.0
	ds_write_b32 v162, v215
.LBB105_284:
	s_or_b64 exec, exec, s[2:3]
	s_waitcnt lgkmcnt(0)
	s_barrier
	ds_read_b32 v215, v162
	v_cmp_lt_u32_e32 vcc, 51, v25
	s_and_saveexec_b64 s[2:3], vcc
	s_cbranch_execz .LBB105_286
; %bb.285:
	ds_read_b32 v163, v163 offset:208
	s_waitcnt vmcnt(1) lgkmcnt(1)
	v_mul_f32_e32 v160, v215, v160
	s_waitcnt vmcnt(0) lgkmcnt(0)
	v_fma_f32 v161, -v160, v163, v161
.LBB105_286:
	s_or_b64 exec, exec, s[2:3]
	v_cmp_ne_u32_e32 vcc, 52, v25
	s_waitcnt lgkmcnt(0)
	s_barrier
	s_and_saveexec_b64 s[2:3], vcc
	s_xor_b64 s[2:3], exec, s[2:3]
	s_andn2_saveexec_b64 s[2:3], s[2:3]
	s_cbranch_execz .LBB105_290
; %bb.287:
	s_waitcnt vmcnt(0)
	v_cmp_neq_f32_e32 vcc, 0, v161
	ds_write_b32 v162, v161
	s_and_saveexec_b64 s[4:5], vcc
	s_cbranch_execz .LBB105_289
; %bb.288:
	v_div_scale_f32 v163, s[10:11], v161, v161, 1.0
	v_rcp_f32_e32 v216, v163
	v_div_scale_f32 v217, vcc, 1.0, v161, 1.0
	v_fma_f32 v218, -v163, v216, 1.0
	v_fmac_f32_e32 v216, v218, v216
	v_mul_f32_e32 v218, v217, v216
	v_fma_f32 v219, -v163, v218, v217
	v_fmac_f32_e32 v218, v219, v216
	v_fma_f32 v163, -v163, v218, v217
	v_div_fmas_f32 v163, v163, v216, v218
	v_div_fixup_f32 v163, v163, v161, 1.0
	ds_write_b32 v162, v163
.LBB105_289:
	s_or_b64 exec, exec, s[4:5]
.LBB105_290:
	s_or_b64 exec, exec, s[2:3]
	s_waitcnt lgkmcnt(0)
	s_barrier
	ds_read_b32 v162, v162
	s_waitcnt lgkmcnt(0)
	s_barrier
	s_and_saveexec_b64 s[2:3], s[0:1]
	s_cbranch_execz .LBB105_293
; %bb.291:
	v_cmp_eq_f32_e32 vcc, 0, v164
	v_cmp_neq_f32_e64 s[0:1], 0, v165
	v_mov_b32_e32 v164, s6
	v_cndmask_b32_e64 v163, 0, 1, vcc
	s_or_b64 vcc, s[0:1], vcc
	v_cndmask_b32_e32 v163, 2, v163, vcc
	v_cmp_eq_f32_e32 vcc, 0, v166
	v_cmp_eq_u32_e64 s[0:1], 0, v163
	s_and_b64 s[0:1], vcc, s[0:1]
	v_cmp_eq_f32_e32 vcc, 0, v167
	v_cndmask_b32_e64 v163, v163, 3, s[0:1]
	v_cmp_eq_u32_e64 s[0:1], 0, v163
	s_and_b64 s[0:1], vcc, s[0:1]
	v_cmp_eq_f32_e32 vcc, 0, v168
	v_cndmask_b32_e64 v163, v163, 4, s[0:1]
	;; [unrolled: 4-line block ×23, first 2 shown]
	v_cmp_eq_u32_e64 s[0:1], 0, v163
	s_and_b64 s[0:1], vcc, s[0:1]
	v_mov_b32_e32 v165, s7
	v_cndmask_b32_e64 v163, v163, 26, s[0:1]
	v_cmp_eq_f32_e32 vcc, 0, v190
	v_cmp_eq_u32_e64 s[0:1], 0, v163
	v_lshl_add_u64 v[34:35], v[34:35], 2, v[164:165]
	s_and_b64 s[0:1], vcc, s[0:1]
	global_load_dword v164, v[34:35], off
	v_cndmask_b32_e64 v163, v163, 27, s[0:1]
	v_cmp_eq_f32_e32 vcc, 0, v191
	v_cmp_eq_u32_e64 s[0:1], 0, v163
	s_and_b64 s[0:1], vcc, s[0:1]
	v_cmp_eq_f32_e32 vcc, 0, v192
	v_cndmask_b32_e64 v163, v163, 28, s[0:1]
	v_cmp_eq_u32_e64 s[0:1], 0, v163
	s_and_b64 s[0:1], vcc, s[0:1]
	v_cmp_eq_f32_e32 vcc, 0, v193
	v_cndmask_b32_e64 v163, v163, 29, s[0:1]
	;; [unrolled: 4-line block ×25, first 2 shown]
	v_cmp_eq_u32_e64 s[0:1], 0, v163
	s_and_b64 s[0:1], vcc, s[0:1]
	s_waitcnt vmcnt(0)
	v_cmp_eq_u32_e32 vcc, 0, v164
	v_cndmask_b32_e64 v163, v163, 53, s[0:1]
	v_cmp_ne_u32_e64 s[0:1], 0, v163
	s_and_b64 s[0:1], vcc, s[0:1]
	s_and_b64 exec, exec, s[0:1]
	s_cbranch_execz .LBB105_293
; %bb.292:
	v_add_u32_e32 v163, s9, v163
	global_store_dword v[34:35], v163, off
.LBB105_293:
	s_or_b64 exec, exec, s[2:3]
	s_waitcnt vmcnt(0)
	v_mul_f32_e32 v34, v162, v161
	v_cmp_lt_u32_e32 vcc, 52, v25
	s_nop 1
	v_cndmask_b32_e32 v25, v161, v34, vcc
	global_store_dword v[0:1], v24, off
	global_store_dword v[2:3], v18, off
	;; [unrolled: 1-line block ×53, first 2 shown]
.LBB105_294:
	s_endpgm
	.section	.rodata,"a",@progbits
	.p2align	6, 0x0
	.amdhsa_kernel _ZN9rocsolver6v33100L23getf2_npvt_small_kernelILi53EfiiPfEEvT1_T3_lS3_lPT2_S3_S3_
		.amdhsa_group_segment_fixed_size 0
		.amdhsa_private_segment_fixed_size 0
		.amdhsa_kernarg_size 312
		.amdhsa_user_sgpr_count 2
		.amdhsa_user_sgpr_dispatch_ptr 0
		.amdhsa_user_sgpr_queue_ptr 0
		.amdhsa_user_sgpr_kernarg_segment_ptr 1
		.amdhsa_user_sgpr_dispatch_id 0
		.amdhsa_user_sgpr_kernarg_preload_length 0
		.amdhsa_user_sgpr_kernarg_preload_offset 0
		.amdhsa_user_sgpr_private_segment_size 0
		.amdhsa_uses_dynamic_stack 0
		.amdhsa_enable_private_segment 0
		.amdhsa_system_sgpr_workgroup_id_x 1
		.amdhsa_system_sgpr_workgroup_id_y 1
		.amdhsa_system_sgpr_workgroup_id_z 0
		.amdhsa_system_sgpr_workgroup_info 0
		.amdhsa_system_vgpr_workitem_id 1
		.amdhsa_next_free_vgpr 221
		.amdhsa_next_free_sgpr 16
		.amdhsa_accum_offset 224
		.amdhsa_reserve_vcc 1
		.amdhsa_float_round_mode_32 0
		.amdhsa_float_round_mode_16_64 0
		.amdhsa_float_denorm_mode_32 3
		.amdhsa_float_denorm_mode_16_64 3
		.amdhsa_dx10_clamp 1
		.amdhsa_ieee_mode 1
		.amdhsa_fp16_overflow 0
		.amdhsa_tg_split 0
		.amdhsa_exception_fp_ieee_invalid_op 0
		.amdhsa_exception_fp_denorm_src 0
		.amdhsa_exception_fp_ieee_div_zero 0
		.amdhsa_exception_fp_ieee_overflow 0
		.amdhsa_exception_fp_ieee_underflow 0
		.amdhsa_exception_fp_ieee_inexact 0
		.amdhsa_exception_int_div_zero 0
	.end_amdhsa_kernel
	.section	.text._ZN9rocsolver6v33100L23getf2_npvt_small_kernelILi53EfiiPfEEvT1_T3_lS3_lPT2_S3_S3_,"axG",@progbits,_ZN9rocsolver6v33100L23getf2_npvt_small_kernelILi53EfiiPfEEvT1_T3_lS3_lPT2_S3_S3_,comdat
.Lfunc_end105:
	.size	_ZN9rocsolver6v33100L23getf2_npvt_small_kernelILi53EfiiPfEEvT1_T3_lS3_lPT2_S3_S3_, .Lfunc_end105-_ZN9rocsolver6v33100L23getf2_npvt_small_kernelILi53EfiiPfEEvT1_T3_lS3_lPT2_S3_S3_
                                        ; -- End function
	.set _ZN9rocsolver6v33100L23getf2_npvt_small_kernelILi53EfiiPfEEvT1_T3_lS3_lPT2_S3_S3_.num_vgpr, 221
	.set _ZN9rocsolver6v33100L23getf2_npvt_small_kernelILi53EfiiPfEEvT1_T3_lS3_lPT2_S3_S3_.num_agpr, 0
	.set _ZN9rocsolver6v33100L23getf2_npvt_small_kernelILi53EfiiPfEEvT1_T3_lS3_lPT2_S3_S3_.numbered_sgpr, 16
	.set _ZN9rocsolver6v33100L23getf2_npvt_small_kernelILi53EfiiPfEEvT1_T3_lS3_lPT2_S3_S3_.num_named_barrier, 0
	.set _ZN9rocsolver6v33100L23getf2_npvt_small_kernelILi53EfiiPfEEvT1_T3_lS3_lPT2_S3_S3_.private_seg_size, 0
	.set _ZN9rocsolver6v33100L23getf2_npvt_small_kernelILi53EfiiPfEEvT1_T3_lS3_lPT2_S3_S3_.uses_vcc, 1
	.set _ZN9rocsolver6v33100L23getf2_npvt_small_kernelILi53EfiiPfEEvT1_T3_lS3_lPT2_S3_S3_.uses_flat_scratch, 0
	.set _ZN9rocsolver6v33100L23getf2_npvt_small_kernelILi53EfiiPfEEvT1_T3_lS3_lPT2_S3_S3_.has_dyn_sized_stack, 0
	.set _ZN9rocsolver6v33100L23getf2_npvt_small_kernelILi53EfiiPfEEvT1_T3_lS3_lPT2_S3_S3_.has_recursion, 0
	.set _ZN9rocsolver6v33100L23getf2_npvt_small_kernelILi53EfiiPfEEvT1_T3_lS3_lPT2_S3_S3_.has_indirect_call, 0
	.section	.AMDGPU.csdata,"",@progbits
; Kernel info:
; codeLenInByte = 38016
; TotalNumSgprs: 22
; NumVgprs: 221
; NumAgprs: 0
; TotalNumVgprs: 221
; ScratchSize: 0
; MemoryBound: 0
; FloatMode: 240
; IeeeMode: 1
; LDSByteSize: 0 bytes/workgroup (compile time only)
; SGPRBlocks: 2
; VGPRBlocks: 27
; NumSGPRsForWavesPerEU: 22
; NumVGPRsForWavesPerEU: 221
; AccumOffset: 224
; Occupancy: 2
; WaveLimiterHint : 0
; COMPUTE_PGM_RSRC2:SCRATCH_EN: 0
; COMPUTE_PGM_RSRC2:USER_SGPR: 2
; COMPUTE_PGM_RSRC2:TRAP_HANDLER: 0
; COMPUTE_PGM_RSRC2:TGID_X_EN: 1
; COMPUTE_PGM_RSRC2:TGID_Y_EN: 1
; COMPUTE_PGM_RSRC2:TGID_Z_EN: 0
; COMPUTE_PGM_RSRC2:TIDIG_COMP_CNT: 1
; COMPUTE_PGM_RSRC3_GFX90A:ACCUM_OFFSET: 55
; COMPUTE_PGM_RSRC3_GFX90A:TG_SPLIT: 0
	.section	.text._ZN9rocsolver6v33100L18getf2_small_kernelILi54EfiiPfEEvT1_T3_lS3_lPS3_llPT2_S3_S3_S5_l,"axG",@progbits,_ZN9rocsolver6v33100L18getf2_small_kernelILi54EfiiPfEEvT1_T3_lS3_lPS3_llPT2_S3_S3_S5_l,comdat
	.globl	_ZN9rocsolver6v33100L18getf2_small_kernelILi54EfiiPfEEvT1_T3_lS3_lPS3_llPT2_S3_S3_S5_l ; -- Begin function _ZN9rocsolver6v33100L18getf2_small_kernelILi54EfiiPfEEvT1_T3_lS3_lPS3_llPT2_S3_S3_S5_l
	.p2align	8
	.type	_ZN9rocsolver6v33100L18getf2_small_kernelILi54EfiiPfEEvT1_T3_lS3_lPS3_llPT2_S3_S3_S5_l,@function
_ZN9rocsolver6v33100L18getf2_small_kernelILi54EfiiPfEEvT1_T3_lS3_lPS3_llPT2_S3_S3_S5_l: ; @_ZN9rocsolver6v33100L18getf2_small_kernelILi54EfiiPfEEvT1_T3_lS3_lPS3_llPT2_S3_S3_S5_l
; %bb.0:
	s_load_dword s2, s[0:1], 0x6c
	s_load_dwordx2 s[18:19], s[0:1], 0x48
	v_bfe_u32 v59, v0, 10, 10
	s_waitcnt lgkmcnt(0)
	s_lshr_b32 s2, s2, 16
	s_mul_i32 s3, s3, s2
	v_add_u32_e32 v2, s3, v59
	v_cmp_gt_i32_e32 vcc, s18, v2
	s_and_saveexec_b64 s[2:3], vcc
	s_cbranch_execz .LBB106_915
; %bb.1:
	s_load_dwordx4 s[4:7], s[0:1], 0x50
	v_ashrrev_i32_e32 v3, 31, v2
	v_mov_b64_e32 v[4:5], 0
	s_waitcnt lgkmcnt(0)
	s_cmp_eq_u64 s[4:5], 0
	s_cselect_b64 s[20:21], -1, 0
	s_and_b64 vcc, exec, s[20:21]
	s_cbranch_vccnz .LBB106_3
; %bb.2:
	v_mul_lo_u32 v1, s7, v2
	v_mul_lo_u32 v6, s6, v3
	v_mad_u64_u32 v[4:5], s[2:3], s6, v2, 0
	v_add3_u32 v5, v5, v6, v1
	v_lshl_add_u64 v[4:5], v[4:5], 2, s[4:5]
.LBB106_3:
	s_load_dwordx4 s[12:15], s[0:1], 0x8
	s_load_dwordx8 s[4:11], s[0:1], 0x20
	s_load_dword s16, s[0:1], 0x18
	s_load_dword s22, s[0:1], 0x0
	v_and_b32_e32 v66, 0x3ff, v0
	s_waitcnt lgkmcnt(0)
	v_mov_b32_e32 v6, s12
	v_mul_lo_u32 v1, s5, v2
	v_mul_lo_u32 v10, s4, v3
	v_mad_u64_u32 v[8:9], s[2:3], s4, v2, 0
	v_mov_b32_e32 v7, s13
	v_add3_u32 v9, v9, v10, v1
	s_add_i32 s18, s16, s16
	v_lshl_add_u64 v[6:7], v[8:9], 2, v[6:7]
	v_add_u32_e32 v0, s18, v66
	v_lshl_add_u64 v[6:7], s[14:15], 2, v[6:7]
	v_ashrrev_i32_e32 v1, 31, v0
	v_lshl_add_u64 v[52:53], v[0:1], 2, v[6:7]
	v_add_u32_e32 v0, s16, v0
	v_ashrrev_i32_e32 v1, 31, v0
	v_lshl_add_u64 v[54:55], v[0:1], 2, v[6:7]
	v_add_u32_e32 v0, s16, v0
	v_ashrrev_i32_e32 v1, 31, v0
	v_lshl_add_u64 v[60:61], v[0:1], 2, v[6:7]
	v_add_u32_e32 v0, s16, v0
	v_add_u32_e32 v68, s16, v0
	v_ashrrev_i32_e32 v1, 31, v0
	v_add_u32_e32 v70, s16, v68
	v_lshl_add_u64 v[64:65], v[0:1], 2, v[6:7]
	v_add_u32_e32 v0, s16, v70
	v_ashrrev_i32_e32 v1, 31, v0
	v_lshl_add_u64 v[8:9], v[0:1], 2, v[6:7]
	v_add_u32_e32 v0, s16, v0
	v_ashrrev_i32_e32 v1, 31, v0
	;; [unrolled: 3-line block ×9, first 2 shown]
	global_load_dword v50, v[8:9], off
	global_load_dword v51, v[10:11], off
	global_load_dword v46, v[12:13], off
	global_load_dword v47, v[14:15], off
	global_load_dword v40, v[16:17], off
	global_load_dword v41, v[18:19], off
	global_load_dword v32, v[20:21], off
	global_load_dword v33, v[22:23], off
	v_lshl_add_u64 v[8:9], v[0:1], 2, v[6:7]
	v_add_u32_e32 v0, s16, v0
	v_ashrrev_i32_e32 v1, 31, v0
	v_lshl_add_u64 v[10:11], v[0:1], 2, v[6:7]
	v_add_u32_e32 v0, s16, v0
	v_ashrrev_i32_e32 v1, 31, v0
	v_lshl_add_u64 v[12:13], v[0:1], 2, v[6:7]
	v_add_u32_e32 v0, s16, v0
	v_ashrrev_i32_e32 v1, 31, v0
	v_lshl_add_u64 v[14:15], v[0:1], 2, v[6:7]
	v_add_u32_e32 v0, s16, v0
	v_ashrrev_i32_e32 v1, 31, v0
	v_lshl_add_u64 v[16:17], v[0:1], 2, v[6:7]
	v_add_u32_e32 v0, s16, v0
	v_ashrrev_i32_e32 v1, 31, v0
	v_lshl_add_u64 v[18:19], v[0:1], 2, v[6:7]
	v_add_u32_e32 v0, s16, v0
	v_ashrrev_i32_e32 v1, 31, v0
	v_lshl_add_u64 v[20:21], v[0:1], 2, v[6:7]
	v_add_u32_e32 v0, s16, v0
	v_ashrrev_i32_e32 v1, 31, v0
	v_lshl_add_u64 v[22:23], v[0:1], 2, v[6:7]
	v_add_u32_e32 v0, s16, v0
	v_ashrrev_i32_e32 v1, 31, v0
	global_load_dword v48, v[8:9], off
	global_load_dword v49, v[10:11], off
	global_load_dword v42, v[12:13], off
	global_load_dword v43, v[14:15], off
	global_load_dword v34, v[16:17], off
	global_load_dword v35, v[18:19], off
	global_load_dword v24, v[20:21], off
	global_load_dword v25, v[22:23], off
	v_lshl_add_u64 v[8:9], v[0:1], 2, v[6:7]
	v_add_u32_e32 v0, s16, v0
	v_ashrrev_i32_e32 v1, 31, v0
	v_lshl_add_u64 v[10:11], v[0:1], 2, v[6:7]
	v_add_u32_e32 v0, s16, v0
	v_ashrrev_i32_e32 v1, 31, v0
	v_lshl_add_u64 v[12:13], v[0:1], 2, v[6:7]
	v_add_u32_e32 v0, s16, v0
	v_ashrrev_i32_e32 v1, 31, v0
	v_lshl_add_u64 v[14:15], v[0:1], 2, v[6:7]
	v_add_u32_e32 v0, s16, v0
	v_ashrrev_i32_e32 v1, 31, v0
	v_lshl_add_u64 v[16:17], v[0:1], 2, v[6:7]
	v_add_u32_e32 v0, s16, v0
	v_ashrrev_i32_e32 v1, 31, v0
	v_lshl_add_u64 v[20:21], v[0:1], 2, v[6:7]
	v_add_u32_e32 v0, s16, v0
	v_ashrrev_i32_e32 v1, 31, v0
	v_lshl_add_u64 v[22:23], v[0:1], 2, v[6:7]
	v_add_u32_e32 v0, s16, v0
	v_ashrrev_i32_e32 v1, 31, v0
	v_lshl_add_u64 v[28:29], v[0:1], 2, v[6:7]
	v_add_u32_e32 v0, s16, v0
	v_ashrrev_i32_e32 v1, 31, v0
	;; [unrolled: 32-line block ×3, first 2 shown]
	global_load_dword v38, v[8:9], off
	global_load_dword v39, v[10:11], off
	;; [unrolled: 1-line block ×8, first 2 shown]
	v_lshl_add_u64 v[8:9], v[0:1], 2, v[6:7]
	v_add_u32_e32 v0, s16, v0
	v_ashrrev_i32_e32 v1, 31, v0
	v_lshl_add_u64 v[10:11], v[0:1], 2, v[6:7]
	v_add_u32_e32 v0, s16, v0
	v_ashrrev_i32_e32 v1, 31, v0
	;; [unrolled: 3-line block ×7, first 2 shown]
	v_lshl_add_u64 v[74:75], v[0:1], 2, v[6:7]
	v_add_u32_e32 v0, s16, v0
	global_load_dword v30, v[8:9], off
	global_load_dword v31, v[10:11], off
	;; [unrolled: 1-line block ×4, first 2 shown]
                                        ; kill: killed $vgpr8_vgpr9
                                        ; kill: killed $vgpr10_vgpr11
                                        ; kill: killed $vgpr14_vgpr15
                                        ; kill: killed $vgpr16_vgpr17
	s_nop 0
	global_load_dword v16, v[56:57], off
	global_load_dword v17, v[62:63], off
	;; [unrolled: 1-line block ×4, first 2 shown]
	v_ashrrev_i32_e32 v1, 31, v0
	v_add_u32_e32 v14, s16, v0
	v_lshl_add_u64 v[8:9], v[0:1], 2, v[6:7]
	v_ashrrev_i32_e32 v15, 31, v14
	v_lshl_add_u64 v[56:57], v[14:15], 2, v[6:7]
	global_load_dword v0, v[8:9], off
	global_load_dword v1, v[56:57], off
	v_add_u32_e32 v8, s16, v14
	v_ashrrev_i32_e32 v9, 31, v8
	v_lshl_add_u64 v[56:57], v[8:9], 2, v[6:7]
	v_add_u32_e32 v8, s16, v8
	v_ashrrev_i32_e32 v9, 31, v8
	v_lshl_add_u64 v[62:63], v[8:9], 2, v[6:7]
	;; [unrolled: 3-line block ×4, first 2 shown]
	global_load_dword v14, v[56:57], off
	global_load_dword v15, v[62:63], off
	;; [unrolled: 1-line block ×3, first 2 shown]
                                        ; kill: killed $vgpr56_vgpr57
                                        ; kill: killed $vgpr62_vgpr63
                                        ; kill: killed $vgpr72_vgpr73
	global_load_dword v9, v[74:75], off
	v_lshlrev_b32_e32 v62, 2, v66
	v_mov_b32_e32 v63, 0
	v_ashrrev_i32_e32 v69, 31, v68
	v_lshl_add_u64 v[72:73], v[6:7], 0, v[62:63]
	v_ashrrev_i32_e32 v71, 31, v70
	s_ashr_i32 s17, s16, 31
	global_load_dword v56, v[52:53], off
	global_load_dword v57, v[54:55], off
	;; [unrolled: 1-line block ×3, first 2 shown]
	v_lshl_add_u64 v[68:69], v[68:69], 2, v[6:7]
	v_lshl_add_u64 v[70:71], v[70:71], 2, v[6:7]
	;; [unrolled: 1-line block ×3, first 2 shown]
	global_load_dword v54, v[60:61], off
	global_load_dword v55, v[64:65], off
	;; [unrolled: 1-line block ×3, first 2 shown]
                                        ; kill: killed $vgpr60_vgpr61
                                        ; kill: killed $vgpr64_vgpr65
                                        ; kill: killed $vgpr68_vgpr69
	global_load_dword v53, v[70:71], off
	s_nop 0
	global_load_dword v60, v[72:73], off
	s_max_i32 s2, s22, 54
	v_mul_lo_u32 v64, s2, v59
	v_lshl_add_u32 v59, v64, 2, 0
	v_add_u32_e32 v61, v59, v62
	s_load_dwordx2 s[4:5], s[0:1], 0x40
	s_cmp_lt_i32 s22, 2
	v_lshlrev_b32_e32 v64, 2, v64
	s_waitcnt vmcnt(5)
	ds_write_b32 v61, v58
	s_waitcnt lgkmcnt(0)
	s_barrier
	ds_read_b32 v61, v59
	s_cbranch_scc1 .LBB106_6
; %bb.4:
	v_add3_u32 v62, v64, 0, 4
	v_mov_b32_e32 v63, 0
	s_mov_b32 s0, 1
.LBB106_5:                              ; =>This Inner Loop Header: Depth=1
	ds_read_b32 v65, v62
	v_mov_b32_e32 v67, s0
	s_add_i32 s0, s0, 1
	v_add_u32_e32 v62, 4, v62
	s_cmp_eq_u32 s22, s0
	s_waitcnt lgkmcnt(0)
	v_cmp_lt_f32_e64 vcc, |v61|, |v65|
	s_nop 1
	v_cndmask_b32_e32 v61, v61, v65, vcc
	v_cndmask_b32_e32 v63, v63, v67, vcc
	s_cbranch_scc0 .LBB106_5
.LBB106_6:
	v_cmp_ne_u32_e32 vcc, v66, v63
                                        ; implicit-def: $vgpr65
	s_and_saveexec_b64 s[0:1], vcc
	s_xor_b64 s[0:1], exec, s[0:1]
	s_cbranch_execz .LBB106_12
; %bb.7:
	v_cmp_eq_u32_e32 vcc, 0, v66
	s_and_saveexec_b64 s[2:3], vcc
	s_cbranch_execz .LBB106_11
; %bb.8:
	v_cmp_ne_u32_e32 vcc, 0, v63
	s_xor_b64 s[12:13], s[20:21], -1
	s_and_b64 s[14:15], s[12:13], vcc
	s_and_saveexec_b64 s[12:13], s[14:15]
	s_cbranch_execz .LBB106_10
; %bb.9:
	v_ashrrev_i32_e32 v67, 31, v63
	v_mov_b32_e32 v66, v63
	v_lshl_add_u64 v[66:67], v[66:67], 2, v[4:5]
	global_load_dword v62, v[66:67], off
	global_load_dword v65, v[4:5], off
	s_waitcnt vmcnt(1)
	global_store_dword v[4:5], v62, off
	s_waitcnt vmcnt(1)
	global_store_dword v[66:67], v65, off
.LBB106_10:
	s_or_b64 exec, exec, s[12:13]
	v_mov_b32_e32 v66, v63
.LBB106_11:
	s_or_b64 exec, exec, s[2:3]
	v_mov_b32_e32 v65, v66
                                        ; implicit-def: $vgpr66
.LBB106_12:
	s_or_saveexec_b64 s[0:1], s[0:1]
	v_mov_b32_e32 v63, v65
	s_xor_b64 exec, exec, s[0:1]
	s_cbranch_execz .LBB106_14
; %bb.13:
	v_mov_b32_e32 v65, 0
	v_mov_b32_e32 v63, v66
	s_waitcnt vmcnt(0)
	ds_write2_b32 v59, v60, v56 offset0:1 offset1:2
	ds_write2_b32 v59, v57, v54 offset0:3 offset1:4
	ds_write2_b32 v59, v55, v52 offset0:5 offset1:6
	ds_write2_b32 v59, v53, v50 offset0:7 offset1:8
	ds_write2_b32 v59, v51, v46 offset0:9 offset1:10
	ds_write2_b32 v59, v47, v40 offset0:11 offset1:12
	ds_write2_b32 v59, v41, v32 offset0:13 offset1:14
	ds_write2_b32 v59, v33, v48 offset0:15 offset1:16
	ds_write2_b32 v59, v49, v42 offset0:17 offset1:18
	ds_write2_b32 v59, v43, v34 offset0:19 offset1:20
	ds_write2_b32 v59, v35, v24 offset0:21 offset1:22
	ds_write2_b32 v59, v25, v44 offset0:23 offset1:24
	ds_write2_b32 v59, v45, v36 offset0:25 offset1:26
	ds_write2_b32 v59, v37, v26 offset0:27 offset1:28
	ds_write2_b32 v59, v27, v18 offset0:29 offset1:30
	ds_write2_b32 v59, v19, v38 offset0:31 offset1:32
	ds_write2_b32 v59, v39, v28 offset0:33 offset1:34
	ds_write2_b32 v59, v29, v20 offset0:35 offset1:36
	ds_write2_b32 v59, v21, v12 offset0:37 offset1:38
	ds_write2_b32 v59, v13, v30 offset0:39 offset1:40
	ds_write2_b32 v59, v31, v22 offset0:41 offset1:42
	ds_write2_b32 v59, v23, v16 offset0:43 offset1:44
	ds_write2_b32 v59, v17, v10 offset0:45 offset1:46
	ds_write2_b32 v59, v11, v0 offset0:47 offset1:48
	ds_write2_b32 v59, v1, v14 offset0:49 offset1:50
	ds_write2_b32 v59, v15, v8 offset0:51 offset1:52
	ds_write_b32 v59, v9 offset:212
.LBB106_14:
	s_or_b64 exec, exec, s[0:1]
	s_waitcnt lgkmcnt(0)
	v_cmp_eq_f32_e64 s[0:1], 0, v61
	v_cmp_lt_i32_e32 vcc, 0, v65
	s_barrier
	s_and_saveexec_b64 s[2:3], vcc
	s_cbranch_execz .LBB106_16
; %bb.15:
	v_div_scale_f32 v62, s[12:13], v61, v61, 1.0
	v_rcp_f32_e32 v66, v62
	s_nop 0
	v_fma_f32 v67, -v62, v66, 1.0
	v_fmac_f32_e32 v66, v67, v66
	v_div_scale_f32 v67, vcc, 1.0, v61, 1.0
	v_mul_f32_e32 v68, v67, v66
	v_fma_f32 v69, -v62, v68, v67
	v_fmac_f32_e32 v68, v69, v66
	v_fma_f32 v62, -v62, v68, v67
	v_div_fmas_f32 v62, v62, v66, v68
	v_div_fixup_f32 v62, v62, v61, 1.0
	v_cndmask_b32_e64 v61, v62, v61, s[0:1]
	v_mul_f32_e32 v58, v61, v58
	ds_read_b32 v61, v59 offset:4
	ds_read2_b32 v[66:67], v59 offset0:2 offset1:3
	s_waitcnt vmcnt(0) lgkmcnt(1)
	v_fma_f32 v60, -v58, v61, v60
	s_waitcnt lgkmcnt(0)
	v_pk_fma_f32 v[56:57], v[58:59], v[66:67], v[56:57] op_sel_hi:[0,1,1] neg_lo:[1,0,0] neg_hi:[1,0,0]
	ds_read2_b32 v[66:67], v59 offset0:4 offset1:5
	s_waitcnt lgkmcnt(0)
	v_pk_fma_f32 v[54:55], v[58:59], v[66:67], v[54:55] op_sel_hi:[0,1,1] neg_lo:[1,0,0] neg_hi:[1,0,0]
	ds_read2_b32 v[66:67], v59 offset0:6 offset1:7
	;; [unrolled: 3-line block ×25, first 2 shown]
	s_waitcnt lgkmcnt(0)
	v_pk_fma_f32 v[8:9], v[58:59], v[66:67], v[8:9] op_sel_hi:[0,1,1] neg_lo:[1,0,0] neg_hi:[1,0,0]
.LBB106_16:
	s_or_b64 exec, exec, s[2:3]
	v_lshl_add_u32 v61, v65, 2, v59
	s_barrier
	s_waitcnt vmcnt(0)
	ds_write_b32 v61, v60
	s_waitcnt lgkmcnt(0)
	s_barrier
	ds_read_b32 v61, v59 offset:4
	s_mov_b32 s2, 2
	s_cmp_lt_i32 s22, 3
	v_mov_b32_e32 v62, 1
	s_cbranch_scc1 .LBB106_19
; %bb.17:
	v_add3_u32 v66, v64, 0, 8
	v_mov_b32_e32 v62, 1
.LBB106_18:                             ; =>This Inner Loop Header: Depth=1
	ds_read_b32 v67, v66
	v_mov_b32_e32 v68, s2
	s_add_i32 s2, s2, 1
	v_add_u32_e32 v66, 4, v66
	s_cmp_lg_u32 s22, s2
	s_waitcnt lgkmcnt(0)
	v_cmp_lt_f32_e64 vcc, |v61|, |v67|
	s_nop 1
	v_cndmask_b32_e32 v61, v61, v67, vcc
	v_cndmask_b32_e32 v62, v62, v68, vcc
	s_cbranch_scc1 .LBB106_18
.LBB106_19:
	v_cmp_ne_u32_e32 vcc, v65, v62
	s_and_saveexec_b64 s[2:3], vcc
	s_xor_b64 s[2:3], exec, s[2:3]
	s_cbranch_execz .LBB106_25
; %bb.20:
	v_cmp_eq_u32_e32 vcc, 1, v65
	s_and_saveexec_b64 s[12:13], vcc
	s_cbranch_execz .LBB106_24
; %bb.21:
	v_cmp_ne_u32_e32 vcc, 1, v62
	s_xor_b64 s[14:15], s[20:21], -1
	s_and_b64 s[24:25], s[14:15], vcc
	s_and_saveexec_b64 s[14:15], s[24:25]
	s_cbranch_execz .LBB106_23
; %bb.22:
	v_ashrrev_i32_e32 v63, 31, v62
	v_lshl_add_u64 v[66:67], v[62:63], 2, v[4:5]
	global_load_dword v63, v[66:67], off
	global_load_dword v65, v[4:5], off offset:4
	s_waitcnt vmcnt(1)
	global_store_dword v[4:5], v63, off offset:4
	s_waitcnt vmcnt(1)
	global_store_dword v[66:67], v65, off
.LBB106_23:
	s_or_b64 exec, exec, s[14:15]
	v_mov_b32_e32 v63, v62
	v_mov_b32_e32 v65, v62
.LBB106_24:
	s_or_b64 exec, exec, s[12:13]
.LBB106_25:
	s_andn2_saveexec_b64 s[2:3], s[2:3]
	s_cbranch_execz .LBB106_27
; %bb.26:
	v_mov_b32_e32 v65, 1
	ds_write2_b32 v59, v56, v57 offset0:2 offset1:3
	ds_write2_b32 v59, v54, v55 offset0:4 offset1:5
	;; [unrolled: 1-line block ×26, first 2 shown]
.LBB106_27:
	s_or_b64 exec, exec, s[2:3]
	s_waitcnt lgkmcnt(0)
	v_cmp_neq_f32_e64 s[2:3], 0, v61
	v_cmp_lt_i32_e32 vcc, 1, v65
	s_barrier
	s_and_saveexec_b64 s[12:13], vcc
	s_cbranch_execz .LBB106_29
; %bb.28:
	v_div_scale_f32 v62, s[14:15], v61, v61, 1.0
	v_rcp_f32_e32 v66, v62
	s_nop 0
	v_fma_f32 v67, -v62, v66, 1.0
	v_fmac_f32_e32 v66, v67, v66
	v_div_scale_f32 v67, vcc, 1.0, v61, 1.0
	v_mul_f32_e32 v68, v67, v66
	v_fma_f32 v69, -v62, v68, v67
	v_fmac_f32_e32 v68, v69, v66
	v_fma_f32 v62, -v62, v68, v67
	v_div_fmas_f32 v62, v62, v66, v68
	ds_read2_b32 v[66:67], v59 offset0:2 offset1:3
	v_div_fixup_f32 v62, v62, v61, 1.0
	v_cndmask_b32_e64 v61, v61, v62, s[2:3]
	v_mul_f32_e32 v60, v61, v60
	s_waitcnt lgkmcnt(0)
	v_pk_fma_f32 v[56:57], v[60:61], v[66:67], v[56:57] op_sel_hi:[0,1,1] neg_lo:[1,0,0] neg_hi:[1,0,0]
	ds_read2_b32 v[66:67], v59 offset0:4 offset1:5
	s_waitcnt lgkmcnt(0)
	v_pk_fma_f32 v[54:55], v[60:61], v[66:67], v[54:55] op_sel_hi:[0,1,1] neg_lo:[1,0,0] neg_hi:[1,0,0]
	ds_read2_b32 v[66:67], v59 offset0:6 offset1:7
	s_waitcnt lgkmcnt(0)
	v_pk_fma_f32 v[52:53], v[60:61], v[66:67], v[52:53] op_sel_hi:[0,1,1] neg_lo:[1,0,0] neg_hi:[1,0,0]
	ds_read2_b32 v[66:67], v59 offset0:8 offset1:9
	s_waitcnt lgkmcnt(0)
	v_pk_fma_f32 v[50:51], v[60:61], v[66:67], v[50:51] op_sel_hi:[0,1,1] neg_lo:[1,0,0] neg_hi:[1,0,0]
	ds_read2_b32 v[66:67], v59 offset0:10 offset1:11
	s_waitcnt lgkmcnt(0)
	v_pk_fma_f32 v[46:47], v[60:61], v[66:67], v[46:47] op_sel_hi:[0,1,1] neg_lo:[1,0,0] neg_hi:[1,0,0]
	ds_read2_b32 v[66:67], v59 offset0:12 offset1:13
	s_waitcnt lgkmcnt(0)
	v_pk_fma_f32 v[40:41], v[60:61], v[66:67], v[40:41] op_sel_hi:[0,1,1] neg_lo:[1,0,0] neg_hi:[1,0,0]
	ds_read2_b32 v[66:67], v59 offset0:14 offset1:15
	s_waitcnt lgkmcnt(0)
	v_pk_fma_f32 v[32:33], v[60:61], v[66:67], v[32:33] op_sel_hi:[0,1,1] neg_lo:[1,0,0] neg_hi:[1,0,0]
	ds_read2_b32 v[66:67], v59 offset0:16 offset1:17
	s_waitcnt lgkmcnt(0)
	v_pk_fma_f32 v[48:49], v[60:61], v[66:67], v[48:49] op_sel_hi:[0,1,1] neg_lo:[1,0,0] neg_hi:[1,0,0]
	ds_read2_b32 v[66:67], v59 offset0:18 offset1:19
	s_waitcnt lgkmcnt(0)
	v_pk_fma_f32 v[42:43], v[60:61], v[66:67], v[42:43] op_sel_hi:[0,1,1] neg_lo:[1,0,0] neg_hi:[1,0,0]
	ds_read2_b32 v[66:67], v59 offset0:20 offset1:21
	s_waitcnt lgkmcnt(0)
	v_pk_fma_f32 v[34:35], v[60:61], v[66:67], v[34:35] op_sel_hi:[0,1,1] neg_lo:[1,0,0] neg_hi:[1,0,0]
	ds_read2_b32 v[66:67], v59 offset0:22 offset1:23
	s_waitcnt lgkmcnt(0)
	v_pk_fma_f32 v[24:25], v[60:61], v[66:67], v[24:25] op_sel_hi:[0,1,1] neg_lo:[1,0,0] neg_hi:[1,0,0]
	ds_read2_b32 v[66:67], v59 offset0:24 offset1:25
	s_waitcnt lgkmcnt(0)
	v_pk_fma_f32 v[44:45], v[60:61], v[66:67], v[44:45] op_sel_hi:[0,1,1] neg_lo:[1,0,0] neg_hi:[1,0,0]
	ds_read2_b32 v[66:67], v59 offset0:26 offset1:27
	s_waitcnt lgkmcnt(0)
	v_pk_fma_f32 v[36:37], v[60:61], v[66:67], v[36:37] op_sel_hi:[0,1,1] neg_lo:[1,0,0] neg_hi:[1,0,0]
	ds_read2_b32 v[66:67], v59 offset0:28 offset1:29
	s_waitcnt lgkmcnt(0)
	v_pk_fma_f32 v[26:27], v[60:61], v[66:67], v[26:27] op_sel_hi:[0,1,1] neg_lo:[1,0,0] neg_hi:[1,0,0]
	ds_read2_b32 v[66:67], v59 offset0:30 offset1:31
	s_waitcnt lgkmcnt(0)
	v_pk_fma_f32 v[18:19], v[60:61], v[66:67], v[18:19] op_sel_hi:[0,1,1] neg_lo:[1,0,0] neg_hi:[1,0,0]
	ds_read2_b32 v[66:67], v59 offset0:32 offset1:33
	s_waitcnt lgkmcnt(0)
	v_pk_fma_f32 v[38:39], v[60:61], v[66:67], v[38:39] op_sel_hi:[0,1,1] neg_lo:[1,0,0] neg_hi:[1,0,0]
	ds_read2_b32 v[66:67], v59 offset0:34 offset1:35
	s_waitcnt lgkmcnt(0)
	v_pk_fma_f32 v[28:29], v[60:61], v[66:67], v[28:29] op_sel_hi:[0,1,1] neg_lo:[1,0,0] neg_hi:[1,0,0]
	ds_read2_b32 v[66:67], v59 offset0:36 offset1:37
	s_waitcnt lgkmcnt(0)
	v_pk_fma_f32 v[20:21], v[60:61], v[66:67], v[20:21] op_sel_hi:[0,1,1] neg_lo:[1,0,0] neg_hi:[1,0,0]
	ds_read2_b32 v[66:67], v59 offset0:38 offset1:39
	s_waitcnt lgkmcnt(0)
	v_pk_fma_f32 v[12:13], v[60:61], v[66:67], v[12:13] op_sel_hi:[0,1,1] neg_lo:[1,0,0] neg_hi:[1,0,0]
	ds_read2_b32 v[66:67], v59 offset0:40 offset1:41
	s_waitcnt lgkmcnt(0)
	v_pk_fma_f32 v[30:31], v[60:61], v[66:67], v[30:31] op_sel_hi:[0,1,1] neg_lo:[1,0,0] neg_hi:[1,0,0]
	ds_read2_b32 v[66:67], v59 offset0:42 offset1:43
	s_waitcnt lgkmcnt(0)
	v_pk_fma_f32 v[22:23], v[60:61], v[66:67], v[22:23] op_sel_hi:[0,1,1] neg_lo:[1,0,0] neg_hi:[1,0,0]
	ds_read2_b32 v[66:67], v59 offset0:44 offset1:45
	s_waitcnt lgkmcnt(0)
	v_pk_fma_f32 v[16:17], v[60:61], v[66:67], v[16:17] op_sel_hi:[0,1,1] neg_lo:[1,0,0] neg_hi:[1,0,0]
	ds_read2_b32 v[66:67], v59 offset0:46 offset1:47
	s_waitcnt lgkmcnt(0)
	v_pk_fma_f32 v[10:11], v[60:61], v[66:67], v[10:11] op_sel_hi:[0,1,1] neg_lo:[1,0,0] neg_hi:[1,0,0]
	ds_read2_b32 v[66:67], v59 offset0:48 offset1:49
	s_waitcnt lgkmcnt(0)
	v_pk_fma_f32 v[0:1], v[60:61], v[66:67], v[0:1] op_sel_hi:[0,1,1] neg_lo:[1,0,0] neg_hi:[1,0,0]
	ds_read2_b32 v[66:67], v59 offset0:50 offset1:51
	s_waitcnt lgkmcnt(0)
	v_pk_fma_f32 v[14:15], v[60:61], v[66:67], v[14:15] op_sel_hi:[0,1,1] neg_lo:[1,0,0] neg_hi:[1,0,0]
	ds_read2_b32 v[66:67], v59 offset0:52 offset1:53
	s_waitcnt lgkmcnt(0)
	v_pk_fma_f32 v[8:9], v[60:61], v[66:67], v[8:9] op_sel_hi:[0,1,1] neg_lo:[1,0,0] neg_hi:[1,0,0]
.LBB106_29:
	s_or_b64 exec, exec, s[12:13]
	v_lshl_add_u32 v61, v65, 2, v59
	s_barrier
	ds_write_b32 v61, v56
	s_waitcnt lgkmcnt(0)
	s_barrier
	ds_read_b32 v66, v59 offset:8
	s_cmp_lt_i32 s22, 4
	v_mov_b32_e32 v62, 2
	s_cbranch_scc1 .LBB106_32
; %bb.30:
	v_mov_b32_e32 v62, 2
	v_add3_u32 v61, v64, 0, 12
	s_mov_b32 s12, 3
.LBB106_31:                             ; =>This Inner Loop Header: Depth=1
	ds_read_b32 v67, v61
	v_mov_b32_e32 v68, s12
	s_add_i32 s12, s12, 1
	v_add_u32_e32 v61, 4, v61
	s_cmp_lg_u32 s22, s12
	s_waitcnt lgkmcnt(0)
	v_cmp_lt_f32_e64 vcc, |v66|, |v67|
	s_nop 1
	v_cndmask_b32_e32 v66, v66, v67, vcc
	v_cndmask_b32_e32 v62, v62, v68, vcc
	s_cbranch_scc1 .LBB106_31
.LBB106_32:
	v_cndmask_b32_e64 v61, 2, 1, s[0:1]
	v_cndmask_b32_e64 v67, 0, 1, s[0:1]
	;; [unrolled: 1-line block ×3, first 2 shown]
	s_waitcnt lgkmcnt(0)
	v_cmp_eq_f32_e32 vcc, 0, v66
	s_and_saveexec_b64 s[0:1], vcc
	s_xor_b64 s[0:1], exec, s[0:1]
; %bb.33:
	v_cmp_ne_u32_e32 vcc, 0, v61
	s_nop 1
	v_cndmask_b32_e32 v61, 3, v61, vcc
; %bb.34:
	s_andn2_saveexec_b64 s[0:1], s[0:1]
	s_cbranch_execz .LBB106_36
; %bb.35:
	v_div_scale_f32 v67, s[2:3], v66, v66, 1.0
	v_rcp_f32_e32 v68, v67
	v_div_scale_f32 v69, vcc, 1.0, v66, 1.0
	v_fma_f32 v70, -v67, v68, 1.0
	v_fmac_f32_e32 v68, v70, v68
	v_mul_f32_e32 v70, v69, v68
	v_fma_f32 v71, -v67, v70, v69
	v_fmac_f32_e32 v70, v71, v68
	v_fma_f32 v67, -v67, v70, v69
	v_div_fmas_f32 v67, v67, v68, v70
	v_div_fixup_f32 v66, v67, v66, 1.0
.LBB106_36:
	s_or_b64 exec, exec, s[0:1]
	v_cmp_ne_u32_e32 vcc, v65, v62
	s_and_saveexec_b64 s[0:1], vcc
	s_xor_b64 s[0:1], exec, s[0:1]
	s_cbranch_execz .LBB106_42
; %bb.37:
	v_cmp_eq_u32_e32 vcc, 2, v65
	s_and_saveexec_b64 s[2:3], vcc
	s_cbranch_execz .LBB106_41
; %bb.38:
	v_cmp_ne_u32_e32 vcc, 2, v62
	s_xor_b64 s[12:13], s[20:21], -1
	s_and_b64 s[14:15], s[12:13], vcc
	s_and_saveexec_b64 s[12:13], s[14:15]
	s_cbranch_execz .LBB106_40
; %bb.39:
	v_ashrrev_i32_e32 v63, 31, v62
	v_lshl_add_u64 v[68:69], v[62:63], 2, v[4:5]
	global_load_dword v63, v[68:69], off
	global_load_dword v65, v[4:5], off offset:8
	s_waitcnt vmcnt(1)
	global_store_dword v[4:5], v63, off offset:8
	s_waitcnt vmcnt(1)
	global_store_dword v[68:69], v65, off
.LBB106_40:
	s_or_b64 exec, exec, s[12:13]
	v_mov_b32_e32 v63, v62
	v_mov_b32_e32 v65, v62
.LBB106_41:
	s_or_b64 exec, exec, s[2:3]
.LBB106_42:
	s_andn2_saveexec_b64 s[0:1], s[0:1]
	s_cbranch_execz .LBB106_44
; %bb.43:
	v_pk_mov_b32 v[68:69], v[56:57], v[54:55] op_sel:[1,0]
	ds_write2_b32 v59, v68, v69 offset0:3 offset1:4
	v_pk_mov_b32 v[68:69], v[54:55], v[52:53] op_sel:[1,0]
	ds_write2_b32 v59, v68, v69 offset0:5 offset1:6
	;; [unrolled: 2-line block ×24, first 2 shown]
	v_pk_mov_b32 v[68:69], v[14:15], v[8:9] op_sel:[1,0]
	v_mov_b32_e32 v65, 2
	ds_write2_b32 v59, v68, v69 offset0:51 offset1:52
	ds_write_b32 v59, v9 offset:212
.LBB106_44:
	s_or_b64 exec, exec, s[0:1]
	v_cmp_lt_i32_e32 vcc, 2, v65
	s_waitcnt lgkmcnt(0)
	s_barrier
	s_and_saveexec_b64 s[0:1], vcc
	s_cbranch_execz .LBB106_46
; %bb.45:
	ds_read_b32 v62, v59 offset:12
	v_mul_f32_e32 v56, v66, v56
	ds_read2_b32 v[66:67], v59 offset0:4 offset1:5
	s_waitcnt lgkmcnt(1)
	v_fma_f32 v57, -v56, v62, v57
	s_waitcnt lgkmcnt(0)
	v_pk_fma_f32 v[54:55], v[56:57], v[66:67], v[54:55] op_sel_hi:[0,1,1] neg_lo:[1,0,0] neg_hi:[1,0,0]
	ds_read2_b32 v[66:67], v59 offset0:6 offset1:7
	s_waitcnt lgkmcnt(0)
	v_pk_fma_f32 v[52:53], v[56:57], v[66:67], v[52:53] op_sel_hi:[0,1,1] neg_lo:[1,0,0] neg_hi:[1,0,0]
	ds_read2_b32 v[66:67], v59 offset0:8 offset1:9
	;; [unrolled: 3-line block ×24, first 2 shown]
	s_waitcnt lgkmcnt(0)
	v_pk_fma_f32 v[8:9], v[56:57], v[66:67], v[8:9] op_sel_hi:[0,1,1] neg_lo:[1,0,0] neg_hi:[1,0,0]
.LBB106_46:
	s_or_b64 exec, exec, s[0:1]
	v_lshl_add_u32 v62, v65, 2, v59
	s_barrier
	ds_write_b32 v62, v57
	s_waitcnt lgkmcnt(0)
	s_barrier
	ds_read_b32 v66, v59 offset:12
	s_cmp_lt_i32 s22, 5
	v_mov_b32_e32 v62, 3
	s_cbranch_scc1 .LBB106_49
; %bb.47:
	v_add3_u32 v67, v64, 0, 16
	v_mov_b32_e32 v62, 3
	s_mov_b32 s0, 4
.LBB106_48:                             ; =>This Inner Loop Header: Depth=1
	ds_read_b32 v68, v67
	v_mov_b32_e32 v69, s0
	s_add_i32 s0, s0, 1
	v_add_u32_e32 v67, 4, v67
	s_cmp_lg_u32 s22, s0
	s_waitcnt lgkmcnt(0)
	v_cmp_lt_f32_e64 vcc, |v66|, |v68|
	s_nop 1
	v_cndmask_b32_e32 v66, v66, v68, vcc
	v_cndmask_b32_e32 v62, v62, v69, vcc
	s_cbranch_scc1 .LBB106_48
.LBB106_49:
	s_waitcnt lgkmcnt(0)
	v_cmp_eq_f32_e32 vcc, 0, v66
	s_and_saveexec_b64 s[0:1], vcc
	s_xor_b64 s[0:1], exec, s[0:1]
; %bb.50:
	v_cmp_ne_u32_e32 vcc, 0, v61
	s_nop 1
	v_cndmask_b32_e32 v61, 4, v61, vcc
; %bb.51:
	s_andn2_saveexec_b64 s[0:1], s[0:1]
	s_cbranch_execz .LBB106_53
; %bb.52:
	v_div_scale_f32 v67, s[2:3], v66, v66, 1.0
	v_rcp_f32_e32 v68, v67
	v_div_scale_f32 v69, vcc, 1.0, v66, 1.0
	v_fma_f32 v70, -v67, v68, 1.0
	v_fmac_f32_e32 v68, v70, v68
	v_mul_f32_e32 v70, v69, v68
	v_fma_f32 v71, -v67, v70, v69
	v_fmac_f32_e32 v70, v71, v68
	v_fma_f32 v67, -v67, v70, v69
	v_div_fmas_f32 v67, v67, v68, v70
	v_div_fixup_f32 v66, v67, v66, 1.0
.LBB106_53:
	s_or_b64 exec, exec, s[0:1]
	v_cmp_ne_u32_e32 vcc, v65, v62
	s_and_saveexec_b64 s[0:1], vcc
	s_xor_b64 s[0:1], exec, s[0:1]
	s_cbranch_execz .LBB106_59
; %bb.54:
	v_cmp_eq_u32_e32 vcc, 3, v65
	s_and_saveexec_b64 s[2:3], vcc
	s_cbranch_execz .LBB106_58
; %bb.55:
	v_cmp_ne_u32_e32 vcc, 3, v62
	s_xor_b64 s[12:13], s[20:21], -1
	s_and_b64 s[14:15], s[12:13], vcc
	s_and_saveexec_b64 s[12:13], s[14:15]
	s_cbranch_execz .LBB106_57
; %bb.56:
	v_ashrrev_i32_e32 v63, 31, v62
	v_lshl_add_u64 v[68:69], v[62:63], 2, v[4:5]
	global_load_dword v63, v[68:69], off
	global_load_dword v65, v[4:5], off offset:12
	s_waitcnt vmcnt(1)
	global_store_dword v[4:5], v63, off offset:12
	s_waitcnt vmcnt(1)
	global_store_dword v[68:69], v65, off
.LBB106_57:
	s_or_b64 exec, exec, s[12:13]
	v_mov_b32_e32 v63, v62
	v_mov_b32_e32 v65, v62
.LBB106_58:
	s_or_b64 exec, exec, s[2:3]
.LBB106_59:
	s_andn2_saveexec_b64 s[0:1], s[0:1]
	s_cbranch_execz .LBB106_61
; %bb.60:
	v_mov_b32_e32 v65, 3
	ds_write2_b32 v59, v54, v55 offset0:4 offset1:5
	ds_write2_b32 v59, v52, v53 offset0:6 offset1:7
	;; [unrolled: 1-line block ×25, first 2 shown]
.LBB106_61:
	s_or_b64 exec, exec, s[0:1]
	v_cmp_lt_i32_e32 vcc, 3, v65
	s_waitcnt lgkmcnt(0)
	s_barrier
	s_and_saveexec_b64 s[0:1], vcc
	s_cbranch_execz .LBB106_63
; %bb.62:
	v_mul_f32_e32 v62, v66, v57
	ds_read2_b32 v[66:67], v59 offset0:4 offset1:5
	v_mov_b32_e32 v57, v62
	s_waitcnt lgkmcnt(0)
	v_pk_fma_f32 v[54:55], v[62:63], v[66:67], v[54:55] op_sel_hi:[0,1,1] neg_lo:[1,0,0] neg_hi:[1,0,0]
	ds_read2_b32 v[66:67], v59 offset0:6 offset1:7
	s_waitcnt lgkmcnt(0)
	v_pk_fma_f32 v[52:53], v[62:63], v[66:67], v[52:53] op_sel_hi:[0,1,1] neg_lo:[1,0,0] neg_hi:[1,0,0]
	ds_read2_b32 v[66:67], v59 offset0:8 offset1:9
	;; [unrolled: 3-line block ×24, first 2 shown]
	s_waitcnt lgkmcnt(0)
	v_pk_fma_f32 v[8:9], v[62:63], v[66:67], v[8:9] op_sel_hi:[0,1,1] neg_lo:[1,0,0] neg_hi:[1,0,0]
.LBB106_63:
	s_or_b64 exec, exec, s[0:1]
	v_lshl_add_u32 v62, v65, 2, v59
	s_barrier
	ds_write_b32 v62, v54
	s_waitcnt lgkmcnt(0)
	s_barrier
	ds_read_b32 v66, v59 offset:16
	s_cmp_lt_i32 s22, 6
	v_mov_b32_e32 v62, 4
	s_cbranch_scc1 .LBB106_66
; %bb.64:
	v_add3_u32 v67, v64, 0, 20
	v_mov_b32_e32 v62, 4
	s_mov_b32 s0, 5
.LBB106_65:                             ; =>This Inner Loop Header: Depth=1
	ds_read_b32 v68, v67
	v_mov_b32_e32 v69, s0
	s_add_i32 s0, s0, 1
	v_add_u32_e32 v67, 4, v67
	s_cmp_lg_u32 s22, s0
	s_waitcnt lgkmcnt(0)
	v_cmp_lt_f32_e64 vcc, |v66|, |v68|
	s_nop 1
	v_cndmask_b32_e32 v66, v66, v68, vcc
	v_cndmask_b32_e32 v62, v62, v69, vcc
	s_cbranch_scc1 .LBB106_65
.LBB106_66:
	s_waitcnt lgkmcnt(0)
	v_cmp_eq_f32_e32 vcc, 0, v66
	s_and_saveexec_b64 s[0:1], vcc
	s_xor_b64 s[0:1], exec, s[0:1]
; %bb.67:
	v_cmp_ne_u32_e32 vcc, 0, v61
	s_nop 1
	v_cndmask_b32_e32 v61, 5, v61, vcc
; %bb.68:
	s_andn2_saveexec_b64 s[0:1], s[0:1]
	s_cbranch_execz .LBB106_70
; %bb.69:
	v_div_scale_f32 v67, s[2:3], v66, v66, 1.0
	v_rcp_f32_e32 v68, v67
	v_div_scale_f32 v69, vcc, 1.0, v66, 1.0
	v_fma_f32 v70, -v67, v68, 1.0
	v_fmac_f32_e32 v68, v70, v68
	v_mul_f32_e32 v70, v69, v68
	v_fma_f32 v71, -v67, v70, v69
	v_fmac_f32_e32 v70, v71, v68
	v_fma_f32 v67, -v67, v70, v69
	v_div_fmas_f32 v67, v67, v68, v70
	v_div_fixup_f32 v66, v67, v66, 1.0
.LBB106_70:
	s_or_b64 exec, exec, s[0:1]
	v_cmp_ne_u32_e32 vcc, v65, v62
	s_and_saveexec_b64 s[0:1], vcc
	s_xor_b64 s[0:1], exec, s[0:1]
	s_cbranch_execz .LBB106_76
; %bb.71:
	v_cmp_eq_u32_e32 vcc, 4, v65
	s_and_saveexec_b64 s[2:3], vcc
	s_cbranch_execz .LBB106_75
; %bb.72:
	v_cmp_ne_u32_e32 vcc, 4, v62
	s_xor_b64 s[12:13], s[20:21], -1
	s_and_b64 s[14:15], s[12:13], vcc
	s_and_saveexec_b64 s[12:13], s[14:15]
	s_cbranch_execz .LBB106_74
; %bb.73:
	v_ashrrev_i32_e32 v63, 31, v62
	v_lshl_add_u64 v[68:69], v[62:63], 2, v[4:5]
	global_load_dword v63, v[68:69], off
	global_load_dword v65, v[4:5], off offset:16
	s_waitcnt vmcnt(1)
	global_store_dword v[4:5], v63, off offset:16
	s_waitcnt vmcnt(1)
	global_store_dword v[68:69], v65, off
.LBB106_74:
	s_or_b64 exec, exec, s[12:13]
	v_mov_b32_e32 v63, v62
	v_mov_b32_e32 v65, v62
.LBB106_75:
	s_or_b64 exec, exec, s[2:3]
.LBB106_76:
	s_andn2_saveexec_b64 s[0:1], s[0:1]
	s_cbranch_execz .LBB106_78
; %bb.77:
	v_pk_mov_b32 v[68:69], v[54:55], v[52:53] op_sel:[1,0]
	ds_write2_b32 v59, v68, v69 offset0:5 offset1:6
	v_pk_mov_b32 v[68:69], v[52:53], v[50:51] op_sel:[1,0]
	ds_write2_b32 v59, v68, v69 offset0:7 offset1:8
	;; [unrolled: 2-line block ×23, first 2 shown]
	v_pk_mov_b32 v[68:69], v[14:15], v[8:9] op_sel:[1,0]
	v_mov_b32_e32 v65, 4
	ds_write2_b32 v59, v68, v69 offset0:51 offset1:52
	ds_write_b32 v59, v9 offset:212
.LBB106_78:
	s_or_b64 exec, exec, s[0:1]
	v_cmp_lt_i32_e32 vcc, 4, v65
	s_waitcnt lgkmcnt(0)
	s_barrier
	s_and_saveexec_b64 s[0:1], vcc
	s_cbranch_execz .LBB106_80
; %bb.79:
	ds_read_b32 v62, v59 offset:20
	v_mul_f32_e32 v54, v66, v54
	ds_read2_b32 v[66:67], v59 offset0:6 offset1:7
	s_waitcnt lgkmcnt(1)
	v_fma_f32 v55, -v54, v62, v55
	s_waitcnt lgkmcnt(0)
	v_pk_fma_f32 v[52:53], v[54:55], v[66:67], v[52:53] op_sel_hi:[0,1,1] neg_lo:[1,0,0] neg_hi:[1,0,0]
	ds_read2_b32 v[66:67], v59 offset0:8 offset1:9
	s_waitcnt lgkmcnt(0)
	v_pk_fma_f32 v[50:51], v[54:55], v[66:67], v[50:51] op_sel_hi:[0,1,1] neg_lo:[1,0,0] neg_hi:[1,0,0]
	ds_read2_b32 v[66:67], v59 offset0:10 offset1:11
	;; [unrolled: 3-line block ×23, first 2 shown]
	s_waitcnt lgkmcnt(0)
	v_pk_fma_f32 v[8:9], v[54:55], v[66:67], v[8:9] op_sel_hi:[0,1,1] neg_lo:[1,0,0] neg_hi:[1,0,0]
.LBB106_80:
	s_or_b64 exec, exec, s[0:1]
	v_lshl_add_u32 v62, v65, 2, v59
	s_barrier
	ds_write_b32 v62, v55
	s_waitcnt lgkmcnt(0)
	s_barrier
	ds_read_b32 v66, v59 offset:20
	s_cmp_lt_i32 s22, 7
	v_mov_b32_e32 v62, 5
	s_cbranch_scc1 .LBB106_83
; %bb.81:
	v_add3_u32 v67, v64, 0, 24
	v_mov_b32_e32 v62, 5
	s_mov_b32 s0, 6
.LBB106_82:                             ; =>This Inner Loop Header: Depth=1
	ds_read_b32 v68, v67
	v_mov_b32_e32 v69, s0
	s_add_i32 s0, s0, 1
	v_add_u32_e32 v67, 4, v67
	s_cmp_lg_u32 s22, s0
	s_waitcnt lgkmcnt(0)
	v_cmp_lt_f32_e64 vcc, |v66|, |v68|
	s_nop 1
	v_cndmask_b32_e32 v66, v66, v68, vcc
	v_cndmask_b32_e32 v62, v62, v69, vcc
	s_cbranch_scc1 .LBB106_82
.LBB106_83:
	s_waitcnt lgkmcnt(0)
	v_cmp_eq_f32_e32 vcc, 0, v66
	s_and_saveexec_b64 s[0:1], vcc
	s_xor_b64 s[0:1], exec, s[0:1]
; %bb.84:
	v_cmp_ne_u32_e32 vcc, 0, v61
	s_nop 1
	v_cndmask_b32_e32 v61, 6, v61, vcc
; %bb.85:
	s_andn2_saveexec_b64 s[0:1], s[0:1]
	s_cbranch_execz .LBB106_87
; %bb.86:
	v_div_scale_f32 v67, s[2:3], v66, v66, 1.0
	v_rcp_f32_e32 v68, v67
	v_div_scale_f32 v69, vcc, 1.0, v66, 1.0
	v_fma_f32 v70, -v67, v68, 1.0
	v_fmac_f32_e32 v68, v70, v68
	v_mul_f32_e32 v70, v69, v68
	v_fma_f32 v71, -v67, v70, v69
	v_fmac_f32_e32 v70, v71, v68
	v_fma_f32 v67, -v67, v70, v69
	v_div_fmas_f32 v67, v67, v68, v70
	v_div_fixup_f32 v66, v67, v66, 1.0
.LBB106_87:
	s_or_b64 exec, exec, s[0:1]
	v_cmp_ne_u32_e32 vcc, v65, v62
	s_and_saveexec_b64 s[0:1], vcc
	s_xor_b64 s[0:1], exec, s[0:1]
	s_cbranch_execz .LBB106_93
; %bb.88:
	v_cmp_eq_u32_e32 vcc, 5, v65
	s_and_saveexec_b64 s[2:3], vcc
	s_cbranch_execz .LBB106_92
; %bb.89:
	v_cmp_ne_u32_e32 vcc, 5, v62
	s_xor_b64 s[12:13], s[20:21], -1
	s_and_b64 s[14:15], s[12:13], vcc
	s_and_saveexec_b64 s[12:13], s[14:15]
	s_cbranch_execz .LBB106_91
; %bb.90:
	v_ashrrev_i32_e32 v63, 31, v62
	v_lshl_add_u64 v[68:69], v[62:63], 2, v[4:5]
	global_load_dword v63, v[68:69], off
	global_load_dword v65, v[4:5], off offset:20
	s_waitcnt vmcnt(1)
	global_store_dword v[4:5], v63, off offset:20
	s_waitcnt vmcnt(1)
	global_store_dword v[68:69], v65, off
.LBB106_91:
	s_or_b64 exec, exec, s[12:13]
	v_mov_b32_e32 v63, v62
	v_mov_b32_e32 v65, v62
.LBB106_92:
	s_or_b64 exec, exec, s[2:3]
.LBB106_93:
	s_andn2_saveexec_b64 s[0:1], s[0:1]
	s_cbranch_execz .LBB106_95
; %bb.94:
	v_mov_b32_e32 v65, 5
	ds_write2_b32 v59, v52, v53 offset0:6 offset1:7
	ds_write2_b32 v59, v50, v51 offset0:8 offset1:9
	;; [unrolled: 1-line block ×24, first 2 shown]
.LBB106_95:
	s_or_b64 exec, exec, s[0:1]
	v_cmp_lt_i32_e32 vcc, 5, v65
	s_waitcnt lgkmcnt(0)
	s_barrier
	s_and_saveexec_b64 s[0:1], vcc
	s_cbranch_execz .LBB106_97
; %bb.96:
	v_mul_f32_e32 v62, v66, v55
	ds_read2_b32 v[66:67], v59 offset0:6 offset1:7
	v_mov_b32_e32 v55, v62
	s_waitcnt lgkmcnt(0)
	v_pk_fma_f32 v[52:53], v[62:63], v[66:67], v[52:53] op_sel_hi:[0,1,1] neg_lo:[1,0,0] neg_hi:[1,0,0]
	ds_read2_b32 v[66:67], v59 offset0:8 offset1:9
	s_waitcnt lgkmcnt(0)
	v_pk_fma_f32 v[50:51], v[62:63], v[66:67], v[50:51] op_sel_hi:[0,1,1] neg_lo:[1,0,0] neg_hi:[1,0,0]
	ds_read2_b32 v[66:67], v59 offset0:10 offset1:11
	;; [unrolled: 3-line block ×23, first 2 shown]
	s_waitcnt lgkmcnt(0)
	v_pk_fma_f32 v[8:9], v[62:63], v[66:67], v[8:9] op_sel_hi:[0,1,1] neg_lo:[1,0,0] neg_hi:[1,0,0]
.LBB106_97:
	s_or_b64 exec, exec, s[0:1]
	v_lshl_add_u32 v62, v65, 2, v59
	s_barrier
	ds_write_b32 v62, v52
	s_waitcnt lgkmcnt(0)
	s_barrier
	ds_read_b32 v66, v59 offset:24
	s_cmp_lt_i32 s22, 8
	v_mov_b32_e32 v62, 6
	s_cbranch_scc1 .LBB106_100
; %bb.98:
	v_add3_u32 v67, v64, 0, 28
	v_mov_b32_e32 v62, 6
	s_mov_b32 s0, 7
.LBB106_99:                             ; =>This Inner Loop Header: Depth=1
	ds_read_b32 v68, v67
	v_mov_b32_e32 v69, s0
	s_add_i32 s0, s0, 1
	v_add_u32_e32 v67, 4, v67
	s_cmp_lg_u32 s22, s0
	s_waitcnt lgkmcnt(0)
	v_cmp_lt_f32_e64 vcc, |v66|, |v68|
	s_nop 1
	v_cndmask_b32_e32 v66, v66, v68, vcc
	v_cndmask_b32_e32 v62, v62, v69, vcc
	s_cbranch_scc1 .LBB106_99
.LBB106_100:
	s_waitcnt lgkmcnt(0)
	v_cmp_eq_f32_e32 vcc, 0, v66
	s_and_saveexec_b64 s[0:1], vcc
	s_xor_b64 s[0:1], exec, s[0:1]
; %bb.101:
	v_cmp_ne_u32_e32 vcc, 0, v61
	s_nop 1
	v_cndmask_b32_e32 v61, 7, v61, vcc
; %bb.102:
	s_andn2_saveexec_b64 s[0:1], s[0:1]
	s_cbranch_execz .LBB106_104
; %bb.103:
	v_div_scale_f32 v67, s[2:3], v66, v66, 1.0
	v_rcp_f32_e32 v68, v67
	v_div_scale_f32 v69, vcc, 1.0, v66, 1.0
	v_fma_f32 v70, -v67, v68, 1.0
	v_fmac_f32_e32 v68, v70, v68
	v_mul_f32_e32 v70, v69, v68
	v_fma_f32 v71, -v67, v70, v69
	v_fmac_f32_e32 v70, v71, v68
	v_fma_f32 v67, -v67, v70, v69
	v_div_fmas_f32 v67, v67, v68, v70
	v_div_fixup_f32 v66, v67, v66, 1.0
.LBB106_104:
	s_or_b64 exec, exec, s[0:1]
	v_cmp_ne_u32_e32 vcc, v65, v62
	s_and_saveexec_b64 s[0:1], vcc
	s_xor_b64 s[0:1], exec, s[0:1]
	s_cbranch_execz .LBB106_110
; %bb.105:
	v_cmp_eq_u32_e32 vcc, 6, v65
	s_and_saveexec_b64 s[2:3], vcc
	s_cbranch_execz .LBB106_109
; %bb.106:
	v_cmp_ne_u32_e32 vcc, 6, v62
	s_xor_b64 s[12:13], s[20:21], -1
	s_and_b64 s[14:15], s[12:13], vcc
	s_and_saveexec_b64 s[12:13], s[14:15]
	s_cbranch_execz .LBB106_108
; %bb.107:
	v_ashrrev_i32_e32 v63, 31, v62
	v_lshl_add_u64 v[68:69], v[62:63], 2, v[4:5]
	global_load_dword v63, v[68:69], off
	global_load_dword v65, v[4:5], off offset:24
	s_waitcnt vmcnt(1)
	global_store_dword v[4:5], v63, off offset:24
	s_waitcnt vmcnt(1)
	global_store_dword v[68:69], v65, off
.LBB106_108:
	s_or_b64 exec, exec, s[12:13]
	v_mov_b32_e32 v63, v62
	v_mov_b32_e32 v65, v62
.LBB106_109:
	s_or_b64 exec, exec, s[2:3]
.LBB106_110:
	s_andn2_saveexec_b64 s[0:1], s[0:1]
	s_cbranch_execz .LBB106_112
; %bb.111:
	v_pk_mov_b32 v[68:69], v[52:53], v[50:51] op_sel:[1,0]
	ds_write2_b32 v59, v68, v69 offset0:7 offset1:8
	v_pk_mov_b32 v[68:69], v[50:51], v[46:47] op_sel:[1,0]
	ds_write2_b32 v59, v68, v69 offset0:9 offset1:10
	;; [unrolled: 2-line block ×22, first 2 shown]
	v_pk_mov_b32 v[68:69], v[14:15], v[8:9] op_sel:[1,0]
	v_mov_b32_e32 v65, 6
	ds_write2_b32 v59, v68, v69 offset0:51 offset1:52
	ds_write_b32 v59, v9 offset:212
.LBB106_112:
	s_or_b64 exec, exec, s[0:1]
	v_cmp_lt_i32_e32 vcc, 6, v65
	s_waitcnt lgkmcnt(0)
	s_barrier
	s_and_saveexec_b64 s[0:1], vcc
	s_cbranch_execz .LBB106_114
; %bb.113:
	ds_read_b32 v62, v59 offset:28
	v_mul_f32_e32 v52, v66, v52
	ds_read2_b32 v[66:67], v59 offset0:8 offset1:9
	s_waitcnt lgkmcnt(1)
	v_fma_f32 v53, -v52, v62, v53
	s_waitcnt lgkmcnt(0)
	v_pk_fma_f32 v[50:51], v[52:53], v[66:67], v[50:51] op_sel_hi:[0,1,1] neg_lo:[1,0,0] neg_hi:[1,0,0]
	ds_read2_b32 v[66:67], v59 offset0:10 offset1:11
	s_waitcnt lgkmcnt(0)
	v_pk_fma_f32 v[46:47], v[52:53], v[66:67], v[46:47] op_sel_hi:[0,1,1] neg_lo:[1,0,0] neg_hi:[1,0,0]
	ds_read2_b32 v[66:67], v59 offset0:12 offset1:13
	s_waitcnt lgkmcnt(0)
	v_pk_fma_f32 v[40:41], v[52:53], v[66:67], v[40:41] op_sel_hi:[0,1,1] neg_lo:[1,0,0] neg_hi:[1,0,0]
	ds_read2_b32 v[66:67], v59 offset0:14 offset1:15
	s_waitcnt lgkmcnt(0)
	v_pk_fma_f32 v[32:33], v[52:53], v[66:67], v[32:33] op_sel_hi:[0,1,1] neg_lo:[1,0,0] neg_hi:[1,0,0]
	ds_read2_b32 v[66:67], v59 offset0:16 offset1:17
	s_waitcnt lgkmcnt(0)
	v_pk_fma_f32 v[48:49], v[52:53], v[66:67], v[48:49] op_sel_hi:[0,1,1] neg_lo:[1,0,0] neg_hi:[1,0,0]
	ds_read2_b32 v[66:67], v59 offset0:18 offset1:19
	s_waitcnt lgkmcnt(0)
	v_pk_fma_f32 v[42:43], v[52:53], v[66:67], v[42:43] op_sel_hi:[0,1,1] neg_lo:[1,0,0] neg_hi:[1,0,0]
	ds_read2_b32 v[66:67], v59 offset0:20 offset1:21
	s_waitcnt lgkmcnt(0)
	v_pk_fma_f32 v[34:35], v[52:53], v[66:67], v[34:35] op_sel_hi:[0,1,1] neg_lo:[1,0,0] neg_hi:[1,0,0]
	ds_read2_b32 v[66:67], v59 offset0:22 offset1:23
	s_waitcnt lgkmcnt(0)
	v_pk_fma_f32 v[24:25], v[52:53], v[66:67], v[24:25] op_sel_hi:[0,1,1] neg_lo:[1,0,0] neg_hi:[1,0,0]
	ds_read2_b32 v[66:67], v59 offset0:24 offset1:25
	s_waitcnt lgkmcnt(0)
	v_pk_fma_f32 v[44:45], v[52:53], v[66:67], v[44:45] op_sel_hi:[0,1,1] neg_lo:[1,0,0] neg_hi:[1,0,0]
	ds_read2_b32 v[66:67], v59 offset0:26 offset1:27
	s_waitcnt lgkmcnt(0)
	v_pk_fma_f32 v[36:37], v[52:53], v[66:67], v[36:37] op_sel_hi:[0,1,1] neg_lo:[1,0,0] neg_hi:[1,0,0]
	ds_read2_b32 v[66:67], v59 offset0:28 offset1:29
	s_waitcnt lgkmcnt(0)
	v_pk_fma_f32 v[26:27], v[52:53], v[66:67], v[26:27] op_sel_hi:[0,1,1] neg_lo:[1,0,0] neg_hi:[1,0,0]
	ds_read2_b32 v[66:67], v59 offset0:30 offset1:31
	s_waitcnt lgkmcnt(0)
	v_pk_fma_f32 v[18:19], v[52:53], v[66:67], v[18:19] op_sel_hi:[0,1,1] neg_lo:[1,0,0] neg_hi:[1,0,0]
	ds_read2_b32 v[66:67], v59 offset0:32 offset1:33
	s_waitcnt lgkmcnt(0)
	v_pk_fma_f32 v[38:39], v[52:53], v[66:67], v[38:39] op_sel_hi:[0,1,1] neg_lo:[1,0,0] neg_hi:[1,0,0]
	ds_read2_b32 v[66:67], v59 offset0:34 offset1:35
	s_waitcnt lgkmcnt(0)
	v_pk_fma_f32 v[28:29], v[52:53], v[66:67], v[28:29] op_sel_hi:[0,1,1] neg_lo:[1,0,0] neg_hi:[1,0,0]
	ds_read2_b32 v[66:67], v59 offset0:36 offset1:37
	s_waitcnt lgkmcnt(0)
	v_pk_fma_f32 v[20:21], v[52:53], v[66:67], v[20:21] op_sel_hi:[0,1,1] neg_lo:[1,0,0] neg_hi:[1,0,0]
	ds_read2_b32 v[66:67], v59 offset0:38 offset1:39
	s_waitcnt lgkmcnt(0)
	v_pk_fma_f32 v[12:13], v[52:53], v[66:67], v[12:13] op_sel_hi:[0,1,1] neg_lo:[1,0,0] neg_hi:[1,0,0]
	ds_read2_b32 v[66:67], v59 offset0:40 offset1:41
	s_waitcnt lgkmcnt(0)
	v_pk_fma_f32 v[30:31], v[52:53], v[66:67], v[30:31] op_sel_hi:[0,1,1] neg_lo:[1,0,0] neg_hi:[1,0,0]
	ds_read2_b32 v[66:67], v59 offset0:42 offset1:43
	s_waitcnt lgkmcnt(0)
	v_pk_fma_f32 v[22:23], v[52:53], v[66:67], v[22:23] op_sel_hi:[0,1,1] neg_lo:[1,0,0] neg_hi:[1,0,0]
	ds_read2_b32 v[66:67], v59 offset0:44 offset1:45
	s_waitcnt lgkmcnt(0)
	v_pk_fma_f32 v[16:17], v[52:53], v[66:67], v[16:17] op_sel_hi:[0,1,1] neg_lo:[1,0,0] neg_hi:[1,0,0]
	ds_read2_b32 v[66:67], v59 offset0:46 offset1:47
	s_waitcnt lgkmcnt(0)
	v_pk_fma_f32 v[10:11], v[52:53], v[66:67], v[10:11] op_sel_hi:[0,1,1] neg_lo:[1,0,0] neg_hi:[1,0,0]
	ds_read2_b32 v[66:67], v59 offset0:48 offset1:49
	s_waitcnt lgkmcnt(0)
	v_pk_fma_f32 v[0:1], v[52:53], v[66:67], v[0:1] op_sel_hi:[0,1,1] neg_lo:[1,0,0] neg_hi:[1,0,0]
	ds_read2_b32 v[66:67], v59 offset0:50 offset1:51
	s_waitcnt lgkmcnt(0)
	v_pk_fma_f32 v[14:15], v[52:53], v[66:67], v[14:15] op_sel_hi:[0,1,1] neg_lo:[1,0,0] neg_hi:[1,0,0]
	ds_read2_b32 v[66:67], v59 offset0:52 offset1:53
	s_waitcnt lgkmcnt(0)
	v_pk_fma_f32 v[8:9], v[52:53], v[66:67], v[8:9] op_sel_hi:[0,1,1] neg_lo:[1,0,0] neg_hi:[1,0,0]
.LBB106_114:
	s_or_b64 exec, exec, s[0:1]
	v_lshl_add_u32 v62, v65, 2, v59
	s_barrier
	ds_write_b32 v62, v53
	s_waitcnt lgkmcnt(0)
	s_barrier
	ds_read_b32 v66, v59 offset:28
	s_cmp_lt_i32 s22, 9
	v_mov_b32_e32 v62, 7
	s_cbranch_scc1 .LBB106_117
; %bb.115:
	v_add3_u32 v67, v64, 0, 32
	v_mov_b32_e32 v62, 7
	s_mov_b32 s0, 8
.LBB106_116:                            ; =>This Inner Loop Header: Depth=1
	ds_read_b32 v68, v67
	v_mov_b32_e32 v69, s0
	s_add_i32 s0, s0, 1
	v_add_u32_e32 v67, 4, v67
	s_cmp_lg_u32 s22, s0
	s_waitcnt lgkmcnt(0)
	v_cmp_lt_f32_e64 vcc, |v66|, |v68|
	s_nop 1
	v_cndmask_b32_e32 v66, v66, v68, vcc
	v_cndmask_b32_e32 v62, v62, v69, vcc
	s_cbranch_scc1 .LBB106_116
.LBB106_117:
	s_waitcnt lgkmcnt(0)
	v_cmp_eq_f32_e32 vcc, 0, v66
	s_and_saveexec_b64 s[0:1], vcc
	s_xor_b64 s[0:1], exec, s[0:1]
; %bb.118:
	v_cmp_ne_u32_e32 vcc, 0, v61
	s_nop 1
	v_cndmask_b32_e32 v61, 8, v61, vcc
; %bb.119:
	s_andn2_saveexec_b64 s[0:1], s[0:1]
	s_cbranch_execz .LBB106_121
; %bb.120:
	v_div_scale_f32 v67, s[2:3], v66, v66, 1.0
	v_rcp_f32_e32 v68, v67
	v_div_scale_f32 v69, vcc, 1.0, v66, 1.0
	v_fma_f32 v70, -v67, v68, 1.0
	v_fmac_f32_e32 v68, v70, v68
	v_mul_f32_e32 v70, v69, v68
	v_fma_f32 v71, -v67, v70, v69
	v_fmac_f32_e32 v70, v71, v68
	v_fma_f32 v67, -v67, v70, v69
	v_div_fmas_f32 v67, v67, v68, v70
	v_div_fixup_f32 v66, v67, v66, 1.0
.LBB106_121:
	s_or_b64 exec, exec, s[0:1]
	v_cmp_ne_u32_e32 vcc, v65, v62
	s_and_saveexec_b64 s[0:1], vcc
	s_xor_b64 s[0:1], exec, s[0:1]
	s_cbranch_execz .LBB106_127
; %bb.122:
	v_cmp_eq_u32_e32 vcc, 7, v65
	s_and_saveexec_b64 s[2:3], vcc
	s_cbranch_execz .LBB106_126
; %bb.123:
	v_cmp_ne_u32_e32 vcc, 7, v62
	s_xor_b64 s[12:13], s[20:21], -1
	s_and_b64 s[14:15], s[12:13], vcc
	s_and_saveexec_b64 s[12:13], s[14:15]
	s_cbranch_execz .LBB106_125
; %bb.124:
	v_ashrrev_i32_e32 v63, 31, v62
	v_lshl_add_u64 v[68:69], v[62:63], 2, v[4:5]
	global_load_dword v63, v[68:69], off
	global_load_dword v65, v[4:5], off offset:28
	s_waitcnt vmcnt(1)
	global_store_dword v[4:5], v63, off offset:28
	s_waitcnt vmcnt(1)
	global_store_dword v[68:69], v65, off
.LBB106_125:
	s_or_b64 exec, exec, s[12:13]
	v_mov_b32_e32 v63, v62
	v_mov_b32_e32 v65, v62
.LBB106_126:
	s_or_b64 exec, exec, s[2:3]
.LBB106_127:
	s_andn2_saveexec_b64 s[0:1], s[0:1]
	s_cbranch_execz .LBB106_129
; %bb.128:
	v_mov_b32_e32 v65, 7
	ds_write2_b32 v59, v50, v51 offset0:8 offset1:9
	ds_write2_b32 v59, v46, v47 offset0:10 offset1:11
	;; [unrolled: 1-line block ×23, first 2 shown]
.LBB106_129:
	s_or_b64 exec, exec, s[0:1]
	v_cmp_lt_i32_e32 vcc, 7, v65
	s_waitcnt lgkmcnt(0)
	s_barrier
	s_and_saveexec_b64 s[0:1], vcc
	s_cbranch_execz .LBB106_131
; %bb.130:
	v_mul_f32_e32 v62, v66, v53
	ds_read2_b32 v[66:67], v59 offset0:8 offset1:9
	v_mov_b32_e32 v53, v62
	s_waitcnt lgkmcnt(0)
	v_pk_fma_f32 v[50:51], v[62:63], v[66:67], v[50:51] op_sel_hi:[0,1,1] neg_lo:[1,0,0] neg_hi:[1,0,0]
	ds_read2_b32 v[66:67], v59 offset0:10 offset1:11
	s_waitcnt lgkmcnt(0)
	v_pk_fma_f32 v[46:47], v[62:63], v[66:67], v[46:47] op_sel_hi:[0,1,1] neg_lo:[1,0,0] neg_hi:[1,0,0]
	ds_read2_b32 v[66:67], v59 offset0:12 offset1:13
	;; [unrolled: 3-line block ×22, first 2 shown]
	s_waitcnt lgkmcnt(0)
	v_pk_fma_f32 v[8:9], v[62:63], v[66:67], v[8:9] op_sel_hi:[0,1,1] neg_lo:[1,0,0] neg_hi:[1,0,0]
.LBB106_131:
	s_or_b64 exec, exec, s[0:1]
	v_lshl_add_u32 v62, v65, 2, v59
	s_barrier
	ds_write_b32 v62, v50
	s_waitcnt lgkmcnt(0)
	s_barrier
	ds_read_b32 v66, v59 offset:32
	s_cmp_lt_i32 s22, 10
	v_mov_b32_e32 v62, 8
	s_cbranch_scc1 .LBB106_134
; %bb.132:
	v_add3_u32 v67, v64, 0, 36
	v_mov_b32_e32 v62, 8
	s_mov_b32 s0, 9
.LBB106_133:                            ; =>This Inner Loop Header: Depth=1
	ds_read_b32 v68, v67
	v_mov_b32_e32 v69, s0
	s_add_i32 s0, s0, 1
	v_add_u32_e32 v67, 4, v67
	s_cmp_lg_u32 s22, s0
	s_waitcnt lgkmcnt(0)
	v_cmp_lt_f32_e64 vcc, |v66|, |v68|
	s_nop 1
	v_cndmask_b32_e32 v66, v66, v68, vcc
	v_cndmask_b32_e32 v62, v62, v69, vcc
	s_cbranch_scc1 .LBB106_133
.LBB106_134:
	s_waitcnt lgkmcnt(0)
	v_cmp_eq_f32_e32 vcc, 0, v66
	s_and_saveexec_b64 s[0:1], vcc
	s_xor_b64 s[0:1], exec, s[0:1]
; %bb.135:
	v_cmp_ne_u32_e32 vcc, 0, v61
	s_nop 1
	v_cndmask_b32_e32 v61, 9, v61, vcc
; %bb.136:
	s_andn2_saveexec_b64 s[0:1], s[0:1]
	s_cbranch_execz .LBB106_138
; %bb.137:
	v_div_scale_f32 v67, s[2:3], v66, v66, 1.0
	v_rcp_f32_e32 v68, v67
	v_div_scale_f32 v69, vcc, 1.0, v66, 1.0
	v_fma_f32 v70, -v67, v68, 1.0
	v_fmac_f32_e32 v68, v70, v68
	v_mul_f32_e32 v70, v69, v68
	v_fma_f32 v71, -v67, v70, v69
	v_fmac_f32_e32 v70, v71, v68
	v_fma_f32 v67, -v67, v70, v69
	v_div_fmas_f32 v67, v67, v68, v70
	v_div_fixup_f32 v66, v67, v66, 1.0
.LBB106_138:
	s_or_b64 exec, exec, s[0:1]
	v_cmp_ne_u32_e32 vcc, v65, v62
	s_and_saveexec_b64 s[0:1], vcc
	s_xor_b64 s[0:1], exec, s[0:1]
	s_cbranch_execz .LBB106_144
; %bb.139:
	v_cmp_eq_u32_e32 vcc, 8, v65
	s_and_saveexec_b64 s[2:3], vcc
	s_cbranch_execz .LBB106_143
; %bb.140:
	v_cmp_ne_u32_e32 vcc, 8, v62
	s_xor_b64 s[12:13], s[20:21], -1
	s_and_b64 s[14:15], s[12:13], vcc
	s_and_saveexec_b64 s[12:13], s[14:15]
	s_cbranch_execz .LBB106_142
; %bb.141:
	v_ashrrev_i32_e32 v63, 31, v62
	v_lshl_add_u64 v[68:69], v[62:63], 2, v[4:5]
	global_load_dword v63, v[68:69], off
	global_load_dword v65, v[4:5], off offset:32
	s_waitcnt vmcnt(1)
	global_store_dword v[4:5], v63, off offset:32
	s_waitcnt vmcnt(1)
	global_store_dword v[68:69], v65, off
.LBB106_142:
	s_or_b64 exec, exec, s[12:13]
	v_mov_b32_e32 v63, v62
	v_mov_b32_e32 v65, v62
.LBB106_143:
	s_or_b64 exec, exec, s[2:3]
.LBB106_144:
	s_andn2_saveexec_b64 s[0:1], s[0:1]
	s_cbranch_execz .LBB106_146
; %bb.145:
	v_pk_mov_b32 v[68:69], v[50:51], v[46:47] op_sel:[1,0]
	ds_write2_b32 v59, v68, v69 offset0:9 offset1:10
	v_pk_mov_b32 v[68:69], v[46:47], v[40:41] op_sel:[1,0]
	ds_write2_b32 v59, v68, v69 offset0:11 offset1:12
	;; [unrolled: 2-line block ×21, first 2 shown]
	v_pk_mov_b32 v[68:69], v[14:15], v[8:9] op_sel:[1,0]
	v_mov_b32_e32 v65, 8
	ds_write2_b32 v59, v68, v69 offset0:51 offset1:52
	ds_write_b32 v59, v9 offset:212
.LBB106_146:
	s_or_b64 exec, exec, s[0:1]
	v_cmp_lt_i32_e32 vcc, 8, v65
	s_waitcnt lgkmcnt(0)
	s_barrier
	s_and_saveexec_b64 s[0:1], vcc
	s_cbranch_execz .LBB106_148
; %bb.147:
	ds_read_b32 v62, v59 offset:36
	v_mul_f32_e32 v50, v66, v50
	ds_read2_b32 v[66:67], v59 offset0:10 offset1:11
	s_waitcnt lgkmcnt(1)
	v_fma_f32 v51, -v50, v62, v51
	s_waitcnt lgkmcnt(0)
	v_pk_fma_f32 v[46:47], v[50:51], v[66:67], v[46:47] op_sel_hi:[0,1,1] neg_lo:[1,0,0] neg_hi:[1,0,0]
	ds_read2_b32 v[66:67], v59 offset0:12 offset1:13
	s_waitcnt lgkmcnt(0)
	v_pk_fma_f32 v[40:41], v[50:51], v[66:67], v[40:41] op_sel_hi:[0,1,1] neg_lo:[1,0,0] neg_hi:[1,0,0]
	ds_read2_b32 v[66:67], v59 offset0:14 offset1:15
	s_waitcnt lgkmcnt(0)
	v_pk_fma_f32 v[32:33], v[50:51], v[66:67], v[32:33] op_sel_hi:[0,1,1] neg_lo:[1,0,0] neg_hi:[1,0,0]
	ds_read2_b32 v[66:67], v59 offset0:16 offset1:17
	s_waitcnt lgkmcnt(0)
	v_pk_fma_f32 v[48:49], v[50:51], v[66:67], v[48:49] op_sel_hi:[0,1,1] neg_lo:[1,0,0] neg_hi:[1,0,0]
	ds_read2_b32 v[66:67], v59 offset0:18 offset1:19
	s_waitcnt lgkmcnt(0)
	v_pk_fma_f32 v[42:43], v[50:51], v[66:67], v[42:43] op_sel_hi:[0,1,1] neg_lo:[1,0,0] neg_hi:[1,0,0]
	ds_read2_b32 v[66:67], v59 offset0:20 offset1:21
	s_waitcnt lgkmcnt(0)
	v_pk_fma_f32 v[34:35], v[50:51], v[66:67], v[34:35] op_sel_hi:[0,1,1] neg_lo:[1,0,0] neg_hi:[1,0,0]
	ds_read2_b32 v[66:67], v59 offset0:22 offset1:23
	s_waitcnt lgkmcnt(0)
	v_pk_fma_f32 v[24:25], v[50:51], v[66:67], v[24:25] op_sel_hi:[0,1,1] neg_lo:[1,0,0] neg_hi:[1,0,0]
	ds_read2_b32 v[66:67], v59 offset0:24 offset1:25
	s_waitcnt lgkmcnt(0)
	v_pk_fma_f32 v[44:45], v[50:51], v[66:67], v[44:45] op_sel_hi:[0,1,1] neg_lo:[1,0,0] neg_hi:[1,0,0]
	ds_read2_b32 v[66:67], v59 offset0:26 offset1:27
	s_waitcnt lgkmcnt(0)
	v_pk_fma_f32 v[36:37], v[50:51], v[66:67], v[36:37] op_sel_hi:[0,1,1] neg_lo:[1,0,0] neg_hi:[1,0,0]
	ds_read2_b32 v[66:67], v59 offset0:28 offset1:29
	s_waitcnt lgkmcnt(0)
	v_pk_fma_f32 v[26:27], v[50:51], v[66:67], v[26:27] op_sel_hi:[0,1,1] neg_lo:[1,0,0] neg_hi:[1,0,0]
	ds_read2_b32 v[66:67], v59 offset0:30 offset1:31
	s_waitcnt lgkmcnt(0)
	v_pk_fma_f32 v[18:19], v[50:51], v[66:67], v[18:19] op_sel_hi:[0,1,1] neg_lo:[1,0,0] neg_hi:[1,0,0]
	ds_read2_b32 v[66:67], v59 offset0:32 offset1:33
	s_waitcnt lgkmcnt(0)
	v_pk_fma_f32 v[38:39], v[50:51], v[66:67], v[38:39] op_sel_hi:[0,1,1] neg_lo:[1,0,0] neg_hi:[1,0,0]
	ds_read2_b32 v[66:67], v59 offset0:34 offset1:35
	s_waitcnt lgkmcnt(0)
	v_pk_fma_f32 v[28:29], v[50:51], v[66:67], v[28:29] op_sel_hi:[0,1,1] neg_lo:[1,0,0] neg_hi:[1,0,0]
	ds_read2_b32 v[66:67], v59 offset0:36 offset1:37
	s_waitcnt lgkmcnt(0)
	v_pk_fma_f32 v[20:21], v[50:51], v[66:67], v[20:21] op_sel_hi:[0,1,1] neg_lo:[1,0,0] neg_hi:[1,0,0]
	ds_read2_b32 v[66:67], v59 offset0:38 offset1:39
	s_waitcnt lgkmcnt(0)
	v_pk_fma_f32 v[12:13], v[50:51], v[66:67], v[12:13] op_sel_hi:[0,1,1] neg_lo:[1,0,0] neg_hi:[1,0,0]
	ds_read2_b32 v[66:67], v59 offset0:40 offset1:41
	s_waitcnt lgkmcnt(0)
	v_pk_fma_f32 v[30:31], v[50:51], v[66:67], v[30:31] op_sel_hi:[0,1,1] neg_lo:[1,0,0] neg_hi:[1,0,0]
	ds_read2_b32 v[66:67], v59 offset0:42 offset1:43
	s_waitcnt lgkmcnt(0)
	v_pk_fma_f32 v[22:23], v[50:51], v[66:67], v[22:23] op_sel_hi:[0,1,1] neg_lo:[1,0,0] neg_hi:[1,0,0]
	ds_read2_b32 v[66:67], v59 offset0:44 offset1:45
	s_waitcnt lgkmcnt(0)
	v_pk_fma_f32 v[16:17], v[50:51], v[66:67], v[16:17] op_sel_hi:[0,1,1] neg_lo:[1,0,0] neg_hi:[1,0,0]
	ds_read2_b32 v[66:67], v59 offset0:46 offset1:47
	s_waitcnt lgkmcnt(0)
	v_pk_fma_f32 v[10:11], v[50:51], v[66:67], v[10:11] op_sel_hi:[0,1,1] neg_lo:[1,0,0] neg_hi:[1,0,0]
	ds_read2_b32 v[66:67], v59 offset0:48 offset1:49
	s_waitcnt lgkmcnt(0)
	v_pk_fma_f32 v[0:1], v[50:51], v[66:67], v[0:1] op_sel_hi:[0,1,1] neg_lo:[1,0,0] neg_hi:[1,0,0]
	ds_read2_b32 v[66:67], v59 offset0:50 offset1:51
	s_waitcnt lgkmcnt(0)
	v_pk_fma_f32 v[14:15], v[50:51], v[66:67], v[14:15] op_sel_hi:[0,1,1] neg_lo:[1,0,0] neg_hi:[1,0,0]
	ds_read2_b32 v[66:67], v59 offset0:52 offset1:53
	s_waitcnt lgkmcnt(0)
	v_pk_fma_f32 v[8:9], v[50:51], v[66:67], v[8:9] op_sel_hi:[0,1,1] neg_lo:[1,0,0] neg_hi:[1,0,0]
.LBB106_148:
	s_or_b64 exec, exec, s[0:1]
	v_lshl_add_u32 v62, v65, 2, v59
	s_barrier
	ds_write_b32 v62, v51
	s_waitcnt lgkmcnt(0)
	s_barrier
	ds_read_b32 v66, v59 offset:36
	s_cmp_lt_i32 s22, 11
	v_mov_b32_e32 v62, 9
	s_cbranch_scc1 .LBB106_151
; %bb.149:
	v_add3_u32 v67, v64, 0, 40
	v_mov_b32_e32 v62, 9
	s_mov_b32 s0, 10
.LBB106_150:                            ; =>This Inner Loop Header: Depth=1
	ds_read_b32 v68, v67
	v_mov_b32_e32 v69, s0
	s_add_i32 s0, s0, 1
	v_add_u32_e32 v67, 4, v67
	s_cmp_lg_u32 s22, s0
	s_waitcnt lgkmcnt(0)
	v_cmp_lt_f32_e64 vcc, |v66|, |v68|
	s_nop 1
	v_cndmask_b32_e32 v66, v66, v68, vcc
	v_cndmask_b32_e32 v62, v62, v69, vcc
	s_cbranch_scc1 .LBB106_150
.LBB106_151:
	s_waitcnt lgkmcnt(0)
	v_cmp_eq_f32_e32 vcc, 0, v66
	s_and_saveexec_b64 s[0:1], vcc
	s_xor_b64 s[0:1], exec, s[0:1]
; %bb.152:
	v_cmp_ne_u32_e32 vcc, 0, v61
	s_nop 1
	v_cndmask_b32_e32 v61, 10, v61, vcc
; %bb.153:
	s_andn2_saveexec_b64 s[0:1], s[0:1]
	s_cbranch_execz .LBB106_155
; %bb.154:
	v_div_scale_f32 v67, s[2:3], v66, v66, 1.0
	v_rcp_f32_e32 v68, v67
	v_div_scale_f32 v69, vcc, 1.0, v66, 1.0
	v_fma_f32 v70, -v67, v68, 1.0
	v_fmac_f32_e32 v68, v70, v68
	v_mul_f32_e32 v70, v69, v68
	v_fma_f32 v71, -v67, v70, v69
	v_fmac_f32_e32 v70, v71, v68
	v_fma_f32 v67, -v67, v70, v69
	v_div_fmas_f32 v67, v67, v68, v70
	v_div_fixup_f32 v66, v67, v66, 1.0
.LBB106_155:
	s_or_b64 exec, exec, s[0:1]
	v_cmp_ne_u32_e32 vcc, v65, v62
	s_and_saveexec_b64 s[0:1], vcc
	s_xor_b64 s[0:1], exec, s[0:1]
	s_cbranch_execz .LBB106_161
; %bb.156:
	v_cmp_eq_u32_e32 vcc, 9, v65
	s_and_saveexec_b64 s[2:3], vcc
	s_cbranch_execz .LBB106_160
; %bb.157:
	v_cmp_ne_u32_e32 vcc, 9, v62
	s_xor_b64 s[12:13], s[20:21], -1
	s_and_b64 s[14:15], s[12:13], vcc
	s_and_saveexec_b64 s[12:13], s[14:15]
	s_cbranch_execz .LBB106_159
; %bb.158:
	v_ashrrev_i32_e32 v63, 31, v62
	v_lshl_add_u64 v[68:69], v[62:63], 2, v[4:5]
	global_load_dword v63, v[68:69], off
	global_load_dword v65, v[4:5], off offset:36
	s_waitcnt vmcnt(1)
	global_store_dword v[4:5], v63, off offset:36
	s_waitcnt vmcnt(1)
	global_store_dword v[68:69], v65, off
.LBB106_159:
	s_or_b64 exec, exec, s[12:13]
	v_mov_b32_e32 v63, v62
	v_mov_b32_e32 v65, v62
.LBB106_160:
	s_or_b64 exec, exec, s[2:3]
.LBB106_161:
	s_andn2_saveexec_b64 s[0:1], s[0:1]
	s_cbranch_execz .LBB106_163
; %bb.162:
	v_mov_b32_e32 v65, 9
	ds_write2_b32 v59, v46, v47 offset0:10 offset1:11
	ds_write2_b32 v59, v40, v41 offset0:12 offset1:13
	;; [unrolled: 1-line block ×22, first 2 shown]
.LBB106_163:
	s_or_b64 exec, exec, s[0:1]
	v_cmp_lt_i32_e32 vcc, 9, v65
	s_waitcnt lgkmcnt(0)
	s_barrier
	s_and_saveexec_b64 s[0:1], vcc
	s_cbranch_execz .LBB106_165
; %bb.164:
	v_mul_f32_e32 v62, v66, v51
	ds_read2_b32 v[66:67], v59 offset0:10 offset1:11
	v_mov_b32_e32 v51, v62
	s_waitcnt lgkmcnt(0)
	v_pk_fma_f32 v[46:47], v[62:63], v[66:67], v[46:47] op_sel_hi:[0,1,1] neg_lo:[1,0,0] neg_hi:[1,0,0]
	ds_read2_b32 v[66:67], v59 offset0:12 offset1:13
	s_waitcnt lgkmcnt(0)
	v_pk_fma_f32 v[40:41], v[62:63], v[66:67], v[40:41] op_sel_hi:[0,1,1] neg_lo:[1,0,0] neg_hi:[1,0,0]
	ds_read2_b32 v[66:67], v59 offset0:14 offset1:15
	;; [unrolled: 3-line block ×21, first 2 shown]
	s_waitcnt lgkmcnt(0)
	v_pk_fma_f32 v[8:9], v[62:63], v[66:67], v[8:9] op_sel_hi:[0,1,1] neg_lo:[1,0,0] neg_hi:[1,0,0]
.LBB106_165:
	s_or_b64 exec, exec, s[0:1]
	v_lshl_add_u32 v62, v65, 2, v59
	s_barrier
	ds_write_b32 v62, v46
	s_waitcnt lgkmcnt(0)
	s_barrier
	ds_read_b32 v66, v59 offset:40
	s_cmp_lt_i32 s22, 12
	v_mov_b32_e32 v62, 10
	s_cbranch_scc1 .LBB106_168
; %bb.166:
	v_add3_u32 v67, v64, 0, 44
	v_mov_b32_e32 v62, 10
	s_mov_b32 s0, 11
.LBB106_167:                            ; =>This Inner Loop Header: Depth=1
	ds_read_b32 v68, v67
	v_mov_b32_e32 v69, s0
	s_add_i32 s0, s0, 1
	v_add_u32_e32 v67, 4, v67
	s_cmp_lg_u32 s22, s0
	s_waitcnt lgkmcnt(0)
	v_cmp_lt_f32_e64 vcc, |v66|, |v68|
	s_nop 1
	v_cndmask_b32_e32 v66, v66, v68, vcc
	v_cndmask_b32_e32 v62, v62, v69, vcc
	s_cbranch_scc1 .LBB106_167
.LBB106_168:
	s_waitcnt lgkmcnt(0)
	v_cmp_eq_f32_e32 vcc, 0, v66
	s_and_saveexec_b64 s[0:1], vcc
	s_xor_b64 s[0:1], exec, s[0:1]
; %bb.169:
	v_cmp_ne_u32_e32 vcc, 0, v61
	s_nop 1
	v_cndmask_b32_e32 v61, 11, v61, vcc
; %bb.170:
	s_andn2_saveexec_b64 s[0:1], s[0:1]
	s_cbranch_execz .LBB106_172
; %bb.171:
	v_div_scale_f32 v67, s[2:3], v66, v66, 1.0
	v_rcp_f32_e32 v68, v67
	v_div_scale_f32 v69, vcc, 1.0, v66, 1.0
	v_fma_f32 v70, -v67, v68, 1.0
	v_fmac_f32_e32 v68, v70, v68
	v_mul_f32_e32 v70, v69, v68
	v_fma_f32 v71, -v67, v70, v69
	v_fmac_f32_e32 v70, v71, v68
	v_fma_f32 v67, -v67, v70, v69
	v_div_fmas_f32 v67, v67, v68, v70
	v_div_fixup_f32 v66, v67, v66, 1.0
.LBB106_172:
	s_or_b64 exec, exec, s[0:1]
	v_cmp_ne_u32_e32 vcc, v65, v62
	s_and_saveexec_b64 s[0:1], vcc
	s_xor_b64 s[0:1], exec, s[0:1]
	s_cbranch_execz .LBB106_178
; %bb.173:
	v_cmp_eq_u32_e32 vcc, 10, v65
	s_and_saveexec_b64 s[2:3], vcc
	s_cbranch_execz .LBB106_177
; %bb.174:
	v_cmp_ne_u32_e32 vcc, 10, v62
	s_xor_b64 s[12:13], s[20:21], -1
	s_and_b64 s[14:15], s[12:13], vcc
	s_and_saveexec_b64 s[12:13], s[14:15]
	s_cbranch_execz .LBB106_176
; %bb.175:
	v_ashrrev_i32_e32 v63, 31, v62
	v_lshl_add_u64 v[68:69], v[62:63], 2, v[4:5]
	global_load_dword v63, v[68:69], off
	global_load_dword v65, v[4:5], off offset:40
	s_waitcnt vmcnt(1)
	global_store_dword v[4:5], v63, off offset:40
	s_waitcnt vmcnt(1)
	global_store_dword v[68:69], v65, off
.LBB106_176:
	s_or_b64 exec, exec, s[12:13]
	v_mov_b32_e32 v63, v62
	v_mov_b32_e32 v65, v62
.LBB106_177:
	s_or_b64 exec, exec, s[2:3]
.LBB106_178:
	s_andn2_saveexec_b64 s[0:1], s[0:1]
	s_cbranch_execz .LBB106_180
; %bb.179:
	v_pk_mov_b32 v[68:69], v[46:47], v[40:41] op_sel:[1,0]
	ds_write2_b32 v59, v68, v69 offset0:11 offset1:12
	v_pk_mov_b32 v[68:69], v[40:41], v[32:33] op_sel:[1,0]
	ds_write2_b32 v59, v68, v69 offset0:13 offset1:14
	;; [unrolled: 2-line block ×20, first 2 shown]
	v_pk_mov_b32 v[68:69], v[14:15], v[8:9] op_sel:[1,0]
	v_mov_b32_e32 v65, 10
	ds_write2_b32 v59, v68, v69 offset0:51 offset1:52
	ds_write_b32 v59, v9 offset:212
.LBB106_180:
	s_or_b64 exec, exec, s[0:1]
	v_cmp_lt_i32_e32 vcc, 10, v65
	s_waitcnt lgkmcnt(0)
	s_barrier
	s_and_saveexec_b64 s[0:1], vcc
	s_cbranch_execz .LBB106_182
; %bb.181:
	ds_read_b32 v62, v59 offset:44
	v_mul_f32_e32 v46, v66, v46
	ds_read2_b32 v[66:67], v59 offset0:12 offset1:13
	s_waitcnt lgkmcnt(1)
	v_fma_f32 v47, -v46, v62, v47
	s_waitcnt lgkmcnt(0)
	v_pk_fma_f32 v[40:41], v[46:47], v[66:67], v[40:41] op_sel_hi:[0,1,1] neg_lo:[1,0,0] neg_hi:[1,0,0]
	ds_read2_b32 v[66:67], v59 offset0:14 offset1:15
	s_waitcnt lgkmcnt(0)
	v_pk_fma_f32 v[32:33], v[46:47], v[66:67], v[32:33] op_sel_hi:[0,1,1] neg_lo:[1,0,0] neg_hi:[1,0,0]
	ds_read2_b32 v[66:67], v59 offset0:16 offset1:17
	s_waitcnt lgkmcnt(0)
	v_pk_fma_f32 v[48:49], v[46:47], v[66:67], v[48:49] op_sel_hi:[0,1,1] neg_lo:[1,0,0] neg_hi:[1,0,0]
	ds_read2_b32 v[66:67], v59 offset0:18 offset1:19
	s_waitcnt lgkmcnt(0)
	v_pk_fma_f32 v[42:43], v[46:47], v[66:67], v[42:43] op_sel_hi:[0,1,1] neg_lo:[1,0,0] neg_hi:[1,0,0]
	ds_read2_b32 v[66:67], v59 offset0:20 offset1:21
	s_waitcnt lgkmcnt(0)
	v_pk_fma_f32 v[34:35], v[46:47], v[66:67], v[34:35] op_sel_hi:[0,1,1] neg_lo:[1,0,0] neg_hi:[1,0,0]
	ds_read2_b32 v[66:67], v59 offset0:22 offset1:23
	s_waitcnt lgkmcnt(0)
	v_pk_fma_f32 v[24:25], v[46:47], v[66:67], v[24:25] op_sel_hi:[0,1,1] neg_lo:[1,0,0] neg_hi:[1,0,0]
	ds_read2_b32 v[66:67], v59 offset0:24 offset1:25
	s_waitcnt lgkmcnt(0)
	v_pk_fma_f32 v[44:45], v[46:47], v[66:67], v[44:45] op_sel_hi:[0,1,1] neg_lo:[1,0,0] neg_hi:[1,0,0]
	ds_read2_b32 v[66:67], v59 offset0:26 offset1:27
	s_waitcnt lgkmcnt(0)
	v_pk_fma_f32 v[36:37], v[46:47], v[66:67], v[36:37] op_sel_hi:[0,1,1] neg_lo:[1,0,0] neg_hi:[1,0,0]
	ds_read2_b32 v[66:67], v59 offset0:28 offset1:29
	s_waitcnt lgkmcnt(0)
	v_pk_fma_f32 v[26:27], v[46:47], v[66:67], v[26:27] op_sel_hi:[0,1,1] neg_lo:[1,0,0] neg_hi:[1,0,0]
	ds_read2_b32 v[66:67], v59 offset0:30 offset1:31
	s_waitcnt lgkmcnt(0)
	v_pk_fma_f32 v[18:19], v[46:47], v[66:67], v[18:19] op_sel_hi:[0,1,1] neg_lo:[1,0,0] neg_hi:[1,0,0]
	ds_read2_b32 v[66:67], v59 offset0:32 offset1:33
	s_waitcnt lgkmcnt(0)
	v_pk_fma_f32 v[38:39], v[46:47], v[66:67], v[38:39] op_sel_hi:[0,1,1] neg_lo:[1,0,0] neg_hi:[1,0,0]
	ds_read2_b32 v[66:67], v59 offset0:34 offset1:35
	s_waitcnt lgkmcnt(0)
	v_pk_fma_f32 v[28:29], v[46:47], v[66:67], v[28:29] op_sel_hi:[0,1,1] neg_lo:[1,0,0] neg_hi:[1,0,0]
	ds_read2_b32 v[66:67], v59 offset0:36 offset1:37
	s_waitcnt lgkmcnt(0)
	v_pk_fma_f32 v[20:21], v[46:47], v[66:67], v[20:21] op_sel_hi:[0,1,1] neg_lo:[1,0,0] neg_hi:[1,0,0]
	ds_read2_b32 v[66:67], v59 offset0:38 offset1:39
	s_waitcnt lgkmcnt(0)
	v_pk_fma_f32 v[12:13], v[46:47], v[66:67], v[12:13] op_sel_hi:[0,1,1] neg_lo:[1,0,0] neg_hi:[1,0,0]
	ds_read2_b32 v[66:67], v59 offset0:40 offset1:41
	s_waitcnt lgkmcnt(0)
	v_pk_fma_f32 v[30:31], v[46:47], v[66:67], v[30:31] op_sel_hi:[0,1,1] neg_lo:[1,0,0] neg_hi:[1,0,0]
	ds_read2_b32 v[66:67], v59 offset0:42 offset1:43
	s_waitcnt lgkmcnt(0)
	v_pk_fma_f32 v[22:23], v[46:47], v[66:67], v[22:23] op_sel_hi:[0,1,1] neg_lo:[1,0,0] neg_hi:[1,0,0]
	ds_read2_b32 v[66:67], v59 offset0:44 offset1:45
	s_waitcnt lgkmcnt(0)
	v_pk_fma_f32 v[16:17], v[46:47], v[66:67], v[16:17] op_sel_hi:[0,1,1] neg_lo:[1,0,0] neg_hi:[1,0,0]
	ds_read2_b32 v[66:67], v59 offset0:46 offset1:47
	s_waitcnt lgkmcnt(0)
	v_pk_fma_f32 v[10:11], v[46:47], v[66:67], v[10:11] op_sel_hi:[0,1,1] neg_lo:[1,0,0] neg_hi:[1,0,0]
	ds_read2_b32 v[66:67], v59 offset0:48 offset1:49
	s_waitcnt lgkmcnt(0)
	v_pk_fma_f32 v[0:1], v[46:47], v[66:67], v[0:1] op_sel_hi:[0,1,1] neg_lo:[1,0,0] neg_hi:[1,0,0]
	ds_read2_b32 v[66:67], v59 offset0:50 offset1:51
	s_waitcnt lgkmcnt(0)
	v_pk_fma_f32 v[14:15], v[46:47], v[66:67], v[14:15] op_sel_hi:[0,1,1] neg_lo:[1,0,0] neg_hi:[1,0,0]
	ds_read2_b32 v[66:67], v59 offset0:52 offset1:53
	s_waitcnt lgkmcnt(0)
	v_pk_fma_f32 v[8:9], v[46:47], v[66:67], v[8:9] op_sel_hi:[0,1,1] neg_lo:[1,0,0] neg_hi:[1,0,0]
.LBB106_182:
	s_or_b64 exec, exec, s[0:1]
	v_lshl_add_u32 v62, v65, 2, v59
	s_barrier
	ds_write_b32 v62, v47
	s_waitcnt lgkmcnt(0)
	s_barrier
	ds_read_b32 v66, v59 offset:44
	s_cmp_lt_i32 s22, 13
	v_mov_b32_e32 v62, 11
	s_cbranch_scc1 .LBB106_185
; %bb.183:
	v_add3_u32 v67, v64, 0, 48
	v_mov_b32_e32 v62, 11
	s_mov_b32 s0, 12
.LBB106_184:                            ; =>This Inner Loop Header: Depth=1
	ds_read_b32 v68, v67
	v_mov_b32_e32 v69, s0
	s_add_i32 s0, s0, 1
	v_add_u32_e32 v67, 4, v67
	s_cmp_lg_u32 s22, s0
	s_waitcnt lgkmcnt(0)
	v_cmp_lt_f32_e64 vcc, |v66|, |v68|
	s_nop 1
	v_cndmask_b32_e32 v66, v66, v68, vcc
	v_cndmask_b32_e32 v62, v62, v69, vcc
	s_cbranch_scc1 .LBB106_184
.LBB106_185:
	s_waitcnt lgkmcnt(0)
	v_cmp_eq_f32_e32 vcc, 0, v66
	s_and_saveexec_b64 s[0:1], vcc
	s_xor_b64 s[0:1], exec, s[0:1]
; %bb.186:
	v_cmp_ne_u32_e32 vcc, 0, v61
	s_nop 1
	v_cndmask_b32_e32 v61, 12, v61, vcc
; %bb.187:
	s_andn2_saveexec_b64 s[0:1], s[0:1]
	s_cbranch_execz .LBB106_189
; %bb.188:
	v_div_scale_f32 v67, s[2:3], v66, v66, 1.0
	v_rcp_f32_e32 v68, v67
	v_div_scale_f32 v69, vcc, 1.0, v66, 1.0
	v_fma_f32 v70, -v67, v68, 1.0
	v_fmac_f32_e32 v68, v70, v68
	v_mul_f32_e32 v70, v69, v68
	v_fma_f32 v71, -v67, v70, v69
	v_fmac_f32_e32 v70, v71, v68
	v_fma_f32 v67, -v67, v70, v69
	v_div_fmas_f32 v67, v67, v68, v70
	v_div_fixup_f32 v66, v67, v66, 1.0
.LBB106_189:
	s_or_b64 exec, exec, s[0:1]
	v_cmp_ne_u32_e32 vcc, v65, v62
	s_and_saveexec_b64 s[0:1], vcc
	s_xor_b64 s[0:1], exec, s[0:1]
	s_cbranch_execz .LBB106_195
; %bb.190:
	v_cmp_eq_u32_e32 vcc, 11, v65
	s_and_saveexec_b64 s[2:3], vcc
	s_cbranch_execz .LBB106_194
; %bb.191:
	v_cmp_ne_u32_e32 vcc, 11, v62
	s_xor_b64 s[12:13], s[20:21], -1
	s_and_b64 s[14:15], s[12:13], vcc
	s_and_saveexec_b64 s[12:13], s[14:15]
	s_cbranch_execz .LBB106_193
; %bb.192:
	v_ashrrev_i32_e32 v63, 31, v62
	v_lshl_add_u64 v[68:69], v[62:63], 2, v[4:5]
	global_load_dword v63, v[68:69], off
	global_load_dword v65, v[4:5], off offset:44
	s_waitcnt vmcnt(1)
	global_store_dword v[4:5], v63, off offset:44
	s_waitcnt vmcnt(1)
	global_store_dword v[68:69], v65, off
.LBB106_193:
	s_or_b64 exec, exec, s[12:13]
	v_mov_b32_e32 v63, v62
	v_mov_b32_e32 v65, v62
.LBB106_194:
	s_or_b64 exec, exec, s[2:3]
.LBB106_195:
	s_andn2_saveexec_b64 s[0:1], s[0:1]
	s_cbranch_execz .LBB106_197
; %bb.196:
	v_mov_b32_e32 v65, 11
	ds_write2_b32 v59, v40, v41 offset0:12 offset1:13
	ds_write2_b32 v59, v32, v33 offset0:14 offset1:15
	;; [unrolled: 1-line block ×21, first 2 shown]
.LBB106_197:
	s_or_b64 exec, exec, s[0:1]
	v_cmp_lt_i32_e32 vcc, 11, v65
	s_waitcnt lgkmcnt(0)
	s_barrier
	s_and_saveexec_b64 s[0:1], vcc
	s_cbranch_execz .LBB106_199
; %bb.198:
	v_mul_f32_e32 v62, v66, v47
	ds_read2_b32 v[66:67], v59 offset0:12 offset1:13
	v_mov_b32_e32 v47, v62
	s_waitcnt lgkmcnt(0)
	v_pk_fma_f32 v[40:41], v[62:63], v[66:67], v[40:41] op_sel_hi:[0,1,1] neg_lo:[1,0,0] neg_hi:[1,0,0]
	ds_read2_b32 v[66:67], v59 offset0:14 offset1:15
	s_waitcnt lgkmcnt(0)
	v_pk_fma_f32 v[32:33], v[62:63], v[66:67], v[32:33] op_sel_hi:[0,1,1] neg_lo:[1,0,0] neg_hi:[1,0,0]
	ds_read2_b32 v[66:67], v59 offset0:16 offset1:17
	;; [unrolled: 3-line block ×20, first 2 shown]
	s_waitcnt lgkmcnt(0)
	v_pk_fma_f32 v[8:9], v[62:63], v[66:67], v[8:9] op_sel_hi:[0,1,1] neg_lo:[1,0,0] neg_hi:[1,0,0]
.LBB106_199:
	s_or_b64 exec, exec, s[0:1]
	v_lshl_add_u32 v62, v65, 2, v59
	s_barrier
	ds_write_b32 v62, v40
	s_waitcnt lgkmcnt(0)
	s_barrier
	ds_read_b32 v66, v59 offset:48
	s_cmp_lt_i32 s22, 14
	v_mov_b32_e32 v62, 12
	s_cbranch_scc1 .LBB106_202
; %bb.200:
	v_add3_u32 v67, v64, 0, 52
	v_mov_b32_e32 v62, 12
	s_mov_b32 s0, 13
.LBB106_201:                            ; =>This Inner Loop Header: Depth=1
	ds_read_b32 v68, v67
	v_mov_b32_e32 v69, s0
	s_add_i32 s0, s0, 1
	v_add_u32_e32 v67, 4, v67
	s_cmp_lg_u32 s22, s0
	s_waitcnt lgkmcnt(0)
	v_cmp_lt_f32_e64 vcc, |v66|, |v68|
	s_nop 1
	v_cndmask_b32_e32 v66, v66, v68, vcc
	v_cndmask_b32_e32 v62, v62, v69, vcc
	s_cbranch_scc1 .LBB106_201
.LBB106_202:
	s_waitcnt lgkmcnt(0)
	v_cmp_eq_f32_e32 vcc, 0, v66
	s_and_saveexec_b64 s[0:1], vcc
	s_xor_b64 s[0:1], exec, s[0:1]
; %bb.203:
	v_cmp_ne_u32_e32 vcc, 0, v61
	s_nop 1
	v_cndmask_b32_e32 v61, 13, v61, vcc
; %bb.204:
	s_andn2_saveexec_b64 s[0:1], s[0:1]
	s_cbranch_execz .LBB106_206
; %bb.205:
	v_div_scale_f32 v67, s[2:3], v66, v66, 1.0
	v_rcp_f32_e32 v68, v67
	v_div_scale_f32 v69, vcc, 1.0, v66, 1.0
	v_fma_f32 v70, -v67, v68, 1.0
	v_fmac_f32_e32 v68, v70, v68
	v_mul_f32_e32 v70, v69, v68
	v_fma_f32 v71, -v67, v70, v69
	v_fmac_f32_e32 v70, v71, v68
	v_fma_f32 v67, -v67, v70, v69
	v_div_fmas_f32 v67, v67, v68, v70
	v_div_fixup_f32 v66, v67, v66, 1.0
.LBB106_206:
	s_or_b64 exec, exec, s[0:1]
	v_cmp_ne_u32_e32 vcc, v65, v62
	s_and_saveexec_b64 s[0:1], vcc
	s_xor_b64 s[0:1], exec, s[0:1]
	s_cbranch_execz .LBB106_212
; %bb.207:
	v_cmp_eq_u32_e32 vcc, 12, v65
	s_and_saveexec_b64 s[2:3], vcc
	s_cbranch_execz .LBB106_211
; %bb.208:
	v_cmp_ne_u32_e32 vcc, 12, v62
	s_xor_b64 s[12:13], s[20:21], -1
	s_and_b64 s[14:15], s[12:13], vcc
	s_and_saveexec_b64 s[12:13], s[14:15]
	s_cbranch_execz .LBB106_210
; %bb.209:
	v_ashrrev_i32_e32 v63, 31, v62
	v_lshl_add_u64 v[68:69], v[62:63], 2, v[4:5]
	global_load_dword v63, v[68:69], off
	global_load_dword v65, v[4:5], off offset:48
	s_waitcnt vmcnt(1)
	global_store_dword v[4:5], v63, off offset:48
	s_waitcnt vmcnt(1)
	global_store_dword v[68:69], v65, off
.LBB106_210:
	s_or_b64 exec, exec, s[12:13]
	v_mov_b32_e32 v63, v62
	v_mov_b32_e32 v65, v62
.LBB106_211:
	s_or_b64 exec, exec, s[2:3]
.LBB106_212:
	s_andn2_saveexec_b64 s[0:1], s[0:1]
	s_cbranch_execz .LBB106_214
; %bb.213:
	v_pk_mov_b32 v[68:69], v[40:41], v[32:33] op_sel:[1,0]
	ds_write2_b32 v59, v68, v69 offset0:13 offset1:14
	v_pk_mov_b32 v[68:69], v[32:33], v[48:49] op_sel:[1,0]
	ds_write2_b32 v59, v68, v69 offset0:15 offset1:16
	;; [unrolled: 2-line block ×19, first 2 shown]
	v_pk_mov_b32 v[68:69], v[14:15], v[8:9] op_sel:[1,0]
	v_mov_b32_e32 v65, 12
	ds_write2_b32 v59, v68, v69 offset0:51 offset1:52
	ds_write_b32 v59, v9 offset:212
.LBB106_214:
	s_or_b64 exec, exec, s[0:1]
	v_cmp_lt_i32_e32 vcc, 12, v65
	s_waitcnt lgkmcnt(0)
	s_barrier
	s_and_saveexec_b64 s[0:1], vcc
	s_cbranch_execz .LBB106_216
; %bb.215:
	ds_read_b32 v62, v59 offset:52
	v_mul_f32_e32 v40, v66, v40
	ds_read2_b32 v[66:67], v59 offset0:14 offset1:15
	s_waitcnt lgkmcnt(1)
	v_fma_f32 v41, -v40, v62, v41
	s_waitcnt lgkmcnt(0)
	v_pk_fma_f32 v[32:33], v[40:41], v[66:67], v[32:33] op_sel_hi:[0,1,1] neg_lo:[1,0,0] neg_hi:[1,0,0]
	ds_read2_b32 v[66:67], v59 offset0:16 offset1:17
	s_waitcnt lgkmcnt(0)
	v_pk_fma_f32 v[48:49], v[40:41], v[66:67], v[48:49] op_sel_hi:[0,1,1] neg_lo:[1,0,0] neg_hi:[1,0,0]
	ds_read2_b32 v[66:67], v59 offset0:18 offset1:19
	;; [unrolled: 3-line block ×19, first 2 shown]
	s_waitcnt lgkmcnt(0)
	v_pk_fma_f32 v[8:9], v[40:41], v[66:67], v[8:9] op_sel_hi:[0,1,1] neg_lo:[1,0,0] neg_hi:[1,0,0]
.LBB106_216:
	s_or_b64 exec, exec, s[0:1]
	v_lshl_add_u32 v62, v65, 2, v59
	s_barrier
	ds_write_b32 v62, v41
	s_waitcnt lgkmcnt(0)
	s_barrier
	ds_read_b32 v66, v59 offset:52
	s_cmp_lt_i32 s22, 15
	v_mov_b32_e32 v62, 13
	s_cbranch_scc1 .LBB106_219
; %bb.217:
	v_add3_u32 v67, v64, 0, 56
	v_mov_b32_e32 v62, 13
	s_mov_b32 s0, 14
.LBB106_218:                            ; =>This Inner Loop Header: Depth=1
	ds_read_b32 v68, v67
	v_mov_b32_e32 v69, s0
	s_add_i32 s0, s0, 1
	v_add_u32_e32 v67, 4, v67
	s_cmp_lg_u32 s22, s0
	s_waitcnt lgkmcnt(0)
	v_cmp_lt_f32_e64 vcc, |v66|, |v68|
	s_nop 1
	v_cndmask_b32_e32 v66, v66, v68, vcc
	v_cndmask_b32_e32 v62, v62, v69, vcc
	s_cbranch_scc1 .LBB106_218
.LBB106_219:
	s_waitcnt lgkmcnt(0)
	v_cmp_eq_f32_e32 vcc, 0, v66
	s_and_saveexec_b64 s[0:1], vcc
	s_xor_b64 s[0:1], exec, s[0:1]
; %bb.220:
	v_cmp_ne_u32_e32 vcc, 0, v61
	s_nop 1
	v_cndmask_b32_e32 v61, 14, v61, vcc
; %bb.221:
	s_andn2_saveexec_b64 s[0:1], s[0:1]
	s_cbranch_execz .LBB106_223
; %bb.222:
	v_div_scale_f32 v67, s[2:3], v66, v66, 1.0
	v_rcp_f32_e32 v68, v67
	v_div_scale_f32 v69, vcc, 1.0, v66, 1.0
	v_fma_f32 v70, -v67, v68, 1.0
	v_fmac_f32_e32 v68, v70, v68
	v_mul_f32_e32 v70, v69, v68
	v_fma_f32 v71, -v67, v70, v69
	v_fmac_f32_e32 v70, v71, v68
	v_fma_f32 v67, -v67, v70, v69
	v_div_fmas_f32 v67, v67, v68, v70
	v_div_fixup_f32 v66, v67, v66, 1.0
.LBB106_223:
	s_or_b64 exec, exec, s[0:1]
	v_cmp_ne_u32_e32 vcc, v65, v62
	s_and_saveexec_b64 s[0:1], vcc
	s_xor_b64 s[0:1], exec, s[0:1]
	s_cbranch_execz .LBB106_229
; %bb.224:
	v_cmp_eq_u32_e32 vcc, 13, v65
	s_and_saveexec_b64 s[2:3], vcc
	s_cbranch_execz .LBB106_228
; %bb.225:
	v_cmp_ne_u32_e32 vcc, 13, v62
	s_xor_b64 s[12:13], s[20:21], -1
	s_and_b64 s[14:15], s[12:13], vcc
	s_and_saveexec_b64 s[12:13], s[14:15]
	s_cbranch_execz .LBB106_227
; %bb.226:
	v_ashrrev_i32_e32 v63, 31, v62
	v_lshl_add_u64 v[68:69], v[62:63], 2, v[4:5]
	global_load_dword v63, v[68:69], off
	global_load_dword v65, v[4:5], off offset:52
	s_waitcnt vmcnt(1)
	global_store_dword v[4:5], v63, off offset:52
	s_waitcnt vmcnt(1)
	global_store_dword v[68:69], v65, off
.LBB106_227:
	s_or_b64 exec, exec, s[12:13]
	v_mov_b32_e32 v63, v62
	v_mov_b32_e32 v65, v62
.LBB106_228:
	s_or_b64 exec, exec, s[2:3]
.LBB106_229:
	s_andn2_saveexec_b64 s[0:1], s[0:1]
	s_cbranch_execz .LBB106_231
; %bb.230:
	v_mov_b32_e32 v65, 13
	ds_write2_b32 v59, v32, v33 offset0:14 offset1:15
	ds_write2_b32 v59, v48, v49 offset0:16 offset1:17
	ds_write2_b32 v59, v42, v43 offset0:18 offset1:19
	ds_write2_b32 v59, v34, v35 offset0:20 offset1:21
	ds_write2_b32 v59, v24, v25 offset0:22 offset1:23
	ds_write2_b32 v59, v44, v45 offset0:24 offset1:25
	ds_write2_b32 v59, v36, v37 offset0:26 offset1:27
	ds_write2_b32 v59, v26, v27 offset0:28 offset1:29
	ds_write2_b32 v59, v18, v19 offset0:30 offset1:31
	ds_write2_b32 v59, v38, v39 offset0:32 offset1:33
	ds_write2_b32 v59, v28, v29 offset0:34 offset1:35
	ds_write2_b32 v59, v20, v21 offset0:36 offset1:37
	ds_write2_b32 v59, v12, v13 offset0:38 offset1:39
	ds_write2_b32 v59, v30, v31 offset0:40 offset1:41
	ds_write2_b32 v59, v22, v23 offset0:42 offset1:43
	ds_write2_b32 v59, v16, v17 offset0:44 offset1:45
	ds_write2_b32 v59, v10, v11 offset0:46 offset1:47
	ds_write2_b32 v59, v0, v1 offset0:48 offset1:49
	ds_write2_b32 v59, v14, v15 offset0:50 offset1:51
	ds_write2_b32 v59, v8, v9 offset0:52 offset1:53
.LBB106_231:
	s_or_b64 exec, exec, s[0:1]
	v_cmp_lt_i32_e32 vcc, 13, v65
	s_waitcnt lgkmcnt(0)
	s_barrier
	s_and_saveexec_b64 s[0:1], vcc
	s_cbranch_execz .LBB106_233
; %bb.232:
	v_mul_f32_e32 v62, v66, v41
	ds_read2_b32 v[66:67], v59 offset0:14 offset1:15
	v_mov_b32_e32 v41, v62
	s_waitcnt lgkmcnt(0)
	v_pk_fma_f32 v[32:33], v[62:63], v[66:67], v[32:33] op_sel_hi:[0,1,1] neg_lo:[1,0,0] neg_hi:[1,0,0]
	ds_read2_b32 v[66:67], v59 offset0:16 offset1:17
	s_waitcnt lgkmcnt(0)
	v_pk_fma_f32 v[48:49], v[62:63], v[66:67], v[48:49] op_sel_hi:[0,1,1] neg_lo:[1,0,0] neg_hi:[1,0,0]
	ds_read2_b32 v[66:67], v59 offset0:18 offset1:19
	;; [unrolled: 3-line block ×19, first 2 shown]
	s_waitcnt lgkmcnt(0)
	v_pk_fma_f32 v[8:9], v[62:63], v[66:67], v[8:9] op_sel_hi:[0,1,1] neg_lo:[1,0,0] neg_hi:[1,0,0]
.LBB106_233:
	s_or_b64 exec, exec, s[0:1]
	v_lshl_add_u32 v62, v65, 2, v59
	s_barrier
	ds_write_b32 v62, v32
	s_waitcnt lgkmcnt(0)
	s_barrier
	ds_read_b32 v66, v59 offset:56
	s_cmp_lt_i32 s22, 16
	v_mov_b32_e32 v62, 14
	s_cbranch_scc1 .LBB106_236
; %bb.234:
	v_add3_u32 v67, v64, 0, 60
	v_mov_b32_e32 v62, 14
	s_mov_b32 s0, 15
.LBB106_235:                            ; =>This Inner Loop Header: Depth=1
	ds_read_b32 v68, v67
	v_mov_b32_e32 v69, s0
	s_add_i32 s0, s0, 1
	v_add_u32_e32 v67, 4, v67
	s_cmp_lg_u32 s22, s0
	s_waitcnt lgkmcnt(0)
	v_cmp_lt_f32_e64 vcc, |v66|, |v68|
	s_nop 1
	v_cndmask_b32_e32 v66, v66, v68, vcc
	v_cndmask_b32_e32 v62, v62, v69, vcc
	s_cbranch_scc1 .LBB106_235
.LBB106_236:
	s_waitcnt lgkmcnt(0)
	v_cmp_eq_f32_e32 vcc, 0, v66
	s_and_saveexec_b64 s[0:1], vcc
	s_xor_b64 s[0:1], exec, s[0:1]
; %bb.237:
	v_cmp_ne_u32_e32 vcc, 0, v61
	s_nop 1
	v_cndmask_b32_e32 v61, 15, v61, vcc
; %bb.238:
	s_andn2_saveexec_b64 s[0:1], s[0:1]
	s_cbranch_execz .LBB106_240
; %bb.239:
	v_div_scale_f32 v67, s[2:3], v66, v66, 1.0
	v_rcp_f32_e32 v68, v67
	v_div_scale_f32 v69, vcc, 1.0, v66, 1.0
	v_fma_f32 v70, -v67, v68, 1.0
	v_fmac_f32_e32 v68, v70, v68
	v_mul_f32_e32 v70, v69, v68
	v_fma_f32 v71, -v67, v70, v69
	v_fmac_f32_e32 v70, v71, v68
	v_fma_f32 v67, -v67, v70, v69
	v_div_fmas_f32 v67, v67, v68, v70
	v_div_fixup_f32 v66, v67, v66, 1.0
.LBB106_240:
	s_or_b64 exec, exec, s[0:1]
	v_cmp_ne_u32_e32 vcc, v65, v62
	s_and_saveexec_b64 s[0:1], vcc
	s_xor_b64 s[0:1], exec, s[0:1]
	s_cbranch_execz .LBB106_246
; %bb.241:
	v_cmp_eq_u32_e32 vcc, 14, v65
	s_and_saveexec_b64 s[2:3], vcc
	s_cbranch_execz .LBB106_245
; %bb.242:
	v_cmp_ne_u32_e32 vcc, 14, v62
	s_xor_b64 s[12:13], s[20:21], -1
	s_and_b64 s[14:15], s[12:13], vcc
	s_and_saveexec_b64 s[12:13], s[14:15]
	s_cbranch_execz .LBB106_244
; %bb.243:
	v_ashrrev_i32_e32 v63, 31, v62
	v_lshl_add_u64 v[68:69], v[62:63], 2, v[4:5]
	global_load_dword v63, v[68:69], off
	global_load_dword v65, v[4:5], off offset:56
	s_waitcnt vmcnt(1)
	global_store_dword v[4:5], v63, off offset:56
	s_waitcnt vmcnt(1)
	global_store_dword v[68:69], v65, off
.LBB106_244:
	s_or_b64 exec, exec, s[12:13]
	v_mov_b32_e32 v63, v62
	v_mov_b32_e32 v65, v62
.LBB106_245:
	s_or_b64 exec, exec, s[2:3]
.LBB106_246:
	s_andn2_saveexec_b64 s[0:1], s[0:1]
	s_cbranch_execz .LBB106_248
; %bb.247:
	v_pk_mov_b32 v[68:69], v[32:33], v[48:49] op_sel:[1,0]
	ds_write2_b32 v59, v68, v69 offset0:15 offset1:16
	v_pk_mov_b32 v[68:69], v[48:49], v[42:43] op_sel:[1,0]
	ds_write2_b32 v59, v68, v69 offset0:17 offset1:18
	;; [unrolled: 2-line block ×18, first 2 shown]
	v_pk_mov_b32 v[68:69], v[14:15], v[8:9] op_sel:[1,0]
	v_mov_b32_e32 v65, 14
	ds_write2_b32 v59, v68, v69 offset0:51 offset1:52
	ds_write_b32 v59, v9 offset:212
.LBB106_248:
	s_or_b64 exec, exec, s[0:1]
	v_cmp_lt_i32_e32 vcc, 14, v65
	s_waitcnt lgkmcnt(0)
	s_barrier
	s_and_saveexec_b64 s[0:1], vcc
	s_cbranch_execz .LBB106_250
; %bb.249:
	ds_read_b32 v62, v59 offset:60
	v_mul_f32_e32 v32, v66, v32
	ds_read2_b32 v[66:67], v59 offset0:16 offset1:17
	s_waitcnt lgkmcnt(1)
	v_fma_f32 v33, -v32, v62, v33
	s_waitcnt lgkmcnt(0)
	v_pk_fma_f32 v[48:49], v[32:33], v[66:67], v[48:49] op_sel_hi:[0,1,1] neg_lo:[1,0,0] neg_hi:[1,0,0]
	ds_read2_b32 v[66:67], v59 offset0:18 offset1:19
	s_waitcnt lgkmcnt(0)
	v_pk_fma_f32 v[42:43], v[32:33], v[66:67], v[42:43] op_sel_hi:[0,1,1] neg_lo:[1,0,0] neg_hi:[1,0,0]
	ds_read2_b32 v[66:67], v59 offset0:20 offset1:21
	;; [unrolled: 3-line block ×18, first 2 shown]
	s_waitcnt lgkmcnt(0)
	v_pk_fma_f32 v[8:9], v[32:33], v[66:67], v[8:9] op_sel_hi:[0,1,1] neg_lo:[1,0,0] neg_hi:[1,0,0]
.LBB106_250:
	s_or_b64 exec, exec, s[0:1]
	v_lshl_add_u32 v62, v65, 2, v59
	s_barrier
	ds_write_b32 v62, v33
	s_waitcnt lgkmcnt(0)
	s_barrier
	ds_read_b32 v66, v59 offset:60
	s_cmp_lt_i32 s22, 17
	v_mov_b32_e32 v62, 15
	s_cbranch_scc1 .LBB106_253
; %bb.251:
	v_add3_u32 v64, v64, 0, 64
	v_mov_b32_e32 v62, 15
	s_mov_b32 s0, 16
.LBB106_252:                            ; =>This Inner Loop Header: Depth=1
	ds_read_b32 v67, v64
	v_mov_b32_e32 v68, s0
	s_add_i32 s0, s0, 1
	v_add_u32_e32 v64, 4, v64
	s_cmp_lg_u32 s22, s0
	s_waitcnt lgkmcnt(0)
	v_cmp_lt_f32_e64 vcc, |v66|, |v67|
	s_nop 1
	v_cndmask_b32_e32 v66, v66, v67, vcc
	v_cndmask_b32_e32 v62, v62, v68, vcc
	s_cbranch_scc1 .LBB106_252
.LBB106_253:
	s_waitcnt lgkmcnt(0)
	v_cmp_eq_f32_e32 vcc, 0, v66
	s_and_saveexec_b64 s[0:1], vcc
	s_xor_b64 s[0:1], exec, s[0:1]
; %bb.254:
	v_cmp_ne_u32_e32 vcc, 0, v61
	s_nop 1
	v_cndmask_b32_e32 v61, 16, v61, vcc
; %bb.255:
	s_andn2_saveexec_b64 s[0:1], s[0:1]
	s_cbranch_execz .LBB106_257
; %bb.256:
	v_div_scale_f32 v64, s[2:3], v66, v66, 1.0
	v_rcp_f32_e32 v67, v64
	v_div_scale_f32 v68, vcc, 1.0, v66, 1.0
	v_fma_f32 v69, -v64, v67, 1.0
	v_fmac_f32_e32 v67, v69, v67
	v_mul_f32_e32 v69, v68, v67
	v_fma_f32 v70, -v64, v69, v68
	v_fmac_f32_e32 v69, v70, v67
	v_fma_f32 v64, -v64, v69, v68
	v_div_fmas_f32 v64, v64, v67, v69
	v_div_fixup_f32 v66, v64, v66, 1.0
.LBB106_257:
	s_or_b64 exec, exec, s[0:1]
	v_cmp_ne_u32_e32 vcc, v65, v62
	s_and_saveexec_b64 s[0:1], vcc
	s_xor_b64 s[0:1], exec, s[0:1]
	s_cbranch_execz .LBB106_263
; %bb.258:
	v_cmp_eq_u32_e32 vcc, 15, v65
	s_and_saveexec_b64 s[2:3], vcc
	s_cbranch_execz .LBB106_262
; %bb.259:
	v_cmp_ne_u32_e32 vcc, 15, v62
	s_xor_b64 s[12:13], s[20:21], -1
	s_and_b64 s[14:15], s[12:13], vcc
	s_and_saveexec_b64 s[12:13], s[14:15]
	s_cbranch_execz .LBB106_261
; %bb.260:
	v_ashrrev_i32_e32 v63, 31, v62
	v_lshl_add_u64 v[64:65], v[62:63], 2, v[4:5]
	global_load_dword v63, v[64:65], off
	global_load_dword v67, v[4:5], off offset:60
	s_waitcnt vmcnt(1)
	global_store_dword v[4:5], v63, off offset:60
	s_waitcnt vmcnt(1)
	global_store_dword v[64:65], v67, off
.LBB106_261:
	s_or_b64 exec, exec, s[12:13]
	v_mov_b32_e32 v63, v62
	v_mov_b32_e32 v65, v62
.LBB106_262:
	s_or_b64 exec, exec, s[2:3]
.LBB106_263:
	s_andn2_saveexec_b64 s[0:1], s[0:1]
	s_cbranch_execz .LBB106_265
; %bb.264:
	v_mov_b32_e32 v65, 15
	ds_write2_b32 v59, v48, v49 offset0:16 offset1:17
	ds_write2_b32 v59, v42, v43 offset0:18 offset1:19
	ds_write2_b32 v59, v34, v35 offset0:20 offset1:21
	ds_write2_b32 v59, v24, v25 offset0:22 offset1:23
	ds_write2_b32 v59, v44, v45 offset0:24 offset1:25
	ds_write2_b32 v59, v36, v37 offset0:26 offset1:27
	ds_write2_b32 v59, v26, v27 offset0:28 offset1:29
	ds_write2_b32 v59, v18, v19 offset0:30 offset1:31
	ds_write2_b32 v59, v38, v39 offset0:32 offset1:33
	ds_write2_b32 v59, v28, v29 offset0:34 offset1:35
	ds_write2_b32 v59, v20, v21 offset0:36 offset1:37
	ds_write2_b32 v59, v12, v13 offset0:38 offset1:39
	ds_write2_b32 v59, v30, v31 offset0:40 offset1:41
	ds_write2_b32 v59, v22, v23 offset0:42 offset1:43
	ds_write2_b32 v59, v16, v17 offset0:44 offset1:45
	ds_write2_b32 v59, v10, v11 offset0:46 offset1:47
	ds_write2_b32 v59, v0, v1 offset0:48 offset1:49
	ds_write2_b32 v59, v14, v15 offset0:50 offset1:51
	ds_write2_b32 v59, v8, v9 offset0:52 offset1:53
.LBB106_265:
	s_or_b64 exec, exec, s[0:1]
	v_cmp_lt_i32_e32 vcc, 15, v65
	s_waitcnt lgkmcnt(0)
	s_barrier
	s_and_saveexec_b64 s[0:1], vcc
	s_cbranch_execz .LBB106_267
; %bb.266:
	v_mul_f32_e32 v62, v66, v33
	ds_read2_b32 v[66:67], v59 offset0:16 offset1:17
	v_mov_b32_e32 v33, v62
	s_waitcnt lgkmcnt(0)
	v_pk_fma_f32 v[48:49], v[62:63], v[66:67], v[48:49] op_sel_hi:[0,1,1] neg_lo:[1,0,0] neg_hi:[1,0,0]
	ds_read2_b32 v[66:67], v59 offset0:18 offset1:19
	s_waitcnt lgkmcnt(0)
	v_pk_fma_f32 v[42:43], v[62:63], v[66:67], v[42:43] op_sel_hi:[0,1,1] neg_lo:[1,0,0] neg_hi:[1,0,0]
	ds_read2_b32 v[66:67], v59 offset0:20 offset1:21
	;; [unrolled: 3-line block ×18, first 2 shown]
	s_waitcnt lgkmcnt(0)
	v_pk_fma_f32 v[8:9], v[62:63], v[66:67], v[8:9] op_sel_hi:[0,1,1] neg_lo:[1,0,0] neg_hi:[1,0,0]
.LBB106_267:
	s_or_b64 exec, exec, s[0:1]
	v_lshl_add_u32 v62, v65, 2, v59
	s_barrier
	ds_write_b32 v62, v48
	s_waitcnt lgkmcnt(0)
	s_barrier
	ds_read_b32 v64, v59 offset:64
	s_cmp_lt_i32 s22, 18
	v_mov_b32_e32 v62, 16
	s_cbranch_scc1 .LBB106_270
; %bb.268:
	v_add_u32_e32 v66, 0x44, v59
	v_mov_b32_e32 v62, 16
	s_mov_b32 s0, 17
.LBB106_269:                            ; =>This Inner Loop Header: Depth=1
	ds_read_b32 v67, v66
	v_mov_b32_e32 v68, s0
	s_add_i32 s0, s0, 1
	v_add_u32_e32 v66, 4, v66
	s_cmp_lg_u32 s22, s0
	s_waitcnt lgkmcnt(0)
	v_cmp_lt_f32_e64 vcc, |v64|, |v67|
	s_nop 1
	v_cndmask_b32_e32 v64, v64, v67, vcc
	v_cndmask_b32_e32 v62, v62, v68, vcc
	s_cbranch_scc1 .LBB106_269
.LBB106_270:
	s_waitcnt lgkmcnt(0)
	v_cmp_eq_f32_e32 vcc, 0, v64
	s_and_saveexec_b64 s[0:1], vcc
	s_xor_b64 s[0:1], exec, s[0:1]
; %bb.271:
	v_cmp_ne_u32_e32 vcc, 0, v61
	s_nop 1
	v_cndmask_b32_e32 v61, 17, v61, vcc
; %bb.272:
	s_andn2_saveexec_b64 s[0:1], s[0:1]
	s_cbranch_execz .LBB106_274
; %bb.273:
	v_div_scale_f32 v66, s[2:3], v64, v64, 1.0
	v_rcp_f32_e32 v67, v66
	v_div_scale_f32 v68, vcc, 1.0, v64, 1.0
	v_fma_f32 v69, -v66, v67, 1.0
	v_fmac_f32_e32 v67, v69, v67
	v_mul_f32_e32 v69, v68, v67
	v_fma_f32 v70, -v66, v69, v68
	v_fmac_f32_e32 v69, v70, v67
	v_fma_f32 v66, -v66, v69, v68
	v_div_fmas_f32 v66, v66, v67, v69
	v_div_fixup_f32 v64, v66, v64, 1.0
.LBB106_274:
	s_or_b64 exec, exec, s[0:1]
	v_cmp_ne_u32_e32 vcc, v65, v62
	s_and_saveexec_b64 s[0:1], vcc
	s_xor_b64 s[0:1], exec, s[0:1]
	s_cbranch_execz .LBB106_280
; %bb.275:
	v_cmp_eq_u32_e32 vcc, 16, v65
	s_and_saveexec_b64 s[2:3], vcc
	s_cbranch_execz .LBB106_279
; %bb.276:
	v_cmp_ne_u32_e32 vcc, 16, v62
	s_xor_b64 s[12:13], s[20:21], -1
	s_and_b64 s[14:15], s[12:13], vcc
	s_and_saveexec_b64 s[12:13], s[14:15]
	s_cbranch_execz .LBB106_278
; %bb.277:
	v_ashrrev_i32_e32 v63, 31, v62
	v_lshl_add_u64 v[66:67], v[62:63], 2, v[4:5]
	global_load_dword v63, v[66:67], off
	global_load_dword v65, v[4:5], off offset:64
	s_waitcnt vmcnt(1)
	global_store_dword v[4:5], v63, off offset:64
	s_waitcnt vmcnt(1)
	global_store_dword v[66:67], v65, off
.LBB106_278:
	s_or_b64 exec, exec, s[12:13]
	v_mov_b32_e32 v63, v62
	v_mov_b32_e32 v65, v62
.LBB106_279:
	s_or_b64 exec, exec, s[2:3]
.LBB106_280:
	s_andn2_saveexec_b64 s[0:1], s[0:1]
	s_cbranch_execz .LBB106_282
; %bb.281:
	v_pk_mov_b32 v[66:67], v[48:49], v[42:43] op_sel:[1,0]
	ds_write2_b32 v59, v66, v67 offset0:17 offset1:18
	v_pk_mov_b32 v[66:67], v[42:43], v[34:35] op_sel:[1,0]
	ds_write2_b32 v59, v66, v67 offset0:19 offset1:20
	;; [unrolled: 2-line block ×17, first 2 shown]
	v_pk_mov_b32 v[66:67], v[14:15], v[8:9] op_sel:[1,0]
	v_mov_b32_e32 v65, 16
	ds_write2_b32 v59, v66, v67 offset0:51 offset1:52
	ds_write_b32 v59, v9 offset:212
.LBB106_282:
	s_or_b64 exec, exec, s[0:1]
	v_cmp_lt_i32_e32 vcc, 16, v65
	s_waitcnt lgkmcnt(0)
	s_barrier
	s_and_saveexec_b64 s[0:1], vcc
	s_cbranch_execz .LBB106_284
; %bb.283:
	ds_read_b32 v62, v59 offset:68
	ds_read2_b32 v[66:67], v59 offset0:18 offset1:19
	v_mul_f32_e32 v48, v64, v48
	s_waitcnt lgkmcnt(1)
	v_fma_f32 v49, -v48, v62, v49
	s_waitcnt lgkmcnt(0)
	v_pk_fma_f32 v[42:43], v[48:49], v[66:67], v[42:43] op_sel_hi:[0,1,1] neg_lo:[1,0,0] neg_hi:[1,0,0]
	ds_read2_b32 v[66:67], v59 offset0:20 offset1:21
	s_waitcnt lgkmcnt(0)
	v_pk_fma_f32 v[34:35], v[48:49], v[66:67], v[34:35] op_sel_hi:[0,1,1] neg_lo:[1,0,0] neg_hi:[1,0,0]
	ds_read2_b32 v[66:67], v59 offset0:22 offset1:23
	;; [unrolled: 3-line block ×17, first 2 shown]
	s_waitcnt lgkmcnt(0)
	v_pk_fma_f32 v[8:9], v[48:49], v[66:67], v[8:9] op_sel_hi:[0,1,1] neg_lo:[1,0,0] neg_hi:[1,0,0]
.LBB106_284:
	s_or_b64 exec, exec, s[0:1]
	v_lshl_add_u32 v62, v65, 2, v59
	s_barrier
	ds_write_b32 v62, v49
	s_waitcnt lgkmcnt(0)
	s_barrier
	ds_read_b32 v64, v59 offset:68
	s_cmp_lt_i32 s22, 19
	v_mov_b32_e32 v62, 17
	s_cbranch_scc1 .LBB106_287
; %bb.285:
	v_add_u32_e32 v66, 0x48, v59
	v_mov_b32_e32 v62, 17
	s_mov_b32 s0, 18
.LBB106_286:                            ; =>This Inner Loop Header: Depth=1
	ds_read_b32 v67, v66
	v_mov_b32_e32 v68, s0
	s_add_i32 s0, s0, 1
	v_add_u32_e32 v66, 4, v66
	s_cmp_lg_u32 s22, s0
	s_waitcnt lgkmcnt(0)
	v_cmp_lt_f32_e64 vcc, |v64|, |v67|
	s_nop 1
	v_cndmask_b32_e32 v64, v64, v67, vcc
	v_cndmask_b32_e32 v62, v62, v68, vcc
	s_cbranch_scc1 .LBB106_286
.LBB106_287:
	s_waitcnt lgkmcnt(0)
	v_cmp_eq_f32_e32 vcc, 0, v64
	s_and_saveexec_b64 s[0:1], vcc
	s_xor_b64 s[0:1], exec, s[0:1]
; %bb.288:
	v_cmp_ne_u32_e32 vcc, 0, v61
	s_nop 1
	v_cndmask_b32_e32 v61, 18, v61, vcc
; %bb.289:
	s_andn2_saveexec_b64 s[0:1], s[0:1]
	s_cbranch_execz .LBB106_291
; %bb.290:
	v_div_scale_f32 v66, s[2:3], v64, v64, 1.0
	v_rcp_f32_e32 v67, v66
	v_div_scale_f32 v68, vcc, 1.0, v64, 1.0
	v_fma_f32 v69, -v66, v67, 1.0
	v_fmac_f32_e32 v67, v69, v67
	v_mul_f32_e32 v69, v68, v67
	v_fma_f32 v70, -v66, v69, v68
	v_fmac_f32_e32 v69, v70, v67
	v_fma_f32 v66, -v66, v69, v68
	v_div_fmas_f32 v66, v66, v67, v69
	v_div_fixup_f32 v64, v66, v64, 1.0
.LBB106_291:
	s_or_b64 exec, exec, s[0:1]
	v_cmp_ne_u32_e32 vcc, v65, v62
	s_and_saveexec_b64 s[0:1], vcc
	s_xor_b64 s[0:1], exec, s[0:1]
	s_cbranch_execz .LBB106_297
; %bb.292:
	v_cmp_eq_u32_e32 vcc, 17, v65
	s_and_saveexec_b64 s[2:3], vcc
	s_cbranch_execz .LBB106_296
; %bb.293:
	v_cmp_ne_u32_e32 vcc, 17, v62
	s_xor_b64 s[12:13], s[20:21], -1
	s_and_b64 s[14:15], s[12:13], vcc
	s_and_saveexec_b64 s[12:13], s[14:15]
	s_cbranch_execz .LBB106_295
; %bb.294:
	v_ashrrev_i32_e32 v63, 31, v62
	v_lshl_add_u64 v[66:67], v[62:63], 2, v[4:5]
	global_load_dword v63, v[66:67], off
	global_load_dword v65, v[4:5], off offset:68
	s_waitcnt vmcnt(1)
	global_store_dword v[4:5], v63, off offset:68
	s_waitcnt vmcnt(1)
	global_store_dword v[66:67], v65, off
.LBB106_295:
	s_or_b64 exec, exec, s[12:13]
	v_mov_b32_e32 v63, v62
	v_mov_b32_e32 v65, v62
.LBB106_296:
	s_or_b64 exec, exec, s[2:3]
.LBB106_297:
	s_andn2_saveexec_b64 s[0:1], s[0:1]
	s_cbranch_execz .LBB106_299
; %bb.298:
	v_mov_b32_e32 v65, 17
	ds_write2_b32 v59, v42, v43 offset0:18 offset1:19
	ds_write2_b32 v59, v34, v35 offset0:20 offset1:21
	;; [unrolled: 1-line block ×18, first 2 shown]
.LBB106_299:
	s_or_b64 exec, exec, s[0:1]
	v_cmp_lt_i32_e32 vcc, 17, v65
	s_waitcnt lgkmcnt(0)
	s_barrier
	s_and_saveexec_b64 s[0:1], vcc
	s_cbranch_execz .LBB106_301
; %bb.300:
	ds_read2_b32 v[66:67], v59 offset0:18 offset1:19
	v_mul_f32_e32 v62, v64, v49
	v_mov_b32_e32 v49, v62
	s_waitcnt lgkmcnt(0)
	v_pk_fma_f32 v[42:43], v[62:63], v[66:67], v[42:43] op_sel_hi:[0,1,1] neg_lo:[1,0,0] neg_hi:[1,0,0]
	ds_read2_b32 v[66:67], v59 offset0:20 offset1:21
	s_waitcnt lgkmcnt(0)
	v_pk_fma_f32 v[34:35], v[62:63], v[66:67], v[34:35] op_sel_hi:[0,1,1] neg_lo:[1,0,0] neg_hi:[1,0,0]
	ds_read2_b32 v[66:67], v59 offset0:22 offset1:23
	;; [unrolled: 3-line block ×17, first 2 shown]
	s_waitcnt lgkmcnt(0)
	v_pk_fma_f32 v[8:9], v[62:63], v[66:67], v[8:9] op_sel_hi:[0,1,1] neg_lo:[1,0,0] neg_hi:[1,0,0]
.LBB106_301:
	s_or_b64 exec, exec, s[0:1]
	v_lshl_add_u32 v62, v65, 2, v59
	s_barrier
	ds_write_b32 v62, v42
	s_waitcnt lgkmcnt(0)
	s_barrier
	ds_read_b32 v64, v59 offset:72
	s_cmp_lt_i32 s22, 20
	v_mov_b32_e32 v62, 18
	s_cbranch_scc1 .LBB106_304
; %bb.302:
	v_add_u32_e32 v66, 0x4c, v59
	v_mov_b32_e32 v62, 18
	s_mov_b32 s0, 19
.LBB106_303:                            ; =>This Inner Loop Header: Depth=1
	ds_read_b32 v67, v66
	v_mov_b32_e32 v68, s0
	s_add_i32 s0, s0, 1
	v_add_u32_e32 v66, 4, v66
	s_cmp_lg_u32 s22, s0
	s_waitcnt lgkmcnt(0)
	v_cmp_lt_f32_e64 vcc, |v64|, |v67|
	s_nop 1
	v_cndmask_b32_e32 v64, v64, v67, vcc
	v_cndmask_b32_e32 v62, v62, v68, vcc
	s_cbranch_scc1 .LBB106_303
.LBB106_304:
	s_waitcnt lgkmcnt(0)
	v_cmp_eq_f32_e32 vcc, 0, v64
	s_and_saveexec_b64 s[0:1], vcc
	s_xor_b64 s[0:1], exec, s[0:1]
; %bb.305:
	v_cmp_ne_u32_e32 vcc, 0, v61
	s_nop 1
	v_cndmask_b32_e32 v61, 19, v61, vcc
; %bb.306:
	s_andn2_saveexec_b64 s[0:1], s[0:1]
	s_cbranch_execz .LBB106_308
; %bb.307:
	v_div_scale_f32 v66, s[2:3], v64, v64, 1.0
	v_rcp_f32_e32 v67, v66
	v_div_scale_f32 v68, vcc, 1.0, v64, 1.0
	v_fma_f32 v69, -v66, v67, 1.0
	v_fmac_f32_e32 v67, v69, v67
	v_mul_f32_e32 v69, v68, v67
	v_fma_f32 v70, -v66, v69, v68
	v_fmac_f32_e32 v69, v70, v67
	v_fma_f32 v66, -v66, v69, v68
	v_div_fmas_f32 v66, v66, v67, v69
	v_div_fixup_f32 v64, v66, v64, 1.0
.LBB106_308:
	s_or_b64 exec, exec, s[0:1]
	v_cmp_ne_u32_e32 vcc, v65, v62
	s_and_saveexec_b64 s[0:1], vcc
	s_xor_b64 s[0:1], exec, s[0:1]
	s_cbranch_execz .LBB106_314
; %bb.309:
	v_cmp_eq_u32_e32 vcc, 18, v65
	s_and_saveexec_b64 s[2:3], vcc
	s_cbranch_execz .LBB106_313
; %bb.310:
	v_cmp_ne_u32_e32 vcc, 18, v62
	s_xor_b64 s[12:13], s[20:21], -1
	s_and_b64 s[14:15], s[12:13], vcc
	s_and_saveexec_b64 s[12:13], s[14:15]
	s_cbranch_execz .LBB106_312
; %bb.311:
	v_ashrrev_i32_e32 v63, 31, v62
	v_lshl_add_u64 v[66:67], v[62:63], 2, v[4:5]
	global_load_dword v63, v[66:67], off
	global_load_dword v65, v[4:5], off offset:72
	s_waitcnt vmcnt(1)
	global_store_dword v[4:5], v63, off offset:72
	s_waitcnt vmcnt(1)
	global_store_dword v[66:67], v65, off
.LBB106_312:
	s_or_b64 exec, exec, s[12:13]
	v_mov_b32_e32 v63, v62
	v_mov_b32_e32 v65, v62
.LBB106_313:
	s_or_b64 exec, exec, s[2:3]
.LBB106_314:
	s_andn2_saveexec_b64 s[0:1], s[0:1]
	s_cbranch_execz .LBB106_316
; %bb.315:
	v_pk_mov_b32 v[66:67], v[42:43], v[34:35] op_sel:[1,0]
	ds_write2_b32 v59, v66, v67 offset0:19 offset1:20
	v_pk_mov_b32 v[66:67], v[34:35], v[24:25] op_sel:[1,0]
	ds_write2_b32 v59, v66, v67 offset0:21 offset1:22
	;; [unrolled: 2-line block ×16, first 2 shown]
	v_pk_mov_b32 v[66:67], v[14:15], v[8:9] op_sel:[1,0]
	v_mov_b32_e32 v65, 18
	ds_write2_b32 v59, v66, v67 offset0:51 offset1:52
	ds_write_b32 v59, v9 offset:212
.LBB106_316:
	s_or_b64 exec, exec, s[0:1]
	v_cmp_lt_i32_e32 vcc, 18, v65
	s_waitcnt lgkmcnt(0)
	s_barrier
	s_and_saveexec_b64 s[0:1], vcc
	s_cbranch_execz .LBB106_318
; %bb.317:
	ds_read_b32 v62, v59 offset:76
	ds_read2_b32 v[66:67], v59 offset0:20 offset1:21
	v_mul_f32_e32 v42, v64, v42
	s_waitcnt lgkmcnt(1)
	v_fma_f32 v43, -v42, v62, v43
	s_waitcnt lgkmcnt(0)
	v_pk_fma_f32 v[34:35], v[42:43], v[66:67], v[34:35] op_sel_hi:[0,1,1] neg_lo:[1,0,0] neg_hi:[1,0,0]
	ds_read2_b32 v[66:67], v59 offset0:22 offset1:23
	s_waitcnt lgkmcnt(0)
	v_pk_fma_f32 v[24:25], v[42:43], v[66:67], v[24:25] op_sel_hi:[0,1,1] neg_lo:[1,0,0] neg_hi:[1,0,0]
	ds_read2_b32 v[66:67], v59 offset0:24 offset1:25
	;; [unrolled: 3-line block ×16, first 2 shown]
	s_waitcnt lgkmcnt(0)
	v_pk_fma_f32 v[8:9], v[42:43], v[66:67], v[8:9] op_sel_hi:[0,1,1] neg_lo:[1,0,0] neg_hi:[1,0,0]
.LBB106_318:
	s_or_b64 exec, exec, s[0:1]
	v_lshl_add_u32 v62, v65, 2, v59
	s_barrier
	ds_write_b32 v62, v43
	s_waitcnt lgkmcnt(0)
	s_barrier
	ds_read_b32 v64, v59 offset:76
	s_cmp_lt_i32 s22, 21
	v_mov_b32_e32 v62, 19
	s_cbranch_scc1 .LBB106_321
; %bb.319:
	v_add_u32_e32 v66, 0x50, v59
	v_mov_b32_e32 v62, 19
	s_mov_b32 s0, 20
.LBB106_320:                            ; =>This Inner Loop Header: Depth=1
	ds_read_b32 v67, v66
	v_mov_b32_e32 v68, s0
	s_add_i32 s0, s0, 1
	v_add_u32_e32 v66, 4, v66
	s_cmp_lg_u32 s22, s0
	s_waitcnt lgkmcnt(0)
	v_cmp_lt_f32_e64 vcc, |v64|, |v67|
	s_nop 1
	v_cndmask_b32_e32 v64, v64, v67, vcc
	v_cndmask_b32_e32 v62, v62, v68, vcc
	s_cbranch_scc1 .LBB106_320
.LBB106_321:
	s_waitcnt lgkmcnt(0)
	v_cmp_eq_f32_e32 vcc, 0, v64
	s_and_saveexec_b64 s[0:1], vcc
	s_xor_b64 s[0:1], exec, s[0:1]
; %bb.322:
	v_cmp_ne_u32_e32 vcc, 0, v61
	s_nop 1
	v_cndmask_b32_e32 v61, 20, v61, vcc
; %bb.323:
	s_andn2_saveexec_b64 s[0:1], s[0:1]
	s_cbranch_execz .LBB106_325
; %bb.324:
	v_div_scale_f32 v66, s[2:3], v64, v64, 1.0
	v_rcp_f32_e32 v67, v66
	v_div_scale_f32 v68, vcc, 1.0, v64, 1.0
	v_fma_f32 v69, -v66, v67, 1.0
	v_fmac_f32_e32 v67, v69, v67
	v_mul_f32_e32 v69, v68, v67
	v_fma_f32 v70, -v66, v69, v68
	v_fmac_f32_e32 v69, v70, v67
	v_fma_f32 v66, -v66, v69, v68
	v_div_fmas_f32 v66, v66, v67, v69
	v_div_fixup_f32 v64, v66, v64, 1.0
.LBB106_325:
	s_or_b64 exec, exec, s[0:1]
	v_cmp_ne_u32_e32 vcc, v65, v62
	s_and_saveexec_b64 s[0:1], vcc
	s_xor_b64 s[0:1], exec, s[0:1]
	s_cbranch_execz .LBB106_331
; %bb.326:
	v_cmp_eq_u32_e32 vcc, 19, v65
	s_and_saveexec_b64 s[2:3], vcc
	s_cbranch_execz .LBB106_330
; %bb.327:
	v_cmp_ne_u32_e32 vcc, 19, v62
	s_xor_b64 s[12:13], s[20:21], -1
	s_and_b64 s[14:15], s[12:13], vcc
	s_and_saveexec_b64 s[12:13], s[14:15]
	s_cbranch_execz .LBB106_329
; %bb.328:
	v_ashrrev_i32_e32 v63, 31, v62
	v_lshl_add_u64 v[66:67], v[62:63], 2, v[4:5]
	global_load_dword v63, v[66:67], off
	global_load_dword v65, v[4:5], off offset:76
	s_waitcnt vmcnt(1)
	global_store_dword v[4:5], v63, off offset:76
	s_waitcnt vmcnt(1)
	global_store_dword v[66:67], v65, off
.LBB106_329:
	s_or_b64 exec, exec, s[12:13]
	v_mov_b32_e32 v63, v62
	v_mov_b32_e32 v65, v62
.LBB106_330:
	s_or_b64 exec, exec, s[2:3]
.LBB106_331:
	s_andn2_saveexec_b64 s[0:1], s[0:1]
	s_cbranch_execz .LBB106_333
; %bb.332:
	v_mov_b32_e32 v65, 19
	ds_write2_b32 v59, v34, v35 offset0:20 offset1:21
	ds_write2_b32 v59, v24, v25 offset0:22 offset1:23
	;; [unrolled: 1-line block ×17, first 2 shown]
.LBB106_333:
	s_or_b64 exec, exec, s[0:1]
	v_cmp_lt_i32_e32 vcc, 19, v65
	s_waitcnt lgkmcnt(0)
	s_barrier
	s_and_saveexec_b64 s[0:1], vcc
	s_cbranch_execz .LBB106_335
; %bb.334:
	ds_read2_b32 v[66:67], v59 offset0:20 offset1:21
	v_mul_f32_e32 v62, v64, v43
	v_mov_b32_e32 v43, v62
	s_waitcnt lgkmcnt(0)
	v_pk_fma_f32 v[34:35], v[62:63], v[66:67], v[34:35] op_sel_hi:[0,1,1] neg_lo:[1,0,0] neg_hi:[1,0,0]
	ds_read2_b32 v[66:67], v59 offset0:22 offset1:23
	s_waitcnt lgkmcnt(0)
	v_pk_fma_f32 v[24:25], v[62:63], v[66:67], v[24:25] op_sel_hi:[0,1,1] neg_lo:[1,0,0] neg_hi:[1,0,0]
	ds_read2_b32 v[66:67], v59 offset0:24 offset1:25
	;; [unrolled: 3-line block ×16, first 2 shown]
	s_waitcnt lgkmcnt(0)
	v_pk_fma_f32 v[8:9], v[62:63], v[66:67], v[8:9] op_sel_hi:[0,1,1] neg_lo:[1,0,0] neg_hi:[1,0,0]
.LBB106_335:
	s_or_b64 exec, exec, s[0:1]
	v_lshl_add_u32 v62, v65, 2, v59
	s_barrier
	ds_write_b32 v62, v34
	s_waitcnt lgkmcnt(0)
	s_barrier
	ds_read_b32 v64, v59 offset:80
	s_cmp_lt_i32 s22, 22
	v_mov_b32_e32 v62, 20
	s_cbranch_scc1 .LBB106_338
; %bb.336:
	v_add_u32_e32 v66, 0x54, v59
	v_mov_b32_e32 v62, 20
	s_mov_b32 s0, 21
.LBB106_337:                            ; =>This Inner Loop Header: Depth=1
	ds_read_b32 v67, v66
	v_mov_b32_e32 v68, s0
	s_add_i32 s0, s0, 1
	v_add_u32_e32 v66, 4, v66
	s_cmp_lg_u32 s22, s0
	s_waitcnt lgkmcnt(0)
	v_cmp_lt_f32_e64 vcc, |v64|, |v67|
	s_nop 1
	v_cndmask_b32_e32 v64, v64, v67, vcc
	v_cndmask_b32_e32 v62, v62, v68, vcc
	s_cbranch_scc1 .LBB106_337
.LBB106_338:
	s_waitcnt lgkmcnt(0)
	v_cmp_eq_f32_e32 vcc, 0, v64
	s_and_saveexec_b64 s[0:1], vcc
	s_xor_b64 s[0:1], exec, s[0:1]
; %bb.339:
	v_cmp_ne_u32_e32 vcc, 0, v61
	s_nop 1
	v_cndmask_b32_e32 v61, 21, v61, vcc
; %bb.340:
	s_andn2_saveexec_b64 s[0:1], s[0:1]
	s_cbranch_execz .LBB106_342
; %bb.341:
	v_div_scale_f32 v66, s[2:3], v64, v64, 1.0
	v_rcp_f32_e32 v67, v66
	v_div_scale_f32 v68, vcc, 1.0, v64, 1.0
	v_fma_f32 v69, -v66, v67, 1.0
	v_fmac_f32_e32 v67, v69, v67
	v_mul_f32_e32 v69, v68, v67
	v_fma_f32 v70, -v66, v69, v68
	v_fmac_f32_e32 v69, v70, v67
	v_fma_f32 v66, -v66, v69, v68
	v_div_fmas_f32 v66, v66, v67, v69
	v_div_fixup_f32 v64, v66, v64, 1.0
.LBB106_342:
	s_or_b64 exec, exec, s[0:1]
	v_cmp_ne_u32_e32 vcc, v65, v62
	s_and_saveexec_b64 s[0:1], vcc
	s_xor_b64 s[0:1], exec, s[0:1]
	s_cbranch_execz .LBB106_348
; %bb.343:
	v_cmp_eq_u32_e32 vcc, 20, v65
	s_and_saveexec_b64 s[2:3], vcc
	s_cbranch_execz .LBB106_347
; %bb.344:
	v_cmp_ne_u32_e32 vcc, 20, v62
	s_xor_b64 s[12:13], s[20:21], -1
	s_and_b64 s[14:15], s[12:13], vcc
	s_and_saveexec_b64 s[12:13], s[14:15]
	s_cbranch_execz .LBB106_346
; %bb.345:
	v_ashrrev_i32_e32 v63, 31, v62
	v_lshl_add_u64 v[66:67], v[62:63], 2, v[4:5]
	global_load_dword v63, v[66:67], off
	global_load_dword v65, v[4:5], off offset:80
	s_waitcnt vmcnt(1)
	global_store_dword v[4:5], v63, off offset:80
	s_waitcnt vmcnt(1)
	global_store_dword v[66:67], v65, off
.LBB106_346:
	s_or_b64 exec, exec, s[12:13]
	v_mov_b32_e32 v63, v62
	v_mov_b32_e32 v65, v62
.LBB106_347:
	s_or_b64 exec, exec, s[2:3]
.LBB106_348:
	s_andn2_saveexec_b64 s[0:1], s[0:1]
	s_cbranch_execz .LBB106_350
; %bb.349:
	v_pk_mov_b32 v[66:67], v[34:35], v[24:25] op_sel:[1,0]
	ds_write2_b32 v59, v66, v67 offset0:21 offset1:22
	v_pk_mov_b32 v[66:67], v[24:25], v[44:45] op_sel:[1,0]
	ds_write2_b32 v59, v66, v67 offset0:23 offset1:24
	;; [unrolled: 2-line block ×15, first 2 shown]
	v_pk_mov_b32 v[66:67], v[14:15], v[8:9] op_sel:[1,0]
	v_mov_b32_e32 v65, 20
	ds_write2_b32 v59, v66, v67 offset0:51 offset1:52
	ds_write_b32 v59, v9 offset:212
.LBB106_350:
	s_or_b64 exec, exec, s[0:1]
	v_cmp_lt_i32_e32 vcc, 20, v65
	s_waitcnt lgkmcnt(0)
	s_barrier
	s_and_saveexec_b64 s[0:1], vcc
	s_cbranch_execz .LBB106_352
; %bb.351:
	ds_read_b32 v62, v59 offset:84
	ds_read2_b32 v[66:67], v59 offset0:22 offset1:23
	v_mul_f32_e32 v34, v64, v34
	s_waitcnt lgkmcnt(1)
	v_fma_f32 v35, -v34, v62, v35
	s_waitcnt lgkmcnt(0)
	v_pk_fma_f32 v[24:25], v[34:35], v[66:67], v[24:25] op_sel_hi:[0,1,1] neg_lo:[1,0,0] neg_hi:[1,0,0]
	ds_read2_b32 v[66:67], v59 offset0:24 offset1:25
	s_waitcnt lgkmcnt(0)
	v_pk_fma_f32 v[44:45], v[34:35], v[66:67], v[44:45] op_sel_hi:[0,1,1] neg_lo:[1,0,0] neg_hi:[1,0,0]
	ds_read2_b32 v[66:67], v59 offset0:26 offset1:27
	;; [unrolled: 3-line block ×15, first 2 shown]
	s_waitcnt lgkmcnt(0)
	v_pk_fma_f32 v[8:9], v[34:35], v[66:67], v[8:9] op_sel_hi:[0,1,1] neg_lo:[1,0,0] neg_hi:[1,0,0]
.LBB106_352:
	s_or_b64 exec, exec, s[0:1]
	v_lshl_add_u32 v62, v65, 2, v59
	s_barrier
	ds_write_b32 v62, v35
	s_waitcnt lgkmcnt(0)
	s_barrier
	ds_read_b32 v64, v59 offset:84
	s_cmp_lt_i32 s22, 23
	v_mov_b32_e32 v62, 21
	s_cbranch_scc1 .LBB106_355
; %bb.353:
	v_add_u32_e32 v66, 0x58, v59
	v_mov_b32_e32 v62, 21
	s_mov_b32 s0, 22
.LBB106_354:                            ; =>This Inner Loop Header: Depth=1
	ds_read_b32 v67, v66
	v_mov_b32_e32 v68, s0
	s_add_i32 s0, s0, 1
	v_add_u32_e32 v66, 4, v66
	s_cmp_lg_u32 s22, s0
	s_waitcnt lgkmcnt(0)
	v_cmp_lt_f32_e64 vcc, |v64|, |v67|
	s_nop 1
	v_cndmask_b32_e32 v64, v64, v67, vcc
	v_cndmask_b32_e32 v62, v62, v68, vcc
	s_cbranch_scc1 .LBB106_354
.LBB106_355:
	s_waitcnt lgkmcnt(0)
	v_cmp_eq_f32_e32 vcc, 0, v64
	s_and_saveexec_b64 s[0:1], vcc
	s_xor_b64 s[0:1], exec, s[0:1]
; %bb.356:
	v_cmp_ne_u32_e32 vcc, 0, v61
	s_nop 1
	v_cndmask_b32_e32 v61, 22, v61, vcc
; %bb.357:
	s_andn2_saveexec_b64 s[0:1], s[0:1]
	s_cbranch_execz .LBB106_359
; %bb.358:
	v_div_scale_f32 v66, s[2:3], v64, v64, 1.0
	v_rcp_f32_e32 v67, v66
	v_div_scale_f32 v68, vcc, 1.0, v64, 1.0
	v_fma_f32 v69, -v66, v67, 1.0
	v_fmac_f32_e32 v67, v69, v67
	v_mul_f32_e32 v69, v68, v67
	v_fma_f32 v70, -v66, v69, v68
	v_fmac_f32_e32 v69, v70, v67
	v_fma_f32 v66, -v66, v69, v68
	v_div_fmas_f32 v66, v66, v67, v69
	v_div_fixup_f32 v64, v66, v64, 1.0
.LBB106_359:
	s_or_b64 exec, exec, s[0:1]
	v_cmp_ne_u32_e32 vcc, v65, v62
	s_and_saveexec_b64 s[0:1], vcc
	s_xor_b64 s[0:1], exec, s[0:1]
	s_cbranch_execz .LBB106_365
; %bb.360:
	v_cmp_eq_u32_e32 vcc, 21, v65
	s_and_saveexec_b64 s[2:3], vcc
	s_cbranch_execz .LBB106_364
; %bb.361:
	v_cmp_ne_u32_e32 vcc, 21, v62
	s_xor_b64 s[12:13], s[20:21], -1
	s_and_b64 s[14:15], s[12:13], vcc
	s_and_saveexec_b64 s[12:13], s[14:15]
	s_cbranch_execz .LBB106_363
; %bb.362:
	v_ashrrev_i32_e32 v63, 31, v62
	v_lshl_add_u64 v[66:67], v[62:63], 2, v[4:5]
	global_load_dword v63, v[66:67], off
	global_load_dword v65, v[4:5], off offset:84
	s_waitcnt vmcnt(1)
	global_store_dword v[4:5], v63, off offset:84
	s_waitcnt vmcnt(1)
	global_store_dword v[66:67], v65, off
.LBB106_363:
	s_or_b64 exec, exec, s[12:13]
	v_mov_b32_e32 v63, v62
	v_mov_b32_e32 v65, v62
.LBB106_364:
	s_or_b64 exec, exec, s[2:3]
.LBB106_365:
	s_andn2_saveexec_b64 s[0:1], s[0:1]
	s_cbranch_execz .LBB106_367
; %bb.366:
	v_mov_b32_e32 v65, 21
	ds_write2_b32 v59, v24, v25 offset0:22 offset1:23
	ds_write2_b32 v59, v44, v45 offset0:24 offset1:25
	;; [unrolled: 1-line block ×16, first 2 shown]
.LBB106_367:
	s_or_b64 exec, exec, s[0:1]
	v_cmp_lt_i32_e32 vcc, 21, v65
	s_waitcnt lgkmcnt(0)
	s_barrier
	s_and_saveexec_b64 s[0:1], vcc
	s_cbranch_execz .LBB106_369
; %bb.368:
	ds_read2_b32 v[66:67], v59 offset0:22 offset1:23
	v_mul_f32_e32 v62, v64, v35
	v_mov_b32_e32 v35, v62
	s_waitcnt lgkmcnt(0)
	v_pk_fma_f32 v[24:25], v[62:63], v[66:67], v[24:25] op_sel_hi:[0,1,1] neg_lo:[1,0,0] neg_hi:[1,0,0]
	ds_read2_b32 v[66:67], v59 offset0:24 offset1:25
	s_waitcnt lgkmcnt(0)
	v_pk_fma_f32 v[44:45], v[62:63], v[66:67], v[44:45] op_sel_hi:[0,1,1] neg_lo:[1,0,0] neg_hi:[1,0,0]
	ds_read2_b32 v[66:67], v59 offset0:26 offset1:27
	;; [unrolled: 3-line block ×15, first 2 shown]
	s_waitcnt lgkmcnt(0)
	v_pk_fma_f32 v[8:9], v[62:63], v[66:67], v[8:9] op_sel_hi:[0,1,1] neg_lo:[1,0,0] neg_hi:[1,0,0]
.LBB106_369:
	s_or_b64 exec, exec, s[0:1]
	v_lshl_add_u32 v62, v65, 2, v59
	s_barrier
	ds_write_b32 v62, v24
	s_waitcnt lgkmcnt(0)
	s_barrier
	ds_read_b32 v64, v59 offset:88
	s_cmp_lt_i32 s22, 24
	v_mov_b32_e32 v62, 22
	s_cbranch_scc1 .LBB106_372
; %bb.370:
	v_add_u32_e32 v66, 0x5c, v59
	v_mov_b32_e32 v62, 22
	s_mov_b32 s0, 23
.LBB106_371:                            ; =>This Inner Loop Header: Depth=1
	ds_read_b32 v67, v66
	v_mov_b32_e32 v68, s0
	s_add_i32 s0, s0, 1
	v_add_u32_e32 v66, 4, v66
	s_cmp_lg_u32 s22, s0
	s_waitcnt lgkmcnt(0)
	v_cmp_lt_f32_e64 vcc, |v64|, |v67|
	s_nop 1
	v_cndmask_b32_e32 v64, v64, v67, vcc
	v_cndmask_b32_e32 v62, v62, v68, vcc
	s_cbranch_scc1 .LBB106_371
.LBB106_372:
	s_waitcnt lgkmcnt(0)
	v_cmp_eq_f32_e32 vcc, 0, v64
	s_and_saveexec_b64 s[0:1], vcc
	s_xor_b64 s[0:1], exec, s[0:1]
; %bb.373:
	v_cmp_ne_u32_e32 vcc, 0, v61
	s_nop 1
	v_cndmask_b32_e32 v61, 23, v61, vcc
; %bb.374:
	s_andn2_saveexec_b64 s[0:1], s[0:1]
	s_cbranch_execz .LBB106_376
; %bb.375:
	v_div_scale_f32 v66, s[2:3], v64, v64, 1.0
	v_rcp_f32_e32 v67, v66
	v_div_scale_f32 v68, vcc, 1.0, v64, 1.0
	v_fma_f32 v69, -v66, v67, 1.0
	v_fmac_f32_e32 v67, v69, v67
	v_mul_f32_e32 v69, v68, v67
	v_fma_f32 v70, -v66, v69, v68
	v_fmac_f32_e32 v69, v70, v67
	v_fma_f32 v66, -v66, v69, v68
	v_div_fmas_f32 v66, v66, v67, v69
	v_div_fixup_f32 v64, v66, v64, 1.0
.LBB106_376:
	s_or_b64 exec, exec, s[0:1]
	v_cmp_ne_u32_e32 vcc, v65, v62
	s_and_saveexec_b64 s[0:1], vcc
	s_xor_b64 s[0:1], exec, s[0:1]
	s_cbranch_execz .LBB106_382
; %bb.377:
	v_cmp_eq_u32_e32 vcc, 22, v65
	s_and_saveexec_b64 s[2:3], vcc
	s_cbranch_execz .LBB106_381
; %bb.378:
	v_cmp_ne_u32_e32 vcc, 22, v62
	s_xor_b64 s[12:13], s[20:21], -1
	s_and_b64 s[14:15], s[12:13], vcc
	s_and_saveexec_b64 s[12:13], s[14:15]
	s_cbranch_execz .LBB106_380
; %bb.379:
	v_ashrrev_i32_e32 v63, 31, v62
	v_lshl_add_u64 v[66:67], v[62:63], 2, v[4:5]
	global_load_dword v63, v[66:67], off
	global_load_dword v65, v[4:5], off offset:88
	s_waitcnt vmcnt(1)
	global_store_dword v[4:5], v63, off offset:88
	s_waitcnt vmcnt(1)
	global_store_dword v[66:67], v65, off
.LBB106_380:
	s_or_b64 exec, exec, s[12:13]
	v_mov_b32_e32 v63, v62
	v_mov_b32_e32 v65, v62
.LBB106_381:
	s_or_b64 exec, exec, s[2:3]
.LBB106_382:
	s_andn2_saveexec_b64 s[0:1], s[0:1]
	s_cbranch_execz .LBB106_384
; %bb.383:
	v_pk_mov_b32 v[66:67], v[24:25], v[44:45] op_sel:[1,0]
	ds_write2_b32 v59, v66, v67 offset0:23 offset1:24
	v_pk_mov_b32 v[66:67], v[44:45], v[36:37] op_sel:[1,0]
	ds_write2_b32 v59, v66, v67 offset0:25 offset1:26
	v_pk_mov_b32 v[66:67], v[36:37], v[26:27] op_sel:[1,0]
	ds_write2_b32 v59, v66, v67 offset0:27 offset1:28
	v_pk_mov_b32 v[66:67], v[26:27], v[18:19] op_sel:[1,0]
	ds_write2_b32 v59, v66, v67 offset0:29 offset1:30
	v_pk_mov_b32 v[66:67], v[18:19], v[38:39] op_sel:[1,0]
	ds_write2_b32 v59, v66, v67 offset0:31 offset1:32
	v_pk_mov_b32 v[66:67], v[38:39], v[28:29] op_sel:[1,0]
	ds_write2_b32 v59, v66, v67 offset0:33 offset1:34
	v_pk_mov_b32 v[66:67], v[28:29], v[20:21] op_sel:[1,0]
	ds_write2_b32 v59, v66, v67 offset0:35 offset1:36
	v_pk_mov_b32 v[66:67], v[20:21], v[12:13] op_sel:[1,0]
	ds_write2_b32 v59, v66, v67 offset0:37 offset1:38
	v_pk_mov_b32 v[66:67], v[12:13], v[30:31] op_sel:[1,0]
	ds_write2_b32 v59, v66, v67 offset0:39 offset1:40
	v_pk_mov_b32 v[66:67], v[30:31], v[22:23] op_sel:[1,0]
	ds_write2_b32 v59, v66, v67 offset0:41 offset1:42
	v_pk_mov_b32 v[66:67], v[22:23], v[16:17] op_sel:[1,0]
	ds_write2_b32 v59, v66, v67 offset0:43 offset1:44
	v_pk_mov_b32 v[66:67], v[16:17], v[10:11] op_sel:[1,0]
	ds_write2_b32 v59, v66, v67 offset0:45 offset1:46
	v_pk_mov_b32 v[66:67], v[10:11], v[0:1] op_sel:[1,0]
	ds_write2_b32 v59, v66, v67 offset0:47 offset1:48
	v_pk_mov_b32 v[66:67], v[0:1], v[14:15] op_sel:[1,0]
	ds_write2_b32 v59, v66, v67 offset0:49 offset1:50
	v_pk_mov_b32 v[66:67], v[14:15], v[8:9] op_sel:[1,0]
	v_mov_b32_e32 v65, 22
	ds_write2_b32 v59, v66, v67 offset0:51 offset1:52
	ds_write_b32 v59, v9 offset:212
.LBB106_384:
	s_or_b64 exec, exec, s[0:1]
	v_cmp_lt_i32_e32 vcc, 22, v65
	s_waitcnt lgkmcnt(0)
	s_barrier
	s_and_saveexec_b64 s[0:1], vcc
	s_cbranch_execz .LBB106_386
; %bb.385:
	ds_read_b32 v62, v59 offset:92
	ds_read2_b32 v[66:67], v59 offset0:24 offset1:25
	v_mul_f32_e32 v24, v64, v24
	s_waitcnt lgkmcnt(1)
	v_fma_f32 v25, -v24, v62, v25
	s_waitcnt lgkmcnt(0)
	v_pk_fma_f32 v[44:45], v[24:25], v[66:67], v[44:45] op_sel_hi:[0,1,1] neg_lo:[1,0,0] neg_hi:[1,0,0]
	ds_read2_b32 v[66:67], v59 offset0:26 offset1:27
	s_waitcnt lgkmcnt(0)
	v_pk_fma_f32 v[36:37], v[24:25], v[66:67], v[36:37] op_sel_hi:[0,1,1] neg_lo:[1,0,0] neg_hi:[1,0,0]
	ds_read2_b32 v[66:67], v59 offset0:28 offset1:29
	;; [unrolled: 3-line block ×14, first 2 shown]
	s_waitcnt lgkmcnt(0)
	v_pk_fma_f32 v[8:9], v[24:25], v[66:67], v[8:9] op_sel_hi:[0,1,1] neg_lo:[1,0,0] neg_hi:[1,0,0]
.LBB106_386:
	s_or_b64 exec, exec, s[0:1]
	v_lshl_add_u32 v62, v65, 2, v59
	s_barrier
	ds_write_b32 v62, v25
	s_waitcnt lgkmcnt(0)
	s_barrier
	ds_read_b32 v64, v59 offset:92
	s_cmp_lt_i32 s22, 25
	v_mov_b32_e32 v62, 23
	s_cbranch_scc1 .LBB106_389
; %bb.387:
	v_add_u32_e32 v66, 0x60, v59
	v_mov_b32_e32 v62, 23
	s_mov_b32 s0, 24
.LBB106_388:                            ; =>This Inner Loop Header: Depth=1
	ds_read_b32 v67, v66
	v_mov_b32_e32 v68, s0
	s_add_i32 s0, s0, 1
	v_add_u32_e32 v66, 4, v66
	s_cmp_lg_u32 s22, s0
	s_waitcnt lgkmcnt(0)
	v_cmp_lt_f32_e64 vcc, |v64|, |v67|
	s_nop 1
	v_cndmask_b32_e32 v64, v64, v67, vcc
	v_cndmask_b32_e32 v62, v62, v68, vcc
	s_cbranch_scc1 .LBB106_388
.LBB106_389:
	s_waitcnt lgkmcnt(0)
	v_cmp_eq_f32_e32 vcc, 0, v64
	s_and_saveexec_b64 s[0:1], vcc
	s_xor_b64 s[0:1], exec, s[0:1]
; %bb.390:
	v_cmp_ne_u32_e32 vcc, 0, v61
	s_nop 1
	v_cndmask_b32_e32 v61, 24, v61, vcc
; %bb.391:
	s_andn2_saveexec_b64 s[0:1], s[0:1]
	s_cbranch_execz .LBB106_393
; %bb.392:
	v_div_scale_f32 v66, s[2:3], v64, v64, 1.0
	v_rcp_f32_e32 v67, v66
	v_div_scale_f32 v68, vcc, 1.0, v64, 1.0
	v_fma_f32 v69, -v66, v67, 1.0
	v_fmac_f32_e32 v67, v69, v67
	v_mul_f32_e32 v69, v68, v67
	v_fma_f32 v70, -v66, v69, v68
	v_fmac_f32_e32 v69, v70, v67
	v_fma_f32 v66, -v66, v69, v68
	v_div_fmas_f32 v66, v66, v67, v69
	v_div_fixup_f32 v64, v66, v64, 1.0
.LBB106_393:
	s_or_b64 exec, exec, s[0:1]
	v_cmp_ne_u32_e32 vcc, v65, v62
	s_and_saveexec_b64 s[0:1], vcc
	s_xor_b64 s[0:1], exec, s[0:1]
	s_cbranch_execz .LBB106_399
; %bb.394:
	v_cmp_eq_u32_e32 vcc, 23, v65
	s_and_saveexec_b64 s[2:3], vcc
	s_cbranch_execz .LBB106_398
; %bb.395:
	v_cmp_ne_u32_e32 vcc, 23, v62
	s_xor_b64 s[12:13], s[20:21], -1
	s_and_b64 s[14:15], s[12:13], vcc
	s_and_saveexec_b64 s[12:13], s[14:15]
	s_cbranch_execz .LBB106_397
; %bb.396:
	v_ashrrev_i32_e32 v63, 31, v62
	v_lshl_add_u64 v[66:67], v[62:63], 2, v[4:5]
	global_load_dword v63, v[66:67], off
	global_load_dword v65, v[4:5], off offset:92
	s_waitcnt vmcnt(1)
	global_store_dword v[4:5], v63, off offset:92
	s_waitcnt vmcnt(1)
	global_store_dword v[66:67], v65, off
.LBB106_397:
	s_or_b64 exec, exec, s[12:13]
	v_mov_b32_e32 v63, v62
	v_mov_b32_e32 v65, v62
.LBB106_398:
	s_or_b64 exec, exec, s[2:3]
.LBB106_399:
	s_andn2_saveexec_b64 s[0:1], s[0:1]
	s_cbranch_execz .LBB106_401
; %bb.400:
	v_mov_b32_e32 v65, 23
	ds_write2_b32 v59, v44, v45 offset0:24 offset1:25
	ds_write2_b32 v59, v36, v37 offset0:26 offset1:27
	;; [unrolled: 1-line block ×15, first 2 shown]
.LBB106_401:
	s_or_b64 exec, exec, s[0:1]
	v_cmp_lt_i32_e32 vcc, 23, v65
	s_waitcnt lgkmcnt(0)
	s_barrier
	s_and_saveexec_b64 s[0:1], vcc
	s_cbranch_execz .LBB106_403
; %bb.402:
	ds_read2_b32 v[66:67], v59 offset0:24 offset1:25
	v_mul_f32_e32 v62, v64, v25
	v_mov_b32_e32 v25, v62
	s_waitcnt lgkmcnt(0)
	v_pk_fma_f32 v[44:45], v[62:63], v[66:67], v[44:45] op_sel_hi:[0,1,1] neg_lo:[1,0,0] neg_hi:[1,0,0]
	ds_read2_b32 v[66:67], v59 offset0:26 offset1:27
	s_waitcnt lgkmcnt(0)
	v_pk_fma_f32 v[36:37], v[62:63], v[66:67], v[36:37] op_sel_hi:[0,1,1] neg_lo:[1,0,0] neg_hi:[1,0,0]
	ds_read2_b32 v[66:67], v59 offset0:28 offset1:29
	;; [unrolled: 3-line block ×14, first 2 shown]
	s_waitcnt lgkmcnt(0)
	v_pk_fma_f32 v[8:9], v[62:63], v[66:67], v[8:9] op_sel_hi:[0,1,1] neg_lo:[1,0,0] neg_hi:[1,0,0]
.LBB106_403:
	s_or_b64 exec, exec, s[0:1]
	v_lshl_add_u32 v62, v65, 2, v59
	s_barrier
	ds_write_b32 v62, v44
	s_waitcnt lgkmcnt(0)
	s_barrier
	ds_read_b32 v64, v59 offset:96
	s_cmp_lt_i32 s22, 26
	v_mov_b32_e32 v62, 24
	s_cbranch_scc1 .LBB106_406
; %bb.404:
	v_add_u32_e32 v66, 0x64, v59
	v_mov_b32_e32 v62, 24
	s_mov_b32 s0, 25
.LBB106_405:                            ; =>This Inner Loop Header: Depth=1
	ds_read_b32 v67, v66
	v_mov_b32_e32 v68, s0
	s_add_i32 s0, s0, 1
	v_add_u32_e32 v66, 4, v66
	s_cmp_lg_u32 s22, s0
	s_waitcnt lgkmcnt(0)
	v_cmp_lt_f32_e64 vcc, |v64|, |v67|
	s_nop 1
	v_cndmask_b32_e32 v64, v64, v67, vcc
	v_cndmask_b32_e32 v62, v62, v68, vcc
	s_cbranch_scc1 .LBB106_405
.LBB106_406:
	s_waitcnt lgkmcnt(0)
	v_cmp_eq_f32_e32 vcc, 0, v64
	s_and_saveexec_b64 s[0:1], vcc
	s_xor_b64 s[0:1], exec, s[0:1]
; %bb.407:
	v_cmp_ne_u32_e32 vcc, 0, v61
	s_nop 1
	v_cndmask_b32_e32 v61, 25, v61, vcc
; %bb.408:
	s_andn2_saveexec_b64 s[0:1], s[0:1]
	s_cbranch_execz .LBB106_410
; %bb.409:
	v_div_scale_f32 v66, s[2:3], v64, v64, 1.0
	v_rcp_f32_e32 v67, v66
	v_div_scale_f32 v68, vcc, 1.0, v64, 1.0
	v_fma_f32 v69, -v66, v67, 1.0
	v_fmac_f32_e32 v67, v69, v67
	v_mul_f32_e32 v69, v68, v67
	v_fma_f32 v70, -v66, v69, v68
	v_fmac_f32_e32 v69, v70, v67
	v_fma_f32 v66, -v66, v69, v68
	v_div_fmas_f32 v66, v66, v67, v69
	v_div_fixup_f32 v64, v66, v64, 1.0
.LBB106_410:
	s_or_b64 exec, exec, s[0:1]
	v_cmp_ne_u32_e32 vcc, v65, v62
	s_and_saveexec_b64 s[0:1], vcc
	s_xor_b64 s[0:1], exec, s[0:1]
	s_cbranch_execz .LBB106_416
; %bb.411:
	v_cmp_eq_u32_e32 vcc, 24, v65
	s_and_saveexec_b64 s[2:3], vcc
	s_cbranch_execz .LBB106_415
; %bb.412:
	v_cmp_ne_u32_e32 vcc, 24, v62
	s_xor_b64 s[12:13], s[20:21], -1
	s_and_b64 s[14:15], s[12:13], vcc
	s_and_saveexec_b64 s[12:13], s[14:15]
	s_cbranch_execz .LBB106_414
; %bb.413:
	v_ashrrev_i32_e32 v63, 31, v62
	v_lshl_add_u64 v[66:67], v[62:63], 2, v[4:5]
	global_load_dword v63, v[66:67], off
	global_load_dword v65, v[4:5], off offset:96
	s_waitcnt vmcnt(1)
	global_store_dword v[4:5], v63, off offset:96
	s_waitcnt vmcnt(1)
	global_store_dword v[66:67], v65, off
.LBB106_414:
	s_or_b64 exec, exec, s[12:13]
	v_mov_b32_e32 v63, v62
	v_mov_b32_e32 v65, v62
.LBB106_415:
	s_or_b64 exec, exec, s[2:3]
.LBB106_416:
	s_andn2_saveexec_b64 s[0:1], s[0:1]
	s_cbranch_execz .LBB106_418
; %bb.417:
	v_pk_mov_b32 v[66:67], v[44:45], v[36:37] op_sel:[1,0]
	ds_write2_b32 v59, v66, v67 offset0:25 offset1:26
	v_pk_mov_b32 v[66:67], v[36:37], v[26:27] op_sel:[1,0]
	ds_write2_b32 v59, v66, v67 offset0:27 offset1:28
	;; [unrolled: 2-line block ×13, first 2 shown]
	v_pk_mov_b32 v[66:67], v[14:15], v[8:9] op_sel:[1,0]
	v_mov_b32_e32 v65, 24
	ds_write2_b32 v59, v66, v67 offset0:51 offset1:52
	ds_write_b32 v59, v9 offset:212
.LBB106_418:
	s_or_b64 exec, exec, s[0:1]
	v_cmp_lt_i32_e32 vcc, 24, v65
	s_waitcnt lgkmcnt(0)
	s_barrier
	s_and_saveexec_b64 s[0:1], vcc
	s_cbranch_execz .LBB106_420
; %bb.419:
	ds_read_b32 v62, v59 offset:100
	ds_read2_b32 v[66:67], v59 offset0:26 offset1:27
	v_mul_f32_e32 v44, v64, v44
	s_waitcnt lgkmcnt(1)
	v_fma_f32 v45, -v44, v62, v45
	s_waitcnt lgkmcnt(0)
	v_pk_fma_f32 v[36:37], v[44:45], v[66:67], v[36:37] op_sel_hi:[0,1,1] neg_lo:[1,0,0] neg_hi:[1,0,0]
	ds_read2_b32 v[66:67], v59 offset0:28 offset1:29
	s_waitcnt lgkmcnt(0)
	v_pk_fma_f32 v[26:27], v[44:45], v[66:67], v[26:27] op_sel_hi:[0,1,1] neg_lo:[1,0,0] neg_hi:[1,0,0]
	ds_read2_b32 v[66:67], v59 offset0:30 offset1:31
	;; [unrolled: 3-line block ×13, first 2 shown]
	s_waitcnt lgkmcnt(0)
	v_pk_fma_f32 v[8:9], v[44:45], v[66:67], v[8:9] op_sel_hi:[0,1,1] neg_lo:[1,0,0] neg_hi:[1,0,0]
.LBB106_420:
	s_or_b64 exec, exec, s[0:1]
	v_lshl_add_u32 v62, v65, 2, v59
	s_barrier
	ds_write_b32 v62, v45
	s_waitcnt lgkmcnt(0)
	s_barrier
	ds_read_b32 v64, v59 offset:100
	s_cmp_lt_i32 s22, 27
	v_mov_b32_e32 v62, 25
	s_cbranch_scc1 .LBB106_423
; %bb.421:
	v_add_u32_e32 v66, 0x68, v59
	v_mov_b32_e32 v62, 25
	s_mov_b32 s0, 26
.LBB106_422:                            ; =>This Inner Loop Header: Depth=1
	ds_read_b32 v67, v66
	v_mov_b32_e32 v68, s0
	s_add_i32 s0, s0, 1
	v_add_u32_e32 v66, 4, v66
	s_cmp_lg_u32 s22, s0
	s_waitcnt lgkmcnt(0)
	v_cmp_lt_f32_e64 vcc, |v64|, |v67|
	s_nop 1
	v_cndmask_b32_e32 v64, v64, v67, vcc
	v_cndmask_b32_e32 v62, v62, v68, vcc
	s_cbranch_scc1 .LBB106_422
.LBB106_423:
	s_waitcnt lgkmcnt(0)
	v_cmp_eq_f32_e32 vcc, 0, v64
	s_and_saveexec_b64 s[0:1], vcc
	s_xor_b64 s[0:1], exec, s[0:1]
; %bb.424:
	v_cmp_ne_u32_e32 vcc, 0, v61
	s_nop 1
	v_cndmask_b32_e32 v61, 26, v61, vcc
; %bb.425:
	s_andn2_saveexec_b64 s[0:1], s[0:1]
	s_cbranch_execz .LBB106_427
; %bb.426:
	v_div_scale_f32 v66, s[2:3], v64, v64, 1.0
	v_rcp_f32_e32 v67, v66
	v_div_scale_f32 v68, vcc, 1.0, v64, 1.0
	v_fma_f32 v69, -v66, v67, 1.0
	v_fmac_f32_e32 v67, v69, v67
	v_mul_f32_e32 v69, v68, v67
	v_fma_f32 v70, -v66, v69, v68
	v_fmac_f32_e32 v69, v70, v67
	v_fma_f32 v66, -v66, v69, v68
	v_div_fmas_f32 v66, v66, v67, v69
	v_div_fixup_f32 v64, v66, v64, 1.0
.LBB106_427:
	s_or_b64 exec, exec, s[0:1]
	v_cmp_ne_u32_e32 vcc, v65, v62
	s_and_saveexec_b64 s[0:1], vcc
	s_xor_b64 s[0:1], exec, s[0:1]
	s_cbranch_execz .LBB106_433
; %bb.428:
	v_cmp_eq_u32_e32 vcc, 25, v65
	s_and_saveexec_b64 s[2:3], vcc
	s_cbranch_execz .LBB106_432
; %bb.429:
	v_cmp_ne_u32_e32 vcc, 25, v62
	s_xor_b64 s[12:13], s[20:21], -1
	s_and_b64 s[14:15], s[12:13], vcc
	s_and_saveexec_b64 s[12:13], s[14:15]
	s_cbranch_execz .LBB106_431
; %bb.430:
	v_ashrrev_i32_e32 v63, 31, v62
	v_lshl_add_u64 v[66:67], v[62:63], 2, v[4:5]
	global_load_dword v63, v[66:67], off
	global_load_dword v65, v[4:5], off offset:100
	s_waitcnt vmcnt(1)
	global_store_dword v[4:5], v63, off offset:100
	s_waitcnt vmcnt(1)
	global_store_dword v[66:67], v65, off
.LBB106_431:
	s_or_b64 exec, exec, s[12:13]
	v_mov_b32_e32 v63, v62
	v_mov_b32_e32 v65, v62
.LBB106_432:
	s_or_b64 exec, exec, s[2:3]
.LBB106_433:
	s_andn2_saveexec_b64 s[0:1], s[0:1]
	s_cbranch_execz .LBB106_435
; %bb.434:
	v_mov_b32_e32 v65, 25
	ds_write2_b32 v59, v36, v37 offset0:26 offset1:27
	ds_write2_b32 v59, v26, v27 offset0:28 offset1:29
	;; [unrolled: 1-line block ×14, first 2 shown]
.LBB106_435:
	s_or_b64 exec, exec, s[0:1]
	v_cmp_lt_i32_e32 vcc, 25, v65
	s_waitcnt lgkmcnt(0)
	s_barrier
	s_and_saveexec_b64 s[0:1], vcc
	s_cbranch_execz .LBB106_437
; %bb.436:
	ds_read2_b32 v[66:67], v59 offset0:26 offset1:27
	v_mul_f32_e32 v62, v64, v45
	v_mov_b32_e32 v45, v62
	s_waitcnt lgkmcnt(0)
	v_pk_fma_f32 v[36:37], v[62:63], v[66:67], v[36:37] op_sel_hi:[0,1,1] neg_lo:[1,0,0] neg_hi:[1,0,0]
	ds_read2_b32 v[66:67], v59 offset0:28 offset1:29
	s_waitcnt lgkmcnt(0)
	v_pk_fma_f32 v[26:27], v[62:63], v[66:67], v[26:27] op_sel_hi:[0,1,1] neg_lo:[1,0,0] neg_hi:[1,0,0]
	ds_read2_b32 v[66:67], v59 offset0:30 offset1:31
	;; [unrolled: 3-line block ×13, first 2 shown]
	s_waitcnt lgkmcnt(0)
	v_pk_fma_f32 v[8:9], v[62:63], v[66:67], v[8:9] op_sel_hi:[0,1,1] neg_lo:[1,0,0] neg_hi:[1,0,0]
.LBB106_437:
	s_or_b64 exec, exec, s[0:1]
	v_lshl_add_u32 v62, v65, 2, v59
	s_barrier
	ds_write_b32 v62, v36
	s_waitcnt lgkmcnt(0)
	s_barrier
	ds_read_b32 v64, v59 offset:104
	s_cmp_lt_i32 s22, 28
	v_mov_b32_e32 v62, 26
	s_cbranch_scc1 .LBB106_440
; %bb.438:
	v_add_u32_e32 v66, 0x6c, v59
	v_mov_b32_e32 v62, 26
	s_mov_b32 s0, 27
.LBB106_439:                            ; =>This Inner Loop Header: Depth=1
	ds_read_b32 v67, v66
	v_mov_b32_e32 v68, s0
	s_add_i32 s0, s0, 1
	v_add_u32_e32 v66, 4, v66
	s_cmp_lg_u32 s22, s0
	s_waitcnt lgkmcnt(0)
	v_cmp_lt_f32_e64 vcc, |v64|, |v67|
	s_nop 1
	v_cndmask_b32_e32 v64, v64, v67, vcc
	v_cndmask_b32_e32 v62, v62, v68, vcc
	s_cbranch_scc1 .LBB106_439
.LBB106_440:
	s_waitcnt lgkmcnt(0)
	v_cmp_eq_f32_e32 vcc, 0, v64
	s_and_saveexec_b64 s[0:1], vcc
	s_xor_b64 s[0:1], exec, s[0:1]
; %bb.441:
	v_cmp_ne_u32_e32 vcc, 0, v61
	s_nop 1
	v_cndmask_b32_e32 v61, 27, v61, vcc
; %bb.442:
	s_andn2_saveexec_b64 s[0:1], s[0:1]
	s_cbranch_execz .LBB106_444
; %bb.443:
	v_div_scale_f32 v66, s[2:3], v64, v64, 1.0
	v_rcp_f32_e32 v67, v66
	v_div_scale_f32 v68, vcc, 1.0, v64, 1.0
	v_fma_f32 v69, -v66, v67, 1.0
	v_fmac_f32_e32 v67, v69, v67
	v_mul_f32_e32 v69, v68, v67
	v_fma_f32 v70, -v66, v69, v68
	v_fmac_f32_e32 v69, v70, v67
	v_fma_f32 v66, -v66, v69, v68
	v_div_fmas_f32 v66, v66, v67, v69
	v_div_fixup_f32 v64, v66, v64, 1.0
.LBB106_444:
	s_or_b64 exec, exec, s[0:1]
	v_cmp_ne_u32_e32 vcc, v65, v62
	s_and_saveexec_b64 s[0:1], vcc
	s_xor_b64 s[0:1], exec, s[0:1]
	s_cbranch_execz .LBB106_450
; %bb.445:
	v_cmp_eq_u32_e32 vcc, 26, v65
	s_and_saveexec_b64 s[2:3], vcc
	s_cbranch_execz .LBB106_449
; %bb.446:
	v_cmp_ne_u32_e32 vcc, 26, v62
	s_xor_b64 s[12:13], s[20:21], -1
	s_and_b64 s[14:15], s[12:13], vcc
	s_and_saveexec_b64 s[12:13], s[14:15]
	s_cbranch_execz .LBB106_448
; %bb.447:
	v_ashrrev_i32_e32 v63, 31, v62
	v_lshl_add_u64 v[66:67], v[62:63], 2, v[4:5]
	global_load_dword v63, v[66:67], off
	global_load_dword v65, v[4:5], off offset:104
	s_waitcnt vmcnt(1)
	global_store_dword v[4:5], v63, off offset:104
	s_waitcnt vmcnt(1)
	global_store_dword v[66:67], v65, off
.LBB106_448:
	s_or_b64 exec, exec, s[12:13]
	v_mov_b32_e32 v63, v62
	v_mov_b32_e32 v65, v62
.LBB106_449:
	s_or_b64 exec, exec, s[2:3]
.LBB106_450:
	s_andn2_saveexec_b64 s[0:1], s[0:1]
	s_cbranch_execz .LBB106_452
; %bb.451:
	v_pk_mov_b32 v[66:67], v[36:37], v[26:27] op_sel:[1,0]
	ds_write2_b32 v59, v66, v67 offset0:27 offset1:28
	v_pk_mov_b32 v[66:67], v[26:27], v[18:19] op_sel:[1,0]
	ds_write2_b32 v59, v66, v67 offset0:29 offset1:30
	;; [unrolled: 2-line block ×12, first 2 shown]
	v_pk_mov_b32 v[66:67], v[14:15], v[8:9] op_sel:[1,0]
	v_mov_b32_e32 v65, 26
	ds_write2_b32 v59, v66, v67 offset0:51 offset1:52
	ds_write_b32 v59, v9 offset:212
.LBB106_452:
	s_or_b64 exec, exec, s[0:1]
	v_cmp_lt_i32_e32 vcc, 26, v65
	s_waitcnt lgkmcnt(0)
	s_barrier
	s_and_saveexec_b64 s[0:1], vcc
	s_cbranch_execz .LBB106_454
; %bb.453:
	ds_read_b32 v62, v59 offset:108
	ds_read2_b32 v[66:67], v59 offset0:28 offset1:29
	v_mul_f32_e32 v36, v64, v36
	s_waitcnt lgkmcnt(1)
	v_fma_f32 v37, -v36, v62, v37
	s_waitcnt lgkmcnt(0)
	v_pk_fma_f32 v[26:27], v[36:37], v[66:67], v[26:27] op_sel_hi:[0,1,1] neg_lo:[1,0,0] neg_hi:[1,0,0]
	ds_read2_b32 v[66:67], v59 offset0:30 offset1:31
	s_waitcnt lgkmcnt(0)
	v_pk_fma_f32 v[18:19], v[36:37], v[66:67], v[18:19] op_sel_hi:[0,1,1] neg_lo:[1,0,0] neg_hi:[1,0,0]
	ds_read2_b32 v[66:67], v59 offset0:32 offset1:33
	;; [unrolled: 3-line block ×12, first 2 shown]
	s_waitcnt lgkmcnt(0)
	v_pk_fma_f32 v[8:9], v[36:37], v[66:67], v[8:9] op_sel_hi:[0,1,1] neg_lo:[1,0,0] neg_hi:[1,0,0]
.LBB106_454:
	s_or_b64 exec, exec, s[0:1]
	v_lshl_add_u32 v62, v65, 2, v59
	s_barrier
	ds_write_b32 v62, v37
	s_waitcnt lgkmcnt(0)
	s_barrier
	ds_read_b32 v64, v59 offset:108
	s_cmp_lt_i32 s22, 29
	v_mov_b32_e32 v62, 27
	s_cbranch_scc1 .LBB106_457
; %bb.455:
	v_add_u32_e32 v66, 0x70, v59
	v_mov_b32_e32 v62, 27
	s_mov_b32 s0, 28
.LBB106_456:                            ; =>This Inner Loop Header: Depth=1
	ds_read_b32 v67, v66
	v_mov_b32_e32 v68, s0
	s_add_i32 s0, s0, 1
	v_add_u32_e32 v66, 4, v66
	s_cmp_lg_u32 s22, s0
	s_waitcnt lgkmcnt(0)
	v_cmp_lt_f32_e64 vcc, |v64|, |v67|
	s_nop 1
	v_cndmask_b32_e32 v64, v64, v67, vcc
	v_cndmask_b32_e32 v62, v62, v68, vcc
	s_cbranch_scc1 .LBB106_456
.LBB106_457:
	s_waitcnt lgkmcnt(0)
	v_cmp_eq_f32_e32 vcc, 0, v64
	s_and_saveexec_b64 s[0:1], vcc
	s_xor_b64 s[0:1], exec, s[0:1]
; %bb.458:
	v_cmp_ne_u32_e32 vcc, 0, v61
	s_nop 1
	v_cndmask_b32_e32 v61, 28, v61, vcc
; %bb.459:
	s_andn2_saveexec_b64 s[0:1], s[0:1]
	s_cbranch_execz .LBB106_461
; %bb.460:
	v_div_scale_f32 v66, s[2:3], v64, v64, 1.0
	v_rcp_f32_e32 v67, v66
	v_div_scale_f32 v68, vcc, 1.0, v64, 1.0
	v_fma_f32 v69, -v66, v67, 1.0
	v_fmac_f32_e32 v67, v69, v67
	v_mul_f32_e32 v69, v68, v67
	v_fma_f32 v70, -v66, v69, v68
	v_fmac_f32_e32 v69, v70, v67
	v_fma_f32 v66, -v66, v69, v68
	v_div_fmas_f32 v66, v66, v67, v69
	v_div_fixup_f32 v64, v66, v64, 1.0
.LBB106_461:
	s_or_b64 exec, exec, s[0:1]
	v_cmp_ne_u32_e32 vcc, v65, v62
	s_and_saveexec_b64 s[0:1], vcc
	s_xor_b64 s[0:1], exec, s[0:1]
	s_cbranch_execz .LBB106_467
; %bb.462:
	v_cmp_eq_u32_e32 vcc, 27, v65
	s_and_saveexec_b64 s[2:3], vcc
	s_cbranch_execz .LBB106_466
; %bb.463:
	v_cmp_ne_u32_e32 vcc, 27, v62
	s_xor_b64 s[12:13], s[20:21], -1
	s_and_b64 s[14:15], s[12:13], vcc
	s_and_saveexec_b64 s[12:13], s[14:15]
	s_cbranch_execz .LBB106_465
; %bb.464:
	v_ashrrev_i32_e32 v63, 31, v62
	v_lshl_add_u64 v[66:67], v[62:63], 2, v[4:5]
	global_load_dword v63, v[66:67], off
	global_load_dword v65, v[4:5], off offset:108
	s_waitcnt vmcnt(1)
	global_store_dword v[4:5], v63, off offset:108
	s_waitcnt vmcnt(1)
	global_store_dword v[66:67], v65, off
.LBB106_465:
	s_or_b64 exec, exec, s[12:13]
	v_mov_b32_e32 v63, v62
	v_mov_b32_e32 v65, v62
.LBB106_466:
	s_or_b64 exec, exec, s[2:3]
.LBB106_467:
	s_andn2_saveexec_b64 s[0:1], s[0:1]
	s_cbranch_execz .LBB106_469
; %bb.468:
	v_mov_b32_e32 v65, 27
	ds_write2_b32 v59, v26, v27 offset0:28 offset1:29
	ds_write2_b32 v59, v18, v19 offset0:30 offset1:31
	;; [unrolled: 1-line block ×13, first 2 shown]
.LBB106_469:
	s_or_b64 exec, exec, s[0:1]
	v_cmp_lt_i32_e32 vcc, 27, v65
	s_waitcnt lgkmcnt(0)
	s_barrier
	s_and_saveexec_b64 s[0:1], vcc
	s_cbranch_execz .LBB106_471
; %bb.470:
	ds_read2_b32 v[66:67], v59 offset0:28 offset1:29
	v_mul_f32_e32 v62, v64, v37
	v_mov_b32_e32 v37, v62
	s_waitcnt lgkmcnt(0)
	v_pk_fma_f32 v[26:27], v[62:63], v[66:67], v[26:27] op_sel_hi:[0,1,1] neg_lo:[1,0,0] neg_hi:[1,0,0]
	ds_read2_b32 v[66:67], v59 offset0:30 offset1:31
	s_waitcnt lgkmcnt(0)
	v_pk_fma_f32 v[18:19], v[62:63], v[66:67], v[18:19] op_sel_hi:[0,1,1] neg_lo:[1,0,0] neg_hi:[1,0,0]
	ds_read2_b32 v[66:67], v59 offset0:32 offset1:33
	;; [unrolled: 3-line block ×12, first 2 shown]
	s_waitcnt lgkmcnt(0)
	v_pk_fma_f32 v[8:9], v[62:63], v[66:67], v[8:9] op_sel_hi:[0,1,1] neg_lo:[1,0,0] neg_hi:[1,0,0]
.LBB106_471:
	s_or_b64 exec, exec, s[0:1]
	v_lshl_add_u32 v62, v65, 2, v59
	s_barrier
	ds_write_b32 v62, v26
	s_waitcnt lgkmcnt(0)
	s_barrier
	ds_read_b32 v64, v59 offset:112
	s_cmp_lt_i32 s22, 30
	v_mov_b32_e32 v62, 28
	s_cbranch_scc1 .LBB106_474
; %bb.472:
	v_add_u32_e32 v66, 0x74, v59
	v_mov_b32_e32 v62, 28
	s_mov_b32 s0, 29
.LBB106_473:                            ; =>This Inner Loop Header: Depth=1
	ds_read_b32 v67, v66
	v_mov_b32_e32 v68, s0
	s_add_i32 s0, s0, 1
	v_add_u32_e32 v66, 4, v66
	s_cmp_lg_u32 s22, s0
	s_waitcnt lgkmcnt(0)
	v_cmp_lt_f32_e64 vcc, |v64|, |v67|
	s_nop 1
	v_cndmask_b32_e32 v64, v64, v67, vcc
	v_cndmask_b32_e32 v62, v62, v68, vcc
	s_cbranch_scc1 .LBB106_473
.LBB106_474:
	s_waitcnt lgkmcnt(0)
	v_cmp_eq_f32_e32 vcc, 0, v64
	s_and_saveexec_b64 s[0:1], vcc
	s_xor_b64 s[0:1], exec, s[0:1]
; %bb.475:
	v_cmp_ne_u32_e32 vcc, 0, v61
	s_nop 1
	v_cndmask_b32_e32 v61, 29, v61, vcc
; %bb.476:
	s_andn2_saveexec_b64 s[0:1], s[0:1]
	s_cbranch_execz .LBB106_478
; %bb.477:
	v_div_scale_f32 v66, s[2:3], v64, v64, 1.0
	v_rcp_f32_e32 v67, v66
	v_div_scale_f32 v68, vcc, 1.0, v64, 1.0
	v_fma_f32 v69, -v66, v67, 1.0
	v_fmac_f32_e32 v67, v69, v67
	v_mul_f32_e32 v69, v68, v67
	v_fma_f32 v70, -v66, v69, v68
	v_fmac_f32_e32 v69, v70, v67
	v_fma_f32 v66, -v66, v69, v68
	v_div_fmas_f32 v66, v66, v67, v69
	v_div_fixup_f32 v64, v66, v64, 1.0
.LBB106_478:
	s_or_b64 exec, exec, s[0:1]
	v_cmp_ne_u32_e32 vcc, v65, v62
	s_and_saveexec_b64 s[0:1], vcc
	s_xor_b64 s[0:1], exec, s[0:1]
	s_cbranch_execz .LBB106_484
; %bb.479:
	v_cmp_eq_u32_e32 vcc, 28, v65
	s_and_saveexec_b64 s[2:3], vcc
	s_cbranch_execz .LBB106_483
; %bb.480:
	v_cmp_ne_u32_e32 vcc, 28, v62
	s_xor_b64 s[12:13], s[20:21], -1
	s_and_b64 s[14:15], s[12:13], vcc
	s_and_saveexec_b64 s[12:13], s[14:15]
	s_cbranch_execz .LBB106_482
; %bb.481:
	v_ashrrev_i32_e32 v63, 31, v62
	v_lshl_add_u64 v[66:67], v[62:63], 2, v[4:5]
	global_load_dword v63, v[66:67], off
	global_load_dword v65, v[4:5], off offset:112
	s_waitcnt vmcnt(1)
	global_store_dword v[4:5], v63, off offset:112
	s_waitcnt vmcnt(1)
	global_store_dword v[66:67], v65, off
.LBB106_482:
	s_or_b64 exec, exec, s[12:13]
	v_mov_b32_e32 v63, v62
	v_mov_b32_e32 v65, v62
.LBB106_483:
	s_or_b64 exec, exec, s[2:3]
.LBB106_484:
	s_andn2_saveexec_b64 s[0:1], s[0:1]
	s_cbranch_execz .LBB106_486
; %bb.485:
	v_pk_mov_b32 v[66:67], v[26:27], v[18:19] op_sel:[1,0]
	ds_write2_b32 v59, v66, v67 offset0:29 offset1:30
	v_pk_mov_b32 v[66:67], v[18:19], v[38:39] op_sel:[1,0]
	ds_write2_b32 v59, v66, v67 offset0:31 offset1:32
	;; [unrolled: 2-line block ×11, first 2 shown]
	v_pk_mov_b32 v[66:67], v[14:15], v[8:9] op_sel:[1,0]
	v_mov_b32_e32 v65, 28
	ds_write2_b32 v59, v66, v67 offset0:51 offset1:52
	ds_write_b32 v59, v9 offset:212
.LBB106_486:
	s_or_b64 exec, exec, s[0:1]
	v_cmp_lt_i32_e32 vcc, 28, v65
	s_waitcnt lgkmcnt(0)
	s_barrier
	s_and_saveexec_b64 s[0:1], vcc
	s_cbranch_execz .LBB106_488
; %bb.487:
	ds_read_b32 v62, v59 offset:116
	ds_read2_b32 v[66:67], v59 offset0:30 offset1:31
	v_mul_f32_e32 v26, v64, v26
	s_waitcnt lgkmcnt(1)
	v_fma_f32 v27, -v26, v62, v27
	s_waitcnt lgkmcnt(0)
	v_pk_fma_f32 v[18:19], v[26:27], v[66:67], v[18:19] op_sel_hi:[0,1,1] neg_lo:[1,0,0] neg_hi:[1,0,0]
	ds_read2_b32 v[66:67], v59 offset0:32 offset1:33
	s_waitcnt lgkmcnt(0)
	v_pk_fma_f32 v[38:39], v[26:27], v[66:67], v[38:39] op_sel_hi:[0,1,1] neg_lo:[1,0,0] neg_hi:[1,0,0]
	ds_read2_b32 v[66:67], v59 offset0:34 offset1:35
	;; [unrolled: 3-line block ×11, first 2 shown]
	s_waitcnt lgkmcnt(0)
	v_pk_fma_f32 v[8:9], v[26:27], v[66:67], v[8:9] op_sel_hi:[0,1,1] neg_lo:[1,0,0] neg_hi:[1,0,0]
.LBB106_488:
	s_or_b64 exec, exec, s[0:1]
	v_lshl_add_u32 v62, v65, 2, v59
	s_barrier
	ds_write_b32 v62, v27
	s_waitcnt lgkmcnt(0)
	s_barrier
	ds_read_b32 v64, v59 offset:116
	s_cmp_lt_i32 s22, 31
	v_mov_b32_e32 v62, 29
	s_cbranch_scc1 .LBB106_491
; %bb.489:
	v_add_u32_e32 v66, 0x78, v59
	v_mov_b32_e32 v62, 29
	s_mov_b32 s0, 30
.LBB106_490:                            ; =>This Inner Loop Header: Depth=1
	ds_read_b32 v67, v66
	v_mov_b32_e32 v68, s0
	s_add_i32 s0, s0, 1
	v_add_u32_e32 v66, 4, v66
	s_cmp_lg_u32 s22, s0
	s_waitcnt lgkmcnt(0)
	v_cmp_lt_f32_e64 vcc, |v64|, |v67|
	s_nop 1
	v_cndmask_b32_e32 v64, v64, v67, vcc
	v_cndmask_b32_e32 v62, v62, v68, vcc
	s_cbranch_scc1 .LBB106_490
.LBB106_491:
	s_waitcnt lgkmcnt(0)
	v_cmp_eq_f32_e32 vcc, 0, v64
	s_and_saveexec_b64 s[0:1], vcc
	s_xor_b64 s[0:1], exec, s[0:1]
; %bb.492:
	v_cmp_ne_u32_e32 vcc, 0, v61
	s_nop 1
	v_cndmask_b32_e32 v61, 30, v61, vcc
; %bb.493:
	s_andn2_saveexec_b64 s[0:1], s[0:1]
	s_cbranch_execz .LBB106_495
; %bb.494:
	v_div_scale_f32 v66, s[2:3], v64, v64, 1.0
	v_rcp_f32_e32 v67, v66
	v_div_scale_f32 v68, vcc, 1.0, v64, 1.0
	v_fma_f32 v69, -v66, v67, 1.0
	v_fmac_f32_e32 v67, v69, v67
	v_mul_f32_e32 v69, v68, v67
	v_fma_f32 v70, -v66, v69, v68
	v_fmac_f32_e32 v69, v70, v67
	v_fma_f32 v66, -v66, v69, v68
	v_div_fmas_f32 v66, v66, v67, v69
	v_div_fixup_f32 v64, v66, v64, 1.0
.LBB106_495:
	s_or_b64 exec, exec, s[0:1]
	v_cmp_ne_u32_e32 vcc, v65, v62
	s_and_saveexec_b64 s[0:1], vcc
	s_xor_b64 s[0:1], exec, s[0:1]
	s_cbranch_execz .LBB106_501
; %bb.496:
	v_cmp_eq_u32_e32 vcc, 29, v65
	s_and_saveexec_b64 s[2:3], vcc
	s_cbranch_execz .LBB106_500
; %bb.497:
	v_cmp_ne_u32_e32 vcc, 29, v62
	s_xor_b64 s[12:13], s[20:21], -1
	s_and_b64 s[14:15], s[12:13], vcc
	s_and_saveexec_b64 s[12:13], s[14:15]
	s_cbranch_execz .LBB106_499
; %bb.498:
	v_ashrrev_i32_e32 v63, 31, v62
	v_lshl_add_u64 v[66:67], v[62:63], 2, v[4:5]
	global_load_dword v63, v[66:67], off
	global_load_dword v65, v[4:5], off offset:116
	s_waitcnt vmcnt(1)
	global_store_dword v[4:5], v63, off offset:116
	s_waitcnt vmcnt(1)
	global_store_dword v[66:67], v65, off
.LBB106_499:
	s_or_b64 exec, exec, s[12:13]
	v_mov_b32_e32 v63, v62
	v_mov_b32_e32 v65, v62
.LBB106_500:
	s_or_b64 exec, exec, s[2:3]
.LBB106_501:
	s_andn2_saveexec_b64 s[0:1], s[0:1]
	s_cbranch_execz .LBB106_503
; %bb.502:
	v_mov_b32_e32 v65, 29
	ds_write2_b32 v59, v18, v19 offset0:30 offset1:31
	ds_write2_b32 v59, v38, v39 offset0:32 offset1:33
	;; [unrolled: 1-line block ×12, first 2 shown]
.LBB106_503:
	s_or_b64 exec, exec, s[0:1]
	v_cmp_lt_i32_e32 vcc, 29, v65
	s_waitcnt lgkmcnt(0)
	s_barrier
	s_and_saveexec_b64 s[0:1], vcc
	s_cbranch_execz .LBB106_505
; %bb.504:
	ds_read2_b32 v[66:67], v59 offset0:30 offset1:31
	v_mul_f32_e32 v62, v64, v27
	v_mov_b32_e32 v27, v62
	s_waitcnt lgkmcnt(0)
	v_pk_fma_f32 v[18:19], v[62:63], v[66:67], v[18:19] op_sel_hi:[0,1,1] neg_lo:[1,0,0] neg_hi:[1,0,0]
	ds_read2_b32 v[66:67], v59 offset0:32 offset1:33
	s_waitcnt lgkmcnt(0)
	v_pk_fma_f32 v[38:39], v[62:63], v[66:67], v[38:39] op_sel_hi:[0,1,1] neg_lo:[1,0,0] neg_hi:[1,0,0]
	ds_read2_b32 v[66:67], v59 offset0:34 offset1:35
	;; [unrolled: 3-line block ×11, first 2 shown]
	s_waitcnt lgkmcnt(0)
	v_pk_fma_f32 v[8:9], v[62:63], v[66:67], v[8:9] op_sel_hi:[0,1,1] neg_lo:[1,0,0] neg_hi:[1,0,0]
.LBB106_505:
	s_or_b64 exec, exec, s[0:1]
	v_lshl_add_u32 v62, v65, 2, v59
	s_barrier
	ds_write_b32 v62, v18
	s_waitcnt lgkmcnt(0)
	s_barrier
	ds_read_b32 v64, v59 offset:120
	s_cmp_lt_i32 s22, 32
	v_mov_b32_e32 v62, 30
	s_cbranch_scc1 .LBB106_508
; %bb.506:
	v_add_u32_e32 v66, 0x7c, v59
	v_mov_b32_e32 v62, 30
	s_mov_b32 s0, 31
.LBB106_507:                            ; =>This Inner Loop Header: Depth=1
	ds_read_b32 v67, v66
	v_mov_b32_e32 v68, s0
	s_add_i32 s0, s0, 1
	v_add_u32_e32 v66, 4, v66
	s_cmp_lg_u32 s22, s0
	s_waitcnt lgkmcnt(0)
	v_cmp_lt_f32_e64 vcc, |v64|, |v67|
	s_nop 1
	v_cndmask_b32_e32 v64, v64, v67, vcc
	v_cndmask_b32_e32 v62, v62, v68, vcc
	s_cbranch_scc1 .LBB106_507
.LBB106_508:
	s_waitcnt lgkmcnt(0)
	v_cmp_eq_f32_e32 vcc, 0, v64
	s_and_saveexec_b64 s[0:1], vcc
	s_xor_b64 s[0:1], exec, s[0:1]
; %bb.509:
	v_cmp_ne_u32_e32 vcc, 0, v61
	s_nop 1
	v_cndmask_b32_e32 v61, 31, v61, vcc
; %bb.510:
	s_andn2_saveexec_b64 s[0:1], s[0:1]
	s_cbranch_execz .LBB106_512
; %bb.511:
	v_div_scale_f32 v66, s[2:3], v64, v64, 1.0
	v_rcp_f32_e32 v67, v66
	v_div_scale_f32 v68, vcc, 1.0, v64, 1.0
	v_fma_f32 v69, -v66, v67, 1.0
	v_fmac_f32_e32 v67, v69, v67
	v_mul_f32_e32 v69, v68, v67
	v_fma_f32 v70, -v66, v69, v68
	v_fmac_f32_e32 v69, v70, v67
	v_fma_f32 v66, -v66, v69, v68
	v_div_fmas_f32 v66, v66, v67, v69
	v_div_fixup_f32 v64, v66, v64, 1.0
.LBB106_512:
	s_or_b64 exec, exec, s[0:1]
	v_cmp_ne_u32_e32 vcc, v65, v62
	s_and_saveexec_b64 s[0:1], vcc
	s_xor_b64 s[0:1], exec, s[0:1]
	s_cbranch_execz .LBB106_518
; %bb.513:
	v_cmp_eq_u32_e32 vcc, 30, v65
	s_and_saveexec_b64 s[2:3], vcc
	s_cbranch_execz .LBB106_517
; %bb.514:
	v_cmp_ne_u32_e32 vcc, 30, v62
	s_xor_b64 s[12:13], s[20:21], -1
	s_and_b64 s[14:15], s[12:13], vcc
	s_and_saveexec_b64 s[12:13], s[14:15]
	s_cbranch_execz .LBB106_516
; %bb.515:
	v_ashrrev_i32_e32 v63, 31, v62
	v_lshl_add_u64 v[66:67], v[62:63], 2, v[4:5]
	global_load_dword v63, v[66:67], off
	global_load_dword v65, v[4:5], off offset:120
	s_waitcnt vmcnt(1)
	global_store_dword v[4:5], v63, off offset:120
	s_waitcnt vmcnt(1)
	global_store_dword v[66:67], v65, off
.LBB106_516:
	s_or_b64 exec, exec, s[12:13]
	v_mov_b32_e32 v63, v62
	v_mov_b32_e32 v65, v62
.LBB106_517:
	s_or_b64 exec, exec, s[2:3]
.LBB106_518:
	s_andn2_saveexec_b64 s[0:1], s[0:1]
	s_cbranch_execz .LBB106_520
; %bb.519:
	v_pk_mov_b32 v[66:67], v[18:19], v[38:39] op_sel:[1,0]
	ds_write2_b32 v59, v66, v67 offset0:31 offset1:32
	v_pk_mov_b32 v[66:67], v[38:39], v[28:29] op_sel:[1,0]
	ds_write2_b32 v59, v66, v67 offset0:33 offset1:34
	;; [unrolled: 2-line block ×10, first 2 shown]
	v_pk_mov_b32 v[66:67], v[14:15], v[8:9] op_sel:[1,0]
	v_mov_b32_e32 v65, 30
	ds_write2_b32 v59, v66, v67 offset0:51 offset1:52
	ds_write_b32 v59, v9 offset:212
.LBB106_520:
	s_or_b64 exec, exec, s[0:1]
	v_cmp_lt_i32_e32 vcc, 30, v65
	s_waitcnt lgkmcnt(0)
	s_barrier
	s_and_saveexec_b64 s[0:1], vcc
	s_cbranch_execz .LBB106_522
; %bb.521:
	ds_read_b32 v62, v59 offset:124
	ds_read2_b32 v[66:67], v59 offset0:32 offset1:33
	v_mul_f32_e32 v18, v64, v18
	s_waitcnt lgkmcnt(1)
	v_fma_f32 v19, -v18, v62, v19
	s_waitcnt lgkmcnt(0)
	v_pk_fma_f32 v[38:39], v[18:19], v[66:67], v[38:39] op_sel_hi:[0,1,1] neg_lo:[1,0,0] neg_hi:[1,0,0]
	ds_read2_b32 v[66:67], v59 offset0:34 offset1:35
	s_waitcnt lgkmcnt(0)
	v_pk_fma_f32 v[28:29], v[18:19], v[66:67], v[28:29] op_sel_hi:[0,1,1] neg_lo:[1,0,0] neg_hi:[1,0,0]
	ds_read2_b32 v[66:67], v59 offset0:36 offset1:37
	;; [unrolled: 3-line block ×10, first 2 shown]
	s_waitcnt lgkmcnt(0)
	v_pk_fma_f32 v[8:9], v[18:19], v[66:67], v[8:9] op_sel_hi:[0,1,1] neg_lo:[1,0,0] neg_hi:[1,0,0]
.LBB106_522:
	s_or_b64 exec, exec, s[0:1]
	v_lshl_add_u32 v62, v65, 2, v59
	s_barrier
	ds_write_b32 v62, v19
	s_waitcnt lgkmcnt(0)
	s_barrier
	ds_read_b32 v64, v59 offset:124
	s_cmp_lt_i32 s22, 33
	v_mov_b32_e32 v62, 31
	s_cbranch_scc1 .LBB106_525
; %bb.523:
	v_add_u32_e32 v66, 0x80, v59
	v_mov_b32_e32 v62, 31
	s_mov_b32 s0, 32
.LBB106_524:                            ; =>This Inner Loop Header: Depth=1
	ds_read_b32 v67, v66
	v_mov_b32_e32 v68, s0
	s_add_i32 s0, s0, 1
	v_add_u32_e32 v66, 4, v66
	s_cmp_lg_u32 s22, s0
	s_waitcnt lgkmcnt(0)
	v_cmp_lt_f32_e64 vcc, |v64|, |v67|
	s_nop 1
	v_cndmask_b32_e32 v64, v64, v67, vcc
	v_cndmask_b32_e32 v62, v62, v68, vcc
	s_cbranch_scc1 .LBB106_524
.LBB106_525:
	s_waitcnt lgkmcnt(0)
	v_cmp_eq_f32_e32 vcc, 0, v64
	s_and_saveexec_b64 s[0:1], vcc
	s_xor_b64 s[0:1], exec, s[0:1]
; %bb.526:
	v_cmp_ne_u32_e32 vcc, 0, v61
	s_nop 1
	v_cndmask_b32_e32 v61, 32, v61, vcc
; %bb.527:
	s_andn2_saveexec_b64 s[0:1], s[0:1]
	s_cbranch_execz .LBB106_529
; %bb.528:
	v_div_scale_f32 v66, s[2:3], v64, v64, 1.0
	v_rcp_f32_e32 v67, v66
	v_div_scale_f32 v68, vcc, 1.0, v64, 1.0
	v_fma_f32 v69, -v66, v67, 1.0
	v_fmac_f32_e32 v67, v69, v67
	v_mul_f32_e32 v69, v68, v67
	v_fma_f32 v70, -v66, v69, v68
	v_fmac_f32_e32 v69, v70, v67
	v_fma_f32 v66, -v66, v69, v68
	v_div_fmas_f32 v66, v66, v67, v69
	v_div_fixup_f32 v64, v66, v64, 1.0
.LBB106_529:
	s_or_b64 exec, exec, s[0:1]
	v_cmp_ne_u32_e32 vcc, v65, v62
	s_and_saveexec_b64 s[0:1], vcc
	s_xor_b64 s[0:1], exec, s[0:1]
	s_cbranch_execz .LBB106_535
; %bb.530:
	v_cmp_eq_u32_e32 vcc, 31, v65
	s_and_saveexec_b64 s[2:3], vcc
	s_cbranch_execz .LBB106_534
; %bb.531:
	v_cmp_ne_u32_e32 vcc, 31, v62
	s_xor_b64 s[12:13], s[20:21], -1
	s_and_b64 s[14:15], s[12:13], vcc
	s_and_saveexec_b64 s[12:13], s[14:15]
	s_cbranch_execz .LBB106_533
; %bb.532:
	v_ashrrev_i32_e32 v63, 31, v62
	v_lshl_add_u64 v[66:67], v[62:63], 2, v[4:5]
	global_load_dword v63, v[66:67], off
	global_load_dword v65, v[4:5], off offset:124
	s_waitcnt vmcnt(1)
	global_store_dword v[4:5], v63, off offset:124
	s_waitcnt vmcnt(1)
	global_store_dword v[66:67], v65, off
.LBB106_533:
	s_or_b64 exec, exec, s[12:13]
	v_mov_b32_e32 v63, v62
	v_mov_b32_e32 v65, v62
.LBB106_534:
	s_or_b64 exec, exec, s[2:3]
.LBB106_535:
	s_andn2_saveexec_b64 s[0:1], s[0:1]
	s_cbranch_execz .LBB106_537
; %bb.536:
	v_mov_b32_e32 v65, 31
	ds_write2_b32 v59, v38, v39 offset0:32 offset1:33
	ds_write2_b32 v59, v28, v29 offset0:34 offset1:35
	;; [unrolled: 1-line block ×11, first 2 shown]
.LBB106_537:
	s_or_b64 exec, exec, s[0:1]
	v_cmp_lt_i32_e32 vcc, 31, v65
	s_waitcnt lgkmcnt(0)
	s_barrier
	s_and_saveexec_b64 s[0:1], vcc
	s_cbranch_execz .LBB106_539
; %bb.538:
	ds_read2_b32 v[66:67], v59 offset0:32 offset1:33
	v_mul_f32_e32 v62, v64, v19
	v_mov_b32_e32 v19, v62
	s_waitcnt lgkmcnt(0)
	v_pk_fma_f32 v[38:39], v[62:63], v[66:67], v[38:39] op_sel_hi:[0,1,1] neg_lo:[1,0,0] neg_hi:[1,0,0]
	ds_read2_b32 v[66:67], v59 offset0:34 offset1:35
	s_waitcnt lgkmcnt(0)
	v_pk_fma_f32 v[28:29], v[62:63], v[66:67], v[28:29] op_sel_hi:[0,1,1] neg_lo:[1,0,0] neg_hi:[1,0,0]
	ds_read2_b32 v[66:67], v59 offset0:36 offset1:37
	;; [unrolled: 3-line block ×10, first 2 shown]
	s_waitcnt lgkmcnt(0)
	v_pk_fma_f32 v[8:9], v[62:63], v[66:67], v[8:9] op_sel_hi:[0,1,1] neg_lo:[1,0,0] neg_hi:[1,0,0]
.LBB106_539:
	s_or_b64 exec, exec, s[0:1]
	v_lshl_add_u32 v62, v65, 2, v59
	s_barrier
	ds_write_b32 v62, v38
	s_waitcnt lgkmcnt(0)
	s_barrier
	ds_read_b32 v64, v59 offset:128
	s_cmp_lt_i32 s22, 34
	v_mov_b32_e32 v62, 32
	s_cbranch_scc1 .LBB106_542
; %bb.540:
	v_add_u32_e32 v66, 0x84, v59
	v_mov_b32_e32 v62, 32
	s_mov_b32 s0, 33
.LBB106_541:                            ; =>This Inner Loop Header: Depth=1
	ds_read_b32 v67, v66
	v_mov_b32_e32 v68, s0
	s_add_i32 s0, s0, 1
	v_add_u32_e32 v66, 4, v66
	s_cmp_lg_u32 s22, s0
	s_waitcnt lgkmcnt(0)
	v_cmp_lt_f32_e64 vcc, |v64|, |v67|
	s_nop 1
	v_cndmask_b32_e32 v64, v64, v67, vcc
	v_cndmask_b32_e32 v62, v62, v68, vcc
	s_cbranch_scc1 .LBB106_541
.LBB106_542:
	s_waitcnt lgkmcnt(0)
	v_cmp_eq_f32_e32 vcc, 0, v64
	s_and_saveexec_b64 s[0:1], vcc
	s_xor_b64 s[0:1], exec, s[0:1]
; %bb.543:
	v_cmp_ne_u32_e32 vcc, 0, v61
	s_nop 1
	v_cndmask_b32_e32 v61, 33, v61, vcc
; %bb.544:
	s_andn2_saveexec_b64 s[0:1], s[0:1]
	s_cbranch_execz .LBB106_546
; %bb.545:
	v_div_scale_f32 v66, s[2:3], v64, v64, 1.0
	v_rcp_f32_e32 v67, v66
	v_div_scale_f32 v68, vcc, 1.0, v64, 1.0
	v_fma_f32 v69, -v66, v67, 1.0
	v_fmac_f32_e32 v67, v69, v67
	v_mul_f32_e32 v69, v68, v67
	v_fma_f32 v70, -v66, v69, v68
	v_fmac_f32_e32 v69, v70, v67
	v_fma_f32 v66, -v66, v69, v68
	v_div_fmas_f32 v66, v66, v67, v69
	v_div_fixup_f32 v64, v66, v64, 1.0
.LBB106_546:
	s_or_b64 exec, exec, s[0:1]
	v_cmp_ne_u32_e32 vcc, v65, v62
	s_and_saveexec_b64 s[0:1], vcc
	s_xor_b64 s[0:1], exec, s[0:1]
	s_cbranch_execz .LBB106_552
; %bb.547:
	v_cmp_eq_u32_e32 vcc, 32, v65
	s_and_saveexec_b64 s[2:3], vcc
	s_cbranch_execz .LBB106_551
; %bb.548:
	v_cmp_ne_u32_e32 vcc, 32, v62
	s_xor_b64 s[12:13], s[20:21], -1
	s_and_b64 s[14:15], s[12:13], vcc
	s_and_saveexec_b64 s[12:13], s[14:15]
	s_cbranch_execz .LBB106_550
; %bb.549:
	v_ashrrev_i32_e32 v63, 31, v62
	v_lshl_add_u64 v[66:67], v[62:63], 2, v[4:5]
	global_load_dword v63, v[66:67], off
	global_load_dword v65, v[4:5], off offset:128
	s_waitcnt vmcnt(1)
	global_store_dword v[4:5], v63, off offset:128
	s_waitcnt vmcnt(1)
	global_store_dword v[66:67], v65, off
.LBB106_550:
	s_or_b64 exec, exec, s[12:13]
	v_mov_b32_e32 v63, v62
	v_mov_b32_e32 v65, v62
.LBB106_551:
	s_or_b64 exec, exec, s[2:3]
.LBB106_552:
	s_andn2_saveexec_b64 s[0:1], s[0:1]
	s_cbranch_execz .LBB106_554
; %bb.553:
	v_pk_mov_b32 v[66:67], v[38:39], v[28:29] op_sel:[1,0]
	ds_write2_b32 v59, v66, v67 offset0:33 offset1:34
	v_pk_mov_b32 v[66:67], v[28:29], v[20:21] op_sel:[1,0]
	ds_write2_b32 v59, v66, v67 offset0:35 offset1:36
	;; [unrolled: 2-line block ×9, first 2 shown]
	v_pk_mov_b32 v[66:67], v[14:15], v[8:9] op_sel:[1,0]
	v_mov_b32_e32 v65, 32
	ds_write2_b32 v59, v66, v67 offset0:51 offset1:52
	ds_write_b32 v59, v9 offset:212
.LBB106_554:
	s_or_b64 exec, exec, s[0:1]
	v_cmp_lt_i32_e32 vcc, 32, v65
	s_waitcnt lgkmcnt(0)
	s_barrier
	s_and_saveexec_b64 s[0:1], vcc
	s_cbranch_execz .LBB106_556
; %bb.555:
	ds_read_b32 v62, v59 offset:132
	ds_read2_b32 v[66:67], v59 offset0:34 offset1:35
	v_mul_f32_e32 v38, v64, v38
	s_waitcnt lgkmcnt(1)
	v_fma_f32 v39, -v38, v62, v39
	s_waitcnt lgkmcnt(0)
	v_pk_fma_f32 v[28:29], v[38:39], v[66:67], v[28:29] op_sel_hi:[0,1,1] neg_lo:[1,0,0] neg_hi:[1,0,0]
	ds_read2_b32 v[66:67], v59 offset0:36 offset1:37
	s_waitcnt lgkmcnt(0)
	v_pk_fma_f32 v[20:21], v[38:39], v[66:67], v[20:21] op_sel_hi:[0,1,1] neg_lo:[1,0,0] neg_hi:[1,0,0]
	ds_read2_b32 v[66:67], v59 offset0:38 offset1:39
	;; [unrolled: 3-line block ×9, first 2 shown]
	s_waitcnt lgkmcnt(0)
	v_pk_fma_f32 v[8:9], v[38:39], v[66:67], v[8:9] op_sel_hi:[0,1,1] neg_lo:[1,0,0] neg_hi:[1,0,0]
.LBB106_556:
	s_or_b64 exec, exec, s[0:1]
	v_lshl_add_u32 v62, v65, 2, v59
	s_barrier
	ds_write_b32 v62, v39
	s_waitcnt lgkmcnt(0)
	s_barrier
	ds_read_b32 v64, v59 offset:132
	s_cmp_lt_i32 s22, 35
	v_mov_b32_e32 v62, 33
	s_cbranch_scc1 .LBB106_559
; %bb.557:
	v_add_u32_e32 v66, 0x88, v59
	v_mov_b32_e32 v62, 33
	s_mov_b32 s0, 34
.LBB106_558:                            ; =>This Inner Loop Header: Depth=1
	ds_read_b32 v67, v66
	v_mov_b32_e32 v68, s0
	s_add_i32 s0, s0, 1
	v_add_u32_e32 v66, 4, v66
	s_cmp_lg_u32 s22, s0
	s_waitcnt lgkmcnt(0)
	v_cmp_lt_f32_e64 vcc, |v64|, |v67|
	s_nop 1
	v_cndmask_b32_e32 v64, v64, v67, vcc
	v_cndmask_b32_e32 v62, v62, v68, vcc
	s_cbranch_scc1 .LBB106_558
.LBB106_559:
	s_waitcnt lgkmcnt(0)
	v_cmp_eq_f32_e32 vcc, 0, v64
	s_and_saveexec_b64 s[0:1], vcc
	s_xor_b64 s[0:1], exec, s[0:1]
; %bb.560:
	v_cmp_ne_u32_e32 vcc, 0, v61
	s_nop 1
	v_cndmask_b32_e32 v61, 34, v61, vcc
; %bb.561:
	s_andn2_saveexec_b64 s[0:1], s[0:1]
	s_cbranch_execz .LBB106_563
; %bb.562:
	v_div_scale_f32 v66, s[2:3], v64, v64, 1.0
	v_rcp_f32_e32 v67, v66
	v_div_scale_f32 v68, vcc, 1.0, v64, 1.0
	v_fma_f32 v69, -v66, v67, 1.0
	v_fmac_f32_e32 v67, v69, v67
	v_mul_f32_e32 v69, v68, v67
	v_fma_f32 v70, -v66, v69, v68
	v_fmac_f32_e32 v69, v70, v67
	v_fma_f32 v66, -v66, v69, v68
	v_div_fmas_f32 v66, v66, v67, v69
	v_div_fixup_f32 v64, v66, v64, 1.0
.LBB106_563:
	s_or_b64 exec, exec, s[0:1]
	v_cmp_ne_u32_e32 vcc, v65, v62
	s_and_saveexec_b64 s[0:1], vcc
	s_xor_b64 s[0:1], exec, s[0:1]
	s_cbranch_execz .LBB106_569
; %bb.564:
	v_cmp_eq_u32_e32 vcc, 33, v65
	s_and_saveexec_b64 s[2:3], vcc
	s_cbranch_execz .LBB106_568
; %bb.565:
	v_cmp_ne_u32_e32 vcc, 33, v62
	s_xor_b64 s[12:13], s[20:21], -1
	s_and_b64 s[14:15], s[12:13], vcc
	s_and_saveexec_b64 s[12:13], s[14:15]
	s_cbranch_execz .LBB106_567
; %bb.566:
	v_ashrrev_i32_e32 v63, 31, v62
	v_lshl_add_u64 v[66:67], v[62:63], 2, v[4:5]
	global_load_dword v63, v[66:67], off
	global_load_dword v65, v[4:5], off offset:132
	s_waitcnt vmcnt(1)
	global_store_dword v[4:5], v63, off offset:132
	s_waitcnt vmcnt(1)
	global_store_dword v[66:67], v65, off
.LBB106_567:
	s_or_b64 exec, exec, s[12:13]
	v_mov_b32_e32 v63, v62
	v_mov_b32_e32 v65, v62
.LBB106_568:
	s_or_b64 exec, exec, s[2:3]
.LBB106_569:
	s_andn2_saveexec_b64 s[0:1], s[0:1]
	s_cbranch_execz .LBB106_571
; %bb.570:
	v_mov_b32_e32 v65, 33
	ds_write2_b32 v59, v28, v29 offset0:34 offset1:35
	ds_write2_b32 v59, v20, v21 offset0:36 offset1:37
	;; [unrolled: 1-line block ×10, first 2 shown]
.LBB106_571:
	s_or_b64 exec, exec, s[0:1]
	v_cmp_lt_i32_e32 vcc, 33, v65
	s_waitcnt lgkmcnt(0)
	s_barrier
	s_and_saveexec_b64 s[0:1], vcc
	s_cbranch_execz .LBB106_573
; %bb.572:
	ds_read2_b32 v[66:67], v59 offset0:34 offset1:35
	v_mul_f32_e32 v62, v64, v39
	v_mov_b32_e32 v39, v62
	s_waitcnt lgkmcnt(0)
	v_pk_fma_f32 v[28:29], v[62:63], v[66:67], v[28:29] op_sel_hi:[0,1,1] neg_lo:[1,0,0] neg_hi:[1,0,0]
	ds_read2_b32 v[66:67], v59 offset0:36 offset1:37
	s_waitcnt lgkmcnt(0)
	v_pk_fma_f32 v[20:21], v[62:63], v[66:67], v[20:21] op_sel_hi:[0,1,1] neg_lo:[1,0,0] neg_hi:[1,0,0]
	ds_read2_b32 v[66:67], v59 offset0:38 offset1:39
	;; [unrolled: 3-line block ×9, first 2 shown]
	s_waitcnt lgkmcnt(0)
	v_pk_fma_f32 v[8:9], v[62:63], v[66:67], v[8:9] op_sel_hi:[0,1,1] neg_lo:[1,0,0] neg_hi:[1,0,0]
.LBB106_573:
	s_or_b64 exec, exec, s[0:1]
	v_lshl_add_u32 v62, v65, 2, v59
	s_barrier
	ds_write_b32 v62, v28
	s_waitcnt lgkmcnt(0)
	s_barrier
	ds_read_b32 v64, v59 offset:136
	s_cmp_lt_i32 s22, 36
	v_mov_b32_e32 v62, 34
	s_cbranch_scc1 .LBB106_576
; %bb.574:
	v_add_u32_e32 v66, 0x8c, v59
	v_mov_b32_e32 v62, 34
	s_mov_b32 s0, 35
.LBB106_575:                            ; =>This Inner Loop Header: Depth=1
	ds_read_b32 v67, v66
	v_mov_b32_e32 v68, s0
	s_add_i32 s0, s0, 1
	v_add_u32_e32 v66, 4, v66
	s_cmp_lg_u32 s22, s0
	s_waitcnt lgkmcnt(0)
	v_cmp_lt_f32_e64 vcc, |v64|, |v67|
	s_nop 1
	v_cndmask_b32_e32 v64, v64, v67, vcc
	v_cndmask_b32_e32 v62, v62, v68, vcc
	s_cbranch_scc1 .LBB106_575
.LBB106_576:
	s_waitcnt lgkmcnt(0)
	v_cmp_eq_f32_e32 vcc, 0, v64
	s_and_saveexec_b64 s[0:1], vcc
	s_xor_b64 s[0:1], exec, s[0:1]
; %bb.577:
	v_cmp_ne_u32_e32 vcc, 0, v61
	s_nop 1
	v_cndmask_b32_e32 v61, 35, v61, vcc
; %bb.578:
	s_andn2_saveexec_b64 s[0:1], s[0:1]
	s_cbranch_execz .LBB106_580
; %bb.579:
	v_div_scale_f32 v66, s[2:3], v64, v64, 1.0
	v_rcp_f32_e32 v67, v66
	v_div_scale_f32 v68, vcc, 1.0, v64, 1.0
	v_fma_f32 v69, -v66, v67, 1.0
	v_fmac_f32_e32 v67, v69, v67
	v_mul_f32_e32 v69, v68, v67
	v_fma_f32 v70, -v66, v69, v68
	v_fmac_f32_e32 v69, v70, v67
	v_fma_f32 v66, -v66, v69, v68
	v_div_fmas_f32 v66, v66, v67, v69
	v_div_fixup_f32 v64, v66, v64, 1.0
.LBB106_580:
	s_or_b64 exec, exec, s[0:1]
	v_cmp_ne_u32_e32 vcc, v65, v62
	s_and_saveexec_b64 s[0:1], vcc
	s_xor_b64 s[0:1], exec, s[0:1]
	s_cbranch_execz .LBB106_586
; %bb.581:
	v_cmp_eq_u32_e32 vcc, 34, v65
	s_and_saveexec_b64 s[2:3], vcc
	s_cbranch_execz .LBB106_585
; %bb.582:
	v_cmp_ne_u32_e32 vcc, 34, v62
	s_xor_b64 s[12:13], s[20:21], -1
	s_and_b64 s[14:15], s[12:13], vcc
	s_and_saveexec_b64 s[12:13], s[14:15]
	s_cbranch_execz .LBB106_584
; %bb.583:
	v_ashrrev_i32_e32 v63, 31, v62
	v_lshl_add_u64 v[66:67], v[62:63], 2, v[4:5]
	global_load_dword v63, v[66:67], off
	global_load_dword v65, v[4:5], off offset:136
	s_waitcnt vmcnt(1)
	global_store_dword v[4:5], v63, off offset:136
	s_waitcnt vmcnt(1)
	global_store_dword v[66:67], v65, off
.LBB106_584:
	s_or_b64 exec, exec, s[12:13]
	v_mov_b32_e32 v63, v62
	v_mov_b32_e32 v65, v62
.LBB106_585:
	s_or_b64 exec, exec, s[2:3]
.LBB106_586:
	s_andn2_saveexec_b64 s[0:1], s[0:1]
	s_cbranch_execz .LBB106_588
; %bb.587:
	v_pk_mov_b32 v[66:67], v[28:29], v[20:21] op_sel:[1,0]
	ds_write2_b32 v59, v66, v67 offset0:35 offset1:36
	v_pk_mov_b32 v[66:67], v[20:21], v[12:13] op_sel:[1,0]
	ds_write2_b32 v59, v66, v67 offset0:37 offset1:38
	;; [unrolled: 2-line block ×8, first 2 shown]
	v_pk_mov_b32 v[66:67], v[14:15], v[8:9] op_sel:[1,0]
	v_mov_b32_e32 v65, 34
	ds_write2_b32 v59, v66, v67 offset0:51 offset1:52
	ds_write_b32 v59, v9 offset:212
.LBB106_588:
	s_or_b64 exec, exec, s[0:1]
	v_cmp_lt_i32_e32 vcc, 34, v65
	s_waitcnt lgkmcnt(0)
	s_barrier
	s_and_saveexec_b64 s[0:1], vcc
	s_cbranch_execz .LBB106_590
; %bb.589:
	ds_read_b32 v62, v59 offset:140
	ds_read2_b32 v[66:67], v59 offset0:36 offset1:37
	v_mul_f32_e32 v28, v64, v28
	s_waitcnt lgkmcnt(1)
	v_fma_f32 v29, -v28, v62, v29
	s_waitcnt lgkmcnt(0)
	v_pk_fma_f32 v[20:21], v[28:29], v[66:67], v[20:21] op_sel_hi:[0,1,1] neg_lo:[1,0,0] neg_hi:[1,0,0]
	ds_read2_b32 v[66:67], v59 offset0:38 offset1:39
	s_waitcnt lgkmcnt(0)
	v_pk_fma_f32 v[12:13], v[28:29], v[66:67], v[12:13] op_sel_hi:[0,1,1] neg_lo:[1,0,0] neg_hi:[1,0,0]
	ds_read2_b32 v[66:67], v59 offset0:40 offset1:41
	;; [unrolled: 3-line block ×8, first 2 shown]
	s_waitcnt lgkmcnt(0)
	v_pk_fma_f32 v[8:9], v[28:29], v[66:67], v[8:9] op_sel_hi:[0,1,1] neg_lo:[1,0,0] neg_hi:[1,0,0]
.LBB106_590:
	s_or_b64 exec, exec, s[0:1]
	v_lshl_add_u32 v62, v65, 2, v59
	s_barrier
	ds_write_b32 v62, v29
	s_waitcnt lgkmcnt(0)
	s_barrier
	ds_read_b32 v64, v59 offset:140
	s_cmp_lt_i32 s22, 37
	v_mov_b32_e32 v62, 35
	s_cbranch_scc1 .LBB106_593
; %bb.591:
	v_add_u32_e32 v66, 0x90, v59
	v_mov_b32_e32 v62, 35
	s_mov_b32 s0, 36
.LBB106_592:                            ; =>This Inner Loop Header: Depth=1
	ds_read_b32 v67, v66
	v_mov_b32_e32 v68, s0
	s_add_i32 s0, s0, 1
	v_add_u32_e32 v66, 4, v66
	s_cmp_lg_u32 s22, s0
	s_waitcnt lgkmcnt(0)
	v_cmp_lt_f32_e64 vcc, |v64|, |v67|
	s_nop 1
	v_cndmask_b32_e32 v64, v64, v67, vcc
	v_cndmask_b32_e32 v62, v62, v68, vcc
	s_cbranch_scc1 .LBB106_592
.LBB106_593:
	s_waitcnt lgkmcnt(0)
	v_cmp_eq_f32_e32 vcc, 0, v64
	s_and_saveexec_b64 s[0:1], vcc
	s_xor_b64 s[0:1], exec, s[0:1]
; %bb.594:
	v_cmp_ne_u32_e32 vcc, 0, v61
	s_nop 1
	v_cndmask_b32_e32 v61, 36, v61, vcc
; %bb.595:
	s_andn2_saveexec_b64 s[0:1], s[0:1]
	s_cbranch_execz .LBB106_597
; %bb.596:
	v_div_scale_f32 v66, s[2:3], v64, v64, 1.0
	v_rcp_f32_e32 v67, v66
	v_div_scale_f32 v68, vcc, 1.0, v64, 1.0
	v_fma_f32 v69, -v66, v67, 1.0
	v_fmac_f32_e32 v67, v69, v67
	v_mul_f32_e32 v69, v68, v67
	v_fma_f32 v70, -v66, v69, v68
	v_fmac_f32_e32 v69, v70, v67
	v_fma_f32 v66, -v66, v69, v68
	v_div_fmas_f32 v66, v66, v67, v69
	v_div_fixup_f32 v64, v66, v64, 1.0
.LBB106_597:
	s_or_b64 exec, exec, s[0:1]
	v_cmp_ne_u32_e32 vcc, v65, v62
	s_and_saveexec_b64 s[0:1], vcc
	s_xor_b64 s[0:1], exec, s[0:1]
	s_cbranch_execz .LBB106_603
; %bb.598:
	v_cmp_eq_u32_e32 vcc, 35, v65
	s_and_saveexec_b64 s[2:3], vcc
	s_cbranch_execz .LBB106_602
; %bb.599:
	v_cmp_ne_u32_e32 vcc, 35, v62
	s_xor_b64 s[12:13], s[20:21], -1
	s_and_b64 s[14:15], s[12:13], vcc
	s_and_saveexec_b64 s[12:13], s[14:15]
	s_cbranch_execz .LBB106_601
; %bb.600:
	v_ashrrev_i32_e32 v63, 31, v62
	v_lshl_add_u64 v[66:67], v[62:63], 2, v[4:5]
	global_load_dword v63, v[66:67], off
	global_load_dword v65, v[4:5], off offset:140
	s_waitcnt vmcnt(1)
	global_store_dword v[4:5], v63, off offset:140
	s_waitcnt vmcnt(1)
	global_store_dword v[66:67], v65, off
.LBB106_601:
	s_or_b64 exec, exec, s[12:13]
	v_mov_b32_e32 v63, v62
	v_mov_b32_e32 v65, v62
.LBB106_602:
	s_or_b64 exec, exec, s[2:3]
.LBB106_603:
	s_andn2_saveexec_b64 s[0:1], s[0:1]
	s_cbranch_execz .LBB106_605
; %bb.604:
	v_mov_b32_e32 v65, 35
	ds_write2_b32 v59, v20, v21 offset0:36 offset1:37
	ds_write2_b32 v59, v12, v13 offset0:38 offset1:39
	;; [unrolled: 1-line block ×9, first 2 shown]
.LBB106_605:
	s_or_b64 exec, exec, s[0:1]
	v_cmp_lt_i32_e32 vcc, 35, v65
	s_waitcnt lgkmcnt(0)
	s_barrier
	s_and_saveexec_b64 s[0:1], vcc
	s_cbranch_execz .LBB106_607
; %bb.606:
	ds_read2_b32 v[66:67], v59 offset0:36 offset1:37
	v_mul_f32_e32 v62, v64, v29
	v_mov_b32_e32 v29, v62
	s_waitcnt lgkmcnt(0)
	v_pk_fma_f32 v[20:21], v[62:63], v[66:67], v[20:21] op_sel_hi:[0,1,1] neg_lo:[1,0,0] neg_hi:[1,0,0]
	ds_read2_b32 v[66:67], v59 offset0:38 offset1:39
	s_waitcnt lgkmcnt(0)
	v_pk_fma_f32 v[12:13], v[62:63], v[66:67], v[12:13] op_sel_hi:[0,1,1] neg_lo:[1,0,0] neg_hi:[1,0,0]
	ds_read2_b32 v[66:67], v59 offset0:40 offset1:41
	s_waitcnt lgkmcnt(0)
	v_pk_fma_f32 v[30:31], v[62:63], v[66:67], v[30:31] op_sel_hi:[0,1,1] neg_lo:[1,0,0] neg_hi:[1,0,0]
	ds_read2_b32 v[66:67], v59 offset0:42 offset1:43
	s_waitcnt lgkmcnt(0)
	v_pk_fma_f32 v[22:23], v[62:63], v[66:67], v[22:23] op_sel_hi:[0,1,1] neg_lo:[1,0,0] neg_hi:[1,0,0]
	ds_read2_b32 v[66:67], v59 offset0:44 offset1:45
	s_waitcnt lgkmcnt(0)
	v_pk_fma_f32 v[16:17], v[62:63], v[66:67], v[16:17] op_sel_hi:[0,1,1] neg_lo:[1,0,0] neg_hi:[1,0,0]
	ds_read2_b32 v[66:67], v59 offset0:46 offset1:47
	s_waitcnt lgkmcnt(0)
	v_pk_fma_f32 v[10:11], v[62:63], v[66:67], v[10:11] op_sel_hi:[0,1,1] neg_lo:[1,0,0] neg_hi:[1,0,0]
	ds_read2_b32 v[66:67], v59 offset0:48 offset1:49
	s_waitcnt lgkmcnt(0)
	v_pk_fma_f32 v[0:1], v[62:63], v[66:67], v[0:1] op_sel_hi:[0,1,1] neg_lo:[1,0,0] neg_hi:[1,0,0]
	ds_read2_b32 v[66:67], v59 offset0:50 offset1:51
	s_waitcnt lgkmcnt(0)
	v_pk_fma_f32 v[14:15], v[62:63], v[66:67], v[14:15] op_sel_hi:[0,1,1] neg_lo:[1,0,0] neg_hi:[1,0,0]
	ds_read2_b32 v[66:67], v59 offset0:52 offset1:53
	s_waitcnt lgkmcnt(0)
	v_pk_fma_f32 v[8:9], v[62:63], v[66:67], v[8:9] op_sel_hi:[0,1,1] neg_lo:[1,0,0] neg_hi:[1,0,0]
.LBB106_607:
	s_or_b64 exec, exec, s[0:1]
	v_lshl_add_u32 v62, v65, 2, v59
	s_barrier
	ds_write_b32 v62, v20
	s_waitcnt lgkmcnt(0)
	s_barrier
	ds_read_b32 v64, v59 offset:144
	s_cmp_lt_i32 s22, 38
	v_mov_b32_e32 v62, 36
	s_cbranch_scc1 .LBB106_610
; %bb.608:
	v_add_u32_e32 v66, 0x94, v59
	v_mov_b32_e32 v62, 36
	s_mov_b32 s0, 37
.LBB106_609:                            ; =>This Inner Loop Header: Depth=1
	ds_read_b32 v67, v66
	v_mov_b32_e32 v68, s0
	s_add_i32 s0, s0, 1
	v_add_u32_e32 v66, 4, v66
	s_cmp_lg_u32 s22, s0
	s_waitcnt lgkmcnt(0)
	v_cmp_lt_f32_e64 vcc, |v64|, |v67|
	s_nop 1
	v_cndmask_b32_e32 v64, v64, v67, vcc
	v_cndmask_b32_e32 v62, v62, v68, vcc
	s_cbranch_scc1 .LBB106_609
.LBB106_610:
	s_waitcnt lgkmcnt(0)
	v_cmp_eq_f32_e32 vcc, 0, v64
	s_and_saveexec_b64 s[0:1], vcc
	s_xor_b64 s[0:1], exec, s[0:1]
; %bb.611:
	v_cmp_ne_u32_e32 vcc, 0, v61
	s_nop 1
	v_cndmask_b32_e32 v61, 37, v61, vcc
; %bb.612:
	s_andn2_saveexec_b64 s[0:1], s[0:1]
	s_cbranch_execz .LBB106_614
; %bb.613:
	v_div_scale_f32 v66, s[2:3], v64, v64, 1.0
	v_rcp_f32_e32 v67, v66
	v_div_scale_f32 v68, vcc, 1.0, v64, 1.0
	v_fma_f32 v69, -v66, v67, 1.0
	v_fmac_f32_e32 v67, v69, v67
	v_mul_f32_e32 v69, v68, v67
	v_fma_f32 v70, -v66, v69, v68
	v_fmac_f32_e32 v69, v70, v67
	v_fma_f32 v66, -v66, v69, v68
	v_div_fmas_f32 v66, v66, v67, v69
	v_div_fixup_f32 v64, v66, v64, 1.0
.LBB106_614:
	s_or_b64 exec, exec, s[0:1]
	v_cmp_ne_u32_e32 vcc, v65, v62
	s_and_saveexec_b64 s[0:1], vcc
	s_xor_b64 s[0:1], exec, s[0:1]
	s_cbranch_execz .LBB106_620
; %bb.615:
	v_cmp_eq_u32_e32 vcc, 36, v65
	s_and_saveexec_b64 s[2:3], vcc
	s_cbranch_execz .LBB106_619
; %bb.616:
	v_cmp_ne_u32_e32 vcc, 36, v62
	s_xor_b64 s[12:13], s[20:21], -1
	s_and_b64 s[14:15], s[12:13], vcc
	s_and_saveexec_b64 s[12:13], s[14:15]
	s_cbranch_execz .LBB106_618
; %bb.617:
	v_ashrrev_i32_e32 v63, 31, v62
	v_lshl_add_u64 v[66:67], v[62:63], 2, v[4:5]
	global_load_dword v63, v[66:67], off
	global_load_dword v65, v[4:5], off offset:144
	s_waitcnt vmcnt(1)
	global_store_dword v[4:5], v63, off offset:144
	s_waitcnt vmcnt(1)
	global_store_dword v[66:67], v65, off
.LBB106_618:
	s_or_b64 exec, exec, s[12:13]
	v_mov_b32_e32 v63, v62
	v_mov_b32_e32 v65, v62
.LBB106_619:
	s_or_b64 exec, exec, s[2:3]
.LBB106_620:
	s_andn2_saveexec_b64 s[0:1], s[0:1]
	s_cbranch_execz .LBB106_622
; %bb.621:
	v_pk_mov_b32 v[66:67], v[20:21], v[12:13] op_sel:[1,0]
	ds_write2_b32 v59, v66, v67 offset0:37 offset1:38
	v_pk_mov_b32 v[66:67], v[12:13], v[30:31] op_sel:[1,0]
	ds_write2_b32 v59, v66, v67 offset0:39 offset1:40
	;; [unrolled: 2-line block ×7, first 2 shown]
	v_pk_mov_b32 v[66:67], v[14:15], v[8:9] op_sel:[1,0]
	v_mov_b32_e32 v65, 36
	ds_write2_b32 v59, v66, v67 offset0:51 offset1:52
	ds_write_b32 v59, v9 offset:212
.LBB106_622:
	s_or_b64 exec, exec, s[0:1]
	v_cmp_lt_i32_e32 vcc, 36, v65
	s_waitcnt lgkmcnt(0)
	s_barrier
	s_and_saveexec_b64 s[0:1], vcc
	s_cbranch_execz .LBB106_624
; %bb.623:
	ds_read_b32 v62, v59 offset:148
	ds_read2_b32 v[66:67], v59 offset0:38 offset1:39
	v_mul_f32_e32 v20, v64, v20
	s_waitcnt lgkmcnt(1)
	v_fma_f32 v21, -v20, v62, v21
	s_waitcnt lgkmcnt(0)
	v_pk_fma_f32 v[12:13], v[20:21], v[66:67], v[12:13] op_sel_hi:[0,1,1] neg_lo:[1,0,0] neg_hi:[1,0,0]
	ds_read2_b32 v[66:67], v59 offset0:40 offset1:41
	s_waitcnt lgkmcnt(0)
	v_pk_fma_f32 v[30:31], v[20:21], v[66:67], v[30:31] op_sel_hi:[0,1,1] neg_lo:[1,0,0] neg_hi:[1,0,0]
	ds_read2_b32 v[66:67], v59 offset0:42 offset1:43
	s_waitcnt lgkmcnt(0)
	v_pk_fma_f32 v[22:23], v[20:21], v[66:67], v[22:23] op_sel_hi:[0,1,1] neg_lo:[1,0,0] neg_hi:[1,0,0]
	ds_read2_b32 v[66:67], v59 offset0:44 offset1:45
	s_waitcnt lgkmcnt(0)
	v_pk_fma_f32 v[16:17], v[20:21], v[66:67], v[16:17] op_sel_hi:[0,1,1] neg_lo:[1,0,0] neg_hi:[1,0,0]
	ds_read2_b32 v[66:67], v59 offset0:46 offset1:47
	s_waitcnt lgkmcnt(0)
	v_pk_fma_f32 v[10:11], v[20:21], v[66:67], v[10:11] op_sel_hi:[0,1,1] neg_lo:[1,0,0] neg_hi:[1,0,0]
	ds_read2_b32 v[66:67], v59 offset0:48 offset1:49
	s_waitcnt lgkmcnt(0)
	v_pk_fma_f32 v[0:1], v[20:21], v[66:67], v[0:1] op_sel_hi:[0,1,1] neg_lo:[1,0,0] neg_hi:[1,0,0]
	ds_read2_b32 v[66:67], v59 offset0:50 offset1:51
	s_waitcnt lgkmcnt(0)
	v_pk_fma_f32 v[14:15], v[20:21], v[66:67], v[14:15] op_sel_hi:[0,1,1] neg_lo:[1,0,0] neg_hi:[1,0,0]
	ds_read2_b32 v[66:67], v59 offset0:52 offset1:53
	s_waitcnt lgkmcnt(0)
	v_pk_fma_f32 v[8:9], v[20:21], v[66:67], v[8:9] op_sel_hi:[0,1,1] neg_lo:[1,0,0] neg_hi:[1,0,0]
.LBB106_624:
	s_or_b64 exec, exec, s[0:1]
	v_lshl_add_u32 v62, v65, 2, v59
	s_barrier
	ds_write_b32 v62, v21
	s_waitcnt lgkmcnt(0)
	s_barrier
	ds_read_b32 v64, v59 offset:148
	s_cmp_lt_i32 s22, 39
	v_mov_b32_e32 v62, 37
	s_cbranch_scc1 .LBB106_627
; %bb.625:
	v_add_u32_e32 v66, 0x98, v59
	v_mov_b32_e32 v62, 37
	s_mov_b32 s0, 38
.LBB106_626:                            ; =>This Inner Loop Header: Depth=1
	ds_read_b32 v67, v66
	v_mov_b32_e32 v68, s0
	s_add_i32 s0, s0, 1
	v_add_u32_e32 v66, 4, v66
	s_cmp_lg_u32 s22, s0
	s_waitcnt lgkmcnt(0)
	v_cmp_lt_f32_e64 vcc, |v64|, |v67|
	s_nop 1
	v_cndmask_b32_e32 v64, v64, v67, vcc
	v_cndmask_b32_e32 v62, v62, v68, vcc
	s_cbranch_scc1 .LBB106_626
.LBB106_627:
	s_waitcnt lgkmcnt(0)
	v_cmp_eq_f32_e32 vcc, 0, v64
	s_and_saveexec_b64 s[0:1], vcc
	s_xor_b64 s[0:1], exec, s[0:1]
; %bb.628:
	v_cmp_ne_u32_e32 vcc, 0, v61
	s_nop 1
	v_cndmask_b32_e32 v61, 38, v61, vcc
; %bb.629:
	s_andn2_saveexec_b64 s[0:1], s[0:1]
	s_cbranch_execz .LBB106_631
; %bb.630:
	v_div_scale_f32 v66, s[2:3], v64, v64, 1.0
	v_rcp_f32_e32 v67, v66
	v_div_scale_f32 v68, vcc, 1.0, v64, 1.0
	v_fma_f32 v69, -v66, v67, 1.0
	v_fmac_f32_e32 v67, v69, v67
	v_mul_f32_e32 v69, v68, v67
	v_fma_f32 v70, -v66, v69, v68
	v_fmac_f32_e32 v69, v70, v67
	v_fma_f32 v66, -v66, v69, v68
	v_div_fmas_f32 v66, v66, v67, v69
	v_div_fixup_f32 v64, v66, v64, 1.0
.LBB106_631:
	s_or_b64 exec, exec, s[0:1]
	v_cmp_ne_u32_e32 vcc, v65, v62
	s_and_saveexec_b64 s[0:1], vcc
	s_xor_b64 s[0:1], exec, s[0:1]
	s_cbranch_execz .LBB106_637
; %bb.632:
	v_cmp_eq_u32_e32 vcc, 37, v65
	s_and_saveexec_b64 s[2:3], vcc
	s_cbranch_execz .LBB106_636
; %bb.633:
	v_cmp_ne_u32_e32 vcc, 37, v62
	s_xor_b64 s[12:13], s[20:21], -1
	s_and_b64 s[14:15], s[12:13], vcc
	s_and_saveexec_b64 s[12:13], s[14:15]
	s_cbranch_execz .LBB106_635
; %bb.634:
	v_ashrrev_i32_e32 v63, 31, v62
	v_lshl_add_u64 v[66:67], v[62:63], 2, v[4:5]
	global_load_dword v63, v[66:67], off
	global_load_dword v65, v[4:5], off offset:148
	s_waitcnt vmcnt(1)
	global_store_dword v[4:5], v63, off offset:148
	s_waitcnt vmcnt(1)
	global_store_dword v[66:67], v65, off
.LBB106_635:
	s_or_b64 exec, exec, s[12:13]
	v_mov_b32_e32 v63, v62
	v_mov_b32_e32 v65, v62
.LBB106_636:
	s_or_b64 exec, exec, s[2:3]
.LBB106_637:
	s_andn2_saveexec_b64 s[0:1], s[0:1]
	s_cbranch_execz .LBB106_639
; %bb.638:
	v_mov_b32_e32 v65, 37
	ds_write2_b32 v59, v12, v13 offset0:38 offset1:39
	ds_write2_b32 v59, v30, v31 offset0:40 offset1:41
	;; [unrolled: 1-line block ×8, first 2 shown]
.LBB106_639:
	s_or_b64 exec, exec, s[0:1]
	v_cmp_lt_i32_e32 vcc, 37, v65
	s_waitcnt lgkmcnt(0)
	s_barrier
	s_and_saveexec_b64 s[0:1], vcc
	s_cbranch_execz .LBB106_641
; %bb.640:
	ds_read2_b32 v[66:67], v59 offset0:38 offset1:39
	v_mul_f32_e32 v62, v64, v21
	v_mov_b32_e32 v21, v62
	s_waitcnt lgkmcnt(0)
	v_pk_fma_f32 v[12:13], v[62:63], v[66:67], v[12:13] op_sel_hi:[0,1,1] neg_lo:[1,0,0] neg_hi:[1,0,0]
	ds_read2_b32 v[66:67], v59 offset0:40 offset1:41
	s_waitcnt lgkmcnt(0)
	v_pk_fma_f32 v[30:31], v[62:63], v[66:67], v[30:31] op_sel_hi:[0,1,1] neg_lo:[1,0,0] neg_hi:[1,0,0]
	ds_read2_b32 v[66:67], v59 offset0:42 offset1:43
	;; [unrolled: 3-line block ×7, first 2 shown]
	s_waitcnt lgkmcnt(0)
	v_pk_fma_f32 v[8:9], v[62:63], v[66:67], v[8:9] op_sel_hi:[0,1,1] neg_lo:[1,0,0] neg_hi:[1,0,0]
.LBB106_641:
	s_or_b64 exec, exec, s[0:1]
	v_lshl_add_u32 v62, v65, 2, v59
	s_barrier
	ds_write_b32 v62, v12
	s_waitcnt lgkmcnt(0)
	s_barrier
	ds_read_b32 v64, v59 offset:152
	s_cmp_lt_i32 s22, 40
	v_mov_b32_e32 v62, 38
	s_cbranch_scc1 .LBB106_644
; %bb.642:
	v_add_u32_e32 v66, 0x9c, v59
	v_mov_b32_e32 v62, 38
	s_mov_b32 s0, 39
.LBB106_643:                            ; =>This Inner Loop Header: Depth=1
	ds_read_b32 v67, v66
	v_mov_b32_e32 v68, s0
	s_add_i32 s0, s0, 1
	v_add_u32_e32 v66, 4, v66
	s_cmp_lg_u32 s22, s0
	s_waitcnt lgkmcnt(0)
	v_cmp_lt_f32_e64 vcc, |v64|, |v67|
	s_nop 1
	v_cndmask_b32_e32 v64, v64, v67, vcc
	v_cndmask_b32_e32 v62, v62, v68, vcc
	s_cbranch_scc1 .LBB106_643
.LBB106_644:
	s_waitcnt lgkmcnt(0)
	v_cmp_eq_f32_e32 vcc, 0, v64
	s_and_saveexec_b64 s[0:1], vcc
	s_xor_b64 s[0:1], exec, s[0:1]
; %bb.645:
	v_cmp_ne_u32_e32 vcc, 0, v61
	s_nop 1
	v_cndmask_b32_e32 v61, 39, v61, vcc
; %bb.646:
	s_andn2_saveexec_b64 s[0:1], s[0:1]
	s_cbranch_execz .LBB106_648
; %bb.647:
	v_div_scale_f32 v66, s[2:3], v64, v64, 1.0
	v_rcp_f32_e32 v67, v66
	v_div_scale_f32 v68, vcc, 1.0, v64, 1.0
	v_fma_f32 v69, -v66, v67, 1.0
	v_fmac_f32_e32 v67, v69, v67
	v_mul_f32_e32 v69, v68, v67
	v_fma_f32 v70, -v66, v69, v68
	v_fmac_f32_e32 v69, v70, v67
	v_fma_f32 v66, -v66, v69, v68
	v_div_fmas_f32 v66, v66, v67, v69
	v_div_fixup_f32 v64, v66, v64, 1.0
.LBB106_648:
	s_or_b64 exec, exec, s[0:1]
	v_cmp_ne_u32_e32 vcc, v65, v62
	s_and_saveexec_b64 s[0:1], vcc
	s_xor_b64 s[0:1], exec, s[0:1]
	s_cbranch_execz .LBB106_654
; %bb.649:
	v_cmp_eq_u32_e32 vcc, 38, v65
	s_and_saveexec_b64 s[2:3], vcc
	s_cbranch_execz .LBB106_653
; %bb.650:
	v_cmp_ne_u32_e32 vcc, 38, v62
	s_xor_b64 s[12:13], s[20:21], -1
	s_and_b64 s[14:15], s[12:13], vcc
	s_and_saveexec_b64 s[12:13], s[14:15]
	s_cbranch_execz .LBB106_652
; %bb.651:
	v_ashrrev_i32_e32 v63, 31, v62
	v_lshl_add_u64 v[66:67], v[62:63], 2, v[4:5]
	global_load_dword v63, v[66:67], off
	global_load_dword v65, v[4:5], off offset:152
	s_waitcnt vmcnt(1)
	global_store_dword v[4:5], v63, off offset:152
	s_waitcnt vmcnt(1)
	global_store_dword v[66:67], v65, off
.LBB106_652:
	s_or_b64 exec, exec, s[12:13]
	v_mov_b32_e32 v63, v62
	v_mov_b32_e32 v65, v62
.LBB106_653:
	s_or_b64 exec, exec, s[2:3]
.LBB106_654:
	s_andn2_saveexec_b64 s[0:1], s[0:1]
	s_cbranch_execz .LBB106_656
; %bb.655:
	v_pk_mov_b32 v[66:67], v[12:13], v[30:31] op_sel:[1,0]
	ds_write2_b32 v59, v66, v67 offset0:39 offset1:40
	v_pk_mov_b32 v[66:67], v[30:31], v[22:23] op_sel:[1,0]
	ds_write2_b32 v59, v66, v67 offset0:41 offset1:42
	;; [unrolled: 2-line block ×6, first 2 shown]
	v_pk_mov_b32 v[66:67], v[14:15], v[8:9] op_sel:[1,0]
	v_mov_b32_e32 v65, 38
	ds_write2_b32 v59, v66, v67 offset0:51 offset1:52
	ds_write_b32 v59, v9 offset:212
.LBB106_656:
	s_or_b64 exec, exec, s[0:1]
	v_cmp_lt_i32_e32 vcc, 38, v65
	s_waitcnt lgkmcnt(0)
	s_barrier
	s_and_saveexec_b64 s[0:1], vcc
	s_cbranch_execz .LBB106_658
; %bb.657:
	ds_read_b32 v62, v59 offset:156
	ds_read2_b32 v[66:67], v59 offset0:40 offset1:41
	v_mul_f32_e32 v12, v64, v12
	s_waitcnt lgkmcnt(1)
	v_fma_f32 v13, -v12, v62, v13
	s_waitcnt lgkmcnt(0)
	v_pk_fma_f32 v[30:31], v[12:13], v[66:67], v[30:31] op_sel_hi:[0,1,1] neg_lo:[1,0,0] neg_hi:[1,0,0]
	ds_read2_b32 v[66:67], v59 offset0:42 offset1:43
	s_waitcnt lgkmcnt(0)
	v_pk_fma_f32 v[22:23], v[12:13], v[66:67], v[22:23] op_sel_hi:[0,1,1] neg_lo:[1,0,0] neg_hi:[1,0,0]
	ds_read2_b32 v[66:67], v59 offset0:44 offset1:45
	;; [unrolled: 3-line block ×6, first 2 shown]
	s_waitcnt lgkmcnt(0)
	v_pk_fma_f32 v[8:9], v[12:13], v[66:67], v[8:9] op_sel_hi:[0,1,1] neg_lo:[1,0,0] neg_hi:[1,0,0]
.LBB106_658:
	s_or_b64 exec, exec, s[0:1]
	v_lshl_add_u32 v62, v65, 2, v59
	s_barrier
	ds_write_b32 v62, v13
	s_waitcnt lgkmcnt(0)
	s_barrier
	ds_read_b32 v64, v59 offset:156
	s_cmp_lt_i32 s22, 41
	v_mov_b32_e32 v62, 39
	s_cbranch_scc1 .LBB106_661
; %bb.659:
	v_add_u32_e32 v66, 0xa0, v59
	v_mov_b32_e32 v62, 39
	s_mov_b32 s0, 40
.LBB106_660:                            ; =>This Inner Loop Header: Depth=1
	ds_read_b32 v67, v66
	v_mov_b32_e32 v68, s0
	s_add_i32 s0, s0, 1
	v_add_u32_e32 v66, 4, v66
	s_cmp_lg_u32 s22, s0
	s_waitcnt lgkmcnt(0)
	v_cmp_lt_f32_e64 vcc, |v64|, |v67|
	s_nop 1
	v_cndmask_b32_e32 v64, v64, v67, vcc
	v_cndmask_b32_e32 v62, v62, v68, vcc
	s_cbranch_scc1 .LBB106_660
.LBB106_661:
	s_waitcnt lgkmcnt(0)
	v_cmp_eq_f32_e32 vcc, 0, v64
	s_and_saveexec_b64 s[0:1], vcc
	s_xor_b64 s[0:1], exec, s[0:1]
; %bb.662:
	v_cmp_ne_u32_e32 vcc, 0, v61
	s_nop 1
	v_cndmask_b32_e32 v61, 40, v61, vcc
; %bb.663:
	s_andn2_saveexec_b64 s[0:1], s[0:1]
	s_cbranch_execz .LBB106_665
; %bb.664:
	v_div_scale_f32 v66, s[2:3], v64, v64, 1.0
	v_rcp_f32_e32 v67, v66
	v_div_scale_f32 v68, vcc, 1.0, v64, 1.0
	v_fma_f32 v69, -v66, v67, 1.0
	v_fmac_f32_e32 v67, v69, v67
	v_mul_f32_e32 v69, v68, v67
	v_fma_f32 v70, -v66, v69, v68
	v_fmac_f32_e32 v69, v70, v67
	v_fma_f32 v66, -v66, v69, v68
	v_div_fmas_f32 v66, v66, v67, v69
	v_div_fixup_f32 v64, v66, v64, 1.0
.LBB106_665:
	s_or_b64 exec, exec, s[0:1]
	v_cmp_ne_u32_e32 vcc, v65, v62
	s_and_saveexec_b64 s[0:1], vcc
	s_xor_b64 s[0:1], exec, s[0:1]
	s_cbranch_execz .LBB106_671
; %bb.666:
	v_cmp_eq_u32_e32 vcc, 39, v65
	s_and_saveexec_b64 s[2:3], vcc
	s_cbranch_execz .LBB106_670
; %bb.667:
	v_cmp_ne_u32_e32 vcc, 39, v62
	s_xor_b64 s[12:13], s[20:21], -1
	s_and_b64 s[14:15], s[12:13], vcc
	s_and_saveexec_b64 s[12:13], s[14:15]
	s_cbranch_execz .LBB106_669
; %bb.668:
	v_ashrrev_i32_e32 v63, 31, v62
	v_lshl_add_u64 v[66:67], v[62:63], 2, v[4:5]
	global_load_dword v63, v[66:67], off
	global_load_dword v65, v[4:5], off offset:156
	s_waitcnt vmcnt(1)
	global_store_dword v[4:5], v63, off offset:156
	s_waitcnt vmcnt(1)
	global_store_dword v[66:67], v65, off
.LBB106_669:
	s_or_b64 exec, exec, s[12:13]
	v_mov_b32_e32 v63, v62
	v_mov_b32_e32 v65, v62
.LBB106_670:
	s_or_b64 exec, exec, s[2:3]
.LBB106_671:
	s_andn2_saveexec_b64 s[0:1], s[0:1]
	s_cbranch_execz .LBB106_673
; %bb.672:
	v_mov_b32_e32 v65, 39
	ds_write2_b32 v59, v30, v31 offset0:40 offset1:41
	ds_write2_b32 v59, v22, v23 offset0:42 offset1:43
	;; [unrolled: 1-line block ×7, first 2 shown]
.LBB106_673:
	s_or_b64 exec, exec, s[0:1]
	v_cmp_lt_i32_e32 vcc, 39, v65
	s_waitcnt lgkmcnt(0)
	s_barrier
	s_and_saveexec_b64 s[0:1], vcc
	s_cbranch_execz .LBB106_675
; %bb.674:
	ds_read2_b32 v[66:67], v59 offset0:40 offset1:41
	v_mul_f32_e32 v62, v64, v13
	v_mov_b32_e32 v13, v62
	s_waitcnt lgkmcnt(0)
	v_pk_fma_f32 v[30:31], v[62:63], v[66:67], v[30:31] op_sel_hi:[0,1,1] neg_lo:[1,0,0] neg_hi:[1,0,0]
	ds_read2_b32 v[66:67], v59 offset0:42 offset1:43
	s_waitcnt lgkmcnt(0)
	v_pk_fma_f32 v[22:23], v[62:63], v[66:67], v[22:23] op_sel_hi:[0,1,1] neg_lo:[1,0,0] neg_hi:[1,0,0]
	ds_read2_b32 v[66:67], v59 offset0:44 offset1:45
	;; [unrolled: 3-line block ×6, first 2 shown]
	s_waitcnt lgkmcnt(0)
	v_pk_fma_f32 v[8:9], v[62:63], v[66:67], v[8:9] op_sel_hi:[0,1,1] neg_lo:[1,0,0] neg_hi:[1,0,0]
.LBB106_675:
	s_or_b64 exec, exec, s[0:1]
	v_lshl_add_u32 v62, v65, 2, v59
	s_barrier
	ds_write_b32 v62, v30
	s_waitcnt lgkmcnt(0)
	s_barrier
	ds_read_b32 v64, v59 offset:160
	s_cmp_lt_i32 s22, 42
	v_mov_b32_e32 v62, 40
	s_cbranch_scc1 .LBB106_678
; %bb.676:
	v_add_u32_e32 v66, 0xa4, v59
	v_mov_b32_e32 v62, 40
	s_mov_b32 s0, 41
.LBB106_677:                            ; =>This Inner Loop Header: Depth=1
	ds_read_b32 v67, v66
	v_mov_b32_e32 v68, s0
	s_add_i32 s0, s0, 1
	v_add_u32_e32 v66, 4, v66
	s_cmp_lg_u32 s22, s0
	s_waitcnt lgkmcnt(0)
	v_cmp_lt_f32_e64 vcc, |v64|, |v67|
	s_nop 1
	v_cndmask_b32_e32 v64, v64, v67, vcc
	v_cndmask_b32_e32 v62, v62, v68, vcc
	s_cbranch_scc1 .LBB106_677
.LBB106_678:
	s_waitcnt lgkmcnt(0)
	v_cmp_eq_f32_e32 vcc, 0, v64
	s_and_saveexec_b64 s[0:1], vcc
	s_xor_b64 s[0:1], exec, s[0:1]
; %bb.679:
	v_cmp_ne_u32_e32 vcc, 0, v61
	s_nop 1
	v_cndmask_b32_e32 v61, 41, v61, vcc
; %bb.680:
	s_andn2_saveexec_b64 s[0:1], s[0:1]
	s_cbranch_execz .LBB106_682
; %bb.681:
	v_div_scale_f32 v66, s[2:3], v64, v64, 1.0
	v_rcp_f32_e32 v67, v66
	v_div_scale_f32 v68, vcc, 1.0, v64, 1.0
	v_fma_f32 v69, -v66, v67, 1.0
	v_fmac_f32_e32 v67, v69, v67
	v_mul_f32_e32 v69, v68, v67
	v_fma_f32 v70, -v66, v69, v68
	v_fmac_f32_e32 v69, v70, v67
	v_fma_f32 v66, -v66, v69, v68
	v_div_fmas_f32 v66, v66, v67, v69
	v_div_fixup_f32 v64, v66, v64, 1.0
.LBB106_682:
	s_or_b64 exec, exec, s[0:1]
	v_cmp_ne_u32_e32 vcc, v65, v62
	s_and_saveexec_b64 s[0:1], vcc
	s_xor_b64 s[0:1], exec, s[0:1]
	s_cbranch_execz .LBB106_688
; %bb.683:
	v_cmp_eq_u32_e32 vcc, 40, v65
	s_and_saveexec_b64 s[2:3], vcc
	s_cbranch_execz .LBB106_687
; %bb.684:
	v_cmp_ne_u32_e32 vcc, 40, v62
	s_xor_b64 s[12:13], s[20:21], -1
	s_and_b64 s[14:15], s[12:13], vcc
	s_and_saveexec_b64 s[12:13], s[14:15]
	s_cbranch_execz .LBB106_686
; %bb.685:
	v_ashrrev_i32_e32 v63, 31, v62
	v_lshl_add_u64 v[66:67], v[62:63], 2, v[4:5]
	global_load_dword v63, v[66:67], off
	global_load_dword v65, v[4:5], off offset:160
	s_waitcnt vmcnt(1)
	global_store_dword v[4:5], v63, off offset:160
	s_waitcnt vmcnt(1)
	global_store_dword v[66:67], v65, off
.LBB106_686:
	s_or_b64 exec, exec, s[12:13]
	v_mov_b32_e32 v63, v62
	v_mov_b32_e32 v65, v62
.LBB106_687:
	s_or_b64 exec, exec, s[2:3]
.LBB106_688:
	s_andn2_saveexec_b64 s[0:1], s[0:1]
	s_cbranch_execz .LBB106_690
; %bb.689:
	v_pk_mov_b32 v[66:67], v[30:31], v[22:23] op_sel:[1,0]
	ds_write2_b32 v59, v66, v67 offset0:41 offset1:42
	v_pk_mov_b32 v[66:67], v[22:23], v[16:17] op_sel:[1,0]
	ds_write2_b32 v59, v66, v67 offset0:43 offset1:44
	;; [unrolled: 2-line block ×5, first 2 shown]
	v_pk_mov_b32 v[66:67], v[14:15], v[8:9] op_sel:[1,0]
	v_mov_b32_e32 v65, 40
	ds_write2_b32 v59, v66, v67 offset0:51 offset1:52
	ds_write_b32 v59, v9 offset:212
.LBB106_690:
	s_or_b64 exec, exec, s[0:1]
	v_cmp_lt_i32_e32 vcc, 40, v65
	s_waitcnt lgkmcnt(0)
	s_barrier
	s_and_saveexec_b64 s[0:1], vcc
	s_cbranch_execz .LBB106_692
; %bb.691:
	ds_read_b32 v62, v59 offset:164
	ds_read2_b32 v[66:67], v59 offset0:42 offset1:43
	v_mul_f32_e32 v30, v64, v30
	s_waitcnt lgkmcnt(1)
	v_fma_f32 v31, -v30, v62, v31
	s_waitcnt lgkmcnt(0)
	v_pk_fma_f32 v[22:23], v[30:31], v[66:67], v[22:23] op_sel_hi:[0,1,1] neg_lo:[1,0,0] neg_hi:[1,0,0]
	ds_read2_b32 v[66:67], v59 offset0:44 offset1:45
	s_waitcnt lgkmcnt(0)
	v_pk_fma_f32 v[16:17], v[30:31], v[66:67], v[16:17] op_sel_hi:[0,1,1] neg_lo:[1,0,0] neg_hi:[1,0,0]
	ds_read2_b32 v[66:67], v59 offset0:46 offset1:47
	;; [unrolled: 3-line block ×5, first 2 shown]
	s_waitcnt lgkmcnt(0)
	v_pk_fma_f32 v[8:9], v[30:31], v[66:67], v[8:9] op_sel_hi:[0,1,1] neg_lo:[1,0,0] neg_hi:[1,0,0]
.LBB106_692:
	s_or_b64 exec, exec, s[0:1]
	v_lshl_add_u32 v62, v65, 2, v59
	s_barrier
	ds_write_b32 v62, v31
	s_waitcnt lgkmcnt(0)
	s_barrier
	ds_read_b32 v64, v59 offset:164
	s_cmp_lt_i32 s22, 43
	v_mov_b32_e32 v62, 41
	s_cbranch_scc1 .LBB106_695
; %bb.693:
	v_add_u32_e32 v66, 0xa8, v59
	v_mov_b32_e32 v62, 41
	s_mov_b32 s0, 42
.LBB106_694:                            ; =>This Inner Loop Header: Depth=1
	ds_read_b32 v67, v66
	v_mov_b32_e32 v68, s0
	s_add_i32 s0, s0, 1
	v_add_u32_e32 v66, 4, v66
	s_cmp_lg_u32 s22, s0
	s_waitcnt lgkmcnt(0)
	v_cmp_lt_f32_e64 vcc, |v64|, |v67|
	s_nop 1
	v_cndmask_b32_e32 v64, v64, v67, vcc
	v_cndmask_b32_e32 v62, v62, v68, vcc
	s_cbranch_scc1 .LBB106_694
.LBB106_695:
	s_waitcnt lgkmcnt(0)
	v_cmp_eq_f32_e32 vcc, 0, v64
	s_and_saveexec_b64 s[0:1], vcc
	s_xor_b64 s[0:1], exec, s[0:1]
; %bb.696:
	v_cmp_ne_u32_e32 vcc, 0, v61
	s_nop 1
	v_cndmask_b32_e32 v61, 42, v61, vcc
; %bb.697:
	s_andn2_saveexec_b64 s[0:1], s[0:1]
	s_cbranch_execz .LBB106_699
; %bb.698:
	v_div_scale_f32 v66, s[2:3], v64, v64, 1.0
	v_rcp_f32_e32 v67, v66
	v_div_scale_f32 v68, vcc, 1.0, v64, 1.0
	v_fma_f32 v69, -v66, v67, 1.0
	v_fmac_f32_e32 v67, v69, v67
	v_mul_f32_e32 v69, v68, v67
	v_fma_f32 v70, -v66, v69, v68
	v_fmac_f32_e32 v69, v70, v67
	v_fma_f32 v66, -v66, v69, v68
	v_div_fmas_f32 v66, v66, v67, v69
	v_div_fixup_f32 v64, v66, v64, 1.0
.LBB106_699:
	s_or_b64 exec, exec, s[0:1]
	v_cmp_ne_u32_e32 vcc, v65, v62
	s_and_saveexec_b64 s[0:1], vcc
	s_xor_b64 s[0:1], exec, s[0:1]
	s_cbranch_execz .LBB106_705
; %bb.700:
	v_cmp_eq_u32_e32 vcc, 41, v65
	s_and_saveexec_b64 s[2:3], vcc
	s_cbranch_execz .LBB106_704
; %bb.701:
	v_cmp_ne_u32_e32 vcc, 41, v62
	s_xor_b64 s[12:13], s[20:21], -1
	s_and_b64 s[14:15], s[12:13], vcc
	s_and_saveexec_b64 s[12:13], s[14:15]
	s_cbranch_execz .LBB106_703
; %bb.702:
	v_ashrrev_i32_e32 v63, 31, v62
	v_lshl_add_u64 v[66:67], v[62:63], 2, v[4:5]
	global_load_dword v63, v[66:67], off
	global_load_dword v65, v[4:5], off offset:164
	s_waitcnt vmcnt(1)
	global_store_dword v[4:5], v63, off offset:164
	s_waitcnt vmcnt(1)
	global_store_dword v[66:67], v65, off
.LBB106_703:
	s_or_b64 exec, exec, s[12:13]
	v_mov_b32_e32 v63, v62
	v_mov_b32_e32 v65, v62
.LBB106_704:
	s_or_b64 exec, exec, s[2:3]
.LBB106_705:
	s_andn2_saveexec_b64 s[0:1], s[0:1]
	s_cbranch_execz .LBB106_707
; %bb.706:
	v_mov_b32_e32 v65, 41
	ds_write2_b32 v59, v22, v23 offset0:42 offset1:43
	ds_write2_b32 v59, v16, v17 offset0:44 offset1:45
	ds_write2_b32 v59, v10, v11 offset0:46 offset1:47
	ds_write2_b32 v59, v0, v1 offset0:48 offset1:49
	ds_write2_b32 v59, v14, v15 offset0:50 offset1:51
	ds_write2_b32 v59, v8, v9 offset0:52 offset1:53
.LBB106_707:
	s_or_b64 exec, exec, s[0:1]
	v_cmp_lt_i32_e32 vcc, 41, v65
	s_waitcnt lgkmcnt(0)
	s_barrier
	s_and_saveexec_b64 s[0:1], vcc
	s_cbranch_execz .LBB106_709
; %bb.708:
	ds_read2_b32 v[66:67], v59 offset0:42 offset1:43
	v_mul_f32_e32 v62, v64, v31
	v_mov_b32_e32 v31, v62
	s_waitcnt lgkmcnt(0)
	v_pk_fma_f32 v[22:23], v[62:63], v[66:67], v[22:23] op_sel_hi:[0,1,1] neg_lo:[1,0,0] neg_hi:[1,0,0]
	ds_read2_b32 v[66:67], v59 offset0:44 offset1:45
	s_waitcnt lgkmcnt(0)
	v_pk_fma_f32 v[16:17], v[62:63], v[66:67], v[16:17] op_sel_hi:[0,1,1] neg_lo:[1,0,0] neg_hi:[1,0,0]
	ds_read2_b32 v[66:67], v59 offset0:46 offset1:47
	;; [unrolled: 3-line block ×5, first 2 shown]
	s_waitcnt lgkmcnt(0)
	v_pk_fma_f32 v[8:9], v[62:63], v[66:67], v[8:9] op_sel_hi:[0,1,1] neg_lo:[1,0,0] neg_hi:[1,0,0]
.LBB106_709:
	s_or_b64 exec, exec, s[0:1]
	v_lshl_add_u32 v62, v65, 2, v59
	s_barrier
	ds_write_b32 v62, v22
	s_waitcnt lgkmcnt(0)
	s_barrier
	ds_read_b32 v64, v59 offset:168
	s_cmp_lt_i32 s22, 44
	v_mov_b32_e32 v62, 42
	s_cbranch_scc1 .LBB106_712
; %bb.710:
	v_add_u32_e32 v66, 0xac, v59
	v_mov_b32_e32 v62, 42
	s_mov_b32 s0, 43
.LBB106_711:                            ; =>This Inner Loop Header: Depth=1
	ds_read_b32 v67, v66
	v_mov_b32_e32 v68, s0
	s_add_i32 s0, s0, 1
	v_add_u32_e32 v66, 4, v66
	s_cmp_lg_u32 s22, s0
	s_waitcnt lgkmcnt(0)
	v_cmp_lt_f32_e64 vcc, |v64|, |v67|
	s_nop 1
	v_cndmask_b32_e32 v64, v64, v67, vcc
	v_cndmask_b32_e32 v62, v62, v68, vcc
	s_cbranch_scc1 .LBB106_711
.LBB106_712:
	s_waitcnt lgkmcnt(0)
	v_cmp_eq_f32_e32 vcc, 0, v64
	s_and_saveexec_b64 s[0:1], vcc
	s_xor_b64 s[0:1], exec, s[0:1]
; %bb.713:
	v_cmp_ne_u32_e32 vcc, 0, v61
	s_nop 1
	v_cndmask_b32_e32 v61, 43, v61, vcc
; %bb.714:
	s_andn2_saveexec_b64 s[0:1], s[0:1]
	s_cbranch_execz .LBB106_716
; %bb.715:
	v_div_scale_f32 v66, s[2:3], v64, v64, 1.0
	v_rcp_f32_e32 v67, v66
	v_div_scale_f32 v68, vcc, 1.0, v64, 1.0
	v_fma_f32 v69, -v66, v67, 1.0
	v_fmac_f32_e32 v67, v69, v67
	v_mul_f32_e32 v69, v68, v67
	v_fma_f32 v70, -v66, v69, v68
	v_fmac_f32_e32 v69, v70, v67
	v_fma_f32 v66, -v66, v69, v68
	v_div_fmas_f32 v66, v66, v67, v69
	v_div_fixup_f32 v64, v66, v64, 1.0
.LBB106_716:
	s_or_b64 exec, exec, s[0:1]
	v_cmp_ne_u32_e32 vcc, v65, v62
	s_and_saveexec_b64 s[0:1], vcc
	s_xor_b64 s[0:1], exec, s[0:1]
	s_cbranch_execz .LBB106_722
; %bb.717:
	v_cmp_eq_u32_e32 vcc, 42, v65
	s_and_saveexec_b64 s[2:3], vcc
	s_cbranch_execz .LBB106_721
; %bb.718:
	v_cmp_ne_u32_e32 vcc, 42, v62
	s_xor_b64 s[12:13], s[20:21], -1
	s_and_b64 s[14:15], s[12:13], vcc
	s_and_saveexec_b64 s[12:13], s[14:15]
	s_cbranch_execz .LBB106_720
; %bb.719:
	v_ashrrev_i32_e32 v63, 31, v62
	v_lshl_add_u64 v[66:67], v[62:63], 2, v[4:5]
	global_load_dword v63, v[66:67], off
	global_load_dword v65, v[4:5], off offset:168
	s_waitcnt vmcnt(1)
	global_store_dword v[4:5], v63, off offset:168
	s_waitcnt vmcnt(1)
	global_store_dword v[66:67], v65, off
.LBB106_720:
	s_or_b64 exec, exec, s[12:13]
	v_mov_b32_e32 v63, v62
	v_mov_b32_e32 v65, v62
.LBB106_721:
	s_or_b64 exec, exec, s[2:3]
.LBB106_722:
	s_andn2_saveexec_b64 s[0:1], s[0:1]
	s_cbranch_execz .LBB106_724
; %bb.723:
	v_pk_mov_b32 v[66:67], v[22:23], v[16:17] op_sel:[1,0]
	ds_write2_b32 v59, v66, v67 offset0:43 offset1:44
	v_pk_mov_b32 v[66:67], v[16:17], v[10:11] op_sel:[1,0]
	ds_write2_b32 v59, v66, v67 offset0:45 offset1:46
	v_pk_mov_b32 v[66:67], v[10:11], v[0:1] op_sel:[1,0]
	ds_write2_b32 v59, v66, v67 offset0:47 offset1:48
	v_pk_mov_b32 v[66:67], v[0:1], v[14:15] op_sel:[1,0]
	ds_write2_b32 v59, v66, v67 offset0:49 offset1:50
	v_pk_mov_b32 v[66:67], v[14:15], v[8:9] op_sel:[1,0]
	v_mov_b32_e32 v65, 42
	ds_write2_b32 v59, v66, v67 offset0:51 offset1:52
	ds_write_b32 v59, v9 offset:212
.LBB106_724:
	s_or_b64 exec, exec, s[0:1]
	v_cmp_lt_i32_e32 vcc, 42, v65
	s_waitcnt lgkmcnt(0)
	s_barrier
	s_and_saveexec_b64 s[0:1], vcc
	s_cbranch_execz .LBB106_726
; %bb.725:
	ds_read_b32 v62, v59 offset:172
	ds_read2_b32 v[66:67], v59 offset0:44 offset1:45
	v_mul_f32_e32 v22, v64, v22
	s_waitcnt lgkmcnt(1)
	v_fma_f32 v23, -v22, v62, v23
	s_waitcnt lgkmcnt(0)
	v_pk_fma_f32 v[16:17], v[22:23], v[66:67], v[16:17] op_sel_hi:[0,1,1] neg_lo:[1,0,0] neg_hi:[1,0,0]
	ds_read2_b32 v[66:67], v59 offset0:46 offset1:47
	s_waitcnt lgkmcnt(0)
	v_pk_fma_f32 v[10:11], v[22:23], v[66:67], v[10:11] op_sel_hi:[0,1,1] neg_lo:[1,0,0] neg_hi:[1,0,0]
	ds_read2_b32 v[66:67], v59 offset0:48 offset1:49
	;; [unrolled: 3-line block ×4, first 2 shown]
	s_waitcnt lgkmcnt(0)
	v_pk_fma_f32 v[8:9], v[22:23], v[66:67], v[8:9] op_sel_hi:[0,1,1] neg_lo:[1,0,0] neg_hi:[1,0,0]
.LBB106_726:
	s_or_b64 exec, exec, s[0:1]
	v_lshl_add_u32 v62, v65, 2, v59
	s_barrier
	ds_write_b32 v62, v23
	s_waitcnt lgkmcnt(0)
	s_barrier
	ds_read_b32 v64, v59 offset:172
	s_cmp_lt_i32 s22, 45
	v_mov_b32_e32 v62, 43
	s_cbranch_scc1 .LBB106_729
; %bb.727:
	v_add_u32_e32 v66, 0xb0, v59
	v_mov_b32_e32 v62, 43
	s_mov_b32 s0, 44
.LBB106_728:                            ; =>This Inner Loop Header: Depth=1
	ds_read_b32 v67, v66
	v_mov_b32_e32 v68, s0
	s_add_i32 s0, s0, 1
	v_add_u32_e32 v66, 4, v66
	s_cmp_lg_u32 s22, s0
	s_waitcnt lgkmcnt(0)
	v_cmp_lt_f32_e64 vcc, |v64|, |v67|
	s_nop 1
	v_cndmask_b32_e32 v64, v64, v67, vcc
	v_cndmask_b32_e32 v62, v62, v68, vcc
	s_cbranch_scc1 .LBB106_728
.LBB106_729:
	s_waitcnt lgkmcnt(0)
	v_cmp_eq_f32_e32 vcc, 0, v64
	s_and_saveexec_b64 s[0:1], vcc
	s_xor_b64 s[0:1], exec, s[0:1]
; %bb.730:
	v_cmp_ne_u32_e32 vcc, 0, v61
	s_nop 1
	v_cndmask_b32_e32 v61, 44, v61, vcc
; %bb.731:
	s_andn2_saveexec_b64 s[0:1], s[0:1]
	s_cbranch_execz .LBB106_733
; %bb.732:
	v_div_scale_f32 v66, s[2:3], v64, v64, 1.0
	v_rcp_f32_e32 v67, v66
	v_div_scale_f32 v68, vcc, 1.0, v64, 1.0
	v_fma_f32 v69, -v66, v67, 1.0
	v_fmac_f32_e32 v67, v69, v67
	v_mul_f32_e32 v69, v68, v67
	v_fma_f32 v70, -v66, v69, v68
	v_fmac_f32_e32 v69, v70, v67
	v_fma_f32 v66, -v66, v69, v68
	v_div_fmas_f32 v66, v66, v67, v69
	v_div_fixup_f32 v64, v66, v64, 1.0
.LBB106_733:
	s_or_b64 exec, exec, s[0:1]
	v_cmp_ne_u32_e32 vcc, v65, v62
	s_and_saveexec_b64 s[0:1], vcc
	s_xor_b64 s[0:1], exec, s[0:1]
	s_cbranch_execz .LBB106_739
; %bb.734:
	v_cmp_eq_u32_e32 vcc, 43, v65
	s_and_saveexec_b64 s[2:3], vcc
	s_cbranch_execz .LBB106_738
; %bb.735:
	v_cmp_ne_u32_e32 vcc, 43, v62
	s_xor_b64 s[12:13], s[20:21], -1
	s_and_b64 s[14:15], s[12:13], vcc
	s_and_saveexec_b64 s[12:13], s[14:15]
	s_cbranch_execz .LBB106_737
; %bb.736:
	v_ashrrev_i32_e32 v63, 31, v62
	v_lshl_add_u64 v[66:67], v[62:63], 2, v[4:5]
	global_load_dword v63, v[66:67], off
	global_load_dword v65, v[4:5], off offset:172
	s_waitcnt vmcnt(1)
	global_store_dword v[4:5], v63, off offset:172
	s_waitcnt vmcnt(1)
	global_store_dword v[66:67], v65, off
.LBB106_737:
	s_or_b64 exec, exec, s[12:13]
	v_mov_b32_e32 v63, v62
	v_mov_b32_e32 v65, v62
.LBB106_738:
	s_or_b64 exec, exec, s[2:3]
.LBB106_739:
	s_andn2_saveexec_b64 s[0:1], s[0:1]
	s_cbranch_execz .LBB106_741
; %bb.740:
	v_mov_b32_e32 v65, 43
	ds_write2_b32 v59, v16, v17 offset0:44 offset1:45
	ds_write2_b32 v59, v10, v11 offset0:46 offset1:47
	;; [unrolled: 1-line block ×5, first 2 shown]
.LBB106_741:
	s_or_b64 exec, exec, s[0:1]
	v_cmp_lt_i32_e32 vcc, 43, v65
	s_waitcnt lgkmcnt(0)
	s_barrier
	s_and_saveexec_b64 s[0:1], vcc
	s_cbranch_execz .LBB106_743
; %bb.742:
	ds_read2_b32 v[66:67], v59 offset0:44 offset1:45
	v_mul_f32_e32 v62, v64, v23
	v_mov_b32_e32 v23, v62
	s_waitcnt lgkmcnt(0)
	v_pk_fma_f32 v[16:17], v[62:63], v[66:67], v[16:17] op_sel_hi:[0,1,1] neg_lo:[1,0,0] neg_hi:[1,0,0]
	ds_read2_b32 v[66:67], v59 offset0:46 offset1:47
	s_waitcnt lgkmcnt(0)
	v_pk_fma_f32 v[10:11], v[62:63], v[66:67], v[10:11] op_sel_hi:[0,1,1] neg_lo:[1,0,0] neg_hi:[1,0,0]
	ds_read2_b32 v[66:67], v59 offset0:48 offset1:49
	s_waitcnt lgkmcnt(0)
	v_pk_fma_f32 v[0:1], v[62:63], v[66:67], v[0:1] op_sel_hi:[0,1,1] neg_lo:[1,0,0] neg_hi:[1,0,0]
	ds_read2_b32 v[66:67], v59 offset0:50 offset1:51
	s_waitcnt lgkmcnt(0)
	v_pk_fma_f32 v[14:15], v[62:63], v[66:67], v[14:15] op_sel_hi:[0,1,1] neg_lo:[1,0,0] neg_hi:[1,0,0]
	ds_read2_b32 v[66:67], v59 offset0:52 offset1:53
	s_waitcnt lgkmcnt(0)
	v_pk_fma_f32 v[8:9], v[62:63], v[66:67], v[8:9] op_sel_hi:[0,1,1] neg_lo:[1,0,0] neg_hi:[1,0,0]
.LBB106_743:
	s_or_b64 exec, exec, s[0:1]
	v_lshl_add_u32 v62, v65, 2, v59
	s_barrier
	ds_write_b32 v62, v16
	s_waitcnt lgkmcnt(0)
	s_barrier
	ds_read_b32 v64, v59 offset:176
	s_cmp_lt_i32 s22, 46
	v_mov_b32_e32 v62, 44
	s_cbranch_scc1 .LBB106_746
; %bb.744:
	v_add_u32_e32 v66, 0xb4, v59
	v_mov_b32_e32 v62, 44
	s_mov_b32 s0, 45
.LBB106_745:                            ; =>This Inner Loop Header: Depth=1
	ds_read_b32 v67, v66
	v_mov_b32_e32 v68, s0
	s_add_i32 s0, s0, 1
	v_add_u32_e32 v66, 4, v66
	s_cmp_lg_u32 s22, s0
	s_waitcnt lgkmcnt(0)
	v_cmp_lt_f32_e64 vcc, |v64|, |v67|
	s_nop 1
	v_cndmask_b32_e32 v64, v64, v67, vcc
	v_cndmask_b32_e32 v62, v62, v68, vcc
	s_cbranch_scc1 .LBB106_745
.LBB106_746:
	s_waitcnt lgkmcnt(0)
	v_cmp_eq_f32_e32 vcc, 0, v64
	s_and_saveexec_b64 s[0:1], vcc
	s_xor_b64 s[0:1], exec, s[0:1]
; %bb.747:
	v_cmp_ne_u32_e32 vcc, 0, v61
	s_nop 1
	v_cndmask_b32_e32 v61, 45, v61, vcc
; %bb.748:
	s_andn2_saveexec_b64 s[0:1], s[0:1]
	s_cbranch_execz .LBB106_750
; %bb.749:
	v_div_scale_f32 v66, s[2:3], v64, v64, 1.0
	v_rcp_f32_e32 v67, v66
	v_div_scale_f32 v68, vcc, 1.0, v64, 1.0
	v_fma_f32 v69, -v66, v67, 1.0
	v_fmac_f32_e32 v67, v69, v67
	v_mul_f32_e32 v69, v68, v67
	v_fma_f32 v70, -v66, v69, v68
	v_fmac_f32_e32 v69, v70, v67
	v_fma_f32 v66, -v66, v69, v68
	v_div_fmas_f32 v66, v66, v67, v69
	v_div_fixup_f32 v64, v66, v64, 1.0
.LBB106_750:
	s_or_b64 exec, exec, s[0:1]
	v_cmp_ne_u32_e32 vcc, v65, v62
	s_and_saveexec_b64 s[0:1], vcc
	s_xor_b64 s[0:1], exec, s[0:1]
	s_cbranch_execz .LBB106_756
; %bb.751:
	v_cmp_eq_u32_e32 vcc, 44, v65
	s_and_saveexec_b64 s[2:3], vcc
	s_cbranch_execz .LBB106_755
; %bb.752:
	v_cmp_ne_u32_e32 vcc, 44, v62
	s_xor_b64 s[12:13], s[20:21], -1
	s_and_b64 s[14:15], s[12:13], vcc
	s_and_saveexec_b64 s[12:13], s[14:15]
	s_cbranch_execz .LBB106_754
; %bb.753:
	v_ashrrev_i32_e32 v63, 31, v62
	v_lshl_add_u64 v[66:67], v[62:63], 2, v[4:5]
	global_load_dword v63, v[66:67], off
	global_load_dword v65, v[4:5], off offset:176
	s_waitcnt vmcnt(1)
	global_store_dword v[4:5], v63, off offset:176
	s_waitcnt vmcnt(1)
	global_store_dword v[66:67], v65, off
.LBB106_754:
	s_or_b64 exec, exec, s[12:13]
	v_mov_b32_e32 v63, v62
	v_mov_b32_e32 v65, v62
.LBB106_755:
	s_or_b64 exec, exec, s[2:3]
.LBB106_756:
	s_andn2_saveexec_b64 s[0:1], s[0:1]
	s_cbranch_execz .LBB106_758
; %bb.757:
	v_pk_mov_b32 v[66:67], v[16:17], v[10:11] op_sel:[1,0]
	ds_write2_b32 v59, v66, v67 offset0:45 offset1:46
	v_pk_mov_b32 v[66:67], v[10:11], v[0:1] op_sel:[1,0]
	ds_write2_b32 v59, v66, v67 offset0:47 offset1:48
	;; [unrolled: 2-line block ×3, first 2 shown]
	v_pk_mov_b32 v[66:67], v[14:15], v[8:9] op_sel:[1,0]
	v_mov_b32_e32 v65, 44
	ds_write2_b32 v59, v66, v67 offset0:51 offset1:52
	ds_write_b32 v59, v9 offset:212
.LBB106_758:
	s_or_b64 exec, exec, s[0:1]
	v_cmp_lt_i32_e32 vcc, 44, v65
	s_waitcnt lgkmcnt(0)
	s_barrier
	s_and_saveexec_b64 s[0:1], vcc
	s_cbranch_execz .LBB106_760
; %bb.759:
	ds_read_b32 v62, v59 offset:180
	ds_read2_b32 v[66:67], v59 offset0:46 offset1:47
	v_mul_f32_e32 v16, v64, v16
	s_waitcnt lgkmcnt(1)
	v_fma_f32 v17, -v16, v62, v17
	s_waitcnt lgkmcnt(0)
	v_pk_fma_f32 v[10:11], v[16:17], v[66:67], v[10:11] op_sel_hi:[0,1,1] neg_lo:[1,0,0] neg_hi:[1,0,0]
	ds_read2_b32 v[66:67], v59 offset0:48 offset1:49
	s_waitcnt lgkmcnt(0)
	v_pk_fma_f32 v[0:1], v[16:17], v[66:67], v[0:1] op_sel_hi:[0,1,1] neg_lo:[1,0,0] neg_hi:[1,0,0]
	ds_read2_b32 v[66:67], v59 offset0:50 offset1:51
	s_waitcnt lgkmcnt(0)
	v_pk_fma_f32 v[14:15], v[16:17], v[66:67], v[14:15] op_sel_hi:[0,1,1] neg_lo:[1,0,0] neg_hi:[1,0,0]
	ds_read2_b32 v[66:67], v59 offset0:52 offset1:53
	s_waitcnt lgkmcnt(0)
	v_pk_fma_f32 v[8:9], v[16:17], v[66:67], v[8:9] op_sel_hi:[0,1,1] neg_lo:[1,0,0] neg_hi:[1,0,0]
.LBB106_760:
	s_or_b64 exec, exec, s[0:1]
	v_lshl_add_u32 v62, v65, 2, v59
	s_barrier
	ds_write_b32 v62, v17
	s_waitcnt lgkmcnt(0)
	s_barrier
	ds_read_b32 v64, v59 offset:180
	s_cmp_lt_i32 s22, 47
	v_mov_b32_e32 v62, 45
	s_cbranch_scc1 .LBB106_763
; %bb.761:
	v_add_u32_e32 v66, 0xb8, v59
	v_mov_b32_e32 v62, 45
	s_mov_b32 s0, 46
.LBB106_762:                            ; =>This Inner Loop Header: Depth=1
	ds_read_b32 v67, v66
	v_mov_b32_e32 v68, s0
	s_add_i32 s0, s0, 1
	v_add_u32_e32 v66, 4, v66
	s_cmp_lg_u32 s22, s0
	s_waitcnt lgkmcnt(0)
	v_cmp_lt_f32_e64 vcc, |v64|, |v67|
	s_nop 1
	v_cndmask_b32_e32 v64, v64, v67, vcc
	v_cndmask_b32_e32 v62, v62, v68, vcc
	s_cbranch_scc1 .LBB106_762
.LBB106_763:
	s_waitcnt lgkmcnt(0)
	v_cmp_eq_f32_e32 vcc, 0, v64
	s_and_saveexec_b64 s[0:1], vcc
	s_xor_b64 s[0:1], exec, s[0:1]
; %bb.764:
	v_cmp_ne_u32_e32 vcc, 0, v61
	s_nop 1
	v_cndmask_b32_e32 v61, 46, v61, vcc
; %bb.765:
	s_andn2_saveexec_b64 s[0:1], s[0:1]
	s_cbranch_execz .LBB106_767
; %bb.766:
	v_div_scale_f32 v66, s[2:3], v64, v64, 1.0
	v_rcp_f32_e32 v67, v66
	v_div_scale_f32 v68, vcc, 1.0, v64, 1.0
	v_fma_f32 v69, -v66, v67, 1.0
	v_fmac_f32_e32 v67, v69, v67
	v_mul_f32_e32 v69, v68, v67
	v_fma_f32 v70, -v66, v69, v68
	v_fmac_f32_e32 v69, v70, v67
	v_fma_f32 v66, -v66, v69, v68
	v_div_fmas_f32 v66, v66, v67, v69
	v_div_fixup_f32 v64, v66, v64, 1.0
.LBB106_767:
	s_or_b64 exec, exec, s[0:1]
	v_cmp_ne_u32_e32 vcc, v65, v62
	s_and_saveexec_b64 s[0:1], vcc
	s_xor_b64 s[0:1], exec, s[0:1]
	s_cbranch_execz .LBB106_773
; %bb.768:
	v_cmp_eq_u32_e32 vcc, 45, v65
	s_and_saveexec_b64 s[2:3], vcc
	s_cbranch_execz .LBB106_772
; %bb.769:
	v_cmp_ne_u32_e32 vcc, 45, v62
	s_xor_b64 s[12:13], s[20:21], -1
	s_and_b64 s[14:15], s[12:13], vcc
	s_and_saveexec_b64 s[12:13], s[14:15]
	s_cbranch_execz .LBB106_771
; %bb.770:
	v_ashrrev_i32_e32 v63, 31, v62
	v_lshl_add_u64 v[66:67], v[62:63], 2, v[4:5]
	global_load_dword v63, v[66:67], off
	global_load_dword v65, v[4:5], off offset:180
	s_waitcnt vmcnt(1)
	global_store_dword v[4:5], v63, off offset:180
	s_waitcnt vmcnt(1)
	global_store_dword v[66:67], v65, off
.LBB106_771:
	s_or_b64 exec, exec, s[12:13]
	v_mov_b32_e32 v63, v62
	v_mov_b32_e32 v65, v62
.LBB106_772:
	s_or_b64 exec, exec, s[2:3]
.LBB106_773:
	s_andn2_saveexec_b64 s[0:1], s[0:1]
	s_cbranch_execz .LBB106_775
; %bb.774:
	v_mov_b32_e32 v65, 45
	ds_write2_b32 v59, v10, v11 offset0:46 offset1:47
	ds_write2_b32 v59, v0, v1 offset0:48 offset1:49
	;; [unrolled: 1-line block ×4, first 2 shown]
.LBB106_775:
	s_or_b64 exec, exec, s[0:1]
	v_cmp_lt_i32_e32 vcc, 45, v65
	s_waitcnt lgkmcnt(0)
	s_barrier
	s_and_saveexec_b64 s[0:1], vcc
	s_cbranch_execz .LBB106_777
; %bb.776:
	ds_read2_b32 v[66:67], v59 offset0:46 offset1:47
	v_mul_f32_e32 v62, v64, v17
	v_mov_b32_e32 v17, v62
	s_waitcnt lgkmcnt(0)
	v_pk_fma_f32 v[10:11], v[62:63], v[66:67], v[10:11] op_sel_hi:[0,1,1] neg_lo:[1,0,0] neg_hi:[1,0,0]
	ds_read2_b32 v[66:67], v59 offset0:48 offset1:49
	s_waitcnt lgkmcnt(0)
	v_pk_fma_f32 v[0:1], v[62:63], v[66:67], v[0:1] op_sel_hi:[0,1,1] neg_lo:[1,0,0] neg_hi:[1,0,0]
	ds_read2_b32 v[66:67], v59 offset0:50 offset1:51
	;; [unrolled: 3-line block ×3, first 2 shown]
	s_waitcnt lgkmcnt(0)
	v_pk_fma_f32 v[8:9], v[62:63], v[66:67], v[8:9] op_sel_hi:[0,1,1] neg_lo:[1,0,0] neg_hi:[1,0,0]
.LBB106_777:
	s_or_b64 exec, exec, s[0:1]
	v_lshl_add_u32 v62, v65, 2, v59
	s_barrier
	ds_write_b32 v62, v10
	s_waitcnt lgkmcnt(0)
	s_barrier
	ds_read_b32 v64, v59 offset:184
	s_cmp_lt_i32 s22, 48
	v_mov_b32_e32 v62, 46
	s_cbranch_scc1 .LBB106_780
; %bb.778:
	v_add_u32_e32 v66, 0xbc, v59
	v_mov_b32_e32 v62, 46
	s_mov_b32 s0, 47
.LBB106_779:                            ; =>This Inner Loop Header: Depth=1
	ds_read_b32 v67, v66
	v_mov_b32_e32 v68, s0
	s_add_i32 s0, s0, 1
	v_add_u32_e32 v66, 4, v66
	s_cmp_lg_u32 s22, s0
	s_waitcnt lgkmcnt(0)
	v_cmp_lt_f32_e64 vcc, |v64|, |v67|
	s_nop 1
	v_cndmask_b32_e32 v64, v64, v67, vcc
	v_cndmask_b32_e32 v62, v62, v68, vcc
	s_cbranch_scc1 .LBB106_779
.LBB106_780:
	s_waitcnt lgkmcnt(0)
	v_cmp_eq_f32_e32 vcc, 0, v64
	s_and_saveexec_b64 s[0:1], vcc
	s_xor_b64 s[0:1], exec, s[0:1]
; %bb.781:
	v_cmp_ne_u32_e32 vcc, 0, v61
	s_nop 1
	v_cndmask_b32_e32 v61, 47, v61, vcc
; %bb.782:
	s_andn2_saveexec_b64 s[0:1], s[0:1]
	s_cbranch_execz .LBB106_784
; %bb.783:
	v_div_scale_f32 v66, s[2:3], v64, v64, 1.0
	v_rcp_f32_e32 v67, v66
	v_div_scale_f32 v68, vcc, 1.0, v64, 1.0
	v_fma_f32 v69, -v66, v67, 1.0
	v_fmac_f32_e32 v67, v69, v67
	v_mul_f32_e32 v69, v68, v67
	v_fma_f32 v70, -v66, v69, v68
	v_fmac_f32_e32 v69, v70, v67
	v_fma_f32 v66, -v66, v69, v68
	v_div_fmas_f32 v66, v66, v67, v69
	v_div_fixup_f32 v64, v66, v64, 1.0
.LBB106_784:
	s_or_b64 exec, exec, s[0:1]
	v_cmp_ne_u32_e32 vcc, v65, v62
	s_and_saveexec_b64 s[0:1], vcc
	s_xor_b64 s[0:1], exec, s[0:1]
	s_cbranch_execz .LBB106_790
; %bb.785:
	v_cmp_eq_u32_e32 vcc, 46, v65
	s_and_saveexec_b64 s[2:3], vcc
	s_cbranch_execz .LBB106_789
; %bb.786:
	v_cmp_ne_u32_e32 vcc, 46, v62
	s_xor_b64 s[12:13], s[20:21], -1
	s_and_b64 s[14:15], s[12:13], vcc
	s_and_saveexec_b64 s[12:13], s[14:15]
	s_cbranch_execz .LBB106_788
; %bb.787:
	v_ashrrev_i32_e32 v63, 31, v62
	v_lshl_add_u64 v[66:67], v[62:63], 2, v[4:5]
	global_load_dword v63, v[66:67], off
	global_load_dword v65, v[4:5], off offset:184
	s_waitcnt vmcnt(1)
	global_store_dword v[4:5], v63, off offset:184
	s_waitcnt vmcnt(1)
	global_store_dword v[66:67], v65, off
.LBB106_788:
	s_or_b64 exec, exec, s[12:13]
	v_mov_b32_e32 v63, v62
	v_mov_b32_e32 v65, v62
.LBB106_789:
	s_or_b64 exec, exec, s[2:3]
.LBB106_790:
	s_andn2_saveexec_b64 s[0:1], s[0:1]
	s_cbranch_execz .LBB106_792
; %bb.791:
	v_pk_mov_b32 v[66:67], v[10:11], v[0:1] op_sel:[1,0]
	ds_write2_b32 v59, v66, v67 offset0:47 offset1:48
	v_pk_mov_b32 v[66:67], v[0:1], v[14:15] op_sel:[1,0]
	ds_write2_b32 v59, v66, v67 offset0:49 offset1:50
	v_pk_mov_b32 v[66:67], v[14:15], v[8:9] op_sel:[1,0]
	v_mov_b32_e32 v65, 46
	ds_write2_b32 v59, v66, v67 offset0:51 offset1:52
	ds_write_b32 v59, v9 offset:212
.LBB106_792:
	s_or_b64 exec, exec, s[0:1]
	v_cmp_lt_i32_e32 vcc, 46, v65
	s_waitcnt lgkmcnt(0)
	s_barrier
	s_and_saveexec_b64 s[0:1], vcc
	s_cbranch_execz .LBB106_794
; %bb.793:
	ds_read_b32 v62, v59 offset:188
	ds_read2_b32 v[66:67], v59 offset0:48 offset1:49
	ds_read2_b32 v[68:69], v59 offset0:50 offset1:51
	;; [unrolled: 1-line block ×3, first 2 shown]
	v_mul_f32_e32 v10, v64, v10
	s_waitcnt lgkmcnt(3)
	v_fma_f32 v11, -v10, v62, v11
	s_waitcnt lgkmcnt(2)
	v_pk_fma_f32 v[0:1], v[10:11], v[66:67], v[0:1] op_sel_hi:[0,1,1] neg_lo:[1,0,0] neg_hi:[1,0,0]
	s_waitcnt lgkmcnt(1)
	v_pk_fma_f32 v[14:15], v[10:11], v[68:69], v[14:15] op_sel_hi:[0,1,1] neg_lo:[1,0,0] neg_hi:[1,0,0]
	;; [unrolled: 2-line block ×3, first 2 shown]
.LBB106_794:
	s_or_b64 exec, exec, s[0:1]
	v_lshl_add_u32 v62, v65, 2, v59
	s_barrier
	ds_write_b32 v62, v11
	s_waitcnt lgkmcnt(0)
	s_barrier
	ds_read_b32 v64, v59 offset:188
	s_cmp_lt_i32 s22, 49
	v_mov_b32_e32 v62, 47
	s_cbranch_scc1 .LBB106_797
; %bb.795:
	v_add_u32_e32 v66, 0xc0, v59
	v_mov_b32_e32 v62, 47
	s_mov_b32 s0, 48
.LBB106_796:                            ; =>This Inner Loop Header: Depth=1
	ds_read_b32 v67, v66
	v_mov_b32_e32 v68, s0
	s_add_i32 s0, s0, 1
	v_add_u32_e32 v66, 4, v66
	s_cmp_lg_u32 s22, s0
	s_waitcnt lgkmcnt(0)
	v_cmp_lt_f32_e64 vcc, |v64|, |v67|
	s_nop 1
	v_cndmask_b32_e32 v64, v64, v67, vcc
	v_cndmask_b32_e32 v62, v62, v68, vcc
	s_cbranch_scc1 .LBB106_796
.LBB106_797:
	s_waitcnt lgkmcnt(0)
	v_cmp_eq_f32_e32 vcc, 0, v64
	s_and_saveexec_b64 s[0:1], vcc
	s_xor_b64 s[0:1], exec, s[0:1]
; %bb.798:
	v_cmp_ne_u32_e32 vcc, 0, v61
	s_nop 1
	v_cndmask_b32_e32 v61, 48, v61, vcc
; %bb.799:
	s_andn2_saveexec_b64 s[0:1], s[0:1]
	s_cbranch_execz .LBB106_801
; %bb.800:
	v_div_scale_f32 v66, s[2:3], v64, v64, 1.0
	v_rcp_f32_e32 v67, v66
	v_div_scale_f32 v68, vcc, 1.0, v64, 1.0
	v_fma_f32 v69, -v66, v67, 1.0
	v_fmac_f32_e32 v67, v69, v67
	v_mul_f32_e32 v69, v68, v67
	v_fma_f32 v70, -v66, v69, v68
	v_fmac_f32_e32 v69, v70, v67
	v_fma_f32 v66, -v66, v69, v68
	v_div_fmas_f32 v66, v66, v67, v69
	v_div_fixup_f32 v64, v66, v64, 1.0
.LBB106_801:
	s_or_b64 exec, exec, s[0:1]
	v_cmp_ne_u32_e32 vcc, v65, v62
	s_and_saveexec_b64 s[0:1], vcc
	s_xor_b64 s[0:1], exec, s[0:1]
	s_cbranch_execz .LBB106_807
; %bb.802:
	v_cmp_eq_u32_e32 vcc, 47, v65
	s_and_saveexec_b64 s[2:3], vcc
	s_cbranch_execz .LBB106_806
; %bb.803:
	v_cmp_ne_u32_e32 vcc, 47, v62
	s_xor_b64 s[12:13], s[20:21], -1
	s_and_b64 s[14:15], s[12:13], vcc
	s_and_saveexec_b64 s[12:13], s[14:15]
	s_cbranch_execz .LBB106_805
; %bb.804:
	v_ashrrev_i32_e32 v63, 31, v62
	v_lshl_add_u64 v[66:67], v[62:63], 2, v[4:5]
	global_load_dword v63, v[66:67], off
	global_load_dword v65, v[4:5], off offset:188
	s_waitcnt vmcnt(1)
	global_store_dword v[4:5], v63, off offset:188
	s_waitcnt vmcnt(1)
	global_store_dword v[66:67], v65, off
.LBB106_805:
	s_or_b64 exec, exec, s[12:13]
	v_mov_b32_e32 v63, v62
	v_mov_b32_e32 v65, v62
.LBB106_806:
	s_or_b64 exec, exec, s[2:3]
.LBB106_807:
	s_andn2_saveexec_b64 s[0:1], s[0:1]
	s_cbranch_execz .LBB106_809
; %bb.808:
	v_mov_b32_e32 v65, 47
	ds_write2_b32 v59, v0, v1 offset0:48 offset1:49
	ds_write2_b32 v59, v14, v15 offset0:50 offset1:51
	;; [unrolled: 1-line block ×3, first 2 shown]
.LBB106_809:
	s_or_b64 exec, exec, s[0:1]
	v_cmp_lt_i32_e32 vcc, 47, v65
	s_waitcnt lgkmcnt(0)
	s_barrier
	s_and_saveexec_b64 s[0:1], vcc
	s_cbranch_execz .LBB106_811
; %bb.810:
	ds_read2_b32 v[66:67], v59 offset0:48 offset1:49
	ds_read2_b32 v[68:69], v59 offset0:50 offset1:51
	;; [unrolled: 1-line block ×3, first 2 shown]
	v_mul_f32_e32 v62, v64, v11
	v_mov_b32_e32 v11, v62
	s_waitcnt lgkmcnt(2)
	v_pk_fma_f32 v[0:1], v[62:63], v[66:67], v[0:1] op_sel_hi:[0,1,1] neg_lo:[1,0,0] neg_hi:[1,0,0]
	s_waitcnt lgkmcnt(1)
	v_pk_fma_f32 v[14:15], v[62:63], v[68:69], v[14:15] op_sel_hi:[0,1,1] neg_lo:[1,0,0] neg_hi:[1,0,0]
	;; [unrolled: 2-line block ×3, first 2 shown]
.LBB106_811:
	s_or_b64 exec, exec, s[0:1]
	v_lshl_add_u32 v62, v65, 2, v59
	s_barrier
	ds_write_b32 v62, v0
	s_waitcnt lgkmcnt(0)
	s_barrier
	ds_read_b32 v64, v59 offset:192
	s_cmp_lt_i32 s22, 50
	v_mov_b32_e32 v62, 48
	s_cbranch_scc1 .LBB106_814
; %bb.812:
	v_add_u32_e32 v66, 0xc4, v59
	v_mov_b32_e32 v62, 48
	s_mov_b32 s0, 49
.LBB106_813:                            ; =>This Inner Loop Header: Depth=1
	ds_read_b32 v67, v66
	v_mov_b32_e32 v68, s0
	s_add_i32 s0, s0, 1
	v_add_u32_e32 v66, 4, v66
	s_cmp_lg_u32 s22, s0
	s_waitcnt lgkmcnt(0)
	v_cmp_lt_f32_e64 vcc, |v64|, |v67|
	s_nop 1
	v_cndmask_b32_e32 v64, v64, v67, vcc
	v_cndmask_b32_e32 v62, v62, v68, vcc
	s_cbranch_scc1 .LBB106_813
.LBB106_814:
	s_waitcnt lgkmcnt(0)
	v_cmp_eq_f32_e32 vcc, 0, v64
	s_and_saveexec_b64 s[0:1], vcc
	s_xor_b64 s[0:1], exec, s[0:1]
; %bb.815:
	v_cmp_ne_u32_e32 vcc, 0, v61
	s_nop 1
	v_cndmask_b32_e32 v61, 49, v61, vcc
; %bb.816:
	s_andn2_saveexec_b64 s[0:1], s[0:1]
	s_cbranch_execz .LBB106_818
; %bb.817:
	v_div_scale_f32 v66, s[2:3], v64, v64, 1.0
	v_rcp_f32_e32 v67, v66
	v_div_scale_f32 v68, vcc, 1.0, v64, 1.0
	v_fma_f32 v69, -v66, v67, 1.0
	v_fmac_f32_e32 v67, v69, v67
	v_mul_f32_e32 v69, v68, v67
	v_fma_f32 v70, -v66, v69, v68
	v_fmac_f32_e32 v69, v70, v67
	v_fma_f32 v66, -v66, v69, v68
	v_div_fmas_f32 v66, v66, v67, v69
	v_div_fixup_f32 v64, v66, v64, 1.0
.LBB106_818:
	s_or_b64 exec, exec, s[0:1]
	v_cmp_ne_u32_e32 vcc, v65, v62
	s_and_saveexec_b64 s[0:1], vcc
	s_xor_b64 s[0:1], exec, s[0:1]
	s_cbranch_execz .LBB106_824
; %bb.819:
	v_cmp_eq_u32_e32 vcc, 48, v65
	s_and_saveexec_b64 s[2:3], vcc
	s_cbranch_execz .LBB106_823
; %bb.820:
	v_cmp_ne_u32_e32 vcc, 48, v62
	s_xor_b64 s[12:13], s[20:21], -1
	s_and_b64 s[14:15], s[12:13], vcc
	s_and_saveexec_b64 s[12:13], s[14:15]
	s_cbranch_execz .LBB106_822
; %bb.821:
	v_ashrrev_i32_e32 v63, 31, v62
	v_lshl_add_u64 v[66:67], v[62:63], 2, v[4:5]
	global_load_dword v63, v[66:67], off
	global_load_dword v65, v[4:5], off offset:192
	s_waitcnt vmcnt(1)
	global_store_dword v[4:5], v63, off offset:192
	s_waitcnt vmcnt(1)
	global_store_dword v[66:67], v65, off
.LBB106_822:
	s_or_b64 exec, exec, s[12:13]
	v_mov_b32_e32 v63, v62
	v_mov_b32_e32 v65, v62
.LBB106_823:
	s_or_b64 exec, exec, s[2:3]
.LBB106_824:
	s_andn2_saveexec_b64 s[0:1], s[0:1]
	s_cbranch_execz .LBB106_826
; %bb.825:
	v_pk_mov_b32 v[66:67], v[0:1], v[14:15] op_sel:[1,0]
	ds_write2_b32 v59, v66, v67 offset0:49 offset1:50
	v_pk_mov_b32 v[66:67], v[14:15], v[8:9] op_sel:[1,0]
	v_mov_b32_e32 v65, 48
	ds_write2_b32 v59, v66, v67 offset0:51 offset1:52
	ds_write_b32 v59, v9 offset:212
.LBB106_826:
	s_or_b64 exec, exec, s[0:1]
	v_cmp_lt_i32_e32 vcc, 48, v65
	s_waitcnt lgkmcnt(0)
	s_barrier
	s_and_saveexec_b64 s[0:1], vcc
	s_cbranch_execz .LBB106_828
; %bb.827:
	ds_read_b32 v62, v59 offset:196
	ds_read2_b32 v[66:67], v59 offset0:50 offset1:51
	ds_read2_b32 v[68:69], v59 offset0:52 offset1:53
	v_mul_f32_e32 v0, v64, v0
	s_waitcnt lgkmcnt(2)
	v_fma_f32 v1, -v0, v62, v1
	s_waitcnt lgkmcnt(1)
	v_pk_fma_f32 v[14:15], v[0:1], v[66:67], v[14:15] op_sel_hi:[0,1,1] neg_lo:[1,0,0] neg_hi:[1,0,0]
	s_waitcnt lgkmcnt(0)
	v_pk_fma_f32 v[8:9], v[0:1], v[68:69], v[8:9] op_sel_hi:[0,1,1] neg_lo:[1,0,0] neg_hi:[1,0,0]
.LBB106_828:
	s_or_b64 exec, exec, s[0:1]
	v_lshl_add_u32 v62, v65, 2, v59
	s_barrier
	ds_write_b32 v62, v1
	s_waitcnt lgkmcnt(0)
	s_barrier
	ds_read_b32 v64, v59 offset:196
	s_cmp_lt_i32 s22, 51
	v_mov_b32_e32 v62, 49
	s_cbranch_scc1 .LBB106_831
; %bb.829:
	v_add_u32_e32 v66, 0xc8, v59
	v_mov_b32_e32 v62, 49
	s_mov_b32 s0, 50
.LBB106_830:                            ; =>This Inner Loop Header: Depth=1
	ds_read_b32 v67, v66
	v_mov_b32_e32 v68, s0
	s_add_i32 s0, s0, 1
	v_add_u32_e32 v66, 4, v66
	s_cmp_lg_u32 s22, s0
	s_waitcnt lgkmcnt(0)
	v_cmp_lt_f32_e64 vcc, |v64|, |v67|
	s_nop 1
	v_cndmask_b32_e32 v64, v64, v67, vcc
	v_cndmask_b32_e32 v62, v62, v68, vcc
	s_cbranch_scc1 .LBB106_830
.LBB106_831:
	s_waitcnt lgkmcnt(0)
	v_cmp_eq_f32_e32 vcc, 0, v64
	s_and_saveexec_b64 s[0:1], vcc
	s_xor_b64 s[0:1], exec, s[0:1]
; %bb.832:
	v_cmp_ne_u32_e32 vcc, 0, v61
	s_nop 1
	v_cndmask_b32_e32 v61, 50, v61, vcc
; %bb.833:
	s_andn2_saveexec_b64 s[0:1], s[0:1]
	s_cbranch_execz .LBB106_835
; %bb.834:
	v_div_scale_f32 v66, s[2:3], v64, v64, 1.0
	v_rcp_f32_e32 v67, v66
	v_div_scale_f32 v68, vcc, 1.0, v64, 1.0
	v_fma_f32 v69, -v66, v67, 1.0
	v_fmac_f32_e32 v67, v69, v67
	v_mul_f32_e32 v69, v68, v67
	v_fma_f32 v70, -v66, v69, v68
	v_fmac_f32_e32 v69, v70, v67
	v_fma_f32 v66, -v66, v69, v68
	v_div_fmas_f32 v66, v66, v67, v69
	v_div_fixup_f32 v64, v66, v64, 1.0
.LBB106_835:
	s_or_b64 exec, exec, s[0:1]
	v_cmp_ne_u32_e32 vcc, v65, v62
	s_and_saveexec_b64 s[0:1], vcc
	s_xor_b64 s[0:1], exec, s[0:1]
	s_cbranch_execz .LBB106_841
; %bb.836:
	v_cmp_eq_u32_e32 vcc, 49, v65
	s_and_saveexec_b64 s[2:3], vcc
	s_cbranch_execz .LBB106_840
; %bb.837:
	v_cmp_ne_u32_e32 vcc, 49, v62
	s_xor_b64 s[12:13], s[20:21], -1
	s_and_b64 s[14:15], s[12:13], vcc
	s_and_saveexec_b64 s[12:13], s[14:15]
	s_cbranch_execz .LBB106_839
; %bb.838:
	v_ashrrev_i32_e32 v63, 31, v62
	v_lshl_add_u64 v[66:67], v[62:63], 2, v[4:5]
	global_load_dword v63, v[66:67], off
	global_load_dword v65, v[4:5], off offset:196
	s_waitcnt vmcnt(1)
	global_store_dword v[4:5], v63, off offset:196
	s_waitcnt vmcnt(1)
	global_store_dword v[66:67], v65, off
.LBB106_839:
	s_or_b64 exec, exec, s[12:13]
	v_mov_b32_e32 v63, v62
	v_mov_b32_e32 v65, v62
.LBB106_840:
	s_or_b64 exec, exec, s[2:3]
.LBB106_841:
	s_andn2_saveexec_b64 s[0:1], s[0:1]
	s_cbranch_execz .LBB106_843
; %bb.842:
	v_mov_b32_e32 v65, 49
	ds_write2_b32 v59, v14, v15 offset0:50 offset1:51
	ds_write2_b32 v59, v8, v9 offset0:52 offset1:53
.LBB106_843:
	s_or_b64 exec, exec, s[0:1]
	v_cmp_lt_i32_e32 vcc, 49, v65
	s_waitcnt lgkmcnt(0)
	s_barrier
	s_and_saveexec_b64 s[0:1], vcc
	s_cbranch_execz .LBB106_845
; %bb.844:
	ds_read2_b32 v[66:67], v59 offset0:50 offset1:51
	ds_read2_b32 v[68:69], v59 offset0:52 offset1:53
	v_mul_f32_e32 v62, v64, v1
	v_mov_b32_e32 v1, v62
	s_waitcnt lgkmcnt(1)
	v_pk_fma_f32 v[14:15], v[62:63], v[66:67], v[14:15] op_sel_hi:[0,1,1] neg_lo:[1,0,0] neg_hi:[1,0,0]
	s_waitcnt lgkmcnt(0)
	v_pk_fma_f32 v[8:9], v[62:63], v[68:69], v[8:9] op_sel_hi:[0,1,1] neg_lo:[1,0,0] neg_hi:[1,0,0]
.LBB106_845:
	s_or_b64 exec, exec, s[0:1]
	v_lshl_add_u32 v62, v65, 2, v59
	s_barrier
	ds_write_b32 v62, v14
	s_waitcnt lgkmcnt(0)
	s_barrier
	ds_read_b32 v64, v59 offset:200
	s_cmp_lt_i32 s22, 52
	v_mov_b32_e32 v62, 50
	s_cbranch_scc1 .LBB106_848
; %bb.846:
	v_add_u32_e32 v66, 0xcc, v59
	v_mov_b32_e32 v62, 50
	s_mov_b32 s0, 51
.LBB106_847:                            ; =>This Inner Loop Header: Depth=1
	ds_read_b32 v67, v66
	v_mov_b32_e32 v68, s0
	s_add_i32 s0, s0, 1
	v_add_u32_e32 v66, 4, v66
	s_cmp_lg_u32 s22, s0
	s_waitcnt lgkmcnt(0)
	v_cmp_lt_f32_e64 vcc, |v64|, |v67|
	s_nop 1
	v_cndmask_b32_e32 v64, v64, v67, vcc
	v_cndmask_b32_e32 v62, v62, v68, vcc
	s_cbranch_scc1 .LBB106_847
.LBB106_848:
	s_waitcnt lgkmcnt(0)
	v_cmp_eq_f32_e32 vcc, 0, v64
	s_and_saveexec_b64 s[0:1], vcc
	s_xor_b64 s[0:1], exec, s[0:1]
; %bb.849:
	v_cmp_ne_u32_e32 vcc, 0, v61
	s_nop 1
	v_cndmask_b32_e32 v61, 51, v61, vcc
; %bb.850:
	s_andn2_saveexec_b64 s[0:1], s[0:1]
	s_cbranch_execz .LBB106_852
; %bb.851:
	v_div_scale_f32 v66, s[2:3], v64, v64, 1.0
	v_rcp_f32_e32 v67, v66
	v_div_scale_f32 v68, vcc, 1.0, v64, 1.0
	v_fma_f32 v69, -v66, v67, 1.0
	v_fmac_f32_e32 v67, v69, v67
	v_mul_f32_e32 v69, v68, v67
	v_fma_f32 v70, -v66, v69, v68
	v_fmac_f32_e32 v69, v70, v67
	v_fma_f32 v66, -v66, v69, v68
	v_div_fmas_f32 v66, v66, v67, v69
	v_div_fixup_f32 v64, v66, v64, 1.0
.LBB106_852:
	s_or_b64 exec, exec, s[0:1]
	v_cmp_ne_u32_e32 vcc, v65, v62
	s_and_saveexec_b64 s[0:1], vcc
	s_xor_b64 s[0:1], exec, s[0:1]
	s_cbranch_execz .LBB106_858
; %bb.853:
	v_cmp_eq_u32_e32 vcc, 50, v65
	s_and_saveexec_b64 s[2:3], vcc
	s_cbranch_execz .LBB106_857
; %bb.854:
	v_cmp_ne_u32_e32 vcc, 50, v62
	s_xor_b64 s[12:13], s[20:21], -1
	s_and_b64 s[14:15], s[12:13], vcc
	s_and_saveexec_b64 s[12:13], s[14:15]
	s_cbranch_execz .LBB106_856
; %bb.855:
	v_ashrrev_i32_e32 v63, 31, v62
	v_lshl_add_u64 v[66:67], v[62:63], 2, v[4:5]
	global_load_dword v63, v[66:67], off
	global_load_dword v65, v[4:5], off offset:200
	s_waitcnt vmcnt(1)
	global_store_dword v[4:5], v63, off offset:200
	s_waitcnt vmcnt(1)
	global_store_dword v[66:67], v65, off
.LBB106_856:
	s_or_b64 exec, exec, s[12:13]
	v_mov_b32_e32 v63, v62
	v_mov_b32_e32 v65, v62
.LBB106_857:
	s_or_b64 exec, exec, s[2:3]
.LBB106_858:
	s_andn2_saveexec_b64 s[0:1], s[0:1]
	s_cbranch_execz .LBB106_860
; %bb.859:
	v_pk_mov_b32 v[66:67], v[14:15], v[8:9] op_sel:[1,0]
	v_mov_b32_e32 v65, 50
	ds_write2_b32 v59, v66, v67 offset0:51 offset1:52
	ds_write_b32 v59, v9 offset:212
.LBB106_860:
	s_or_b64 exec, exec, s[0:1]
	v_cmp_lt_i32_e32 vcc, 50, v65
	s_waitcnt lgkmcnt(0)
	s_barrier
	s_and_saveexec_b64 s[0:1], vcc
	s_cbranch_execz .LBB106_862
; %bb.861:
	ds_read_b32 v62, v59 offset:204
	ds_read2_b32 v[66:67], v59 offset0:52 offset1:53
	v_mul_f32_e32 v14, v64, v14
	s_waitcnt lgkmcnt(1)
	v_fma_f32 v15, -v14, v62, v15
	s_waitcnt lgkmcnt(0)
	v_pk_fma_f32 v[8:9], v[14:15], v[66:67], v[8:9] op_sel_hi:[0,1,1] neg_lo:[1,0,0] neg_hi:[1,0,0]
.LBB106_862:
	s_or_b64 exec, exec, s[0:1]
	v_lshl_add_u32 v62, v65, 2, v59
	s_barrier
	ds_write_b32 v62, v15
	s_waitcnt lgkmcnt(0)
	s_barrier
	ds_read_b32 v64, v59 offset:204
	s_cmp_lt_i32 s22, 53
	v_mov_b32_e32 v62, 51
	s_cbranch_scc1 .LBB106_865
; %bb.863:
	v_add_u32_e32 v66, 0xd0, v59
	v_mov_b32_e32 v62, 51
	s_mov_b32 s0, 52
.LBB106_864:                            ; =>This Inner Loop Header: Depth=1
	ds_read_b32 v67, v66
	v_mov_b32_e32 v68, s0
	s_add_i32 s0, s0, 1
	v_add_u32_e32 v66, 4, v66
	s_cmp_lg_u32 s22, s0
	s_waitcnt lgkmcnt(0)
	v_cmp_lt_f32_e64 vcc, |v64|, |v67|
	s_nop 1
	v_cndmask_b32_e32 v64, v64, v67, vcc
	v_cndmask_b32_e32 v62, v62, v68, vcc
	s_cbranch_scc1 .LBB106_864
.LBB106_865:
	s_waitcnt lgkmcnt(0)
	v_cmp_eq_f32_e32 vcc, 0, v64
	s_and_saveexec_b64 s[0:1], vcc
	s_xor_b64 s[0:1], exec, s[0:1]
; %bb.866:
	v_cmp_ne_u32_e32 vcc, 0, v61
	s_nop 1
	v_cndmask_b32_e32 v61, 52, v61, vcc
; %bb.867:
	s_andn2_saveexec_b64 s[0:1], s[0:1]
	s_cbranch_execz .LBB106_869
; %bb.868:
	v_div_scale_f32 v66, s[2:3], v64, v64, 1.0
	v_rcp_f32_e32 v67, v66
	v_div_scale_f32 v68, vcc, 1.0, v64, 1.0
	v_fma_f32 v69, -v66, v67, 1.0
	v_fmac_f32_e32 v67, v69, v67
	v_mul_f32_e32 v69, v68, v67
	v_fma_f32 v70, -v66, v69, v68
	v_fmac_f32_e32 v69, v70, v67
	v_fma_f32 v66, -v66, v69, v68
	v_div_fmas_f32 v66, v66, v67, v69
	v_div_fixup_f32 v64, v66, v64, 1.0
.LBB106_869:
	s_or_b64 exec, exec, s[0:1]
	v_cmp_ne_u32_e32 vcc, v65, v62
	s_and_saveexec_b64 s[0:1], vcc
	s_xor_b64 s[0:1], exec, s[0:1]
	s_cbranch_execz .LBB106_875
; %bb.870:
	v_cmp_eq_u32_e32 vcc, 51, v65
	s_and_saveexec_b64 s[2:3], vcc
	s_cbranch_execz .LBB106_874
; %bb.871:
	v_cmp_ne_u32_e32 vcc, 51, v62
	s_xor_b64 s[12:13], s[20:21], -1
	s_and_b64 s[14:15], s[12:13], vcc
	s_and_saveexec_b64 s[12:13], s[14:15]
	s_cbranch_execz .LBB106_873
; %bb.872:
	v_ashrrev_i32_e32 v63, 31, v62
	v_lshl_add_u64 v[66:67], v[62:63], 2, v[4:5]
	global_load_dword v63, v[66:67], off
	global_load_dword v65, v[4:5], off offset:204
	s_waitcnt vmcnt(1)
	global_store_dword v[4:5], v63, off offset:204
	s_waitcnt vmcnt(1)
	global_store_dword v[66:67], v65, off
.LBB106_873:
	s_or_b64 exec, exec, s[12:13]
	v_mov_b32_e32 v63, v62
	v_mov_b32_e32 v65, v62
.LBB106_874:
	s_or_b64 exec, exec, s[2:3]
.LBB106_875:
	s_andn2_saveexec_b64 s[0:1], s[0:1]
; %bb.876:
	v_mov_b32_e32 v65, 51
	ds_write2_b32 v59, v8, v9 offset0:52 offset1:53
; %bb.877:
	s_or_b64 exec, exec, s[0:1]
	v_cmp_lt_i32_e32 vcc, 51, v65
	s_waitcnt lgkmcnt(0)
	s_barrier
	s_and_saveexec_b64 s[0:1], vcc
	s_cbranch_execz .LBB106_879
; %bb.878:
	ds_read2_b32 v[66:67], v59 offset0:52 offset1:53
	v_mul_f32_e32 v62, v64, v15
	v_mov_b32_e32 v15, v62
	s_waitcnt lgkmcnt(0)
	v_pk_fma_f32 v[8:9], v[62:63], v[66:67], v[8:9] op_sel_hi:[0,1,1] neg_lo:[1,0,0] neg_hi:[1,0,0]
.LBB106_879:
	s_or_b64 exec, exec, s[0:1]
	v_lshl_add_u32 v62, v65, 2, v59
	s_barrier
	ds_write_b32 v62, v8
	s_waitcnt lgkmcnt(0)
	s_barrier
	ds_read_b32 v64, v59 offset:208
	s_cmp_lt_i32 s22, 54
	v_mov_b32_e32 v62, 52
	s_cbranch_scc1 .LBB106_882
; %bb.880:
	v_add_u32_e32 v66, 0xd4, v59
	v_mov_b32_e32 v62, 52
	s_mov_b32 s0, 53
.LBB106_881:                            ; =>This Inner Loop Header: Depth=1
	ds_read_b32 v67, v66
	v_mov_b32_e32 v68, s0
	s_add_i32 s0, s0, 1
	v_add_u32_e32 v66, 4, v66
	s_cmp_lg_u32 s22, s0
	s_waitcnt lgkmcnt(0)
	v_cmp_lt_f32_e64 vcc, |v64|, |v67|
	s_nop 1
	v_cndmask_b32_e32 v64, v64, v67, vcc
	v_cndmask_b32_e32 v62, v62, v68, vcc
	s_cbranch_scc1 .LBB106_881
.LBB106_882:
	s_waitcnt lgkmcnt(0)
	v_cmp_eq_f32_e32 vcc, 0, v64
	s_and_saveexec_b64 s[0:1], vcc
	s_xor_b64 s[0:1], exec, s[0:1]
; %bb.883:
	v_cmp_ne_u32_e32 vcc, 0, v61
	s_nop 1
	v_cndmask_b32_e32 v61, 53, v61, vcc
; %bb.884:
	s_andn2_saveexec_b64 s[0:1], s[0:1]
	s_cbranch_execz .LBB106_886
; %bb.885:
	v_div_scale_f32 v66, s[2:3], v64, v64, 1.0
	v_rcp_f32_e32 v67, v66
	v_div_scale_f32 v68, vcc, 1.0, v64, 1.0
	v_fma_f32 v69, -v66, v67, 1.0
	v_fmac_f32_e32 v67, v69, v67
	v_mul_f32_e32 v69, v68, v67
	v_fma_f32 v70, -v66, v69, v68
	v_fmac_f32_e32 v69, v70, v67
	v_fma_f32 v66, -v66, v69, v68
	v_div_fmas_f32 v66, v66, v67, v69
	v_div_fixup_f32 v64, v66, v64, 1.0
.LBB106_886:
	s_or_b64 exec, exec, s[0:1]
	v_cmp_ne_u32_e32 vcc, v65, v62
	s_and_saveexec_b64 s[0:1], vcc
	s_xor_b64 s[0:1], exec, s[0:1]
	s_cbranch_execz .LBB106_892
; %bb.887:
	v_cmp_eq_u32_e32 vcc, 52, v65
	s_and_saveexec_b64 s[2:3], vcc
	s_cbranch_execz .LBB106_891
; %bb.888:
	v_cmp_ne_u32_e32 vcc, 52, v62
	s_xor_b64 s[12:13], s[20:21], -1
	s_and_b64 s[14:15], s[12:13], vcc
	s_and_saveexec_b64 s[12:13], s[14:15]
	s_cbranch_execz .LBB106_890
; %bb.889:
	v_ashrrev_i32_e32 v63, 31, v62
	v_lshl_add_u64 v[66:67], v[62:63], 2, v[4:5]
	global_load_dword v63, v[66:67], off
	global_load_dword v65, v[4:5], off offset:208
	s_waitcnt vmcnt(1)
	global_store_dword v[4:5], v63, off offset:208
	s_waitcnt vmcnt(1)
	global_store_dword v[66:67], v65, off
.LBB106_890:
	s_or_b64 exec, exec, s[12:13]
	v_mov_b32_e32 v63, v62
	v_mov_b32_e32 v65, v62
.LBB106_891:
	s_or_b64 exec, exec, s[2:3]
.LBB106_892:
	s_andn2_saveexec_b64 s[0:1], s[0:1]
; %bb.893:
	v_mov_b32_e32 v65, 52
	ds_write_b32 v59, v9 offset:212
; %bb.894:
	s_or_b64 exec, exec, s[0:1]
	v_cmp_lt_i32_e32 vcc, 52, v65
	s_waitcnt lgkmcnt(0)
	s_barrier
	s_and_saveexec_b64 s[0:1], vcc
	s_cbranch_execz .LBB106_896
; %bb.895:
	ds_read_b32 v62, v59 offset:212
	v_mul_f32_e32 v8, v64, v8
	s_waitcnt lgkmcnt(0)
	v_fma_f32 v9, -v8, v62, v9
.LBB106_896:
	s_or_b64 exec, exec, s[0:1]
	v_lshl_add_u32 v62, v65, 2, v59
	s_barrier
	ds_write_b32 v62, v9
	s_waitcnt lgkmcnt(0)
	s_barrier
	ds_read_b32 v66, v59 offset:212
	s_cmp_lt_i32 s22, 55
	v_mov_b32_e32 v62, 53
	s_cbranch_scc1 .LBB106_899
; %bb.897:
	v_add_u32_e32 v59, 0xd8, v59
	v_mov_b32_e32 v62, 53
	s_mov_b32 s0, 54
.LBB106_898:                            ; =>This Inner Loop Header: Depth=1
	ds_read_b32 v64, v59
	v_mov_b32_e32 v67, s0
	s_add_i32 s0, s0, 1
	v_add_u32_e32 v59, 4, v59
	s_cmp_lg_u32 s22, s0
	s_waitcnt lgkmcnt(0)
	v_cmp_lt_f32_e64 vcc, |v66|, |v64|
	s_nop 1
	v_cndmask_b32_e32 v66, v66, v64, vcc
	v_cndmask_b32_e32 v62, v62, v67, vcc
	s_cbranch_scc1 .LBB106_898
.LBB106_899:
	s_waitcnt lgkmcnt(0)
	v_cmp_eq_f32_e32 vcc, 0, v66
	s_and_saveexec_b64 s[0:1], vcc
	s_xor_b64 s[0:1], exec, s[0:1]
; %bb.900:
	v_cmp_ne_u32_e32 vcc, 0, v61
	s_nop 1
	v_cndmask_b32_e32 v61, 54, v61, vcc
; %bb.901:
	s_andn2_saveexec_b64 s[0:1], s[0:1]
	s_cbranch_execz .LBB106_903
; %bb.902:
	v_div_scale_f32 v59, s[2:3], v66, v66, 1.0
	v_rcp_f32_e32 v64, v59
	v_div_scale_f32 v67, vcc, 1.0, v66, 1.0
	v_fma_f32 v68, -v59, v64, 1.0
	v_fmac_f32_e32 v64, v68, v64
	v_mul_f32_e32 v68, v67, v64
	v_fma_f32 v69, -v59, v68, v67
	v_fmac_f32_e32 v68, v69, v64
	v_fma_f32 v59, -v59, v68, v67
	v_div_fmas_f32 v59, v59, v64, v68
	v_div_fixup_f32 v66, v59, v66, 1.0
.LBB106_903:
	s_or_b64 exec, exec, s[0:1]
	v_cmp_ne_u32_e32 vcc, v65, v62
	v_mov_b32_e32 v64, 53
	s_and_saveexec_b64 s[0:1], vcc
	s_cbranch_execz .LBB106_909
; %bb.904:
	v_cmp_eq_u32_e32 vcc, 53, v65
	s_and_saveexec_b64 s[2:3], vcc
	s_cbranch_execz .LBB106_908
; %bb.905:
	v_cmp_ne_u32_e32 vcc, 53, v62
	s_xor_b64 s[12:13], s[20:21], -1
	s_and_b64 s[14:15], s[12:13], vcc
	s_and_saveexec_b64 s[12:13], s[14:15]
	s_cbranch_execz .LBB106_907
; %bb.906:
	v_ashrrev_i32_e32 v63, 31, v62
	v_lshl_add_u64 v[64:65], v[62:63], 2, v[4:5]
	global_load_dword v59, v[64:65], off
	global_load_dword v63, v[4:5], off offset:212
	s_waitcnt vmcnt(1)
	global_store_dword v[4:5], v59, off offset:212
	s_waitcnt vmcnt(1)
	global_store_dword v[64:65], v63, off
.LBB106_907:
	s_or_b64 exec, exec, s[12:13]
	v_mov_b32_e32 v63, v62
	v_mov_b32_e32 v65, v62
.LBB106_908:
	s_or_b64 exec, exec, s[2:3]
	v_mov_b32_e32 v64, v65
.LBB106_909:
	s_or_b64 exec, exec, s[0:1]
	v_cmp_gt_i32_e32 vcc, 54, v64
	v_ashrrev_i32_e32 v65, 31, v64
	s_barrier
	s_barrier
	s_and_saveexec_b64 s[0:1], vcc
	s_cbranch_execz .LBB106_911
; %bb.910:
	v_mul_lo_u32 v59, s11, v2
	v_mul_lo_u32 v62, s10, v3
	v_mad_u64_u32 v[68:69], s[2:3], s10, v2, 0
	v_mov_b32_e32 v4, s6
	v_mov_b32_e32 v5, s7
	v_add3_u32 v69, v69, v62, v59
	v_lshl_add_u64 v[4:5], v[68:69], 2, v[4:5]
	v_lshl_add_u64 v[4:5], s[8:9], 2, v[4:5]
	v_lshl_add_u64 v[4:5], v[64:65], 2, v[4:5]
	v_add3_u32 v59, v63, s19, 1
	global_store_dword v[4:5], v59, off
.LBB106_911:
	s_or_b64 exec, exec, s[0:1]
	v_cmp_eq_u32_e32 vcc, 0, v64
	s_and_saveexec_b64 s[2:3], vcc
	s_cbranch_execz .LBB106_914
; %bb.912:
	v_mov_b32_e32 v4, s4
	v_mov_b32_e32 v5, s5
	v_lshl_add_u64 v[2:3], v[2:3], 2, v[4:5]
	global_load_dword v4, v[2:3], off
	v_cmp_ne_u32_e64 s[0:1], 0, v61
	s_waitcnt vmcnt(0)
	v_cmp_eq_u32_e32 vcc, 0, v4
	s_and_b64 s[0:1], vcc, s[0:1]
	s_and_b64 exec, exec, s[0:1]
	s_cbranch_execz .LBB106_914
; %bb.913:
	v_add_u32_e32 v4, s19, v61
	global_store_dword v[2:3], v4, off
.LBB106_914:
	s_or_b64 exec, exec, s[2:3]
	v_mul_f32_e32 v2, v66, v9
	v_cmp_lt_i32_e32 vcc, 53, v64
	s_nop 1
	v_cndmask_b32_e32 v9, v9, v2, vcc
	v_lshl_add_u64 v[2:3], v[64:65], 2, v[6:7]
	global_store_dword v[2:3], v58, off
	v_lshl_add_u64 v[2:3], s[16:17], 2, v[2:3]
	global_store_dword v[2:3], v60, off
	v_add_u32_e32 v2, s18, v64
	v_ashrrev_i32_e32 v3, 31, v2
	v_lshl_add_u64 v[4:5], v[2:3], 2, v[6:7]
	v_add_u32_e32 v2, s16, v2
	v_ashrrev_i32_e32 v3, 31, v2
	global_store_dword v[4:5], v56, off
	v_lshl_add_u64 v[4:5], v[2:3], 2, v[6:7]
	v_add_u32_e32 v2, s16, v2
	v_ashrrev_i32_e32 v3, 31, v2
	global_store_dword v[4:5], v57, off
	;; [unrolled: 4-line block ×47, first 2 shown]
	v_lshl_add_u64 v[4:5], v[2:3], 2, v[6:7]
	v_add_u32_e32 v0, s16, v2
	global_store_dword v[4:5], v1, off
	v_ashrrev_i32_e32 v1, 31, v0
	v_lshl_add_u64 v[2:3], v[0:1], 2, v[6:7]
	v_add_u32_e32 v0, s16, v0
	v_ashrrev_i32_e32 v1, 31, v0
	global_store_dword v[2:3], v14, off
	v_lshl_add_u64 v[2:3], v[0:1], 2, v[6:7]
	v_add_u32_e32 v0, s16, v0
	v_ashrrev_i32_e32 v1, 31, v0
	global_store_dword v[2:3], v15, off
	v_lshl_add_u64 v[2:3], v[0:1], 2, v[6:7]
	v_add_u32_e32 v0, s16, v0
	v_ashrrev_i32_e32 v1, 31, v0
	v_lshl_add_u64 v[0:1], v[0:1], 2, v[6:7]
	global_store_dword v[2:3], v8, off
	global_store_dword v[0:1], v9, off
.LBB106_915:
	s_endpgm
	.section	.rodata,"a",@progbits
	.p2align	6, 0x0
	.amdhsa_kernel _ZN9rocsolver6v33100L18getf2_small_kernelILi54EfiiPfEEvT1_T3_lS3_lPS3_llPT2_S3_S3_S5_l
		.amdhsa_group_segment_fixed_size 0
		.amdhsa_private_segment_fixed_size 0
		.amdhsa_kernarg_size 352
		.amdhsa_user_sgpr_count 2
		.amdhsa_user_sgpr_dispatch_ptr 0
		.amdhsa_user_sgpr_queue_ptr 0
		.amdhsa_user_sgpr_kernarg_segment_ptr 1
		.amdhsa_user_sgpr_dispatch_id 0
		.amdhsa_user_sgpr_kernarg_preload_length 0
		.amdhsa_user_sgpr_kernarg_preload_offset 0
		.amdhsa_user_sgpr_private_segment_size 0
		.amdhsa_uses_dynamic_stack 0
		.amdhsa_enable_private_segment 0
		.amdhsa_system_sgpr_workgroup_id_x 1
		.amdhsa_system_sgpr_workgroup_id_y 1
		.amdhsa_system_sgpr_workgroup_id_z 0
		.amdhsa_system_sgpr_workgroup_info 0
		.amdhsa_system_vgpr_workitem_id 1
		.amdhsa_next_free_vgpr 76
		.amdhsa_next_free_sgpr 26
		.amdhsa_accum_offset 76
		.amdhsa_reserve_vcc 1
		.amdhsa_float_round_mode_32 0
		.amdhsa_float_round_mode_16_64 0
		.amdhsa_float_denorm_mode_32 3
		.amdhsa_float_denorm_mode_16_64 3
		.amdhsa_dx10_clamp 1
		.amdhsa_ieee_mode 1
		.amdhsa_fp16_overflow 0
		.amdhsa_tg_split 0
		.amdhsa_exception_fp_ieee_invalid_op 0
		.amdhsa_exception_fp_denorm_src 0
		.amdhsa_exception_fp_ieee_div_zero 0
		.amdhsa_exception_fp_ieee_overflow 0
		.amdhsa_exception_fp_ieee_underflow 0
		.amdhsa_exception_fp_ieee_inexact 0
		.amdhsa_exception_int_div_zero 0
	.end_amdhsa_kernel
	.section	.text._ZN9rocsolver6v33100L18getf2_small_kernelILi54EfiiPfEEvT1_T3_lS3_lPS3_llPT2_S3_S3_S5_l,"axG",@progbits,_ZN9rocsolver6v33100L18getf2_small_kernelILi54EfiiPfEEvT1_T3_lS3_lPS3_llPT2_S3_S3_S5_l,comdat
.Lfunc_end106:
	.size	_ZN9rocsolver6v33100L18getf2_small_kernelILi54EfiiPfEEvT1_T3_lS3_lPS3_llPT2_S3_S3_S5_l, .Lfunc_end106-_ZN9rocsolver6v33100L18getf2_small_kernelILi54EfiiPfEEvT1_T3_lS3_lPS3_llPT2_S3_S3_S5_l
                                        ; -- End function
	.set _ZN9rocsolver6v33100L18getf2_small_kernelILi54EfiiPfEEvT1_T3_lS3_lPS3_llPT2_S3_S3_S5_l.num_vgpr, 76
	.set _ZN9rocsolver6v33100L18getf2_small_kernelILi54EfiiPfEEvT1_T3_lS3_lPS3_llPT2_S3_S3_S5_l.num_agpr, 0
	.set _ZN9rocsolver6v33100L18getf2_small_kernelILi54EfiiPfEEvT1_T3_lS3_lPS3_llPT2_S3_S3_S5_l.numbered_sgpr, 26
	.set _ZN9rocsolver6v33100L18getf2_small_kernelILi54EfiiPfEEvT1_T3_lS3_lPS3_llPT2_S3_S3_S5_l.num_named_barrier, 0
	.set _ZN9rocsolver6v33100L18getf2_small_kernelILi54EfiiPfEEvT1_T3_lS3_lPS3_llPT2_S3_S3_S5_l.private_seg_size, 0
	.set _ZN9rocsolver6v33100L18getf2_small_kernelILi54EfiiPfEEvT1_T3_lS3_lPS3_llPT2_S3_S3_S5_l.uses_vcc, 1
	.set _ZN9rocsolver6v33100L18getf2_small_kernelILi54EfiiPfEEvT1_T3_lS3_lPS3_llPT2_S3_S3_S5_l.uses_flat_scratch, 0
	.set _ZN9rocsolver6v33100L18getf2_small_kernelILi54EfiiPfEEvT1_T3_lS3_lPS3_llPT2_S3_S3_S5_l.has_dyn_sized_stack, 0
	.set _ZN9rocsolver6v33100L18getf2_small_kernelILi54EfiiPfEEvT1_T3_lS3_lPS3_llPT2_S3_S3_S5_l.has_recursion, 0
	.set _ZN9rocsolver6v33100L18getf2_small_kernelILi54EfiiPfEEvT1_T3_lS3_lPS3_llPT2_S3_S3_S5_l.has_indirect_call, 0
	.section	.AMDGPU.csdata,"",@progbits
; Kernel info:
; codeLenInByte = 47072
; TotalNumSgprs: 32
; NumVgprs: 76
; NumAgprs: 0
; TotalNumVgprs: 76
; ScratchSize: 0
; MemoryBound: 0
; FloatMode: 240
; IeeeMode: 1
; LDSByteSize: 0 bytes/workgroup (compile time only)
; SGPRBlocks: 3
; VGPRBlocks: 9
; NumSGPRsForWavesPerEU: 32
; NumVGPRsForWavesPerEU: 76
; AccumOffset: 76
; Occupancy: 6
; WaveLimiterHint : 0
; COMPUTE_PGM_RSRC2:SCRATCH_EN: 0
; COMPUTE_PGM_RSRC2:USER_SGPR: 2
; COMPUTE_PGM_RSRC2:TRAP_HANDLER: 0
; COMPUTE_PGM_RSRC2:TGID_X_EN: 1
; COMPUTE_PGM_RSRC2:TGID_Y_EN: 1
; COMPUTE_PGM_RSRC2:TGID_Z_EN: 0
; COMPUTE_PGM_RSRC2:TIDIG_COMP_CNT: 1
; COMPUTE_PGM_RSRC3_GFX90A:ACCUM_OFFSET: 18
; COMPUTE_PGM_RSRC3_GFX90A:TG_SPLIT: 0
	.section	.text._ZN9rocsolver6v33100L23getf2_npvt_small_kernelILi54EfiiPfEEvT1_T3_lS3_lPT2_S3_S3_,"axG",@progbits,_ZN9rocsolver6v33100L23getf2_npvt_small_kernelILi54EfiiPfEEvT1_T3_lS3_lPT2_S3_S3_,comdat
	.globl	_ZN9rocsolver6v33100L23getf2_npvt_small_kernelILi54EfiiPfEEvT1_T3_lS3_lPT2_S3_S3_ ; -- Begin function _ZN9rocsolver6v33100L23getf2_npvt_small_kernelILi54EfiiPfEEvT1_T3_lS3_lPT2_S3_S3_
	.p2align	8
	.type	_ZN9rocsolver6v33100L23getf2_npvt_small_kernelILi54EfiiPfEEvT1_T3_lS3_lPT2_S3_S3_,@function
_ZN9rocsolver6v33100L23getf2_npvt_small_kernelILi54EfiiPfEEvT1_T3_lS3_lPT2_S3_S3_: ; @_ZN9rocsolver6v33100L23getf2_npvt_small_kernelILi54EfiiPfEEvT1_T3_lS3_lPT2_S3_S3_
; %bb.0:
	s_load_dword s2, s[0:1], 0x44
	s_load_dwordx2 s[8:9], s[0:1], 0x30
	v_bfe_u32 v165, v0, 10, 10
	s_waitcnt lgkmcnt(0)
	s_lshr_b32 s10, s2, 16
	s_mul_i32 s3, s3, s10
	v_add_u32_e32 v24, s3, v165
	v_cmp_gt_i32_e32 vcc, s8, v24
	s_and_saveexec_b64 s[2:3], vcc
	s_cbranch_execz .LBB107_298
; %bb.1:
	s_load_dwordx4 s[12:15], s[0:1], 0x8
	s_load_dword s2, s[0:1], 0x18
	s_load_dwordx4 s[4:7], s[0:1], 0x20
	v_ashrrev_i32_e32 v25, 31, v24
	v_and_b32_e32 v163, 0x3ff, v0
	s_waitcnt lgkmcnt(0)
	v_mov_b32_e32 v0, s12
	v_mov_b32_e32 v1, s13
	v_mad_u64_u32 v[2:3], s[0:1], s4, v24, 0
	v_mul_lo_u32 v4, s5, v24
	v_mul_lo_u32 v5, s4, v25
	s_add_i32 s0, s2, s2
	v_add3_u32 v3, v3, v5, v4
	v_add_u32_e32 v4, s0, v163
	v_add_u32_e32 v6, s2, v4
	;; [unrolled: 1-line block ×50, first 2 shown]
	v_lshl_add_u64 v[0:1], v[2:3], 2, v[0:1]
	v_add_u32_e32 v108, s2, v104
	v_lshl_add_u64 v[106:107], s[14:15], 2, v[0:1]
	v_ashrrev_i32_e32 v5, 31, v4
	v_ashrrev_i32_e32 v7, 31, v6
	;; [unrolled: 1-line block ×51, first 2 shown]
	v_lshl_add_u64 v[2:3], v[4:5], 2, v[106:107]
	v_lshl_add_u64 v[4:5], v[6:7], 2, v[106:107]
	;; [unrolled: 1-line block ×51, first 2 shown]
	v_add_u32_e32 v108, s2, v108
	v_lshlrev_b32_e32 v0, 2, v163
	v_mov_b32_e32 v1, 0
	v_ashrrev_i32_e32 v109, 31, v108
	v_lshl_add_u64 v[0:1], v[106:107], 0, v[0:1]
	v_lshl_add_u64 v[106:107], v[108:109], 2, v[106:107]
	global_load_dword v150, v[14:15], off
	global_load_dword v151, v[16:17], off
	global_load_dword v128, v[18:19], off
	global_load_dword v129, v[20:21], off
	global_load_dword v148, v[22:23], off
	global_load_dword v149, v[26:27], off
	global_load_dword v126, v[28:29], off
	global_load_dword v127, v[30:31], off
	global_load_dword v146, v[32:33], off
	global_load_dword v147, v[34:35], off
	global_load_dword v124, v[36:37], off
	global_load_dword v125, v[38:39], off
	global_load_dword v144, v[40:41], off
	global_load_dword v145, v[42:43], off
	global_load_dword v122, v[44:45], off
	global_load_dword v123, v[46:47], off
	global_load_dword v142, v[48:49], off
	global_load_dword v143, v[50:51], off
	global_load_dword v120, v[52:53], off
	global_load_dword v121, v[54:55], off
	global_load_dword v140, v[56:57], off
	global_load_dword v141, v[58:59], off
	global_load_dword v118, v[60:61], off
	global_load_dword v119, v[62:63], off
	global_load_dword v138, v[64:65], off
	global_load_dword v139, v[66:67], off
	global_load_dword v116, v[68:69], off
	global_load_dword v117, v[70:71], off
	global_load_dword v136, v[72:73], off
	global_load_dword v137, v[74:75], off
	global_load_dword v114, v[76:77], off
	global_load_dword v115, v[78:79], off
	global_load_dword v134, v[80:81], off
	global_load_dword v135, v[82:83], off
	global_load_dword v112, v[84:85], off
	global_load_dword v113, v[86:87], off
	global_load_dword v132, v[88:89], off
	global_load_dword v133, v[90:91], off
	global_load_dword v110, v[92:93], off
	global_load_dword v111, v[94:95], off
	global_load_dword v130, v[96:97], off
	global_load_dword v131, v[98:99], off
	global_load_dword v108, v[100:101], off
	global_load_dword v109, v[102:103], off
	global_load_dword v152, v[104:105], off
	global_load_dword v153, v[106:107], off
	s_ashr_i32 s3, s2, 31
	v_lshl_add_u64 v[160:161], s[2:3], 2, v[0:1]
	global_load_dword v156, v[2:3], off
	global_load_dword v157, v[4:5], off
	global_load_dword v158, v[6:7], off
	global_load_dword v159, v[8:9], off
	global_load_dword v154, v[10:11], off
	global_load_dword v155, v[12:13], off
	global_load_dword v162, v[0:1], off
	global_load_dword v164, v[160:161], off
	s_mulk_i32 s10, 0xd8
	s_movk_i32 s0, 0xd8
	s_add_i32 s1, s10, 0
	v_mad_u32_u24 v167, v165, s0, 0
	v_lshl_add_u32 v165, v165, 2, s1
	v_cmp_ne_u32_e64 s[2:3], 0, v163
	v_cmp_eq_u32_e64 s[0:1], 0, v163
	s_and_saveexec_b64 s[4:5], s[0:1]
	s_cbranch_execz .LBB107_4
; %bb.2:
	s_waitcnt vmcnt(1)
	ds_write_b32 v165, v162
	s_waitcnt vmcnt(0)
	ds_write2_b32 v167, v164, v156 offset0:1 offset1:2
	ds_write2_b32 v167, v157, v158 offset0:3 offset1:4
	;; [unrolled: 1-line block ×26, first 2 shown]
	ds_write_b32 v167, v153 offset:212
	ds_read_b32 v166, v165
	s_waitcnt lgkmcnt(0)
	v_cmp_neq_f32_e32 vcc, 0, v166
	s_and_b64 exec, exec, vcc
	s_cbranch_execz .LBB107_4
; %bb.3:
	v_div_scale_f32 v168, s[10:11], v166, v166, 1.0
	v_rcp_f32_e32 v169, v168
	v_div_scale_f32 v170, vcc, 1.0, v166, 1.0
	v_fma_f32 v171, -v168, v169, 1.0
	v_fmac_f32_e32 v169, v171, v169
	v_mul_f32_e32 v171, v170, v169
	v_fma_f32 v172, -v168, v171, v170
	v_fmac_f32_e32 v171, v172, v169
	v_fma_f32 v168, -v168, v171, v170
	v_div_fmas_f32 v168, v168, v169, v171
	v_div_fixup_f32 v166, v168, v166, 1.0
	ds_write_b32 v165, v166
.LBB107_4:
	s_or_b64 exec, exec, s[4:5]
	s_waitcnt lgkmcnt(0)
	s_barrier
	ds_read_b32 v166, v165
	s_and_saveexec_b64 s[4:5], s[2:3]
	s_cbranch_execz .LBB107_6
; %bb.5:
	ds_read_b32 v176, v167 offset:4
	ds_read2_b64 v[168:171], v167 offset0:1 offset1:2
	s_waitcnt vmcnt(1) lgkmcnt(2)
	v_mul_f32_e32 v162, v166, v162
	ds_read2_b64 v[172:175], v167 offset0:3 offset1:4
	s_waitcnt vmcnt(0) lgkmcnt(2)
	v_fma_f32 v164, -v162, v176, v164
	s_waitcnt lgkmcnt(1)
	v_pk_fma_f32 v[156:157], v[162:163], v[168:169], v[156:157] op_sel_hi:[0,1,1] neg_lo:[1,0,0] neg_hi:[1,0,0]
	ds_read2_b64 v[176:179], v167 offset0:5 offset1:6
	v_pk_fma_f32 v[158:159], v[162:163], v[170:171], v[158:159] op_sel_hi:[0,1,1] neg_lo:[1,0,0] neg_hi:[1,0,0]
	ds_read2_b64 v[168:171], v167 offset0:7 offset1:8
	s_waitcnt lgkmcnt(2)
	v_pk_fma_f32 v[154:155], v[162:163], v[172:173], v[154:155] op_sel_hi:[0,1,1] neg_lo:[1,0,0] neg_hi:[1,0,0]
	v_pk_fma_f32 v[150:151], v[162:163], v[174:175], v[150:151] op_sel_hi:[0,1,1] neg_lo:[1,0,0] neg_hi:[1,0,0]
	s_waitcnt lgkmcnt(1)
	v_pk_fma_f32 v[128:129], v[162:163], v[176:177], v[128:129] op_sel_hi:[0,1,1] neg_lo:[1,0,0] neg_hi:[1,0,0]
	ds_read2_b64 v[172:175], v167 offset0:9 offset1:10
	v_pk_fma_f32 v[148:149], v[162:163], v[178:179], v[148:149] op_sel_hi:[0,1,1] neg_lo:[1,0,0] neg_hi:[1,0,0]
	s_waitcnt lgkmcnt(1)
	v_pk_fma_f32 v[126:127], v[162:163], v[168:169], v[126:127] op_sel_hi:[0,1,1] neg_lo:[1,0,0] neg_hi:[1,0,0]
	ds_read2_b64 v[176:179], v167 offset0:11 offset1:12
	v_pk_fma_f32 v[146:147], v[162:163], v[170:171], v[146:147] op_sel_hi:[0,1,1] neg_lo:[1,0,0] neg_hi:[1,0,0]
	ds_read2_b64 v[168:171], v167 offset0:13 offset1:14
	s_waitcnt lgkmcnt(2)
	v_pk_fma_f32 v[124:125], v[162:163], v[172:173], v[124:125] op_sel_hi:[0,1,1] neg_lo:[1,0,0] neg_hi:[1,0,0]
	v_pk_fma_f32 v[144:145], v[162:163], v[174:175], v[144:145] op_sel_hi:[0,1,1] neg_lo:[1,0,0] neg_hi:[1,0,0]
	s_waitcnt lgkmcnt(1)
	v_pk_fma_f32 v[122:123], v[162:163], v[176:177], v[122:123] op_sel_hi:[0,1,1] neg_lo:[1,0,0] neg_hi:[1,0,0]
	ds_read2_b64 v[172:175], v167 offset0:15 offset1:16
	v_pk_fma_f32 v[142:143], v[162:163], v[178:179], v[142:143] op_sel_hi:[0,1,1] neg_lo:[1,0,0] neg_hi:[1,0,0]
	s_waitcnt lgkmcnt(1)
	v_pk_fma_f32 v[120:121], v[162:163], v[168:169], v[120:121] op_sel_hi:[0,1,1] neg_lo:[1,0,0] neg_hi:[1,0,0]
	ds_read2_b64 v[176:179], v167 offset0:17 offset1:18
	v_pk_fma_f32 v[140:141], v[162:163], v[170:171], v[140:141] op_sel_hi:[0,1,1] neg_lo:[1,0,0] neg_hi:[1,0,0]
	ds_read2_b64 v[168:171], v167 offset0:19 offset1:20
	s_waitcnt lgkmcnt(2)
	v_pk_fma_f32 v[118:119], v[162:163], v[172:173], v[118:119] op_sel_hi:[0,1,1] neg_lo:[1,0,0] neg_hi:[1,0,0]
	v_pk_fma_f32 v[138:139], v[162:163], v[174:175], v[138:139] op_sel_hi:[0,1,1] neg_lo:[1,0,0] neg_hi:[1,0,0]
	s_waitcnt lgkmcnt(1)
	v_pk_fma_f32 v[116:117], v[162:163], v[176:177], v[116:117] op_sel_hi:[0,1,1] neg_lo:[1,0,0] neg_hi:[1,0,0]
	v_pk_fma_f32 v[136:137], v[162:163], v[178:179], v[136:137] op_sel_hi:[0,1,1] neg_lo:[1,0,0] neg_hi:[1,0,0]
	ds_read2_b64 v[172:175], v167 offset0:21 offset1:22
	s_waitcnt lgkmcnt(1)
	v_pk_fma_f32 v[114:115], v[162:163], v[168:169], v[114:115] op_sel_hi:[0,1,1] neg_lo:[1,0,0] neg_hi:[1,0,0]
	ds_read2_b64 v[176:179], v167 offset0:23 offset1:24
	v_pk_fma_f32 v[134:135], v[162:163], v[170:171], v[134:135] op_sel_hi:[0,1,1] neg_lo:[1,0,0] neg_hi:[1,0,0]
	ds_read2_b64 v[168:171], v167 offset0:25 offset1:26
	s_waitcnt lgkmcnt(2)
	v_pk_fma_f32 v[112:113], v[162:163], v[172:173], v[112:113] op_sel_hi:[0,1,1] neg_lo:[1,0,0] neg_hi:[1,0,0]
	v_pk_fma_f32 v[132:133], v[162:163], v[174:175], v[132:133] op_sel_hi:[0,1,1] neg_lo:[1,0,0] neg_hi:[1,0,0]
	s_waitcnt lgkmcnt(1)
	v_pk_fma_f32 v[110:111], v[162:163], v[176:177], v[110:111] op_sel_hi:[0,1,1] neg_lo:[1,0,0] neg_hi:[1,0,0]
	v_pk_fma_f32 v[130:131], v[162:163], v[178:179], v[130:131] op_sel_hi:[0,1,1] neg_lo:[1,0,0] neg_hi:[1,0,0]
	;; [unrolled: 3-line block ×3, first 2 shown]
.LBB107_6:
	s_or_b64 exec, exec, s[4:5]
	v_cmp_eq_u32_e32 vcc, 1, v163
	s_waitcnt lgkmcnt(0)
	s_barrier
	s_and_saveexec_b64 s[2:3], vcc
	s_cbranch_execz .LBB107_9
; %bb.7:
	s_waitcnt vmcnt(0)
	ds_write_b32 v165, v164
	ds_write2_b64 v167, v[156:157], v[158:159] offset0:1 offset1:2
	ds_write2_b64 v167, v[154:155], v[150:151] offset0:3 offset1:4
	;; [unrolled: 1-line block ×13, first 2 shown]
	ds_read_b32 v168, v165
	s_waitcnt lgkmcnt(0)
	v_cmp_neq_f32_e32 vcc, 0, v168
	s_and_b64 exec, exec, vcc
	s_cbranch_execz .LBB107_9
; %bb.8:
	v_div_scale_f32 v169, s[4:5], v168, v168, 1.0
	v_rcp_f32_e32 v170, v169
	v_div_scale_f32 v171, vcc, 1.0, v168, 1.0
	v_fma_f32 v172, -v169, v170, 1.0
	v_fmac_f32_e32 v170, v172, v170
	v_mul_f32_e32 v172, v171, v170
	v_fma_f32 v173, -v169, v172, v171
	v_fmac_f32_e32 v172, v173, v170
	v_fma_f32 v169, -v169, v172, v171
	v_div_fmas_f32 v169, v169, v170, v172
	v_div_fixup_f32 v168, v169, v168, 1.0
	ds_write_b32 v165, v168
.LBB107_9:
	s_or_b64 exec, exec, s[2:3]
	s_waitcnt lgkmcnt(0)
	s_barrier
	ds_read_b32 v168, v165
	v_cmp_lt_u32_e32 vcc, 1, v163
	s_and_saveexec_b64 s[2:3], vcc
	s_cbranch_execz .LBB107_11
; %bb.10:
	ds_read2_b64 v[170:173], v167 offset0:1 offset1:2
	ds_read2_b64 v[174:177], v167 offset0:3 offset1:4
	s_waitcnt vmcnt(0) lgkmcnt(2)
	v_mul_f32_e32 v164, v168, v164
	ds_read2_b64 v[178:181], v167 offset0:5 offset1:6
	s_waitcnt lgkmcnt(2)
	v_pk_fma_f32 v[156:157], v[164:165], v[170:171], v[156:157] op_sel_hi:[0,1,1] neg_lo:[1,0,0] neg_hi:[1,0,0]
	v_pk_fma_f32 v[158:159], v[164:165], v[172:173], v[158:159] op_sel_hi:[0,1,1] neg_lo:[1,0,0] neg_hi:[1,0,0]
	ds_read2_b64 v[170:173], v167 offset0:7 offset1:8
	s_waitcnt lgkmcnt(2)
	v_pk_fma_f32 v[154:155], v[164:165], v[174:175], v[154:155] op_sel_hi:[0,1,1] neg_lo:[1,0,0] neg_hi:[1,0,0]
	v_pk_fma_f32 v[150:151], v[164:165], v[176:177], v[150:151] op_sel_hi:[0,1,1] neg_lo:[1,0,0] neg_hi:[1,0,0]
	s_waitcnt lgkmcnt(1)
	v_pk_fma_f32 v[128:129], v[164:165], v[178:179], v[128:129] op_sel_hi:[0,1,1] neg_lo:[1,0,0] neg_hi:[1,0,0]
	ds_read2_b64 v[174:177], v167 offset0:9 offset1:10
	v_pk_fma_f32 v[148:149], v[164:165], v[180:181], v[148:149] op_sel_hi:[0,1,1] neg_lo:[1,0,0] neg_hi:[1,0,0]
	s_waitcnt lgkmcnt(1)
	v_pk_fma_f32 v[126:127], v[164:165], v[170:171], v[126:127] op_sel_hi:[0,1,1] neg_lo:[1,0,0] neg_hi:[1,0,0]
	ds_read2_b64 v[178:181], v167 offset0:11 offset1:12
	v_pk_fma_f32 v[146:147], v[164:165], v[172:173], v[146:147] op_sel_hi:[0,1,1] neg_lo:[1,0,0] neg_hi:[1,0,0]
	ds_read2_b64 v[170:173], v167 offset0:13 offset1:14
	s_waitcnt lgkmcnt(2)
	v_pk_fma_f32 v[124:125], v[164:165], v[174:175], v[124:125] op_sel_hi:[0,1,1] neg_lo:[1,0,0] neg_hi:[1,0,0]
	v_pk_fma_f32 v[144:145], v[164:165], v[176:177], v[144:145] op_sel_hi:[0,1,1] neg_lo:[1,0,0] neg_hi:[1,0,0]
	s_waitcnt lgkmcnt(1)
	v_pk_fma_f32 v[122:123], v[164:165], v[178:179], v[122:123] op_sel_hi:[0,1,1] neg_lo:[1,0,0] neg_hi:[1,0,0]
	ds_read2_b64 v[174:177], v167 offset0:15 offset1:16
	v_pk_fma_f32 v[142:143], v[164:165], v[180:181], v[142:143] op_sel_hi:[0,1,1] neg_lo:[1,0,0] neg_hi:[1,0,0]
	s_waitcnt lgkmcnt(1)
	v_pk_fma_f32 v[120:121], v[164:165], v[170:171], v[120:121] op_sel_hi:[0,1,1] neg_lo:[1,0,0] neg_hi:[1,0,0]
	ds_read2_b64 v[178:181], v167 offset0:17 offset1:18
	v_pk_fma_f32 v[140:141], v[164:165], v[172:173], v[140:141] op_sel_hi:[0,1,1] neg_lo:[1,0,0] neg_hi:[1,0,0]
	ds_read2_b64 v[170:173], v167 offset0:19 offset1:20
	s_waitcnt lgkmcnt(2)
	v_pk_fma_f32 v[118:119], v[164:165], v[174:175], v[118:119] op_sel_hi:[0,1,1] neg_lo:[1,0,0] neg_hi:[1,0,0]
	v_pk_fma_f32 v[138:139], v[164:165], v[176:177], v[138:139] op_sel_hi:[0,1,1] neg_lo:[1,0,0] neg_hi:[1,0,0]
	s_waitcnt lgkmcnt(1)
	v_pk_fma_f32 v[116:117], v[164:165], v[178:179], v[116:117] op_sel_hi:[0,1,1] neg_lo:[1,0,0] neg_hi:[1,0,0]
	v_pk_fma_f32 v[136:137], v[164:165], v[180:181], v[136:137] op_sel_hi:[0,1,1] neg_lo:[1,0,0] neg_hi:[1,0,0]
	ds_read2_b64 v[174:177], v167 offset0:21 offset1:22
	ds_read2_b64 v[178:181], v167 offset0:23 offset1:24
	s_waitcnt lgkmcnt(2)
	v_pk_fma_f32 v[114:115], v[164:165], v[170:171], v[114:115] op_sel_hi:[0,1,1] neg_lo:[1,0,0] neg_hi:[1,0,0]
	v_pk_fma_f32 v[134:135], v[164:165], v[172:173], v[134:135] op_sel_hi:[0,1,1] neg_lo:[1,0,0] neg_hi:[1,0,0]
	ds_read2_b64 v[170:173], v167 offset0:25 offset1:26
	s_waitcnt lgkmcnt(2)
	v_pk_fma_f32 v[112:113], v[164:165], v[174:175], v[112:113] op_sel_hi:[0,1,1] neg_lo:[1,0,0] neg_hi:[1,0,0]
	v_pk_fma_f32 v[132:133], v[164:165], v[176:177], v[132:133] op_sel_hi:[0,1,1] neg_lo:[1,0,0] neg_hi:[1,0,0]
	s_waitcnt lgkmcnt(1)
	v_pk_fma_f32 v[110:111], v[164:165], v[178:179], v[110:111] op_sel_hi:[0,1,1] neg_lo:[1,0,0] neg_hi:[1,0,0]
	v_pk_fma_f32 v[130:131], v[164:165], v[180:181], v[130:131] op_sel_hi:[0,1,1] neg_lo:[1,0,0] neg_hi:[1,0,0]
	;; [unrolled: 3-line block ×3, first 2 shown]
.LBB107_11:
	s_or_b64 exec, exec, s[2:3]
	v_cmp_eq_u32_e32 vcc, 2, v163
	s_waitcnt lgkmcnt(0)
	s_barrier
	s_and_saveexec_b64 s[2:3], vcc
	s_cbranch_execz .LBB107_14
; %bb.12:
	s_waitcnt vmcnt(4)
	v_pk_mov_b32 v[170:171], v[156:157], v[158:159] op_sel:[1,0]
	ds_write_b32 v165, v156
	ds_write2_b32 v167, v170, v171 offset0:3 offset1:4
	s_waitcnt vmcnt(2)
	v_pk_mov_b32 v[170:171], v[158:159], v[154:155] op_sel:[1,0]
	ds_write2_b32 v167, v170, v171 offset0:5 offset1:6
	v_pk_mov_b32 v[170:171], v[154:155], v[150:151] op_sel:[1,0]
	ds_write2_b32 v167, v170, v171 offset0:7 offset1:8
	;; [unrolled: 2-line block ×24, first 2 shown]
	ds_write_b32 v167, v153 offset:212
	ds_read_b32 v169, v165
	s_waitcnt lgkmcnt(0)
	v_cmp_neq_f32_e32 vcc, 0, v169
	s_and_b64 exec, exec, vcc
	s_cbranch_execz .LBB107_14
; %bb.13:
	v_div_scale_f32 v170, s[4:5], v169, v169, 1.0
	v_rcp_f32_e32 v171, v170
	v_div_scale_f32 v172, vcc, 1.0, v169, 1.0
	v_fma_f32 v173, -v170, v171, 1.0
	v_fmac_f32_e32 v171, v173, v171
	v_mul_f32_e32 v173, v172, v171
	v_fma_f32 v174, -v170, v173, v172
	v_fmac_f32_e32 v173, v174, v171
	v_fma_f32 v170, -v170, v173, v172
	v_div_fmas_f32 v170, v170, v171, v173
	v_div_fixup_f32 v169, v170, v169, 1.0
	ds_write_b32 v165, v169
.LBB107_14:
	s_or_b64 exec, exec, s[2:3]
	s_waitcnt lgkmcnt(0)
	s_barrier
	ds_read_b32 v169, v165
	v_cmp_lt_u32_e32 vcc, 2, v163
	s_and_saveexec_b64 s[2:3], vcc
	s_cbranch_execz .LBB107_16
; %bb.15:
	ds_read_b32 v182, v167 offset:12
	ds_read2_b64 v[170:173], v167 offset0:2 offset1:3
	s_waitcnt vmcnt(7) lgkmcnt(2)
	v_mul_f32_e32 v156, v169, v156
	ds_read2_b64 v[174:177], v167 offset0:4 offset1:5
	ds_read2_b64 v[178:181], v167 offset0:6 offset1:7
	s_waitcnt vmcnt(6) lgkmcnt(3)
	v_fma_f32 v157, -v156, v182, v157
	s_waitcnt vmcnt(4) lgkmcnt(2)
	v_pk_fma_f32 v[158:159], v[156:157], v[170:171], v[158:159] op_sel_hi:[0,1,1] neg_lo:[1,0,0] neg_hi:[1,0,0]
	s_waitcnt vmcnt(2)
	v_pk_fma_f32 v[154:155], v[156:157], v[172:173], v[154:155] op_sel_hi:[0,1,1] neg_lo:[1,0,0] neg_hi:[1,0,0]
	ds_read2_b64 v[170:173], v167 offset0:8 offset1:9
	s_waitcnt lgkmcnt(2)
	v_pk_fma_f32 v[150:151], v[156:157], v[174:175], v[150:151] op_sel_hi:[0,1,1] neg_lo:[1,0,0] neg_hi:[1,0,0]
	v_pk_fma_f32 v[128:129], v[156:157], v[176:177], v[128:129] op_sel_hi:[0,1,1] neg_lo:[1,0,0] neg_hi:[1,0,0]
	s_waitcnt lgkmcnt(1)
	v_pk_fma_f32 v[148:149], v[156:157], v[178:179], v[148:149] op_sel_hi:[0,1,1] neg_lo:[1,0,0] neg_hi:[1,0,0]
	ds_read2_b64 v[174:177], v167 offset0:10 offset1:11
	v_pk_fma_f32 v[126:127], v[156:157], v[180:181], v[126:127] op_sel_hi:[0,1,1] neg_lo:[1,0,0] neg_hi:[1,0,0]
	s_waitcnt lgkmcnt(1)
	v_pk_fma_f32 v[146:147], v[156:157], v[170:171], v[146:147] op_sel_hi:[0,1,1] neg_lo:[1,0,0] neg_hi:[1,0,0]
	ds_read2_b64 v[178:181], v167 offset0:12 offset1:13
	v_pk_fma_f32 v[124:125], v[156:157], v[172:173], v[124:125] op_sel_hi:[0,1,1] neg_lo:[1,0,0] neg_hi:[1,0,0]
	ds_read2_b64 v[170:173], v167 offset0:14 offset1:15
	s_waitcnt lgkmcnt(2)
	v_pk_fma_f32 v[144:145], v[156:157], v[174:175], v[144:145] op_sel_hi:[0,1,1] neg_lo:[1,0,0] neg_hi:[1,0,0]
	v_pk_fma_f32 v[122:123], v[156:157], v[176:177], v[122:123] op_sel_hi:[0,1,1] neg_lo:[1,0,0] neg_hi:[1,0,0]
	s_waitcnt lgkmcnt(1)
	v_pk_fma_f32 v[142:143], v[156:157], v[178:179], v[142:143] op_sel_hi:[0,1,1] neg_lo:[1,0,0] neg_hi:[1,0,0]
	ds_read2_b64 v[174:177], v167 offset0:16 offset1:17
	v_pk_fma_f32 v[120:121], v[156:157], v[180:181], v[120:121] op_sel_hi:[0,1,1] neg_lo:[1,0,0] neg_hi:[1,0,0]
	s_waitcnt lgkmcnt(1)
	v_pk_fma_f32 v[140:141], v[156:157], v[170:171], v[140:141] op_sel_hi:[0,1,1] neg_lo:[1,0,0] neg_hi:[1,0,0]
	ds_read2_b64 v[178:181], v167 offset0:18 offset1:19
	v_pk_fma_f32 v[118:119], v[156:157], v[172:173], v[118:119] op_sel_hi:[0,1,1] neg_lo:[1,0,0] neg_hi:[1,0,0]
	ds_read2_b64 v[170:173], v167 offset0:20 offset1:21
	s_waitcnt lgkmcnt(2)
	v_pk_fma_f32 v[138:139], v[156:157], v[174:175], v[138:139] op_sel_hi:[0,1,1] neg_lo:[1,0,0] neg_hi:[1,0,0]
	v_pk_fma_f32 v[116:117], v[156:157], v[176:177], v[116:117] op_sel_hi:[0,1,1] neg_lo:[1,0,0] neg_hi:[1,0,0]
	s_waitcnt lgkmcnt(1)
	v_pk_fma_f32 v[136:137], v[156:157], v[178:179], v[136:137] op_sel_hi:[0,1,1] neg_lo:[1,0,0] neg_hi:[1,0,0]
	v_pk_fma_f32 v[114:115], v[156:157], v[180:181], v[114:115] op_sel_hi:[0,1,1] neg_lo:[1,0,0] neg_hi:[1,0,0]
	ds_read2_b64 v[174:177], v167 offset0:22 offset1:23
	s_waitcnt lgkmcnt(1)
	v_pk_fma_f32 v[134:135], v[156:157], v[170:171], v[134:135] op_sel_hi:[0,1,1] neg_lo:[1,0,0] neg_hi:[1,0,0]
	ds_read2_b64 v[178:181], v167 offset0:24 offset1:25
	ds_read_b64 v[170:171], v167 offset:208
	v_pk_fma_f32 v[112:113], v[156:157], v[172:173], v[112:113] op_sel_hi:[0,1,1] neg_lo:[1,0,0] neg_hi:[1,0,0]
	s_waitcnt lgkmcnt(2)
	v_pk_fma_f32 v[132:133], v[156:157], v[174:175], v[132:133] op_sel_hi:[0,1,1] neg_lo:[1,0,0] neg_hi:[1,0,0]
	v_pk_fma_f32 v[110:111], v[156:157], v[176:177], v[110:111] op_sel_hi:[0,1,1] neg_lo:[1,0,0] neg_hi:[1,0,0]
	s_waitcnt lgkmcnt(1)
	v_pk_fma_f32 v[130:131], v[156:157], v[178:179], v[130:131] op_sel_hi:[0,1,1] neg_lo:[1,0,0] neg_hi:[1,0,0]
	;; [unrolled: 3-line block ×3, first 2 shown]
.LBB107_16:
	s_or_b64 exec, exec, s[2:3]
	v_cmp_eq_u32_e32 vcc, 3, v163
	s_waitcnt lgkmcnt(0)
	s_barrier
	s_and_saveexec_b64 s[2:3], vcc
	s_cbranch_execz .LBB107_19
; %bb.17:
	s_waitcnt vmcnt(5)
	v_mov_b32_e32 v170, v158
	s_waitcnt vmcnt(4)
	v_mov_b32_e32 v171, v159
	s_waitcnt vmcnt(3)
	v_mov_b32_e32 v172, v154
	s_waitcnt vmcnt(2)
	v_mov_b32_e32 v173, v155
	ds_write_b32 v165, v157
	ds_write2_b64 v167, v[170:171], v[172:173] offset0:2 offset1:3
	v_mov_b32_e32 v170, v150
	v_mov_b32_e32 v171, v151
	v_mov_b32_e32 v172, v128
	v_mov_b32_e32 v173, v129
	ds_write2_b64 v167, v[170:171], v[172:173] offset0:4 offset1:5
	v_mov_b32_e32 v170, v148
	v_mov_b32_e32 v171, v149
	v_mov_b32_e32 v172, v126
	v_mov_b32_e32 v173, v127
	;; [unrolled: 5-line block ×11, first 2 shown]
	ds_write2_b64 v167, v[170:171], v[172:173] offset0:24 offset1:25
	ds_write_b64 v167, v[152:153] offset:208
	ds_read_b32 v170, v165
	s_waitcnt lgkmcnt(0)
	v_cmp_neq_f32_e32 vcc, 0, v170
	s_and_b64 exec, exec, vcc
	s_cbranch_execz .LBB107_19
; %bb.18:
	v_div_scale_f32 v171, s[4:5], v170, v170, 1.0
	v_rcp_f32_e32 v172, v171
	v_div_scale_f32 v173, vcc, 1.0, v170, 1.0
	v_fma_f32 v174, -v171, v172, 1.0
	v_fmac_f32_e32 v172, v174, v172
	v_mul_f32_e32 v174, v173, v172
	v_fma_f32 v175, -v171, v174, v173
	v_fmac_f32_e32 v174, v175, v172
	v_fma_f32 v171, -v171, v174, v173
	v_div_fmas_f32 v171, v171, v172, v174
	v_div_fixup_f32 v170, v171, v170, 1.0
	ds_write_b32 v165, v170
.LBB107_19:
	s_or_b64 exec, exec, s[2:3]
	s_waitcnt lgkmcnt(0)
	s_barrier
	ds_read_b32 v170, v165
	v_cmp_lt_u32_e32 vcc, 3, v163
	s_and_saveexec_b64 s[2:3], vcc
	s_cbranch_execz .LBB107_21
; %bb.20:
	ds_read2_b64 v[172:175], v167 offset0:2 offset1:3
	ds_read2_b64 v[176:179], v167 offset0:4 offset1:5
	s_waitcnt vmcnt(6) lgkmcnt(2)
	v_mul_f32_e32 v184, v170, v157
	ds_read2_b64 v[180:183], v167 offset0:6 offset1:7
	v_mov_b32_e32 v157, v184
	s_waitcnt vmcnt(4) lgkmcnt(2)
	v_pk_fma_f32 v[158:159], v[184:185], v[172:173], v[158:159] op_sel_hi:[0,1,1] neg_lo:[1,0,0] neg_hi:[1,0,0]
	s_waitcnt vmcnt(2)
	v_pk_fma_f32 v[154:155], v[184:185], v[174:175], v[154:155] op_sel_hi:[0,1,1] neg_lo:[1,0,0] neg_hi:[1,0,0]
	ds_read2_b64 v[172:175], v167 offset0:8 offset1:9
	s_waitcnt lgkmcnt(2)
	v_pk_fma_f32 v[150:151], v[184:185], v[176:177], v[150:151] op_sel_hi:[0,1,1] neg_lo:[1,0,0] neg_hi:[1,0,0]
	v_pk_fma_f32 v[128:129], v[184:185], v[178:179], v[128:129] op_sel_hi:[0,1,1] neg_lo:[1,0,0] neg_hi:[1,0,0]
	s_waitcnt lgkmcnt(1)
	v_pk_fma_f32 v[148:149], v[184:185], v[180:181], v[148:149] op_sel_hi:[0,1,1] neg_lo:[1,0,0] neg_hi:[1,0,0]
	ds_read2_b64 v[176:179], v167 offset0:10 offset1:11
	v_pk_fma_f32 v[126:127], v[184:185], v[182:183], v[126:127] op_sel_hi:[0,1,1] neg_lo:[1,0,0] neg_hi:[1,0,0]
	s_waitcnt lgkmcnt(1)
	v_pk_fma_f32 v[146:147], v[184:185], v[172:173], v[146:147] op_sel_hi:[0,1,1] neg_lo:[1,0,0] neg_hi:[1,0,0]
	ds_read2_b64 v[180:183], v167 offset0:12 offset1:13
	v_pk_fma_f32 v[124:125], v[184:185], v[174:175], v[124:125] op_sel_hi:[0,1,1] neg_lo:[1,0,0] neg_hi:[1,0,0]
	ds_read2_b64 v[172:175], v167 offset0:14 offset1:15
	s_waitcnt lgkmcnt(2)
	v_pk_fma_f32 v[144:145], v[184:185], v[176:177], v[144:145] op_sel_hi:[0,1,1] neg_lo:[1,0,0] neg_hi:[1,0,0]
	v_pk_fma_f32 v[122:123], v[184:185], v[178:179], v[122:123] op_sel_hi:[0,1,1] neg_lo:[1,0,0] neg_hi:[1,0,0]
	s_waitcnt lgkmcnt(1)
	v_pk_fma_f32 v[142:143], v[184:185], v[180:181], v[142:143] op_sel_hi:[0,1,1] neg_lo:[1,0,0] neg_hi:[1,0,0]
	ds_read2_b64 v[176:179], v167 offset0:16 offset1:17
	v_pk_fma_f32 v[120:121], v[184:185], v[182:183], v[120:121] op_sel_hi:[0,1,1] neg_lo:[1,0,0] neg_hi:[1,0,0]
	s_waitcnt lgkmcnt(1)
	v_pk_fma_f32 v[140:141], v[184:185], v[172:173], v[140:141] op_sel_hi:[0,1,1] neg_lo:[1,0,0] neg_hi:[1,0,0]
	ds_read2_b64 v[180:183], v167 offset0:18 offset1:19
	v_pk_fma_f32 v[118:119], v[184:185], v[174:175], v[118:119] op_sel_hi:[0,1,1] neg_lo:[1,0,0] neg_hi:[1,0,0]
	ds_read2_b64 v[172:175], v167 offset0:20 offset1:21
	s_waitcnt lgkmcnt(2)
	v_pk_fma_f32 v[138:139], v[184:185], v[176:177], v[138:139] op_sel_hi:[0,1,1] neg_lo:[1,0,0] neg_hi:[1,0,0]
	v_pk_fma_f32 v[116:117], v[184:185], v[178:179], v[116:117] op_sel_hi:[0,1,1] neg_lo:[1,0,0] neg_hi:[1,0,0]
	s_waitcnt lgkmcnt(1)
	v_pk_fma_f32 v[136:137], v[184:185], v[180:181], v[136:137] op_sel_hi:[0,1,1] neg_lo:[1,0,0] neg_hi:[1,0,0]
	v_pk_fma_f32 v[114:115], v[184:185], v[182:183], v[114:115] op_sel_hi:[0,1,1] neg_lo:[1,0,0] neg_hi:[1,0,0]
	ds_read2_b64 v[176:179], v167 offset0:22 offset1:23
	ds_read2_b64 v[180:183], v167 offset0:24 offset1:25
	s_waitcnt lgkmcnt(2)
	v_pk_fma_f32 v[134:135], v[184:185], v[172:173], v[134:135] op_sel_hi:[0,1,1] neg_lo:[1,0,0] neg_hi:[1,0,0]
	ds_read_b64 v[172:173], v167 offset:208
	v_pk_fma_f32 v[112:113], v[184:185], v[174:175], v[112:113] op_sel_hi:[0,1,1] neg_lo:[1,0,0] neg_hi:[1,0,0]
	s_waitcnt lgkmcnt(2)
	v_pk_fma_f32 v[132:133], v[184:185], v[176:177], v[132:133] op_sel_hi:[0,1,1] neg_lo:[1,0,0] neg_hi:[1,0,0]
	v_pk_fma_f32 v[110:111], v[184:185], v[178:179], v[110:111] op_sel_hi:[0,1,1] neg_lo:[1,0,0] neg_hi:[1,0,0]
	s_waitcnt lgkmcnt(1)
	v_pk_fma_f32 v[130:131], v[184:185], v[180:181], v[130:131] op_sel_hi:[0,1,1] neg_lo:[1,0,0] neg_hi:[1,0,0]
	;; [unrolled: 3-line block ×3, first 2 shown]
.LBB107_21:
	s_or_b64 exec, exec, s[2:3]
	v_cmp_eq_u32_e32 vcc, 4, v163
	s_waitcnt lgkmcnt(0)
	s_barrier
	s_and_saveexec_b64 s[2:3], vcc
	s_cbranch_execz .LBB107_24
; %bb.22:
	s_waitcnt vmcnt(2)
	v_pk_mov_b32 v[172:173], v[158:159], v[154:155] op_sel:[1,0]
	ds_write_b32 v165, v158
	ds_write2_b32 v167, v172, v173 offset0:5 offset1:6
	v_pk_mov_b32 v[172:173], v[154:155], v[150:151] op_sel:[1,0]
	ds_write2_b32 v167, v172, v173 offset0:7 offset1:8
	v_pk_mov_b32 v[172:173], v[150:151], v[128:129] op_sel:[1,0]
	;; [unrolled: 2-line block ×23, first 2 shown]
	ds_write2_b32 v167, v172, v173 offset0:51 offset1:52
	ds_write_b32 v167, v153 offset:212
	ds_read_b32 v171, v165
	s_waitcnt lgkmcnt(0)
	v_cmp_neq_f32_e32 vcc, 0, v171
	s_and_b64 exec, exec, vcc
	s_cbranch_execz .LBB107_24
; %bb.23:
	v_div_scale_f32 v172, s[4:5], v171, v171, 1.0
	v_rcp_f32_e32 v173, v172
	v_div_scale_f32 v174, vcc, 1.0, v171, 1.0
	v_fma_f32 v175, -v172, v173, 1.0
	v_fmac_f32_e32 v173, v175, v173
	v_mul_f32_e32 v175, v174, v173
	v_fma_f32 v176, -v172, v175, v174
	v_fmac_f32_e32 v175, v176, v173
	v_fma_f32 v172, -v172, v175, v174
	v_div_fmas_f32 v172, v172, v173, v175
	v_div_fixup_f32 v171, v172, v171, 1.0
	ds_write_b32 v165, v171
.LBB107_24:
	s_or_b64 exec, exec, s[2:3]
	s_waitcnt lgkmcnt(0)
	s_barrier
	ds_read_b32 v171, v165
	v_cmp_lt_u32_e32 vcc, 4, v163
	s_and_saveexec_b64 s[2:3], vcc
	s_cbranch_execz .LBB107_26
; %bb.25:
	ds_read_b32 v184, v167 offset:20
	ds_read2_b64 v[172:175], v167 offset0:3 offset1:4
	ds_read2_b64 v[176:179], v167 offset0:5 offset1:6
	;; [unrolled: 1-line block ×3, first 2 shown]
	s_waitcnt vmcnt(5) lgkmcnt(4)
	v_mul_f32_e32 v158, v171, v158
	s_waitcnt vmcnt(4) lgkmcnt(3)
	v_fma_f32 v159, -v158, v184, v159
	s_waitcnt vmcnt(2) lgkmcnt(2)
	v_pk_fma_f32 v[154:155], v[158:159], v[172:173], v[154:155] op_sel_hi:[0,1,1] neg_lo:[1,0,0] neg_hi:[1,0,0]
	v_pk_fma_f32 v[150:151], v[158:159], v[174:175], v[150:151] op_sel_hi:[0,1,1] neg_lo:[1,0,0] neg_hi:[1,0,0]
	s_waitcnt lgkmcnt(1)
	v_pk_fma_f32 v[128:129], v[158:159], v[176:177], v[128:129] op_sel_hi:[0,1,1] neg_lo:[1,0,0] neg_hi:[1,0,0]
	ds_read2_b64 v[172:175], v167 offset0:9 offset1:10
	v_pk_fma_f32 v[148:149], v[158:159], v[178:179], v[148:149] op_sel_hi:[0,1,1] neg_lo:[1,0,0] neg_hi:[1,0,0]
	s_waitcnt lgkmcnt(1)
	v_pk_fma_f32 v[126:127], v[158:159], v[180:181], v[126:127] op_sel_hi:[0,1,1] neg_lo:[1,0,0] neg_hi:[1,0,0]
	ds_read2_b64 v[176:179], v167 offset0:11 offset1:12
	v_pk_fma_f32 v[146:147], v[158:159], v[182:183], v[146:147] op_sel_hi:[0,1,1] neg_lo:[1,0,0] neg_hi:[1,0,0]
	ds_read2_b64 v[180:183], v167 offset0:13 offset1:14
	s_waitcnt lgkmcnt(2)
	v_pk_fma_f32 v[124:125], v[158:159], v[172:173], v[124:125] op_sel_hi:[0,1,1] neg_lo:[1,0,0] neg_hi:[1,0,0]
	v_pk_fma_f32 v[144:145], v[158:159], v[174:175], v[144:145] op_sel_hi:[0,1,1] neg_lo:[1,0,0] neg_hi:[1,0,0]
	s_waitcnt lgkmcnt(1)
	v_pk_fma_f32 v[122:123], v[158:159], v[176:177], v[122:123] op_sel_hi:[0,1,1] neg_lo:[1,0,0] neg_hi:[1,0,0]
	ds_read2_b64 v[172:175], v167 offset0:15 offset1:16
	v_pk_fma_f32 v[142:143], v[158:159], v[178:179], v[142:143] op_sel_hi:[0,1,1] neg_lo:[1,0,0] neg_hi:[1,0,0]
	s_waitcnt lgkmcnt(1)
	v_pk_fma_f32 v[120:121], v[158:159], v[180:181], v[120:121] op_sel_hi:[0,1,1] neg_lo:[1,0,0] neg_hi:[1,0,0]
	ds_read2_b64 v[176:179], v167 offset0:17 offset1:18
	v_pk_fma_f32 v[140:141], v[158:159], v[182:183], v[140:141] op_sel_hi:[0,1,1] neg_lo:[1,0,0] neg_hi:[1,0,0]
	ds_read2_b64 v[180:183], v167 offset0:19 offset1:20
	s_waitcnt lgkmcnt(2)
	v_pk_fma_f32 v[118:119], v[158:159], v[172:173], v[118:119] op_sel_hi:[0,1,1] neg_lo:[1,0,0] neg_hi:[1,0,0]
	v_pk_fma_f32 v[138:139], v[158:159], v[174:175], v[138:139] op_sel_hi:[0,1,1] neg_lo:[1,0,0] neg_hi:[1,0,0]
	s_waitcnt lgkmcnt(1)
	v_pk_fma_f32 v[116:117], v[158:159], v[176:177], v[116:117] op_sel_hi:[0,1,1] neg_lo:[1,0,0] neg_hi:[1,0,0]
	v_pk_fma_f32 v[136:137], v[158:159], v[178:179], v[136:137] op_sel_hi:[0,1,1] neg_lo:[1,0,0] neg_hi:[1,0,0]
	ds_read2_b64 v[172:175], v167 offset0:21 offset1:22
	ds_read2_b64 v[176:179], v167 offset0:23 offset1:24
	s_waitcnt lgkmcnt(2)
	v_pk_fma_f32 v[114:115], v[158:159], v[180:181], v[114:115] op_sel_hi:[0,1,1] neg_lo:[1,0,0] neg_hi:[1,0,0]
	v_pk_fma_f32 v[134:135], v[158:159], v[182:183], v[134:135] op_sel_hi:[0,1,1] neg_lo:[1,0,0] neg_hi:[1,0,0]
	ds_read2_b64 v[180:183], v167 offset0:25 offset1:26
	s_waitcnt lgkmcnt(2)
	v_pk_fma_f32 v[112:113], v[158:159], v[172:173], v[112:113] op_sel_hi:[0,1,1] neg_lo:[1,0,0] neg_hi:[1,0,0]
	v_pk_fma_f32 v[132:133], v[158:159], v[174:175], v[132:133] op_sel_hi:[0,1,1] neg_lo:[1,0,0] neg_hi:[1,0,0]
	s_waitcnt lgkmcnt(1)
	v_pk_fma_f32 v[110:111], v[158:159], v[176:177], v[110:111] op_sel_hi:[0,1,1] neg_lo:[1,0,0] neg_hi:[1,0,0]
	v_pk_fma_f32 v[130:131], v[158:159], v[178:179], v[130:131] op_sel_hi:[0,1,1] neg_lo:[1,0,0] neg_hi:[1,0,0]
	;; [unrolled: 3-line block ×3, first 2 shown]
.LBB107_26:
	s_or_b64 exec, exec, s[2:3]
	v_cmp_ne_u32_e32 vcc, 5, v163
	s_waitcnt lgkmcnt(0)
	s_barrier
	s_and_saveexec_b64 s[2:3], vcc
	s_xor_b64 s[2:3], exec, s[2:3]
	s_andn2_saveexec_b64 s[2:3], s[2:3]
	s_cbranch_execz .LBB107_30
; %bb.27:
	s_waitcnt vmcnt(4)
	ds_write_b32 v165, v159
	s_waitcnt vmcnt(2)
	ds_write2_b64 v167, v[154:155], v[150:151] offset0:3 offset1:4
	ds_write2_b64 v167, v[128:129], v[148:149] offset0:5 offset1:6
	;; [unrolled: 1-line block ×12, first 2 shown]
	ds_read_b32 v172, v165
	s_waitcnt lgkmcnt(0)
	v_cmp_neq_f32_e32 vcc, 0, v172
	s_and_saveexec_b64 s[4:5], vcc
	s_cbranch_execz .LBB107_29
; %bb.28:
	v_div_scale_f32 v173, s[10:11], v172, v172, 1.0
	v_rcp_f32_e32 v174, v173
	v_div_scale_f32 v175, vcc, 1.0, v172, 1.0
	v_fma_f32 v176, -v173, v174, 1.0
	v_fmac_f32_e32 v174, v176, v174
	v_mul_f32_e32 v176, v175, v174
	v_fma_f32 v177, -v173, v176, v175
	v_fmac_f32_e32 v176, v177, v174
	v_fma_f32 v173, -v173, v176, v175
	v_div_fmas_f32 v173, v173, v174, v176
	v_div_fixup_f32 v172, v173, v172, 1.0
	ds_write_b32 v165, v172
.LBB107_29:
	s_or_b64 exec, exec, s[4:5]
.LBB107_30:
	s_or_b64 exec, exec, s[2:3]
	s_waitcnt lgkmcnt(0)
	s_barrier
	ds_read_b32 v172, v165
	v_cmp_lt_u32_e32 vcc, 5, v163
	s_and_saveexec_b64 s[2:3], vcc
	s_cbranch_execz .LBB107_32
; %bb.31:
	ds_read2_b64 v[174:177], v167 offset0:3 offset1:4
	ds_read2_b64 v[178:181], v167 offset0:5 offset1:6
	;; [unrolled: 1-line block ×3, first 2 shown]
	s_waitcnt vmcnt(4) lgkmcnt(3)
	v_mul_f32_e32 v186, v172, v159
	v_mov_b32_e32 v159, v186
	s_waitcnt vmcnt(2) lgkmcnt(2)
	v_pk_fma_f32 v[154:155], v[186:187], v[174:175], v[154:155] op_sel_hi:[0,1,1] neg_lo:[1,0,0] neg_hi:[1,0,0]
	v_pk_fma_f32 v[150:151], v[186:187], v[176:177], v[150:151] op_sel_hi:[0,1,1] neg_lo:[1,0,0] neg_hi:[1,0,0]
	s_waitcnt lgkmcnt(1)
	v_pk_fma_f32 v[128:129], v[186:187], v[178:179], v[128:129] op_sel_hi:[0,1,1] neg_lo:[1,0,0] neg_hi:[1,0,0]
	ds_read2_b64 v[174:177], v167 offset0:9 offset1:10
	v_pk_fma_f32 v[148:149], v[186:187], v[180:181], v[148:149] op_sel_hi:[0,1,1] neg_lo:[1,0,0] neg_hi:[1,0,0]
	s_waitcnt lgkmcnt(1)
	v_pk_fma_f32 v[126:127], v[186:187], v[182:183], v[126:127] op_sel_hi:[0,1,1] neg_lo:[1,0,0] neg_hi:[1,0,0]
	ds_read2_b64 v[178:181], v167 offset0:11 offset1:12
	v_pk_fma_f32 v[146:147], v[186:187], v[184:185], v[146:147] op_sel_hi:[0,1,1] neg_lo:[1,0,0] neg_hi:[1,0,0]
	ds_read2_b64 v[182:185], v167 offset0:13 offset1:14
	s_waitcnt lgkmcnt(2)
	v_pk_fma_f32 v[124:125], v[186:187], v[174:175], v[124:125] op_sel_hi:[0,1,1] neg_lo:[1,0,0] neg_hi:[1,0,0]
	v_pk_fma_f32 v[144:145], v[186:187], v[176:177], v[144:145] op_sel_hi:[0,1,1] neg_lo:[1,0,0] neg_hi:[1,0,0]
	s_waitcnt lgkmcnt(1)
	v_pk_fma_f32 v[122:123], v[186:187], v[178:179], v[122:123] op_sel_hi:[0,1,1] neg_lo:[1,0,0] neg_hi:[1,0,0]
	ds_read2_b64 v[174:177], v167 offset0:15 offset1:16
	v_pk_fma_f32 v[142:143], v[186:187], v[180:181], v[142:143] op_sel_hi:[0,1,1] neg_lo:[1,0,0] neg_hi:[1,0,0]
	s_waitcnt lgkmcnt(1)
	v_pk_fma_f32 v[120:121], v[186:187], v[182:183], v[120:121] op_sel_hi:[0,1,1] neg_lo:[1,0,0] neg_hi:[1,0,0]
	ds_read2_b64 v[178:181], v167 offset0:17 offset1:18
	v_pk_fma_f32 v[140:141], v[186:187], v[184:185], v[140:141] op_sel_hi:[0,1,1] neg_lo:[1,0,0] neg_hi:[1,0,0]
	ds_read2_b64 v[182:185], v167 offset0:19 offset1:20
	s_waitcnt lgkmcnt(2)
	v_pk_fma_f32 v[118:119], v[186:187], v[174:175], v[118:119] op_sel_hi:[0,1,1] neg_lo:[1,0,0] neg_hi:[1,0,0]
	v_pk_fma_f32 v[138:139], v[186:187], v[176:177], v[138:139] op_sel_hi:[0,1,1] neg_lo:[1,0,0] neg_hi:[1,0,0]
	s_waitcnt lgkmcnt(1)
	v_pk_fma_f32 v[116:117], v[186:187], v[178:179], v[116:117] op_sel_hi:[0,1,1] neg_lo:[1,0,0] neg_hi:[1,0,0]
	v_pk_fma_f32 v[136:137], v[186:187], v[180:181], v[136:137] op_sel_hi:[0,1,1] neg_lo:[1,0,0] neg_hi:[1,0,0]
	ds_read2_b64 v[174:177], v167 offset0:21 offset1:22
	s_waitcnt lgkmcnt(1)
	v_pk_fma_f32 v[114:115], v[186:187], v[182:183], v[114:115] op_sel_hi:[0,1,1] neg_lo:[1,0,0] neg_hi:[1,0,0]
	ds_read2_b64 v[178:181], v167 offset0:23 offset1:24
	v_pk_fma_f32 v[134:135], v[186:187], v[184:185], v[134:135] op_sel_hi:[0,1,1] neg_lo:[1,0,0] neg_hi:[1,0,0]
	ds_read2_b64 v[182:185], v167 offset0:25 offset1:26
	s_waitcnt lgkmcnt(2)
	v_pk_fma_f32 v[112:113], v[186:187], v[174:175], v[112:113] op_sel_hi:[0,1,1] neg_lo:[1,0,0] neg_hi:[1,0,0]
	v_pk_fma_f32 v[132:133], v[186:187], v[176:177], v[132:133] op_sel_hi:[0,1,1] neg_lo:[1,0,0] neg_hi:[1,0,0]
	s_waitcnt lgkmcnt(1)
	v_pk_fma_f32 v[110:111], v[186:187], v[178:179], v[110:111] op_sel_hi:[0,1,1] neg_lo:[1,0,0] neg_hi:[1,0,0]
	v_pk_fma_f32 v[130:131], v[186:187], v[180:181], v[130:131] op_sel_hi:[0,1,1] neg_lo:[1,0,0] neg_hi:[1,0,0]
	;; [unrolled: 3-line block ×3, first 2 shown]
.LBB107_32:
	s_or_b64 exec, exec, s[2:3]
	v_cmp_eq_u32_e32 vcc, 6, v163
	s_waitcnt lgkmcnt(0)
	s_barrier
	s_and_saveexec_b64 s[2:3], vcc
	s_cbranch_execz .LBB107_35
; %bb.33:
	s_waitcnt vmcnt(2)
	v_pk_mov_b32 v[174:175], v[154:155], v[150:151] op_sel:[1,0]
	ds_write_b32 v165, v154
	ds_write2_b32 v167, v174, v175 offset0:7 offset1:8
	v_pk_mov_b32 v[174:175], v[150:151], v[128:129] op_sel:[1,0]
	ds_write2_b32 v167, v174, v175 offset0:9 offset1:10
	v_pk_mov_b32 v[174:175], v[128:129], v[148:149] op_sel:[1,0]
	;; [unrolled: 2-line block ×22, first 2 shown]
	ds_write2_b32 v167, v174, v175 offset0:51 offset1:52
	ds_write_b32 v167, v153 offset:212
	ds_read_b32 v173, v165
	s_waitcnt lgkmcnt(0)
	v_cmp_neq_f32_e32 vcc, 0, v173
	s_and_b64 exec, exec, vcc
	s_cbranch_execz .LBB107_35
; %bb.34:
	v_div_scale_f32 v174, s[4:5], v173, v173, 1.0
	v_rcp_f32_e32 v175, v174
	v_div_scale_f32 v176, vcc, 1.0, v173, 1.0
	v_fma_f32 v177, -v174, v175, 1.0
	v_fmac_f32_e32 v175, v177, v175
	v_mul_f32_e32 v177, v176, v175
	v_fma_f32 v178, -v174, v177, v176
	v_fmac_f32_e32 v177, v178, v175
	v_fma_f32 v174, -v174, v177, v176
	v_div_fmas_f32 v174, v174, v175, v177
	v_div_fixup_f32 v173, v174, v173, 1.0
	ds_write_b32 v165, v173
.LBB107_35:
	s_or_b64 exec, exec, s[2:3]
	s_waitcnt lgkmcnt(0)
	s_barrier
	ds_read_b32 v173, v165
	v_cmp_lt_u32_e32 vcc, 6, v163
	s_and_saveexec_b64 s[2:3], vcc
	s_cbranch_execz .LBB107_37
; %bb.36:
	ds_read_b32 v186, v167 offset:28
	ds_read2_b64 v[174:177], v167 offset0:4 offset1:5
	ds_read2_b64 v[178:181], v167 offset0:6 offset1:7
	;; [unrolled: 1-line block ×3, first 2 shown]
	s_waitcnt vmcnt(3) lgkmcnt(4)
	v_mul_f32_e32 v154, v173, v154
	s_waitcnt vmcnt(2) lgkmcnt(3)
	v_fma_f32 v155, -v154, v186, v155
	s_waitcnt lgkmcnt(2)
	v_pk_fma_f32 v[150:151], v[154:155], v[174:175], v[150:151] op_sel_hi:[0,1,1] neg_lo:[1,0,0] neg_hi:[1,0,0]
	v_pk_fma_f32 v[128:129], v[154:155], v[176:177], v[128:129] op_sel_hi:[0,1,1] neg_lo:[1,0,0] neg_hi:[1,0,0]
	s_waitcnt lgkmcnt(1)
	v_pk_fma_f32 v[148:149], v[154:155], v[178:179], v[148:149] op_sel_hi:[0,1,1] neg_lo:[1,0,0] neg_hi:[1,0,0]
	ds_read2_b64 v[174:177], v167 offset0:10 offset1:11
	v_pk_fma_f32 v[126:127], v[154:155], v[180:181], v[126:127] op_sel_hi:[0,1,1] neg_lo:[1,0,0] neg_hi:[1,0,0]
	s_waitcnt lgkmcnt(1)
	v_pk_fma_f32 v[146:147], v[154:155], v[182:183], v[146:147] op_sel_hi:[0,1,1] neg_lo:[1,0,0] neg_hi:[1,0,0]
	ds_read2_b64 v[178:181], v167 offset0:12 offset1:13
	v_pk_fma_f32 v[124:125], v[154:155], v[184:185], v[124:125] op_sel_hi:[0,1,1] neg_lo:[1,0,0] neg_hi:[1,0,0]
	ds_read2_b64 v[182:185], v167 offset0:14 offset1:15
	s_waitcnt lgkmcnt(2)
	v_pk_fma_f32 v[144:145], v[154:155], v[174:175], v[144:145] op_sel_hi:[0,1,1] neg_lo:[1,0,0] neg_hi:[1,0,0]
	v_pk_fma_f32 v[122:123], v[154:155], v[176:177], v[122:123] op_sel_hi:[0,1,1] neg_lo:[1,0,0] neg_hi:[1,0,0]
	s_waitcnt lgkmcnt(1)
	v_pk_fma_f32 v[142:143], v[154:155], v[178:179], v[142:143] op_sel_hi:[0,1,1] neg_lo:[1,0,0] neg_hi:[1,0,0]
	ds_read2_b64 v[174:177], v167 offset0:16 offset1:17
	v_pk_fma_f32 v[120:121], v[154:155], v[180:181], v[120:121] op_sel_hi:[0,1,1] neg_lo:[1,0,0] neg_hi:[1,0,0]
	s_waitcnt lgkmcnt(1)
	v_pk_fma_f32 v[140:141], v[154:155], v[182:183], v[140:141] op_sel_hi:[0,1,1] neg_lo:[1,0,0] neg_hi:[1,0,0]
	ds_read2_b64 v[178:181], v167 offset0:18 offset1:19
	v_pk_fma_f32 v[118:119], v[154:155], v[184:185], v[118:119] op_sel_hi:[0,1,1] neg_lo:[1,0,0] neg_hi:[1,0,0]
	ds_read2_b64 v[182:185], v167 offset0:20 offset1:21
	s_waitcnt lgkmcnt(2)
	v_pk_fma_f32 v[138:139], v[154:155], v[174:175], v[138:139] op_sel_hi:[0,1,1] neg_lo:[1,0,0] neg_hi:[1,0,0]
	v_pk_fma_f32 v[116:117], v[154:155], v[176:177], v[116:117] op_sel_hi:[0,1,1] neg_lo:[1,0,0] neg_hi:[1,0,0]
	s_waitcnt lgkmcnt(1)
	v_pk_fma_f32 v[136:137], v[154:155], v[178:179], v[136:137] op_sel_hi:[0,1,1] neg_lo:[1,0,0] neg_hi:[1,0,0]
	v_pk_fma_f32 v[114:115], v[154:155], v[180:181], v[114:115] op_sel_hi:[0,1,1] neg_lo:[1,0,0] neg_hi:[1,0,0]
	ds_read2_b64 v[174:177], v167 offset0:22 offset1:23
	ds_read2_b64 v[178:181], v167 offset0:24 offset1:25
	s_waitcnt lgkmcnt(2)
	v_pk_fma_f32 v[134:135], v[154:155], v[182:183], v[134:135] op_sel_hi:[0,1,1] neg_lo:[1,0,0] neg_hi:[1,0,0]
	ds_read_b64 v[182:183], v167 offset:208
	v_pk_fma_f32 v[112:113], v[154:155], v[184:185], v[112:113] op_sel_hi:[0,1,1] neg_lo:[1,0,0] neg_hi:[1,0,0]
	s_waitcnt lgkmcnt(2)
	v_pk_fma_f32 v[132:133], v[154:155], v[174:175], v[132:133] op_sel_hi:[0,1,1] neg_lo:[1,0,0] neg_hi:[1,0,0]
	v_pk_fma_f32 v[110:111], v[154:155], v[176:177], v[110:111] op_sel_hi:[0,1,1] neg_lo:[1,0,0] neg_hi:[1,0,0]
	s_waitcnt lgkmcnt(1)
	v_pk_fma_f32 v[130:131], v[154:155], v[178:179], v[130:131] op_sel_hi:[0,1,1] neg_lo:[1,0,0] neg_hi:[1,0,0]
	;; [unrolled: 3-line block ×3, first 2 shown]
.LBB107_37:
	s_or_b64 exec, exec, s[2:3]
	v_cmp_ne_u32_e32 vcc, 7, v163
	s_waitcnt lgkmcnt(0)
	s_barrier
	s_and_saveexec_b64 s[2:3], vcc
	s_xor_b64 s[2:3], exec, s[2:3]
	s_andn2_saveexec_b64 s[2:3], s[2:3]
	s_cbranch_execz .LBB107_41
; %bb.38:
	s_waitcnt vmcnt(53)
	v_mov_b32_e32 v174, v150
	s_waitcnt vmcnt(52)
	v_mov_b32_e32 v175, v151
	;; [unrolled: 2-line block ×4, first 2 shown]
	s_waitcnt vmcnt(2)
	ds_write_b32 v165, v155
	ds_write2_b64 v167, v[174:175], v[176:177] offset0:4 offset1:5
	v_mov_b32_e32 v174, v148
	v_mov_b32_e32 v175, v149
	v_mov_b32_e32 v176, v126
	v_mov_b32_e32 v177, v127
	ds_write2_b64 v167, v[174:175], v[176:177] offset0:6 offset1:7
	v_mov_b32_e32 v174, v146
	v_mov_b32_e32 v175, v147
	v_mov_b32_e32 v176, v124
	v_mov_b32_e32 v177, v125
	;; [unrolled: 5-line block ×10, first 2 shown]
	ds_write2_b64 v167, v[174:175], v[176:177] offset0:24 offset1:25
	ds_write_b64 v167, v[152:153] offset:208
	ds_read_b32 v174, v165
	s_waitcnt lgkmcnt(0)
	v_cmp_neq_f32_e32 vcc, 0, v174
	s_and_saveexec_b64 s[4:5], vcc
	s_cbranch_execz .LBB107_40
; %bb.39:
	v_div_scale_f32 v175, s[10:11], v174, v174, 1.0
	v_rcp_f32_e32 v176, v175
	v_div_scale_f32 v177, vcc, 1.0, v174, 1.0
	v_fma_f32 v178, -v175, v176, 1.0
	v_fmac_f32_e32 v176, v178, v176
	v_mul_f32_e32 v178, v177, v176
	v_fma_f32 v179, -v175, v178, v177
	v_fmac_f32_e32 v178, v179, v176
	v_fma_f32 v175, -v175, v178, v177
	v_div_fmas_f32 v175, v175, v176, v178
	v_div_fixup_f32 v174, v175, v174, 1.0
	ds_write_b32 v165, v174
.LBB107_40:
	s_or_b64 exec, exec, s[4:5]
.LBB107_41:
	s_or_b64 exec, exec, s[2:3]
	s_waitcnt lgkmcnt(0)
	s_barrier
	ds_read_b32 v174, v165
	v_cmp_lt_u32_e32 vcc, 7, v163
	s_and_saveexec_b64 s[2:3], vcc
	s_cbranch_execz .LBB107_43
; %bb.42:
	ds_read2_b64 v[176:179], v167 offset0:4 offset1:5
	ds_read2_b64 v[180:183], v167 offset0:6 offset1:7
	;; [unrolled: 1-line block ×3, first 2 shown]
	s_waitcnt vmcnt(2) lgkmcnt(3)
	v_mul_f32_e32 v188, v174, v155
	v_mov_b32_e32 v155, v188
	s_waitcnt lgkmcnt(2)
	v_pk_fma_f32 v[150:151], v[188:189], v[176:177], v[150:151] op_sel_hi:[0,1,1] neg_lo:[1,0,0] neg_hi:[1,0,0]
	v_pk_fma_f32 v[128:129], v[188:189], v[178:179], v[128:129] op_sel_hi:[0,1,1] neg_lo:[1,0,0] neg_hi:[1,0,0]
	s_waitcnt lgkmcnt(1)
	v_pk_fma_f32 v[148:149], v[188:189], v[180:181], v[148:149] op_sel_hi:[0,1,1] neg_lo:[1,0,0] neg_hi:[1,0,0]
	ds_read2_b64 v[176:179], v167 offset0:10 offset1:11
	v_pk_fma_f32 v[126:127], v[188:189], v[182:183], v[126:127] op_sel_hi:[0,1,1] neg_lo:[1,0,0] neg_hi:[1,0,0]
	s_waitcnt lgkmcnt(1)
	v_pk_fma_f32 v[146:147], v[188:189], v[184:185], v[146:147] op_sel_hi:[0,1,1] neg_lo:[1,0,0] neg_hi:[1,0,0]
	ds_read2_b64 v[180:183], v167 offset0:12 offset1:13
	v_pk_fma_f32 v[124:125], v[188:189], v[186:187], v[124:125] op_sel_hi:[0,1,1] neg_lo:[1,0,0] neg_hi:[1,0,0]
	ds_read2_b64 v[184:187], v167 offset0:14 offset1:15
	s_waitcnt lgkmcnt(2)
	v_pk_fma_f32 v[144:145], v[188:189], v[176:177], v[144:145] op_sel_hi:[0,1,1] neg_lo:[1,0,0] neg_hi:[1,0,0]
	v_pk_fma_f32 v[122:123], v[188:189], v[178:179], v[122:123] op_sel_hi:[0,1,1] neg_lo:[1,0,0] neg_hi:[1,0,0]
	s_waitcnt lgkmcnt(1)
	v_pk_fma_f32 v[142:143], v[188:189], v[180:181], v[142:143] op_sel_hi:[0,1,1] neg_lo:[1,0,0] neg_hi:[1,0,0]
	ds_read2_b64 v[176:179], v167 offset0:16 offset1:17
	v_pk_fma_f32 v[120:121], v[188:189], v[182:183], v[120:121] op_sel_hi:[0,1,1] neg_lo:[1,0,0] neg_hi:[1,0,0]
	s_waitcnt lgkmcnt(1)
	v_pk_fma_f32 v[140:141], v[188:189], v[184:185], v[140:141] op_sel_hi:[0,1,1] neg_lo:[1,0,0] neg_hi:[1,0,0]
	ds_read2_b64 v[180:183], v167 offset0:18 offset1:19
	v_pk_fma_f32 v[118:119], v[188:189], v[186:187], v[118:119] op_sel_hi:[0,1,1] neg_lo:[1,0,0] neg_hi:[1,0,0]
	ds_read2_b64 v[184:187], v167 offset0:20 offset1:21
	s_waitcnt lgkmcnt(2)
	v_pk_fma_f32 v[138:139], v[188:189], v[176:177], v[138:139] op_sel_hi:[0,1,1] neg_lo:[1,0,0] neg_hi:[1,0,0]
	v_pk_fma_f32 v[116:117], v[188:189], v[178:179], v[116:117] op_sel_hi:[0,1,1] neg_lo:[1,0,0] neg_hi:[1,0,0]
	s_waitcnt lgkmcnt(1)
	v_pk_fma_f32 v[136:137], v[188:189], v[180:181], v[136:137] op_sel_hi:[0,1,1] neg_lo:[1,0,0] neg_hi:[1,0,0]
	v_pk_fma_f32 v[114:115], v[188:189], v[182:183], v[114:115] op_sel_hi:[0,1,1] neg_lo:[1,0,0] neg_hi:[1,0,0]
	ds_read2_b64 v[176:179], v167 offset0:22 offset1:23
	s_waitcnt lgkmcnt(1)
	v_pk_fma_f32 v[134:135], v[188:189], v[184:185], v[134:135] op_sel_hi:[0,1,1] neg_lo:[1,0,0] neg_hi:[1,0,0]
	ds_read2_b64 v[180:183], v167 offset0:24 offset1:25
	ds_read_b64 v[184:185], v167 offset:208
	v_pk_fma_f32 v[112:113], v[188:189], v[186:187], v[112:113] op_sel_hi:[0,1,1] neg_lo:[1,0,0] neg_hi:[1,0,0]
	s_waitcnt lgkmcnt(2)
	v_pk_fma_f32 v[132:133], v[188:189], v[176:177], v[132:133] op_sel_hi:[0,1,1] neg_lo:[1,0,0] neg_hi:[1,0,0]
	v_pk_fma_f32 v[110:111], v[188:189], v[178:179], v[110:111] op_sel_hi:[0,1,1] neg_lo:[1,0,0] neg_hi:[1,0,0]
	s_waitcnt lgkmcnt(1)
	v_pk_fma_f32 v[130:131], v[188:189], v[180:181], v[130:131] op_sel_hi:[0,1,1] neg_lo:[1,0,0] neg_hi:[1,0,0]
	;; [unrolled: 3-line block ×3, first 2 shown]
.LBB107_43:
	s_or_b64 exec, exec, s[2:3]
	v_cmp_eq_u32_e32 vcc, 8, v163
	s_waitcnt lgkmcnt(0)
	s_barrier
	s_and_saveexec_b64 s[2:3], vcc
	s_cbranch_execz .LBB107_46
; %bb.44:
	s_waitcnt vmcnt(50)
	v_pk_mov_b32 v[176:177], v[150:151], v[128:129] op_sel:[1,0]
	ds_write_b32 v165, v150
	ds_write2_b32 v167, v176, v177 offset0:9 offset1:10
	s_waitcnt vmcnt(48)
	v_pk_mov_b32 v[176:177], v[128:129], v[148:149] op_sel:[1,0]
	ds_write2_b32 v167, v176, v177 offset0:11 offset1:12
	s_waitcnt vmcnt(46)
	v_pk_mov_b32 v[176:177], v[148:149], v[126:127] op_sel:[1,0]
	;; [unrolled: 3-line block ×21, first 2 shown]
	ds_write2_b32 v167, v176, v177 offset0:51 offset1:52
	ds_write_b32 v167, v153 offset:212
	ds_read_b32 v175, v165
	s_waitcnt lgkmcnt(0)
	v_cmp_neq_f32_e32 vcc, 0, v175
	s_and_b64 exec, exec, vcc
	s_cbranch_execz .LBB107_46
; %bb.45:
	v_div_scale_f32 v176, s[4:5], v175, v175, 1.0
	v_rcp_f32_e32 v177, v176
	v_div_scale_f32 v178, vcc, 1.0, v175, 1.0
	v_fma_f32 v179, -v176, v177, 1.0
	v_fmac_f32_e32 v177, v179, v177
	v_mul_f32_e32 v179, v178, v177
	v_fma_f32 v180, -v176, v179, v178
	v_fmac_f32_e32 v179, v180, v177
	v_fma_f32 v176, -v176, v179, v178
	v_div_fmas_f32 v176, v176, v177, v179
	v_div_fixup_f32 v175, v176, v175, 1.0
	ds_write_b32 v165, v175
.LBB107_46:
	s_or_b64 exec, exec, s[2:3]
	s_waitcnt lgkmcnt(0)
	s_barrier
	ds_read_b32 v175, v165
	v_cmp_lt_u32_e32 vcc, 8, v163
	s_and_saveexec_b64 s[2:3], vcc
	s_cbranch_execz .LBB107_48
; %bb.47:
	ds_read_b32 v188, v167 offset:36
	ds_read2_b64 v[176:179], v167 offset0:5 offset1:6
	ds_read2_b64 v[180:183], v167 offset0:7 offset1:8
	;; [unrolled: 1-line block ×3, first 2 shown]
	s_waitcnt vmcnt(53) lgkmcnt(4)
	v_mul_f32_e32 v150, v175, v150
	s_waitcnt vmcnt(52) lgkmcnt(3)
	v_fma_f32 v151, -v150, v188, v151
	s_waitcnt vmcnt(50) lgkmcnt(2)
	v_pk_fma_f32 v[128:129], v[150:151], v[176:177], v[128:129] op_sel_hi:[0,1,1] neg_lo:[1,0,0] neg_hi:[1,0,0]
	s_waitcnt vmcnt(48)
	v_pk_fma_f32 v[148:149], v[150:151], v[178:179], v[148:149] op_sel_hi:[0,1,1] neg_lo:[1,0,0] neg_hi:[1,0,0]
	s_waitcnt vmcnt(46) lgkmcnt(1)
	v_pk_fma_f32 v[126:127], v[150:151], v[180:181], v[126:127] op_sel_hi:[0,1,1] neg_lo:[1,0,0] neg_hi:[1,0,0]
	ds_read2_b64 v[176:179], v167 offset0:11 offset1:12
	s_waitcnt vmcnt(44)
	v_pk_fma_f32 v[146:147], v[150:151], v[182:183], v[146:147] op_sel_hi:[0,1,1] neg_lo:[1,0,0] neg_hi:[1,0,0]
	ds_read2_b64 v[180:183], v167 offset0:13 offset1:14
	s_waitcnt vmcnt(42) lgkmcnt(2)
	v_pk_fma_f32 v[124:125], v[150:151], v[184:185], v[124:125] op_sel_hi:[0,1,1] neg_lo:[1,0,0] neg_hi:[1,0,0]
	s_waitcnt vmcnt(40)
	v_pk_fma_f32 v[144:145], v[150:151], v[186:187], v[144:145] op_sel_hi:[0,1,1] neg_lo:[1,0,0] neg_hi:[1,0,0]
	s_waitcnt vmcnt(38) lgkmcnt(1)
	v_pk_fma_f32 v[122:123], v[150:151], v[176:177], v[122:123] op_sel_hi:[0,1,1] neg_lo:[1,0,0] neg_hi:[1,0,0]
	ds_read2_b64 v[184:187], v167 offset0:15 offset1:16
	s_waitcnt vmcnt(36)
	v_pk_fma_f32 v[142:143], v[150:151], v[178:179], v[142:143] op_sel_hi:[0,1,1] neg_lo:[1,0,0] neg_hi:[1,0,0]
	s_waitcnt vmcnt(34) lgkmcnt(1)
	v_pk_fma_f32 v[120:121], v[150:151], v[180:181], v[120:121] op_sel_hi:[0,1,1] neg_lo:[1,0,0] neg_hi:[1,0,0]
	ds_read2_b64 v[176:179], v167 offset0:17 offset1:18
	s_waitcnt vmcnt(32)
	v_pk_fma_f32 v[140:141], v[150:151], v[182:183], v[140:141] op_sel_hi:[0,1,1] neg_lo:[1,0,0] neg_hi:[1,0,0]
	ds_read2_b64 v[180:183], v167 offset0:19 offset1:20
	s_waitcnt vmcnt(30) lgkmcnt(2)
	v_pk_fma_f32 v[118:119], v[150:151], v[184:185], v[118:119] op_sel_hi:[0,1,1] neg_lo:[1,0,0] neg_hi:[1,0,0]
	s_waitcnt vmcnt(28)
	v_pk_fma_f32 v[138:139], v[150:151], v[186:187], v[138:139] op_sel_hi:[0,1,1] neg_lo:[1,0,0] neg_hi:[1,0,0]
	s_waitcnt vmcnt(26) lgkmcnt(1)
	v_pk_fma_f32 v[116:117], v[150:151], v[176:177], v[116:117] op_sel_hi:[0,1,1] neg_lo:[1,0,0] neg_hi:[1,0,0]
	s_waitcnt vmcnt(24)
	v_pk_fma_f32 v[136:137], v[150:151], v[178:179], v[136:137] op_sel_hi:[0,1,1] neg_lo:[1,0,0] neg_hi:[1,0,0]
	ds_read2_b64 v[176:179], v167 offset0:21 offset1:22
	s_waitcnt vmcnt(22) lgkmcnt(1)
	v_pk_fma_f32 v[114:115], v[150:151], v[180:181], v[114:115] op_sel_hi:[0,1,1] neg_lo:[1,0,0] neg_hi:[1,0,0]
	ds_read2_b64 v[184:187], v167 offset0:23 offset1:24
	s_waitcnt vmcnt(20)
	v_pk_fma_f32 v[134:135], v[150:151], v[182:183], v[134:135] op_sel_hi:[0,1,1] neg_lo:[1,0,0] neg_hi:[1,0,0]
	ds_read2_b64 v[180:183], v167 offset0:25 offset1:26
	s_waitcnt vmcnt(18) lgkmcnt(2)
	v_pk_fma_f32 v[112:113], v[150:151], v[176:177], v[112:113] op_sel_hi:[0,1,1] neg_lo:[1,0,0] neg_hi:[1,0,0]
	s_waitcnt vmcnt(16)
	v_pk_fma_f32 v[132:133], v[150:151], v[178:179], v[132:133] op_sel_hi:[0,1,1] neg_lo:[1,0,0] neg_hi:[1,0,0]
	s_waitcnt vmcnt(14) lgkmcnt(1)
	v_pk_fma_f32 v[110:111], v[150:151], v[184:185], v[110:111] op_sel_hi:[0,1,1] neg_lo:[1,0,0] neg_hi:[1,0,0]
	s_waitcnt vmcnt(12)
	v_pk_fma_f32 v[130:131], v[150:151], v[186:187], v[130:131] op_sel_hi:[0,1,1] neg_lo:[1,0,0] neg_hi:[1,0,0]
	;; [unrolled: 4-line block ×3, first 2 shown]
.LBB107_48:
	s_or_b64 exec, exec, s[2:3]
	v_cmp_ne_u32_e32 vcc, 9, v163
	s_waitcnt lgkmcnt(0)
	s_barrier
	s_and_saveexec_b64 s[2:3], vcc
	s_xor_b64 s[2:3], exec, s[2:3]
	s_andn2_saveexec_b64 s[2:3], s[2:3]
	s_cbranch_execz .LBB107_52
; %bb.49:
	s_waitcnt vmcnt(52)
	ds_write_b32 v165, v151
	s_waitcnt vmcnt(48)
	ds_write2_b64 v167, v[128:129], v[148:149] offset0:5 offset1:6
	s_waitcnt vmcnt(44)
	ds_write2_b64 v167, v[126:127], v[146:147] offset0:7 offset1:8
	s_waitcnt vmcnt(40)
	ds_write2_b64 v167, v[124:125], v[144:145] offset0:9 offset1:10
	s_waitcnt vmcnt(36)
	ds_write2_b64 v167, v[122:123], v[142:143] offset0:11 offset1:12
	s_waitcnt vmcnt(32)
	ds_write2_b64 v167, v[120:121], v[140:141] offset0:13 offset1:14
	s_waitcnt vmcnt(28)
	ds_write2_b64 v167, v[118:119], v[138:139] offset0:15 offset1:16
	s_waitcnt vmcnt(24)
	ds_write2_b64 v167, v[116:117], v[136:137] offset0:17 offset1:18
	s_waitcnt vmcnt(20)
	ds_write2_b64 v167, v[114:115], v[134:135] offset0:19 offset1:20
	s_waitcnt vmcnt(16)
	ds_write2_b64 v167, v[112:113], v[132:133] offset0:21 offset1:22
	s_waitcnt vmcnt(12)
	ds_write2_b64 v167, v[110:111], v[130:131] offset0:23 offset1:24
	s_waitcnt vmcnt(8)
	ds_write2_b64 v167, v[108:109], v[152:153] offset0:25 offset1:26
	ds_read_b32 v176, v165
	s_waitcnt lgkmcnt(0)
	v_cmp_neq_f32_e32 vcc, 0, v176
	s_and_saveexec_b64 s[4:5], vcc
	s_cbranch_execz .LBB107_51
; %bb.50:
	v_div_scale_f32 v177, s[10:11], v176, v176, 1.0
	v_rcp_f32_e32 v178, v177
	v_div_scale_f32 v179, vcc, 1.0, v176, 1.0
	v_fma_f32 v180, -v177, v178, 1.0
	v_fmac_f32_e32 v178, v180, v178
	v_mul_f32_e32 v180, v179, v178
	v_fma_f32 v181, -v177, v180, v179
	v_fmac_f32_e32 v180, v181, v178
	v_fma_f32 v177, -v177, v180, v179
	v_div_fmas_f32 v177, v177, v178, v180
	v_div_fixup_f32 v176, v177, v176, 1.0
	ds_write_b32 v165, v176
.LBB107_51:
	s_or_b64 exec, exec, s[4:5]
.LBB107_52:
	s_or_b64 exec, exec, s[2:3]
	s_waitcnt lgkmcnt(0)
	s_barrier
	ds_read_b32 v176, v165
	v_cmp_lt_u32_e32 vcc, 9, v163
	s_and_saveexec_b64 s[2:3], vcc
	s_cbranch_execz .LBB107_54
; %bb.53:
	ds_read2_b64 v[178:181], v167 offset0:5 offset1:6
	ds_read2_b64 v[182:185], v167 offset0:7 offset1:8
	s_waitcnt vmcnt(52) lgkmcnt(2)
	v_mul_f32_e32 v190, v176, v151
	ds_read2_b64 v[186:189], v167 offset0:9 offset1:10
	v_mov_b32_e32 v151, v190
	s_waitcnt vmcnt(50) lgkmcnt(2)
	v_pk_fma_f32 v[128:129], v[190:191], v[178:179], v[128:129] op_sel_hi:[0,1,1] neg_lo:[1,0,0] neg_hi:[1,0,0]
	s_waitcnt vmcnt(48)
	v_pk_fma_f32 v[148:149], v[190:191], v[180:181], v[148:149] op_sel_hi:[0,1,1] neg_lo:[1,0,0] neg_hi:[1,0,0]
	s_waitcnt vmcnt(46) lgkmcnt(1)
	v_pk_fma_f32 v[126:127], v[190:191], v[182:183], v[126:127] op_sel_hi:[0,1,1] neg_lo:[1,0,0] neg_hi:[1,0,0]
	ds_read2_b64 v[178:181], v167 offset0:11 offset1:12
	s_waitcnt vmcnt(44)
	v_pk_fma_f32 v[146:147], v[190:191], v[184:185], v[146:147] op_sel_hi:[0,1,1] neg_lo:[1,0,0] neg_hi:[1,0,0]
	ds_read2_b64 v[182:185], v167 offset0:13 offset1:14
	s_waitcnt vmcnt(42) lgkmcnt(2)
	v_pk_fma_f32 v[124:125], v[190:191], v[186:187], v[124:125] op_sel_hi:[0,1,1] neg_lo:[1,0,0] neg_hi:[1,0,0]
	s_waitcnt vmcnt(40)
	v_pk_fma_f32 v[144:145], v[190:191], v[188:189], v[144:145] op_sel_hi:[0,1,1] neg_lo:[1,0,0] neg_hi:[1,0,0]
	s_waitcnt vmcnt(38) lgkmcnt(1)
	v_pk_fma_f32 v[122:123], v[190:191], v[178:179], v[122:123] op_sel_hi:[0,1,1] neg_lo:[1,0,0] neg_hi:[1,0,0]
	ds_read2_b64 v[186:189], v167 offset0:15 offset1:16
	s_waitcnt vmcnt(36)
	v_pk_fma_f32 v[142:143], v[190:191], v[180:181], v[142:143] op_sel_hi:[0,1,1] neg_lo:[1,0,0] neg_hi:[1,0,0]
	s_waitcnt vmcnt(34) lgkmcnt(1)
	v_pk_fma_f32 v[120:121], v[190:191], v[182:183], v[120:121] op_sel_hi:[0,1,1] neg_lo:[1,0,0] neg_hi:[1,0,0]
	ds_read2_b64 v[178:181], v167 offset0:17 offset1:18
	s_waitcnt vmcnt(32)
	v_pk_fma_f32 v[140:141], v[190:191], v[184:185], v[140:141] op_sel_hi:[0,1,1] neg_lo:[1,0,0] neg_hi:[1,0,0]
	ds_read2_b64 v[182:185], v167 offset0:19 offset1:20
	s_waitcnt vmcnt(30) lgkmcnt(2)
	v_pk_fma_f32 v[118:119], v[190:191], v[186:187], v[118:119] op_sel_hi:[0,1,1] neg_lo:[1,0,0] neg_hi:[1,0,0]
	s_waitcnt vmcnt(28)
	v_pk_fma_f32 v[138:139], v[190:191], v[188:189], v[138:139] op_sel_hi:[0,1,1] neg_lo:[1,0,0] neg_hi:[1,0,0]
	s_waitcnt vmcnt(26) lgkmcnt(1)
	v_pk_fma_f32 v[116:117], v[190:191], v[178:179], v[116:117] op_sel_hi:[0,1,1] neg_lo:[1,0,0] neg_hi:[1,0,0]
	s_waitcnt vmcnt(24)
	v_pk_fma_f32 v[136:137], v[190:191], v[180:181], v[136:137] op_sel_hi:[0,1,1] neg_lo:[1,0,0] neg_hi:[1,0,0]
	ds_read2_b64 v[178:181], v167 offset0:21 offset1:22
	ds_read2_b64 v[186:189], v167 offset0:23 offset1:24
	s_waitcnt vmcnt(22) lgkmcnt(2)
	v_pk_fma_f32 v[114:115], v[190:191], v[182:183], v[114:115] op_sel_hi:[0,1,1] neg_lo:[1,0,0] neg_hi:[1,0,0]
	s_waitcnt vmcnt(20)
	v_pk_fma_f32 v[134:135], v[190:191], v[184:185], v[134:135] op_sel_hi:[0,1,1] neg_lo:[1,0,0] neg_hi:[1,0,0]
	ds_read2_b64 v[182:185], v167 offset0:25 offset1:26
	s_waitcnt vmcnt(18) lgkmcnt(2)
	v_pk_fma_f32 v[112:113], v[190:191], v[178:179], v[112:113] op_sel_hi:[0,1,1] neg_lo:[1,0,0] neg_hi:[1,0,0]
	s_waitcnt vmcnt(16)
	v_pk_fma_f32 v[132:133], v[190:191], v[180:181], v[132:133] op_sel_hi:[0,1,1] neg_lo:[1,0,0] neg_hi:[1,0,0]
	s_waitcnt vmcnt(14) lgkmcnt(1)
	v_pk_fma_f32 v[110:111], v[190:191], v[186:187], v[110:111] op_sel_hi:[0,1,1] neg_lo:[1,0,0] neg_hi:[1,0,0]
	s_waitcnt vmcnt(12)
	v_pk_fma_f32 v[130:131], v[190:191], v[188:189], v[130:131] op_sel_hi:[0,1,1] neg_lo:[1,0,0] neg_hi:[1,0,0]
	;; [unrolled: 4-line block ×3, first 2 shown]
.LBB107_54:
	s_or_b64 exec, exec, s[2:3]
	v_cmp_eq_u32_e32 vcc, 10, v163
	s_waitcnt lgkmcnt(0)
	s_barrier
	s_and_saveexec_b64 s[2:3], vcc
	s_cbranch_execz .LBB107_57
; %bb.55:
	s_waitcnt vmcnt(48)
	v_pk_mov_b32 v[178:179], v[128:129], v[148:149] op_sel:[1,0]
	ds_write_b32 v165, v128
	ds_write2_b32 v167, v178, v179 offset0:11 offset1:12
	s_waitcnt vmcnt(46)
	v_pk_mov_b32 v[178:179], v[148:149], v[126:127] op_sel:[1,0]
	ds_write2_b32 v167, v178, v179 offset0:13 offset1:14
	s_waitcnt vmcnt(44)
	v_pk_mov_b32 v[178:179], v[126:127], v[146:147] op_sel:[1,0]
	;; [unrolled: 3-line block ×20, first 2 shown]
	ds_write2_b32 v167, v178, v179 offset0:51 offset1:52
	ds_write_b32 v167, v153 offset:212
	ds_read_b32 v177, v165
	s_waitcnt lgkmcnt(0)
	v_cmp_neq_f32_e32 vcc, 0, v177
	s_and_b64 exec, exec, vcc
	s_cbranch_execz .LBB107_57
; %bb.56:
	v_div_scale_f32 v178, s[4:5], v177, v177, 1.0
	v_rcp_f32_e32 v179, v178
	v_div_scale_f32 v180, vcc, 1.0, v177, 1.0
	v_fma_f32 v181, -v178, v179, 1.0
	v_fmac_f32_e32 v179, v181, v179
	v_mul_f32_e32 v181, v180, v179
	v_fma_f32 v182, -v178, v181, v180
	v_fmac_f32_e32 v181, v182, v179
	v_fma_f32 v178, -v178, v181, v180
	v_div_fmas_f32 v178, v178, v179, v181
	v_div_fixup_f32 v177, v178, v177, 1.0
	ds_write_b32 v165, v177
.LBB107_57:
	s_or_b64 exec, exec, s[2:3]
	s_waitcnt lgkmcnt(0)
	s_barrier
	ds_read_b32 v177, v165
	v_cmp_lt_u32_e32 vcc, 10, v163
	s_and_saveexec_b64 s[2:3], vcc
	s_cbranch_execz .LBB107_59
; %bb.58:
	ds_read_b32 v190, v167 offset:44
	ds_read2_b64 v[178:181], v167 offset0:6 offset1:7
	ds_read2_b64 v[182:185], v167 offset0:8 offset1:9
	;; [unrolled: 1-line block ×3, first 2 shown]
	s_waitcnt vmcnt(51) lgkmcnt(4)
	v_mul_f32_e32 v128, v177, v128
	s_waitcnt vmcnt(50) lgkmcnt(3)
	v_fma_f32 v129, -v128, v190, v129
	s_waitcnt vmcnt(48) lgkmcnt(2)
	v_pk_fma_f32 v[148:149], v[128:129], v[178:179], v[148:149] op_sel_hi:[0,1,1] neg_lo:[1,0,0] neg_hi:[1,0,0]
	s_waitcnt vmcnt(46)
	v_pk_fma_f32 v[126:127], v[128:129], v[180:181], v[126:127] op_sel_hi:[0,1,1] neg_lo:[1,0,0] neg_hi:[1,0,0]
	s_waitcnt vmcnt(44) lgkmcnt(1)
	v_pk_fma_f32 v[146:147], v[128:129], v[182:183], v[146:147] op_sel_hi:[0,1,1] neg_lo:[1,0,0] neg_hi:[1,0,0]
	ds_read2_b64 v[178:181], v167 offset0:12 offset1:13
	s_waitcnt vmcnt(42)
	v_pk_fma_f32 v[124:125], v[128:129], v[184:185], v[124:125] op_sel_hi:[0,1,1] neg_lo:[1,0,0] neg_hi:[1,0,0]
	ds_read2_b64 v[182:185], v167 offset0:14 offset1:15
	s_waitcnt vmcnt(40) lgkmcnt(2)
	v_pk_fma_f32 v[144:145], v[128:129], v[186:187], v[144:145] op_sel_hi:[0,1,1] neg_lo:[1,0,0] neg_hi:[1,0,0]
	s_waitcnt vmcnt(38)
	v_pk_fma_f32 v[122:123], v[128:129], v[188:189], v[122:123] op_sel_hi:[0,1,1] neg_lo:[1,0,0] neg_hi:[1,0,0]
	s_waitcnt vmcnt(36) lgkmcnt(1)
	v_pk_fma_f32 v[142:143], v[128:129], v[178:179], v[142:143] op_sel_hi:[0,1,1] neg_lo:[1,0,0] neg_hi:[1,0,0]
	ds_read2_b64 v[186:189], v167 offset0:16 offset1:17
	s_waitcnt vmcnt(34)
	v_pk_fma_f32 v[120:121], v[128:129], v[180:181], v[120:121] op_sel_hi:[0,1,1] neg_lo:[1,0,0] neg_hi:[1,0,0]
	s_waitcnt vmcnt(32) lgkmcnt(1)
	v_pk_fma_f32 v[140:141], v[128:129], v[182:183], v[140:141] op_sel_hi:[0,1,1] neg_lo:[1,0,0] neg_hi:[1,0,0]
	ds_read2_b64 v[178:181], v167 offset0:18 offset1:19
	s_waitcnt vmcnt(30)
	v_pk_fma_f32 v[118:119], v[128:129], v[184:185], v[118:119] op_sel_hi:[0,1,1] neg_lo:[1,0,0] neg_hi:[1,0,0]
	ds_read2_b64 v[182:185], v167 offset0:20 offset1:21
	s_waitcnt vmcnt(28) lgkmcnt(2)
	v_pk_fma_f32 v[138:139], v[128:129], v[186:187], v[138:139] op_sel_hi:[0,1,1] neg_lo:[1,0,0] neg_hi:[1,0,0]
	s_waitcnt vmcnt(26)
	v_pk_fma_f32 v[116:117], v[128:129], v[188:189], v[116:117] op_sel_hi:[0,1,1] neg_lo:[1,0,0] neg_hi:[1,0,0]
	s_waitcnt vmcnt(24) lgkmcnt(1)
	v_pk_fma_f32 v[136:137], v[128:129], v[178:179], v[136:137] op_sel_hi:[0,1,1] neg_lo:[1,0,0] neg_hi:[1,0,0]
	s_waitcnt vmcnt(22)
	v_pk_fma_f32 v[114:115], v[128:129], v[180:181], v[114:115] op_sel_hi:[0,1,1] neg_lo:[1,0,0] neg_hi:[1,0,0]
	ds_read2_b64 v[178:181], v167 offset0:22 offset1:23
	s_waitcnt vmcnt(20) lgkmcnt(1)
	v_pk_fma_f32 v[134:135], v[128:129], v[182:183], v[134:135] op_sel_hi:[0,1,1] neg_lo:[1,0,0] neg_hi:[1,0,0]
	ds_read2_b64 v[186:189], v167 offset0:24 offset1:25
	ds_read_b64 v[182:183], v167 offset:208
	s_waitcnt vmcnt(18)
	v_pk_fma_f32 v[112:113], v[128:129], v[184:185], v[112:113] op_sel_hi:[0,1,1] neg_lo:[1,0,0] neg_hi:[1,0,0]
	s_waitcnt vmcnt(16) lgkmcnt(2)
	v_pk_fma_f32 v[132:133], v[128:129], v[178:179], v[132:133] op_sel_hi:[0,1,1] neg_lo:[1,0,0] neg_hi:[1,0,0]
	s_waitcnt vmcnt(14)
	v_pk_fma_f32 v[110:111], v[128:129], v[180:181], v[110:111] op_sel_hi:[0,1,1] neg_lo:[1,0,0] neg_hi:[1,0,0]
	s_waitcnt vmcnt(12) lgkmcnt(1)
	v_pk_fma_f32 v[130:131], v[128:129], v[186:187], v[130:131] op_sel_hi:[0,1,1] neg_lo:[1,0,0] neg_hi:[1,0,0]
	;; [unrolled: 4-line block ×3, first 2 shown]
.LBB107_59:
	s_or_b64 exec, exec, s[2:3]
	v_cmp_ne_u32_e32 vcc, 11, v163
	s_waitcnt lgkmcnt(0)
	s_barrier
	s_and_saveexec_b64 s[2:3], vcc
	s_xor_b64 s[2:3], exec, s[2:3]
	s_andn2_saveexec_b64 s[2:3], s[2:3]
	s_cbranch_execz .LBB107_63
; %bb.60:
	s_waitcnt vmcnt(49)
	v_mov_b32_e32 v178, v148
	s_waitcnt vmcnt(48)
	v_mov_b32_e32 v179, v149
	;; [unrolled: 2-line block ×4, first 2 shown]
	ds_write_b32 v165, v129
	ds_write2_b64 v167, v[178:179], v[180:181] offset0:6 offset1:7
	s_waitcnt vmcnt(45)
	v_mov_b32_e32 v178, v146
	s_waitcnt vmcnt(44)
	v_mov_b32_e32 v179, v147
	s_waitcnt vmcnt(43)
	v_mov_b32_e32 v180, v124
	s_waitcnt vmcnt(42)
	v_mov_b32_e32 v181, v125
	ds_write2_b64 v167, v[178:179], v[180:181] offset0:8 offset1:9
	s_waitcnt vmcnt(41)
	v_mov_b32_e32 v178, v144
	s_waitcnt vmcnt(40)
	v_mov_b32_e32 v179, v145
	s_waitcnt vmcnt(39)
	v_mov_b32_e32 v180, v122
	s_waitcnt vmcnt(38)
	v_mov_b32_e32 v181, v123
	;; [unrolled: 9-line block ×9, first 2 shown]
	ds_write2_b64 v167, v[178:179], v[180:181] offset0:24 offset1:25
	s_waitcnt vmcnt(8)
	ds_write_b64 v167, v[152:153] offset:208
	ds_read_b32 v178, v165
	s_waitcnt lgkmcnt(0)
	v_cmp_neq_f32_e32 vcc, 0, v178
	s_and_saveexec_b64 s[4:5], vcc
	s_cbranch_execz .LBB107_62
; %bb.61:
	v_div_scale_f32 v179, s[10:11], v178, v178, 1.0
	v_rcp_f32_e32 v180, v179
	v_div_scale_f32 v181, vcc, 1.0, v178, 1.0
	v_fma_f32 v182, -v179, v180, 1.0
	v_fmac_f32_e32 v180, v182, v180
	v_mul_f32_e32 v182, v181, v180
	v_fma_f32 v183, -v179, v182, v181
	v_fmac_f32_e32 v182, v183, v180
	v_fma_f32 v179, -v179, v182, v181
	v_div_fmas_f32 v179, v179, v180, v182
	v_div_fixup_f32 v178, v179, v178, 1.0
	ds_write_b32 v165, v178
.LBB107_62:
	s_or_b64 exec, exec, s[4:5]
.LBB107_63:
	s_or_b64 exec, exec, s[2:3]
	s_waitcnt lgkmcnt(0)
	s_barrier
	ds_read_b32 v178, v165
	v_cmp_lt_u32_e32 vcc, 11, v163
	s_and_saveexec_b64 s[2:3], vcc
	s_cbranch_execz .LBB107_65
; %bb.64:
	ds_read2_b64 v[180:183], v167 offset0:6 offset1:7
	ds_read2_b64 v[184:187], v167 offset0:8 offset1:9
	s_waitcnt vmcnt(50) lgkmcnt(2)
	v_mul_f32_e32 v192, v178, v129
	ds_read2_b64 v[188:191], v167 offset0:10 offset1:11
	v_mov_b32_e32 v129, v192
	s_waitcnt vmcnt(48) lgkmcnt(2)
	v_pk_fma_f32 v[148:149], v[192:193], v[180:181], v[148:149] op_sel_hi:[0,1,1] neg_lo:[1,0,0] neg_hi:[1,0,0]
	s_waitcnt vmcnt(46)
	v_pk_fma_f32 v[126:127], v[192:193], v[182:183], v[126:127] op_sel_hi:[0,1,1] neg_lo:[1,0,0] neg_hi:[1,0,0]
	s_waitcnt vmcnt(44) lgkmcnt(1)
	v_pk_fma_f32 v[146:147], v[192:193], v[184:185], v[146:147] op_sel_hi:[0,1,1] neg_lo:[1,0,0] neg_hi:[1,0,0]
	ds_read2_b64 v[180:183], v167 offset0:12 offset1:13
	s_waitcnt vmcnt(42)
	v_pk_fma_f32 v[124:125], v[192:193], v[186:187], v[124:125] op_sel_hi:[0,1,1] neg_lo:[1,0,0] neg_hi:[1,0,0]
	ds_read2_b64 v[184:187], v167 offset0:14 offset1:15
	s_waitcnt vmcnt(40) lgkmcnt(2)
	v_pk_fma_f32 v[144:145], v[192:193], v[188:189], v[144:145] op_sel_hi:[0,1,1] neg_lo:[1,0,0] neg_hi:[1,0,0]
	s_waitcnt vmcnt(38)
	v_pk_fma_f32 v[122:123], v[192:193], v[190:191], v[122:123] op_sel_hi:[0,1,1] neg_lo:[1,0,0] neg_hi:[1,0,0]
	s_waitcnt vmcnt(36) lgkmcnt(1)
	v_pk_fma_f32 v[142:143], v[192:193], v[180:181], v[142:143] op_sel_hi:[0,1,1] neg_lo:[1,0,0] neg_hi:[1,0,0]
	ds_read2_b64 v[188:191], v167 offset0:16 offset1:17
	s_waitcnt vmcnt(34)
	v_pk_fma_f32 v[120:121], v[192:193], v[182:183], v[120:121] op_sel_hi:[0,1,1] neg_lo:[1,0,0] neg_hi:[1,0,0]
	s_waitcnt vmcnt(32) lgkmcnt(1)
	v_pk_fma_f32 v[140:141], v[192:193], v[184:185], v[140:141] op_sel_hi:[0,1,1] neg_lo:[1,0,0] neg_hi:[1,0,0]
	ds_read2_b64 v[180:183], v167 offset0:18 offset1:19
	s_waitcnt vmcnt(30)
	v_pk_fma_f32 v[118:119], v[192:193], v[186:187], v[118:119] op_sel_hi:[0,1,1] neg_lo:[1,0,0] neg_hi:[1,0,0]
	ds_read2_b64 v[184:187], v167 offset0:20 offset1:21
	s_waitcnt vmcnt(28) lgkmcnt(2)
	v_pk_fma_f32 v[138:139], v[192:193], v[188:189], v[138:139] op_sel_hi:[0,1,1] neg_lo:[1,0,0] neg_hi:[1,0,0]
	s_waitcnt vmcnt(26)
	v_pk_fma_f32 v[116:117], v[192:193], v[190:191], v[116:117] op_sel_hi:[0,1,1] neg_lo:[1,0,0] neg_hi:[1,0,0]
	s_waitcnt vmcnt(24) lgkmcnt(1)
	v_pk_fma_f32 v[136:137], v[192:193], v[180:181], v[136:137] op_sel_hi:[0,1,1] neg_lo:[1,0,0] neg_hi:[1,0,0]
	s_waitcnt vmcnt(22)
	v_pk_fma_f32 v[114:115], v[192:193], v[182:183], v[114:115] op_sel_hi:[0,1,1] neg_lo:[1,0,0] neg_hi:[1,0,0]
	ds_read2_b64 v[180:183], v167 offset0:22 offset1:23
	ds_read2_b64 v[188:191], v167 offset0:24 offset1:25
	s_waitcnt vmcnt(20) lgkmcnt(2)
	v_pk_fma_f32 v[134:135], v[192:193], v[184:185], v[134:135] op_sel_hi:[0,1,1] neg_lo:[1,0,0] neg_hi:[1,0,0]
	ds_read_b64 v[184:185], v167 offset:208
	s_waitcnt vmcnt(18)
	v_pk_fma_f32 v[112:113], v[192:193], v[186:187], v[112:113] op_sel_hi:[0,1,1] neg_lo:[1,0,0] neg_hi:[1,0,0]
	s_waitcnt vmcnt(16) lgkmcnt(2)
	v_pk_fma_f32 v[132:133], v[192:193], v[180:181], v[132:133] op_sel_hi:[0,1,1] neg_lo:[1,0,0] neg_hi:[1,0,0]
	s_waitcnt vmcnt(14)
	v_pk_fma_f32 v[110:111], v[192:193], v[182:183], v[110:111] op_sel_hi:[0,1,1] neg_lo:[1,0,0] neg_hi:[1,0,0]
	s_waitcnt vmcnt(12) lgkmcnt(1)
	v_pk_fma_f32 v[130:131], v[192:193], v[188:189], v[130:131] op_sel_hi:[0,1,1] neg_lo:[1,0,0] neg_hi:[1,0,0]
	;; [unrolled: 4-line block ×3, first 2 shown]
.LBB107_65:
	s_or_b64 exec, exec, s[2:3]
	v_cmp_eq_u32_e32 vcc, 12, v163
	s_waitcnt lgkmcnt(0)
	s_barrier
	s_and_saveexec_b64 s[2:3], vcc
	s_cbranch_execz .LBB107_68
; %bb.66:
	s_waitcnt vmcnt(46)
	v_pk_mov_b32 v[180:181], v[148:149], v[126:127] op_sel:[1,0]
	ds_write_b32 v165, v148
	ds_write2_b32 v167, v180, v181 offset0:13 offset1:14
	s_waitcnt vmcnt(44)
	v_pk_mov_b32 v[180:181], v[126:127], v[146:147] op_sel:[1,0]
	ds_write2_b32 v167, v180, v181 offset0:15 offset1:16
	s_waitcnt vmcnt(42)
	v_pk_mov_b32 v[180:181], v[146:147], v[124:125] op_sel:[1,0]
	;; [unrolled: 3-line block ×19, first 2 shown]
	ds_write2_b32 v167, v180, v181 offset0:51 offset1:52
	ds_write_b32 v167, v153 offset:212
	ds_read_b32 v179, v165
	s_waitcnt lgkmcnt(0)
	v_cmp_neq_f32_e32 vcc, 0, v179
	s_and_b64 exec, exec, vcc
	s_cbranch_execz .LBB107_68
; %bb.67:
	v_div_scale_f32 v180, s[4:5], v179, v179, 1.0
	v_rcp_f32_e32 v181, v180
	v_div_scale_f32 v182, vcc, 1.0, v179, 1.0
	v_fma_f32 v183, -v180, v181, 1.0
	v_fmac_f32_e32 v181, v183, v181
	v_mul_f32_e32 v183, v182, v181
	v_fma_f32 v184, -v180, v183, v182
	v_fmac_f32_e32 v183, v184, v181
	v_fma_f32 v180, -v180, v183, v182
	v_div_fmas_f32 v180, v180, v181, v183
	v_div_fixup_f32 v179, v180, v179, 1.0
	ds_write_b32 v165, v179
.LBB107_68:
	s_or_b64 exec, exec, s[2:3]
	s_waitcnt lgkmcnt(0)
	s_barrier
	ds_read_b32 v179, v165
	v_cmp_lt_u32_e32 vcc, 12, v163
	s_and_saveexec_b64 s[2:3], vcc
	s_cbranch_execz .LBB107_70
; %bb.69:
	ds_read_b32 v192, v167 offset:52
	ds_read2_b64 v[180:183], v167 offset0:7 offset1:8
	s_waitcnt vmcnt(49) lgkmcnt(2)
	v_mul_f32_e32 v148, v179, v148
	ds_read2_b64 v[184:187], v167 offset0:9 offset1:10
	ds_read2_b64 v[188:191], v167 offset0:11 offset1:12
	s_waitcnt vmcnt(48) lgkmcnt(3)
	v_fma_f32 v149, -v148, v192, v149
	s_waitcnt vmcnt(46) lgkmcnt(2)
	v_pk_fma_f32 v[126:127], v[148:149], v[180:181], v[126:127] op_sel_hi:[0,1,1] neg_lo:[1,0,0] neg_hi:[1,0,0]
	s_waitcnt vmcnt(44)
	v_pk_fma_f32 v[146:147], v[148:149], v[182:183], v[146:147] op_sel_hi:[0,1,1] neg_lo:[1,0,0] neg_hi:[1,0,0]
	ds_read2_b64 v[180:183], v167 offset0:13 offset1:14
	s_waitcnt vmcnt(42) lgkmcnt(2)
	v_pk_fma_f32 v[124:125], v[148:149], v[184:185], v[124:125] op_sel_hi:[0,1,1] neg_lo:[1,0,0] neg_hi:[1,0,0]
	s_waitcnt vmcnt(40)
	v_pk_fma_f32 v[144:145], v[148:149], v[186:187], v[144:145] op_sel_hi:[0,1,1] neg_lo:[1,0,0] neg_hi:[1,0,0]
	s_waitcnt vmcnt(38) lgkmcnt(1)
	v_pk_fma_f32 v[122:123], v[148:149], v[188:189], v[122:123] op_sel_hi:[0,1,1] neg_lo:[1,0,0] neg_hi:[1,0,0]
	ds_read2_b64 v[184:187], v167 offset0:15 offset1:16
	s_waitcnt vmcnt(36)
	v_pk_fma_f32 v[142:143], v[148:149], v[190:191], v[142:143] op_sel_hi:[0,1,1] neg_lo:[1,0,0] neg_hi:[1,0,0]
	s_waitcnt vmcnt(34) lgkmcnt(1)
	v_pk_fma_f32 v[120:121], v[148:149], v[180:181], v[120:121] op_sel_hi:[0,1,1] neg_lo:[1,0,0] neg_hi:[1,0,0]
	ds_read2_b64 v[188:191], v167 offset0:17 offset1:18
	s_waitcnt vmcnt(32)
	v_pk_fma_f32 v[140:141], v[148:149], v[182:183], v[140:141] op_sel_hi:[0,1,1] neg_lo:[1,0,0] neg_hi:[1,0,0]
	ds_read2_b64 v[180:183], v167 offset0:19 offset1:20
	s_waitcnt vmcnt(30) lgkmcnt(2)
	v_pk_fma_f32 v[118:119], v[148:149], v[184:185], v[118:119] op_sel_hi:[0,1,1] neg_lo:[1,0,0] neg_hi:[1,0,0]
	s_waitcnt vmcnt(28)
	v_pk_fma_f32 v[138:139], v[148:149], v[186:187], v[138:139] op_sel_hi:[0,1,1] neg_lo:[1,0,0] neg_hi:[1,0,0]
	s_waitcnt vmcnt(26) lgkmcnt(1)
	v_pk_fma_f32 v[116:117], v[148:149], v[188:189], v[116:117] op_sel_hi:[0,1,1] neg_lo:[1,0,0] neg_hi:[1,0,0]
	s_waitcnt vmcnt(24)
	v_pk_fma_f32 v[136:137], v[148:149], v[190:191], v[136:137] op_sel_hi:[0,1,1] neg_lo:[1,0,0] neg_hi:[1,0,0]
	ds_read2_b64 v[184:187], v167 offset0:21 offset1:22
	ds_read2_b64 v[188:191], v167 offset0:23 offset1:24
	s_waitcnt vmcnt(22) lgkmcnt(2)
	v_pk_fma_f32 v[114:115], v[148:149], v[180:181], v[114:115] op_sel_hi:[0,1,1] neg_lo:[1,0,0] neg_hi:[1,0,0]
	s_waitcnt vmcnt(20)
	v_pk_fma_f32 v[134:135], v[148:149], v[182:183], v[134:135] op_sel_hi:[0,1,1] neg_lo:[1,0,0] neg_hi:[1,0,0]
	ds_read2_b64 v[180:183], v167 offset0:25 offset1:26
	s_waitcnt vmcnt(18) lgkmcnt(2)
	v_pk_fma_f32 v[112:113], v[148:149], v[184:185], v[112:113] op_sel_hi:[0,1,1] neg_lo:[1,0,0] neg_hi:[1,0,0]
	s_waitcnt vmcnt(16)
	v_pk_fma_f32 v[132:133], v[148:149], v[186:187], v[132:133] op_sel_hi:[0,1,1] neg_lo:[1,0,0] neg_hi:[1,0,0]
	s_waitcnt vmcnt(14) lgkmcnt(1)
	v_pk_fma_f32 v[110:111], v[148:149], v[188:189], v[110:111] op_sel_hi:[0,1,1] neg_lo:[1,0,0] neg_hi:[1,0,0]
	s_waitcnt vmcnt(12)
	v_pk_fma_f32 v[130:131], v[148:149], v[190:191], v[130:131] op_sel_hi:[0,1,1] neg_lo:[1,0,0] neg_hi:[1,0,0]
	;; [unrolled: 4-line block ×3, first 2 shown]
.LBB107_70:
	s_or_b64 exec, exec, s[2:3]
	v_cmp_ne_u32_e32 vcc, 13, v163
	s_waitcnt lgkmcnt(0)
	s_barrier
	s_and_saveexec_b64 s[2:3], vcc
	s_xor_b64 s[2:3], exec, s[2:3]
	s_andn2_saveexec_b64 s[2:3], s[2:3]
	s_cbranch_execz .LBB107_74
; %bb.71:
	s_waitcnt vmcnt(48)
	ds_write_b32 v165, v149
	s_waitcnt vmcnt(44)
	ds_write2_b64 v167, v[126:127], v[146:147] offset0:7 offset1:8
	s_waitcnt vmcnt(40)
	ds_write2_b64 v167, v[124:125], v[144:145] offset0:9 offset1:10
	;; [unrolled: 2-line block ×10, first 2 shown]
	ds_read_b32 v180, v165
	s_waitcnt lgkmcnt(0)
	v_cmp_neq_f32_e32 vcc, 0, v180
	s_and_saveexec_b64 s[4:5], vcc
	s_cbranch_execz .LBB107_73
; %bb.72:
	v_div_scale_f32 v181, s[10:11], v180, v180, 1.0
	v_rcp_f32_e32 v182, v181
	v_div_scale_f32 v183, vcc, 1.0, v180, 1.0
	v_fma_f32 v184, -v181, v182, 1.0
	v_fmac_f32_e32 v182, v184, v182
	v_mul_f32_e32 v184, v183, v182
	v_fma_f32 v185, -v181, v184, v183
	v_fmac_f32_e32 v184, v185, v182
	v_fma_f32 v181, -v181, v184, v183
	v_div_fmas_f32 v181, v181, v182, v184
	v_div_fixup_f32 v180, v181, v180, 1.0
	ds_write_b32 v165, v180
.LBB107_73:
	s_or_b64 exec, exec, s[4:5]
.LBB107_74:
	s_or_b64 exec, exec, s[2:3]
	s_waitcnt lgkmcnt(0)
	s_barrier
	ds_read_b32 v180, v165
	v_cmp_lt_u32_e32 vcc, 13, v163
	s_and_saveexec_b64 s[2:3], vcc
	s_cbranch_execz .LBB107_76
; %bb.75:
	ds_read2_b64 v[182:185], v167 offset0:7 offset1:8
	ds_read2_b64 v[186:189], v167 offset0:9 offset1:10
	s_waitcnt vmcnt(48) lgkmcnt(2)
	v_mul_f32_e32 v194, v180, v149
	ds_read2_b64 v[190:193], v167 offset0:11 offset1:12
	v_mov_b32_e32 v149, v194
	s_waitcnt vmcnt(46) lgkmcnt(2)
	v_pk_fma_f32 v[126:127], v[194:195], v[182:183], v[126:127] op_sel_hi:[0,1,1] neg_lo:[1,0,0] neg_hi:[1,0,0]
	s_waitcnt vmcnt(44)
	v_pk_fma_f32 v[146:147], v[194:195], v[184:185], v[146:147] op_sel_hi:[0,1,1] neg_lo:[1,0,0] neg_hi:[1,0,0]
	ds_read2_b64 v[182:185], v167 offset0:13 offset1:14
	s_waitcnt vmcnt(42) lgkmcnt(2)
	v_pk_fma_f32 v[124:125], v[194:195], v[186:187], v[124:125] op_sel_hi:[0,1,1] neg_lo:[1,0,0] neg_hi:[1,0,0]
	s_waitcnt vmcnt(40)
	v_pk_fma_f32 v[144:145], v[194:195], v[188:189], v[144:145] op_sel_hi:[0,1,1] neg_lo:[1,0,0] neg_hi:[1,0,0]
	s_waitcnt vmcnt(38) lgkmcnt(1)
	v_pk_fma_f32 v[122:123], v[194:195], v[190:191], v[122:123] op_sel_hi:[0,1,1] neg_lo:[1,0,0] neg_hi:[1,0,0]
	ds_read2_b64 v[186:189], v167 offset0:15 offset1:16
	s_waitcnt vmcnt(36)
	v_pk_fma_f32 v[142:143], v[194:195], v[192:193], v[142:143] op_sel_hi:[0,1,1] neg_lo:[1,0,0] neg_hi:[1,0,0]
	s_waitcnt vmcnt(34) lgkmcnt(1)
	v_pk_fma_f32 v[120:121], v[194:195], v[182:183], v[120:121] op_sel_hi:[0,1,1] neg_lo:[1,0,0] neg_hi:[1,0,0]
	ds_read2_b64 v[190:193], v167 offset0:17 offset1:18
	s_waitcnt vmcnt(32)
	v_pk_fma_f32 v[140:141], v[194:195], v[184:185], v[140:141] op_sel_hi:[0,1,1] neg_lo:[1,0,0] neg_hi:[1,0,0]
	ds_read2_b64 v[182:185], v167 offset0:19 offset1:20
	s_waitcnt vmcnt(30) lgkmcnt(2)
	v_pk_fma_f32 v[118:119], v[194:195], v[186:187], v[118:119] op_sel_hi:[0,1,1] neg_lo:[1,0,0] neg_hi:[1,0,0]
	s_waitcnt vmcnt(28)
	v_pk_fma_f32 v[138:139], v[194:195], v[188:189], v[138:139] op_sel_hi:[0,1,1] neg_lo:[1,0,0] neg_hi:[1,0,0]
	s_waitcnt vmcnt(26) lgkmcnt(1)
	v_pk_fma_f32 v[116:117], v[194:195], v[190:191], v[116:117] op_sel_hi:[0,1,1] neg_lo:[1,0,0] neg_hi:[1,0,0]
	s_waitcnt vmcnt(24)
	v_pk_fma_f32 v[136:137], v[194:195], v[192:193], v[136:137] op_sel_hi:[0,1,1] neg_lo:[1,0,0] neg_hi:[1,0,0]
	ds_read2_b64 v[186:189], v167 offset0:21 offset1:22
	s_waitcnt vmcnt(22) lgkmcnt(1)
	v_pk_fma_f32 v[114:115], v[194:195], v[182:183], v[114:115] op_sel_hi:[0,1,1] neg_lo:[1,0,0] neg_hi:[1,0,0]
	ds_read2_b64 v[190:193], v167 offset0:23 offset1:24
	s_waitcnt vmcnt(20)
	v_pk_fma_f32 v[134:135], v[194:195], v[184:185], v[134:135] op_sel_hi:[0,1,1] neg_lo:[1,0,0] neg_hi:[1,0,0]
	ds_read2_b64 v[182:185], v167 offset0:25 offset1:26
	s_waitcnt vmcnt(18) lgkmcnt(2)
	v_pk_fma_f32 v[112:113], v[194:195], v[186:187], v[112:113] op_sel_hi:[0,1,1] neg_lo:[1,0,0] neg_hi:[1,0,0]
	s_waitcnt vmcnt(16)
	v_pk_fma_f32 v[132:133], v[194:195], v[188:189], v[132:133] op_sel_hi:[0,1,1] neg_lo:[1,0,0] neg_hi:[1,0,0]
	s_waitcnt vmcnt(14) lgkmcnt(1)
	v_pk_fma_f32 v[110:111], v[194:195], v[190:191], v[110:111] op_sel_hi:[0,1,1] neg_lo:[1,0,0] neg_hi:[1,0,0]
	s_waitcnt vmcnt(12)
	v_pk_fma_f32 v[130:131], v[194:195], v[192:193], v[130:131] op_sel_hi:[0,1,1] neg_lo:[1,0,0] neg_hi:[1,0,0]
	;; [unrolled: 4-line block ×3, first 2 shown]
.LBB107_76:
	s_or_b64 exec, exec, s[2:3]
	v_cmp_eq_u32_e32 vcc, 14, v163
	s_waitcnt lgkmcnt(0)
	s_barrier
	s_and_saveexec_b64 s[2:3], vcc
	s_cbranch_execz .LBB107_79
; %bb.77:
	s_waitcnt vmcnt(44)
	v_pk_mov_b32 v[182:183], v[126:127], v[146:147] op_sel:[1,0]
	ds_write_b32 v165, v126
	ds_write2_b32 v167, v182, v183 offset0:15 offset1:16
	s_waitcnt vmcnt(42)
	v_pk_mov_b32 v[182:183], v[146:147], v[124:125] op_sel:[1,0]
	ds_write2_b32 v167, v182, v183 offset0:17 offset1:18
	s_waitcnt vmcnt(40)
	v_pk_mov_b32 v[182:183], v[124:125], v[144:145] op_sel:[1,0]
	;; [unrolled: 3-line block ×18, first 2 shown]
	ds_write2_b32 v167, v182, v183 offset0:51 offset1:52
	ds_write_b32 v167, v153 offset:212
	ds_read_b32 v181, v165
	s_waitcnt lgkmcnt(0)
	v_cmp_neq_f32_e32 vcc, 0, v181
	s_and_b64 exec, exec, vcc
	s_cbranch_execz .LBB107_79
; %bb.78:
	v_div_scale_f32 v182, s[4:5], v181, v181, 1.0
	v_rcp_f32_e32 v183, v182
	v_div_scale_f32 v184, vcc, 1.0, v181, 1.0
	v_fma_f32 v185, -v182, v183, 1.0
	v_fmac_f32_e32 v183, v185, v183
	v_mul_f32_e32 v185, v184, v183
	v_fma_f32 v186, -v182, v185, v184
	v_fmac_f32_e32 v185, v186, v183
	v_fma_f32 v182, -v182, v185, v184
	v_div_fmas_f32 v182, v182, v183, v185
	v_div_fixup_f32 v181, v182, v181, 1.0
	ds_write_b32 v165, v181
.LBB107_79:
	s_or_b64 exec, exec, s[2:3]
	s_waitcnt lgkmcnt(0)
	s_barrier
	ds_read_b32 v181, v165
	v_cmp_lt_u32_e32 vcc, 14, v163
	s_and_saveexec_b64 s[2:3], vcc
	s_cbranch_execz .LBB107_81
; %bb.80:
	ds_read_b32 v194, v167 offset:60
	ds_read2_b64 v[182:185], v167 offset0:8 offset1:9
	s_waitcnt vmcnt(47) lgkmcnt(2)
	v_mul_f32_e32 v126, v181, v126
	ds_read2_b64 v[186:189], v167 offset0:10 offset1:11
	ds_read2_b64 v[190:193], v167 offset0:12 offset1:13
	s_waitcnt vmcnt(46) lgkmcnt(3)
	v_fma_f32 v127, -v126, v194, v127
	s_waitcnt vmcnt(44) lgkmcnt(2)
	v_pk_fma_f32 v[146:147], v[126:127], v[182:183], v[146:147] op_sel_hi:[0,1,1] neg_lo:[1,0,0] neg_hi:[1,0,0]
	s_waitcnt vmcnt(42)
	v_pk_fma_f32 v[124:125], v[126:127], v[184:185], v[124:125] op_sel_hi:[0,1,1] neg_lo:[1,0,0] neg_hi:[1,0,0]
	ds_read2_b64 v[182:185], v167 offset0:14 offset1:15
	s_waitcnt vmcnt(40) lgkmcnt(2)
	v_pk_fma_f32 v[144:145], v[126:127], v[186:187], v[144:145] op_sel_hi:[0,1,1] neg_lo:[1,0,0] neg_hi:[1,0,0]
	s_waitcnt vmcnt(38)
	v_pk_fma_f32 v[122:123], v[126:127], v[188:189], v[122:123] op_sel_hi:[0,1,1] neg_lo:[1,0,0] neg_hi:[1,0,0]
	s_waitcnt vmcnt(36) lgkmcnt(1)
	v_pk_fma_f32 v[142:143], v[126:127], v[190:191], v[142:143] op_sel_hi:[0,1,1] neg_lo:[1,0,0] neg_hi:[1,0,0]
	ds_read2_b64 v[186:189], v167 offset0:16 offset1:17
	s_waitcnt vmcnt(34)
	v_pk_fma_f32 v[120:121], v[126:127], v[192:193], v[120:121] op_sel_hi:[0,1,1] neg_lo:[1,0,0] neg_hi:[1,0,0]
	s_waitcnt vmcnt(32) lgkmcnt(1)
	v_pk_fma_f32 v[140:141], v[126:127], v[182:183], v[140:141] op_sel_hi:[0,1,1] neg_lo:[1,0,0] neg_hi:[1,0,0]
	ds_read2_b64 v[190:193], v167 offset0:18 offset1:19
	s_waitcnt vmcnt(30)
	v_pk_fma_f32 v[118:119], v[126:127], v[184:185], v[118:119] op_sel_hi:[0,1,1] neg_lo:[1,0,0] neg_hi:[1,0,0]
	ds_read2_b64 v[182:185], v167 offset0:20 offset1:21
	s_waitcnt vmcnt(28) lgkmcnt(2)
	v_pk_fma_f32 v[138:139], v[126:127], v[186:187], v[138:139] op_sel_hi:[0,1,1] neg_lo:[1,0,0] neg_hi:[1,0,0]
	s_waitcnt vmcnt(26)
	v_pk_fma_f32 v[116:117], v[126:127], v[188:189], v[116:117] op_sel_hi:[0,1,1] neg_lo:[1,0,0] neg_hi:[1,0,0]
	s_waitcnt vmcnt(24) lgkmcnt(1)
	v_pk_fma_f32 v[136:137], v[126:127], v[190:191], v[136:137] op_sel_hi:[0,1,1] neg_lo:[1,0,0] neg_hi:[1,0,0]
	s_waitcnt vmcnt(22)
	v_pk_fma_f32 v[114:115], v[126:127], v[192:193], v[114:115] op_sel_hi:[0,1,1] neg_lo:[1,0,0] neg_hi:[1,0,0]
	ds_read2_b64 v[186:189], v167 offset0:22 offset1:23
	ds_read2_b64 v[190:193], v167 offset0:24 offset1:25
	s_waitcnt vmcnt(20) lgkmcnt(2)
	v_pk_fma_f32 v[134:135], v[126:127], v[182:183], v[134:135] op_sel_hi:[0,1,1] neg_lo:[1,0,0] neg_hi:[1,0,0]
	ds_read_b64 v[182:183], v167 offset:208
	s_waitcnt vmcnt(18)
	v_pk_fma_f32 v[112:113], v[126:127], v[184:185], v[112:113] op_sel_hi:[0,1,1] neg_lo:[1,0,0] neg_hi:[1,0,0]
	s_waitcnt vmcnt(16) lgkmcnt(2)
	v_pk_fma_f32 v[132:133], v[126:127], v[186:187], v[132:133] op_sel_hi:[0,1,1] neg_lo:[1,0,0] neg_hi:[1,0,0]
	s_waitcnt vmcnt(14)
	v_pk_fma_f32 v[110:111], v[126:127], v[188:189], v[110:111] op_sel_hi:[0,1,1] neg_lo:[1,0,0] neg_hi:[1,0,0]
	s_waitcnt vmcnt(12) lgkmcnt(1)
	v_pk_fma_f32 v[130:131], v[126:127], v[190:191], v[130:131] op_sel_hi:[0,1,1] neg_lo:[1,0,0] neg_hi:[1,0,0]
	;; [unrolled: 4-line block ×3, first 2 shown]
.LBB107_81:
	s_or_b64 exec, exec, s[2:3]
	v_cmp_ne_u32_e32 vcc, 15, v163
	s_waitcnt lgkmcnt(0)
	s_barrier
	s_and_saveexec_b64 s[2:3], vcc
	s_xor_b64 s[2:3], exec, s[2:3]
	s_andn2_saveexec_b64 s[2:3], s[2:3]
	s_cbranch_execz .LBB107_85
; %bb.82:
	s_waitcnt vmcnt(45)
	v_mov_b32_e32 v182, v146
	s_waitcnt vmcnt(44)
	v_mov_b32_e32 v183, v147
	;; [unrolled: 2-line block ×4, first 2 shown]
	ds_write_b32 v165, v127
	ds_write2_b64 v167, v[182:183], v[184:185] offset0:8 offset1:9
	s_waitcnt vmcnt(41)
	v_mov_b32_e32 v182, v144
	s_waitcnt vmcnt(40)
	v_mov_b32_e32 v183, v145
	s_waitcnt vmcnt(39)
	v_mov_b32_e32 v184, v122
	s_waitcnt vmcnt(38)
	v_mov_b32_e32 v185, v123
	ds_write2_b64 v167, v[182:183], v[184:185] offset0:10 offset1:11
	s_waitcnt vmcnt(37)
	v_mov_b32_e32 v182, v142
	s_waitcnt vmcnt(36)
	v_mov_b32_e32 v183, v143
	s_waitcnt vmcnt(35)
	v_mov_b32_e32 v184, v120
	s_waitcnt vmcnt(34)
	v_mov_b32_e32 v185, v121
	ds_write2_b64 v167, v[182:183], v[184:185] offset0:12 offset1:13
	s_waitcnt vmcnt(33)
	v_mov_b32_e32 v182, v140
	s_waitcnt vmcnt(32)
	v_mov_b32_e32 v183, v141
	s_waitcnt vmcnt(31)
	v_mov_b32_e32 v184, v118
	s_waitcnt vmcnt(30)
	v_mov_b32_e32 v185, v119
	ds_write2_b64 v167, v[182:183], v[184:185] offset0:14 offset1:15
	s_waitcnt vmcnt(29)
	v_mov_b32_e32 v182, v138
	s_waitcnt vmcnt(28)
	v_mov_b32_e32 v183, v139
	s_waitcnt vmcnt(27)
	v_mov_b32_e32 v184, v116
	s_waitcnt vmcnt(26)
	v_mov_b32_e32 v185, v117
	ds_write2_b64 v167, v[182:183], v[184:185] offset0:16 offset1:17
	s_waitcnt vmcnt(25)
	v_mov_b32_e32 v182, v136
	s_waitcnt vmcnt(24)
	v_mov_b32_e32 v183, v137
	s_waitcnt vmcnt(23)
	v_mov_b32_e32 v184, v114
	s_waitcnt vmcnt(22)
	v_mov_b32_e32 v185, v115
	ds_write2_b64 v167, v[182:183], v[184:185] offset0:18 offset1:19
	s_waitcnt vmcnt(21)
	v_mov_b32_e32 v182, v134
	s_waitcnt vmcnt(20)
	v_mov_b32_e32 v183, v135
	s_waitcnt vmcnt(19)
	v_mov_b32_e32 v184, v112
	s_waitcnt vmcnt(18)
	v_mov_b32_e32 v185, v113
	ds_write2_b64 v167, v[182:183], v[184:185] offset0:20 offset1:21
	s_waitcnt vmcnt(17)
	v_mov_b32_e32 v182, v132
	s_waitcnt vmcnt(16)
	v_mov_b32_e32 v183, v133
	s_waitcnt vmcnt(15)
	v_mov_b32_e32 v184, v110
	s_waitcnt vmcnt(14)
	v_mov_b32_e32 v185, v111
	ds_write2_b64 v167, v[182:183], v[184:185] offset0:22 offset1:23
	s_waitcnt vmcnt(13)
	v_mov_b32_e32 v182, v130
	s_waitcnt vmcnt(12)
	v_mov_b32_e32 v183, v131
	s_waitcnt vmcnt(11)
	v_mov_b32_e32 v184, v108
	s_waitcnt vmcnt(10)
	v_mov_b32_e32 v185, v109
	ds_write2_b64 v167, v[182:183], v[184:185] offset0:24 offset1:25
	s_waitcnt vmcnt(8)
	ds_write_b64 v167, v[152:153] offset:208
	ds_read_b32 v182, v165
	s_waitcnt lgkmcnt(0)
	v_cmp_neq_f32_e32 vcc, 0, v182
	s_and_saveexec_b64 s[4:5], vcc
	s_cbranch_execz .LBB107_84
; %bb.83:
	v_div_scale_f32 v183, s[10:11], v182, v182, 1.0
	v_rcp_f32_e32 v184, v183
	v_div_scale_f32 v185, vcc, 1.0, v182, 1.0
	v_fma_f32 v186, -v183, v184, 1.0
	v_fmac_f32_e32 v184, v186, v184
	v_mul_f32_e32 v186, v185, v184
	v_fma_f32 v187, -v183, v186, v185
	v_fmac_f32_e32 v186, v187, v184
	v_fma_f32 v183, -v183, v186, v185
	v_div_fmas_f32 v183, v183, v184, v186
	v_div_fixup_f32 v182, v183, v182, 1.0
	ds_write_b32 v165, v182
.LBB107_84:
	s_or_b64 exec, exec, s[4:5]
.LBB107_85:
	s_or_b64 exec, exec, s[2:3]
	s_waitcnt lgkmcnt(0)
	s_barrier
	ds_read_b32 v182, v165
	v_cmp_lt_u32_e32 vcc, 15, v163
	s_and_saveexec_b64 s[2:3], vcc
	s_cbranch_execz .LBB107_87
; %bb.86:
	ds_read2_b64 v[184:187], v167 offset0:8 offset1:9
	ds_read2_b64 v[188:191], v167 offset0:10 offset1:11
	s_waitcnt vmcnt(46) lgkmcnt(2)
	v_mul_f32_e32 v196, v182, v127
	ds_read2_b64 v[192:195], v167 offset0:12 offset1:13
	v_mov_b32_e32 v127, v196
	s_waitcnt vmcnt(44) lgkmcnt(2)
	v_pk_fma_f32 v[146:147], v[196:197], v[184:185], v[146:147] op_sel_hi:[0,1,1] neg_lo:[1,0,0] neg_hi:[1,0,0]
	s_waitcnt vmcnt(42)
	v_pk_fma_f32 v[124:125], v[196:197], v[186:187], v[124:125] op_sel_hi:[0,1,1] neg_lo:[1,0,0] neg_hi:[1,0,0]
	ds_read2_b64 v[184:187], v167 offset0:14 offset1:15
	s_waitcnt vmcnt(40) lgkmcnt(2)
	v_pk_fma_f32 v[144:145], v[196:197], v[188:189], v[144:145] op_sel_hi:[0,1,1] neg_lo:[1,0,0] neg_hi:[1,0,0]
	s_waitcnt vmcnt(38)
	v_pk_fma_f32 v[122:123], v[196:197], v[190:191], v[122:123] op_sel_hi:[0,1,1] neg_lo:[1,0,0] neg_hi:[1,0,0]
	s_waitcnt vmcnt(36) lgkmcnt(1)
	v_pk_fma_f32 v[142:143], v[196:197], v[192:193], v[142:143] op_sel_hi:[0,1,1] neg_lo:[1,0,0] neg_hi:[1,0,0]
	ds_read2_b64 v[188:191], v167 offset0:16 offset1:17
	s_waitcnt vmcnt(34)
	v_pk_fma_f32 v[120:121], v[196:197], v[194:195], v[120:121] op_sel_hi:[0,1,1] neg_lo:[1,0,0] neg_hi:[1,0,0]
	s_waitcnt vmcnt(32) lgkmcnt(1)
	v_pk_fma_f32 v[140:141], v[196:197], v[184:185], v[140:141] op_sel_hi:[0,1,1] neg_lo:[1,0,0] neg_hi:[1,0,0]
	ds_read2_b64 v[192:195], v167 offset0:18 offset1:19
	s_waitcnt vmcnt(30)
	v_pk_fma_f32 v[118:119], v[196:197], v[186:187], v[118:119] op_sel_hi:[0,1,1] neg_lo:[1,0,0] neg_hi:[1,0,0]
	ds_read2_b64 v[184:187], v167 offset0:20 offset1:21
	s_waitcnt vmcnt(28) lgkmcnt(2)
	v_pk_fma_f32 v[138:139], v[196:197], v[188:189], v[138:139] op_sel_hi:[0,1,1] neg_lo:[1,0,0] neg_hi:[1,0,0]
	s_waitcnt vmcnt(26)
	v_pk_fma_f32 v[116:117], v[196:197], v[190:191], v[116:117] op_sel_hi:[0,1,1] neg_lo:[1,0,0] neg_hi:[1,0,0]
	s_waitcnt vmcnt(24) lgkmcnt(1)
	v_pk_fma_f32 v[136:137], v[196:197], v[192:193], v[136:137] op_sel_hi:[0,1,1] neg_lo:[1,0,0] neg_hi:[1,0,0]
	s_waitcnt vmcnt(22)
	v_pk_fma_f32 v[114:115], v[196:197], v[194:195], v[114:115] op_sel_hi:[0,1,1] neg_lo:[1,0,0] neg_hi:[1,0,0]
	ds_read2_b64 v[188:191], v167 offset0:22 offset1:23
	s_waitcnt vmcnt(20) lgkmcnt(1)
	v_pk_fma_f32 v[134:135], v[196:197], v[184:185], v[134:135] op_sel_hi:[0,1,1] neg_lo:[1,0,0] neg_hi:[1,0,0]
	ds_read2_b64 v[192:195], v167 offset0:24 offset1:25
	ds_read_b64 v[184:185], v167 offset:208
	s_waitcnt vmcnt(18)
	v_pk_fma_f32 v[112:113], v[196:197], v[186:187], v[112:113] op_sel_hi:[0,1,1] neg_lo:[1,0,0] neg_hi:[1,0,0]
	s_waitcnt vmcnt(16) lgkmcnt(2)
	v_pk_fma_f32 v[132:133], v[196:197], v[188:189], v[132:133] op_sel_hi:[0,1,1] neg_lo:[1,0,0] neg_hi:[1,0,0]
	s_waitcnt vmcnt(14)
	v_pk_fma_f32 v[110:111], v[196:197], v[190:191], v[110:111] op_sel_hi:[0,1,1] neg_lo:[1,0,0] neg_hi:[1,0,0]
	s_waitcnt vmcnt(12) lgkmcnt(1)
	v_pk_fma_f32 v[130:131], v[196:197], v[192:193], v[130:131] op_sel_hi:[0,1,1] neg_lo:[1,0,0] neg_hi:[1,0,0]
	s_waitcnt vmcnt(10)
	v_pk_fma_f32 v[108:109], v[196:197], v[194:195], v[108:109] op_sel_hi:[0,1,1] neg_lo:[1,0,0] neg_hi:[1,0,0]
	s_waitcnt vmcnt(8) lgkmcnt(0)
	v_pk_fma_f32 v[152:153], v[196:197], v[184:185], v[152:153] op_sel_hi:[0,1,1] neg_lo:[1,0,0] neg_hi:[1,0,0]
.LBB107_87:
	s_or_b64 exec, exec, s[2:3]
	v_cmp_eq_u32_e32 vcc, 16, v163
	s_waitcnt lgkmcnt(0)
	s_barrier
	s_and_saveexec_b64 s[2:3], vcc
	s_cbranch_execz .LBB107_90
; %bb.88:
	s_waitcnt vmcnt(42)
	v_pk_mov_b32 v[184:185], v[146:147], v[124:125] op_sel:[1,0]
	ds_write_b32 v165, v146
	ds_write2_b32 v167, v184, v185 offset0:17 offset1:18
	s_waitcnt vmcnt(40)
	v_pk_mov_b32 v[184:185], v[124:125], v[144:145] op_sel:[1,0]
	ds_write2_b32 v167, v184, v185 offset0:19 offset1:20
	s_waitcnt vmcnt(38)
	v_pk_mov_b32 v[184:185], v[144:145], v[122:123] op_sel:[1,0]
	;; [unrolled: 3-line block ×17, first 2 shown]
	ds_write2_b32 v167, v184, v185 offset0:51 offset1:52
	ds_write_b32 v167, v153 offset:212
	ds_read_b32 v183, v165
	s_waitcnt lgkmcnt(0)
	v_cmp_neq_f32_e32 vcc, 0, v183
	s_and_b64 exec, exec, vcc
	s_cbranch_execz .LBB107_90
; %bb.89:
	v_div_scale_f32 v184, s[4:5], v183, v183, 1.0
	v_rcp_f32_e32 v185, v184
	v_div_scale_f32 v186, vcc, 1.0, v183, 1.0
	v_fma_f32 v187, -v184, v185, 1.0
	v_fmac_f32_e32 v185, v187, v185
	v_mul_f32_e32 v187, v186, v185
	v_fma_f32 v188, -v184, v187, v186
	v_fmac_f32_e32 v187, v188, v185
	v_fma_f32 v184, -v184, v187, v186
	v_div_fmas_f32 v184, v184, v185, v187
	v_div_fixup_f32 v183, v184, v183, 1.0
	ds_write_b32 v165, v183
.LBB107_90:
	s_or_b64 exec, exec, s[2:3]
	s_waitcnt lgkmcnt(0)
	s_barrier
	ds_read_b32 v183, v165
	v_cmp_lt_u32_e32 vcc, 16, v163
	s_and_saveexec_b64 s[2:3], vcc
	s_cbranch_execz .LBB107_92
; %bb.91:
	ds_read_b32 v196, v167 offset:68
	ds_read2_b64 v[184:187], v167 offset0:9 offset1:10
	ds_read2_b64 v[188:191], v167 offset0:11 offset1:12
	;; [unrolled: 1-line block ×3, first 2 shown]
	s_waitcnt vmcnt(45) lgkmcnt(4)
	v_mul_f32_e32 v146, v183, v146
	s_waitcnt vmcnt(44) lgkmcnt(3)
	v_fma_f32 v147, -v146, v196, v147
	s_waitcnt vmcnt(42) lgkmcnt(2)
	v_pk_fma_f32 v[124:125], v[146:147], v[184:185], v[124:125] op_sel_hi:[0,1,1] neg_lo:[1,0,0] neg_hi:[1,0,0]
	s_waitcnt vmcnt(40)
	v_pk_fma_f32 v[144:145], v[146:147], v[186:187], v[144:145] op_sel_hi:[0,1,1] neg_lo:[1,0,0] neg_hi:[1,0,0]
	s_waitcnt vmcnt(38) lgkmcnt(1)
	v_pk_fma_f32 v[122:123], v[146:147], v[188:189], v[122:123] op_sel_hi:[0,1,1] neg_lo:[1,0,0] neg_hi:[1,0,0]
	ds_read2_b64 v[184:187], v167 offset0:15 offset1:16
	s_waitcnt vmcnt(36)
	v_pk_fma_f32 v[142:143], v[146:147], v[190:191], v[142:143] op_sel_hi:[0,1,1] neg_lo:[1,0,0] neg_hi:[1,0,0]
	s_waitcnt vmcnt(34) lgkmcnt(1)
	v_pk_fma_f32 v[120:121], v[146:147], v[192:193], v[120:121] op_sel_hi:[0,1,1] neg_lo:[1,0,0] neg_hi:[1,0,0]
	ds_read2_b64 v[188:191], v167 offset0:17 offset1:18
	s_waitcnt vmcnt(32)
	v_pk_fma_f32 v[140:141], v[146:147], v[194:195], v[140:141] op_sel_hi:[0,1,1] neg_lo:[1,0,0] neg_hi:[1,0,0]
	ds_read2_b64 v[192:195], v167 offset0:19 offset1:20
	s_waitcnt vmcnt(30) lgkmcnt(2)
	v_pk_fma_f32 v[118:119], v[146:147], v[184:185], v[118:119] op_sel_hi:[0,1,1] neg_lo:[1,0,0] neg_hi:[1,0,0]
	s_waitcnt vmcnt(28)
	v_pk_fma_f32 v[138:139], v[146:147], v[186:187], v[138:139] op_sel_hi:[0,1,1] neg_lo:[1,0,0] neg_hi:[1,0,0]
	s_waitcnt vmcnt(26) lgkmcnt(1)
	v_pk_fma_f32 v[116:117], v[146:147], v[188:189], v[116:117] op_sel_hi:[0,1,1] neg_lo:[1,0,0] neg_hi:[1,0,0]
	s_waitcnt vmcnt(24)
	v_pk_fma_f32 v[136:137], v[146:147], v[190:191], v[136:137] op_sel_hi:[0,1,1] neg_lo:[1,0,0] neg_hi:[1,0,0]
	ds_read2_b64 v[184:187], v167 offset0:21 offset1:22
	s_waitcnt vmcnt(22) lgkmcnt(1)
	v_pk_fma_f32 v[114:115], v[146:147], v[192:193], v[114:115] op_sel_hi:[0,1,1] neg_lo:[1,0,0] neg_hi:[1,0,0]
	ds_read2_b64 v[188:191], v167 offset0:23 offset1:24
	s_waitcnt vmcnt(20)
	v_pk_fma_f32 v[134:135], v[146:147], v[194:195], v[134:135] op_sel_hi:[0,1,1] neg_lo:[1,0,0] neg_hi:[1,0,0]
	ds_read2_b64 v[192:195], v167 offset0:25 offset1:26
	s_waitcnt vmcnt(18) lgkmcnt(2)
	v_pk_fma_f32 v[112:113], v[146:147], v[184:185], v[112:113] op_sel_hi:[0,1,1] neg_lo:[1,0,0] neg_hi:[1,0,0]
	s_waitcnt vmcnt(16)
	v_pk_fma_f32 v[132:133], v[146:147], v[186:187], v[132:133] op_sel_hi:[0,1,1] neg_lo:[1,0,0] neg_hi:[1,0,0]
	s_waitcnt vmcnt(14) lgkmcnt(1)
	v_pk_fma_f32 v[110:111], v[146:147], v[188:189], v[110:111] op_sel_hi:[0,1,1] neg_lo:[1,0,0] neg_hi:[1,0,0]
	s_waitcnt vmcnt(12)
	v_pk_fma_f32 v[130:131], v[146:147], v[190:191], v[130:131] op_sel_hi:[0,1,1] neg_lo:[1,0,0] neg_hi:[1,0,0]
	;; [unrolled: 4-line block ×3, first 2 shown]
.LBB107_92:
	s_or_b64 exec, exec, s[2:3]
	v_cmp_ne_u32_e32 vcc, 17, v163
	s_waitcnt lgkmcnt(0)
	s_barrier
	s_and_saveexec_b64 s[2:3], vcc
	s_xor_b64 s[2:3], exec, s[2:3]
	s_andn2_saveexec_b64 s[2:3], s[2:3]
	s_cbranch_execz .LBB107_96
; %bb.93:
	s_waitcnt vmcnt(44)
	ds_write_b32 v165, v147
	s_waitcnt vmcnt(40)
	ds_write2_b64 v167, v[124:125], v[144:145] offset0:9 offset1:10
	s_waitcnt vmcnt(36)
	ds_write2_b64 v167, v[122:123], v[142:143] offset0:11 offset1:12
	;; [unrolled: 2-line block ×9, first 2 shown]
	ds_read_b32 v184, v165
	s_waitcnt lgkmcnt(0)
	v_cmp_neq_f32_e32 vcc, 0, v184
	s_and_saveexec_b64 s[4:5], vcc
	s_cbranch_execz .LBB107_95
; %bb.94:
	v_div_scale_f32 v185, s[10:11], v184, v184, 1.0
	v_rcp_f32_e32 v186, v185
	v_div_scale_f32 v187, vcc, 1.0, v184, 1.0
	v_fma_f32 v188, -v185, v186, 1.0
	v_fmac_f32_e32 v186, v188, v186
	v_mul_f32_e32 v188, v187, v186
	v_fma_f32 v189, -v185, v188, v187
	v_fmac_f32_e32 v188, v189, v186
	v_fma_f32 v185, -v185, v188, v187
	v_div_fmas_f32 v185, v185, v186, v188
	v_div_fixup_f32 v184, v185, v184, 1.0
	ds_write_b32 v165, v184
.LBB107_95:
	s_or_b64 exec, exec, s[4:5]
.LBB107_96:
	s_or_b64 exec, exec, s[2:3]
	s_waitcnt lgkmcnt(0)
	s_barrier
	ds_read_b32 v184, v165
	v_cmp_lt_u32_e32 vcc, 17, v163
	s_and_saveexec_b64 s[2:3], vcc
	s_cbranch_execz .LBB107_98
; %bb.97:
	ds_read2_b64 v[186:189], v167 offset0:9 offset1:10
	ds_read2_b64 v[190:193], v167 offset0:11 offset1:12
	;; [unrolled: 1-line block ×3, first 2 shown]
	s_waitcnt vmcnt(44) lgkmcnt(3)
	v_mul_f32_e32 v198, v184, v147
	v_mov_b32_e32 v147, v198
	s_waitcnt vmcnt(42) lgkmcnt(2)
	v_pk_fma_f32 v[124:125], v[198:199], v[186:187], v[124:125] op_sel_hi:[0,1,1] neg_lo:[1,0,0] neg_hi:[1,0,0]
	s_waitcnt vmcnt(40)
	v_pk_fma_f32 v[144:145], v[198:199], v[188:189], v[144:145] op_sel_hi:[0,1,1] neg_lo:[1,0,0] neg_hi:[1,0,0]
	s_waitcnt vmcnt(38) lgkmcnt(1)
	v_pk_fma_f32 v[122:123], v[198:199], v[190:191], v[122:123] op_sel_hi:[0,1,1] neg_lo:[1,0,0] neg_hi:[1,0,0]
	ds_read2_b64 v[186:189], v167 offset0:15 offset1:16
	s_waitcnt vmcnt(36)
	v_pk_fma_f32 v[142:143], v[198:199], v[192:193], v[142:143] op_sel_hi:[0,1,1] neg_lo:[1,0,0] neg_hi:[1,0,0]
	s_waitcnt vmcnt(34) lgkmcnt(1)
	v_pk_fma_f32 v[120:121], v[198:199], v[194:195], v[120:121] op_sel_hi:[0,1,1] neg_lo:[1,0,0] neg_hi:[1,0,0]
	ds_read2_b64 v[190:193], v167 offset0:17 offset1:18
	s_waitcnt vmcnt(32)
	v_pk_fma_f32 v[140:141], v[198:199], v[196:197], v[140:141] op_sel_hi:[0,1,1] neg_lo:[1,0,0] neg_hi:[1,0,0]
	ds_read2_b64 v[194:197], v167 offset0:19 offset1:20
	s_waitcnt vmcnt(30) lgkmcnt(2)
	v_pk_fma_f32 v[118:119], v[198:199], v[186:187], v[118:119] op_sel_hi:[0,1,1] neg_lo:[1,0,0] neg_hi:[1,0,0]
	s_waitcnt vmcnt(28)
	v_pk_fma_f32 v[138:139], v[198:199], v[188:189], v[138:139] op_sel_hi:[0,1,1] neg_lo:[1,0,0] neg_hi:[1,0,0]
	s_waitcnt vmcnt(26) lgkmcnt(1)
	v_pk_fma_f32 v[116:117], v[198:199], v[190:191], v[116:117] op_sel_hi:[0,1,1] neg_lo:[1,0,0] neg_hi:[1,0,0]
	s_waitcnt vmcnt(24)
	v_pk_fma_f32 v[136:137], v[198:199], v[192:193], v[136:137] op_sel_hi:[0,1,1] neg_lo:[1,0,0] neg_hi:[1,0,0]
	ds_read2_b64 v[186:189], v167 offset0:21 offset1:22
	ds_read2_b64 v[190:193], v167 offset0:23 offset1:24
	s_waitcnt vmcnt(22) lgkmcnt(2)
	v_pk_fma_f32 v[114:115], v[198:199], v[194:195], v[114:115] op_sel_hi:[0,1,1] neg_lo:[1,0,0] neg_hi:[1,0,0]
	s_waitcnt vmcnt(20)
	v_pk_fma_f32 v[134:135], v[198:199], v[196:197], v[134:135] op_sel_hi:[0,1,1] neg_lo:[1,0,0] neg_hi:[1,0,0]
	ds_read2_b64 v[194:197], v167 offset0:25 offset1:26
	s_waitcnt vmcnt(18) lgkmcnt(2)
	v_pk_fma_f32 v[112:113], v[198:199], v[186:187], v[112:113] op_sel_hi:[0,1,1] neg_lo:[1,0,0] neg_hi:[1,0,0]
	s_waitcnt vmcnt(16)
	v_pk_fma_f32 v[132:133], v[198:199], v[188:189], v[132:133] op_sel_hi:[0,1,1] neg_lo:[1,0,0] neg_hi:[1,0,0]
	s_waitcnt vmcnt(14) lgkmcnt(1)
	v_pk_fma_f32 v[110:111], v[198:199], v[190:191], v[110:111] op_sel_hi:[0,1,1] neg_lo:[1,0,0] neg_hi:[1,0,0]
	s_waitcnt vmcnt(12)
	v_pk_fma_f32 v[130:131], v[198:199], v[192:193], v[130:131] op_sel_hi:[0,1,1] neg_lo:[1,0,0] neg_hi:[1,0,0]
	;; [unrolled: 4-line block ×3, first 2 shown]
.LBB107_98:
	s_or_b64 exec, exec, s[2:3]
	v_cmp_eq_u32_e32 vcc, 18, v163
	s_waitcnt lgkmcnt(0)
	s_barrier
	s_and_saveexec_b64 s[2:3], vcc
	s_cbranch_execz .LBB107_101
; %bb.99:
	s_waitcnt vmcnt(40)
	v_pk_mov_b32 v[186:187], v[124:125], v[144:145] op_sel:[1,0]
	ds_write_b32 v165, v124
	ds_write2_b32 v167, v186, v187 offset0:19 offset1:20
	s_waitcnt vmcnt(38)
	v_pk_mov_b32 v[186:187], v[144:145], v[122:123] op_sel:[1,0]
	ds_write2_b32 v167, v186, v187 offset0:21 offset1:22
	s_waitcnt vmcnt(36)
	v_pk_mov_b32 v[186:187], v[122:123], v[142:143] op_sel:[1,0]
	;; [unrolled: 3-line block ×16, first 2 shown]
	ds_write2_b32 v167, v186, v187 offset0:51 offset1:52
	ds_write_b32 v167, v153 offset:212
	ds_read_b32 v185, v165
	s_waitcnt lgkmcnt(0)
	v_cmp_neq_f32_e32 vcc, 0, v185
	s_and_b64 exec, exec, vcc
	s_cbranch_execz .LBB107_101
; %bb.100:
	v_div_scale_f32 v186, s[4:5], v185, v185, 1.0
	v_rcp_f32_e32 v187, v186
	v_div_scale_f32 v188, vcc, 1.0, v185, 1.0
	v_fma_f32 v189, -v186, v187, 1.0
	v_fmac_f32_e32 v187, v189, v187
	v_mul_f32_e32 v189, v188, v187
	v_fma_f32 v190, -v186, v189, v188
	v_fmac_f32_e32 v189, v190, v187
	v_fma_f32 v186, -v186, v189, v188
	v_div_fmas_f32 v186, v186, v187, v189
	v_div_fixup_f32 v185, v186, v185, 1.0
	ds_write_b32 v165, v185
.LBB107_101:
	s_or_b64 exec, exec, s[2:3]
	s_waitcnt lgkmcnt(0)
	s_barrier
	ds_read_b32 v185, v165
	v_cmp_lt_u32_e32 vcc, 18, v163
	s_and_saveexec_b64 s[2:3], vcc
	s_cbranch_execz .LBB107_103
; %bb.102:
	ds_read_b32 v198, v167 offset:76
	ds_read2_b64 v[186:189], v167 offset0:10 offset1:11
	ds_read2_b64 v[190:193], v167 offset0:12 offset1:13
	;; [unrolled: 1-line block ×3, first 2 shown]
	s_waitcnt vmcnt(43) lgkmcnt(4)
	v_mul_f32_e32 v124, v185, v124
	s_waitcnt vmcnt(42) lgkmcnt(3)
	v_fma_f32 v125, -v124, v198, v125
	s_waitcnt vmcnt(40) lgkmcnt(2)
	v_pk_fma_f32 v[144:145], v[124:125], v[186:187], v[144:145] op_sel_hi:[0,1,1] neg_lo:[1,0,0] neg_hi:[1,0,0]
	s_waitcnt vmcnt(38)
	v_pk_fma_f32 v[122:123], v[124:125], v[188:189], v[122:123] op_sel_hi:[0,1,1] neg_lo:[1,0,0] neg_hi:[1,0,0]
	s_waitcnt vmcnt(36) lgkmcnt(1)
	v_pk_fma_f32 v[142:143], v[124:125], v[190:191], v[142:143] op_sel_hi:[0,1,1] neg_lo:[1,0,0] neg_hi:[1,0,0]
	ds_read2_b64 v[186:189], v167 offset0:16 offset1:17
	s_waitcnt vmcnt(34)
	v_pk_fma_f32 v[120:121], v[124:125], v[192:193], v[120:121] op_sel_hi:[0,1,1] neg_lo:[1,0,0] neg_hi:[1,0,0]
	s_waitcnt vmcnt(32) lgkmcnt(1)
	v_pk_fma_f32 v[140:141], v[124:125], v[194:195], v[140:141] op_sel_hi:[0,1,1] neg_lo:[1,0,0] neg_hi:[1,0,0]
	ds_read2_b64 v[190:193], v167 offset0:18 offset1:19
	s_waitcnt vmcnt(30)
	v_pk_fma_f32 v[118:119], v[124:125], v[196:197], v[118:119] op_sel_hi:[0,1,1] neg_lo:[1,0,0] neg_hi:[1,0,0]
	ds_read2_b64 v[194:197], v167 offset0:20 offset1:21
	s_waitcnt vmcnt(28) lgkmcnt(2)
	v_pk_fma_f32 v[138:139], v[124:125], v[186:187], v[138:139] op_sel_hi:[0,1,1] neg_lo:[1,0,0] neg_hi:[1,0,0]
	s_waitcnt vmcnt(26)
	v_pk_fma_f32 v[116:117], v[124:125], v[188:189], v[116:117] op_sel_hi:[0,1,1] neg_lo:[1,0,0] neg_hi:[1,0,0]
	s_waitcnt vmcnt(24) lgkmcnt(1)
	v_pk_fma_f32 v[136:137], v[124:125], v[190:191], v[136:137] op_sel_hi:[0,1,1] neg_lo:[1,0,0] neg_hi:[1,0,0]
	s_waitcnt vmcnt(22)
	v_pk_fma_f32 v[114:115], v[124:125], v[192:193], v[114:115] op_sel_hi:[0,1,1] neg_lo:[1,0,0] neg_hi:[1,0,0]
	ds_read2_b64 v[186:189], v167 offset0:22 offset1:23
	s_waitcnt vmcnt(20) lgkmcnt(1)
	v_pk_fma_f32 v[134:135], v[124:125], v[194:195], v[134:135] op_sel_hi:[0,1,1] neg_lo:[1,0,0] neg_hi:[1,0,0]
	ds_read2_b64 v[190:193], v167 offset0:24 offset1:25
	ds_read_b64 v[194:195], v167 offset:208
	s_waitcnt vmcnt(18)
	v_pk_fma_f32 v[112:113], v[124:125], v[196:197], v[112:113] op_sel_hi:[0,1,1] neg_lo:[1,0,0] neg_hi:[1,0,0]
	s_waitcnt vmcnt(16) lgkmcnt(2)
	v_pk_fma_f32 v[132:133], v[124:125], v[186:187], v[132:133] op_sel_hi:[0,1,1] neg_lo:[1,0,0] neg_hi:[1,0,0]
	s_waitcnt vmcnt(14)
	v_pk_fma_f32 v[110:111], v[124:125], v[188:189], v[110:111] op_sel_hi:[0,1,1] neg_lo:[1,0,0] neg_hi:[1,0,0]
	s_waitcnt vmcnt(12) lgkmcnt(1)
	v_pk_fma_f32 v[130:131], v[124:125], v[190:191], v[130:131] op_sel_hi:[0,1,1] neg_lo:[1,0,0] neg_hi:[1,0,0]
	;; [unrolled: 4-line block ×3, first 2 shown]
.LBB107_103:
	s_or_b64 exec, exec, s[2:3]
	v_cmp_ne_u32_e32 vcc, 19, v163
	s_waitcnt lgkmcnt(0)
	s_barrier
	s_and_saveexec_b64 s[2:3], vcc
	s_xor_b64 s[2:3], exec, s[2:3]
	s_andn2_saveexec_b64 s[2:3], s[2:3]
	s_cbranch_execz .LBB107_107
; %bb.104:
	s_waitcnt vmcnt(41)
	v_mov_b32_e32 v186, v144
	s_waitcnt vmcnt(40)
	v_mov_b32_e32 v187, v145
	;; [unrolled: 2-line block ×4, first 2 shown]
	ds_write_b32 v165, v125
	ds_write2_b64 v167, v[186:187], v[188:189] offset0:10 offset1:11
	s_waitcnt vmcnt(37)
	v_mov_b32_e32 v186, v142
	s_waitcnt vmcnt(36)
	v_mov_b32_e32 v187, v143
	s_waitcnt vmcnt(35)
	v_mov_b32_e32 v188, v120
	s_waitcnt vmcnt(34)
	v_mov_b32_e32 v189, v121
	ds_write2_b64 v167, v[186:187], v[188:189] offset0:12 offset1:13
	s_waitcnt vmcnt(33)
	v_mov_b32_e32 v186, v140
	s_waitcnt vmcnt(32)
	v_mov_b32_e32 v187, v141
	s_waitcnt vmcnt(31)
	v_mov_b32_e32 v188, v118
	s_waitcnt vmcnt(30)
	v_mov_b32_e32 v189, v119
	;; [unrolled: 9-line block ×7, first 2 shown]
	ds_write2_b64 v167, v[186:187], v[188:189] offset0:24 offset1:25
	s_waitcnt vmcnt(8)
	ds_write_b64 v167, v[152:153] offset:208
	ds_read_b32 v186, v165
	s_waitcnt lgkmcnt(0)
	v_cmp_neq_f32_e32 vcc, 0, v186
	s_and_saveexec_b64 s[4:5], vcc
	s_cbranch_execz .LBB107_106
; %bb.105:
	v_div_scale_f32 v187, s[10:11], v186, v186, 1.0
	v_rcp_f32_e32 v188, v187
	v_div_scale_f32 v189, vcc, 1.0, v186, 1.0
	v_fma_f32 v190, -v187, v188, 1.0
	v_fmac_f32_e32 v188, v190, v188
	v_mul_f32_e32 v190, v189, v188
	v_fma_f32 v191, -v187, v190, v189
	v_fmac_f32_e32 v190, v191, v188
	v_fma_f32 v187, -v187, v190, v189
	v_div_fmas_f32 v187, v187, v188, v190
	v_div_fixup_f32 v186, v187, v186, 1.0
	ds_write_b32 v165, v186
.LBB107_106:
	s_or_b64 exec, exec, s[4:5]
.LBB107_107:
	s_or_b64 exec, exec, s[2:3]
	s_waitcnt lgkmcnt(0)
	s_barrier
	ds_read_b32 v186, v165
	v_cmp_lt_u32_e32 vcc, 19, v163
	s_and_saveexec_b64 s[2:3], vcc
	s_cbranch_execz .LBB107_109
; %bb.108:
	ds_read2_b64 v[188:191], v167 offset0:10 offset1:11
	ds_read2_b64 v[192:195], v167 offset0:12 offset1:13
	;; [unrolled: 1-line block ×3, first 2 shown]
	s_waitcnt vmcnt(42) lgkmcnt(3)
	v_mul_f32_e32 v200, v186, v125
	v_mov_b32_e32 v125, v200
	s_waitcnt vmcnt(40) lgkmcnt(2)
	v_pk_fma_f32 v[144:145], v[200:201], v[188:189], v[144:145] op_sel_hi:[0,1,1] neg_lo:[1,0,0] neg_hi:[1,0,0]
	s_waitcnt vmcnt(38)
	v_pk_fma_f32 v[122:123], v[200:201], v[190:191], v[122:123] op_sel_hi:[0,1,1] neg_lo:[1,0,0] neg_hi:[1,0,0]
	s_waitcnt vmcnt(36) lgkmcnt(1)
	v_pk_fma_f32 v[142:143], v[200:201], v[192:193], v[142:143] op_sel_hi:[0,1,1] neg_lo:[1,0,0] neg_hi:[1,0,0]
	ds_read2_b64 v[188:191], v167 offset0:16 offset1:17
	s_waitcnt vmcnt(34)
	v_pk_fma_f32 v[120:121], v[200:201], v[194:195], v[120:121] op_sel_hi:[0,1,1] neg_lo:[1,0,0] neg_hi:[1,0,0]
	s_waitcnt vmcnt(32) lgkmcnt(1)
	v_pk_fma_f32 v[140:141], v[200:201], v[196:197], v[140:141] op_sel_hi:[0,1,1] neg_lo:[1,0,0] neg_hi:[1,0,0]
	ds_read2_b64 v[192:195], v167 offset0:18 offset1:19
	s_waitcnt vmcnt(30)
	v_pk_fma_f32 v[118:119], v[200:201], v[198:199], v[118:119] op_sel_hi:[0,1,1] neg_lo:[1,0,0] neg_hi:[1,0,0]
	ds_read2_b64 v[196:199], v167 offset0:20 offset1:21
	s_waitcnt vmcnt(28) lgkmcnt(2)
	v_pk_fma_f32 v[138:139], v[200:201], v[188:189], v[138:139] op_sel_hi:[0,1,1] neg_lo:[1,0,0] neg_hi:[1,0,0]
	s_waitcnt vmcnt(26)
	v_pk_fma_f32 v[116:117], v[200:201], v[190:191], v[116:117] op_sel_hi:[0,1,1] neg_lo:[1,0,0] neg_hi:[1,0,0]
	s_waitcnt vmcnt(24) lgkmcnt(1)
	v_pk_fma_f32 v[136:137], v[200:201], v[192:193], v[136:137] op_sel_hi:[0,1,1] neg_lo:[1,0,0] neg_hi:[1,0,0]
	s_waitcnt vmcnt(22)
	v_pk_fma_f32 v[114:115], v[200:201], v[194:195], v[114:115] op_sel_hi:[0,1,1] neg_lo:[1,0,0] neg_hi:[1,0,0]
	ds_read2_b64 v[188:191], v167 offset0:22 offset1:23
	ds_read2_b64 v[192:195], v167 offset0:24 offset1:25
	s_waitcnt vmcnt(20) lgkmcnt(2)
	v_pk_fma_f32 v[134:135], v[200:201], v[196:197], v[134:135] op_sel_hi:[0,1,1] neg_lo:[1,0,0] neg_hi:[1,0,0]
	ds_read_b64 v[196:197], v167 offset:208
	s_waitcnt vmcnt(18)
	v_pk_fma_f32 v[112:113], v[200:201], v[198:199], v[112:113] op_sel_hi:[0,1,1] neg_lo:[1,0,0] neg_hi:[1,0,0]
	s_waitcnt vmcnt(16) lgkmcnt(2)
	v_pk_fma_f32 v[132:133], v[200:201], v[188:189], v[132:133] op_sel_hi:[0,1,1] neg_lo:[1,0,0] neg_hi:[1,0,0]
	s_waitcnt vmcnt(14)
	v_pk_fma_f32 v[110:111], v[200:201], v[190:191], v[110:111] op_sel_hi:[0,1,1] neg_lo:[1,0,0] neg_hi:[1,0,0]
	s_waitcnt vmcnt(12) lgkmcnt(1)
	v_pk_fma_f32 v[130:131], v[200:201], v[192:193], v[130:131] op_sel_hi:[0,1,1] neg_lo:[1,0,0] neg_hi:[1,0,0]
	;; [unrolled: 4-line block ×3, first 2 shown]
.LBB107_109:
	s_or_b64 exec, exec, s[2:3]
	v_cmp_eq_u32_e32 vcc, 20, v163
	s_waitcnt lgkmcnt(0)
	s_barrier
	s_and_saveexec_b64 s[2:3], vcc
	s_cbranch_execz .LBB107_112
; %bb.110:
	s_waitcnt vmcnt(38)
	v_pk_mov_b32 v[188:189], v[144:145], v[122:123] op_sel:[1,0]
	ds_write_b32 v165, v144
	ds_write2_b32 v167, v188, v189 offset0:21 offset1:22
	s_waitcnt vmcnt(36)
	v_pk_mov_b32 v[188:189], v[122:123], v[142:143] op_sel:[1,0]
	ds_write2_b32 v167, v188, v189 offset0:23 offset1:24
	s_waitcnt vmcnt(34)
	v_pk_mov_b32 v[188:189], v[142:143], v[120:121] op_sel:[1,0]
	;; [unrolled: 3-line block ×15, first 2 shown]
	ds_write2_b32 v167, v188, v189 offset0:51 offset1:52
	ds_write_b32 v167, v153 offset:212
	ds_read_b32 v187, v165
	s_waitcnt lgkmcnt(0)
	v_cmp_neq_f32_e32 vcc, 0, v187
	s_and_b64 exec, exec, vcc
	s_cbranch_execz .LBB107_112
; %bb.111:
	v_div_scale_f32 v188, s[4:5], v187, v187, 1.0
	v_rcp_f32_e32 v189, v188
	v_div_scale_f32 v190, vcc, 1.0, v187, 1.0
	v_fma_f32 v191, -v188, v189, 1.0
	v_fmac_f32_e32 v189, v191, v189
	v_mul_f32_e32 v191, v190, v189
	v_fma_f32 v192, -v188, v191, v190
	v_fmac_f32_e32 v191, v192, v189
	v_fma_f32 v188, -v188, v191, v190
	v_div_fmas_f32 v188, v188, v189, v191
	v_div_fixup_f32 v187, v188, v187, 1.0
	ds_write_b32 v165, v187
.LBB107_112:
	s_or_b64 exec, exec, s[2:3]
	s_waitcnt lgkmcnt(0)
	s_barrier
	ds_read_b32 v187, v165
	v_cmp_lt_u32_e32 vcc, 20, v163
	s_and_saveexec_b64 s[2:3], vcc
	s_cbranch_execz .LBB107_114
; %bb.113:
	ds_read_b32 v200, v167 offset:84
	ds_read2_b64 v[188:191], v167 offset0:11 offset1:12
	ds_read2_b64 v[192:195], v167 offset0:13 offset1:14
	;; [unrolled: 1-line block ×3, first 2 shown]
	s_waitcnt vmcnt(41) lgkmcnt(4)
	v_mul_f32_e32 v144, v187, v144
	s_waitcnt vmcnt(40) lgkmcnt(3)
	v_fma_f32 v145, -v144, v200, v145
	s_waitcnt vmcnt(38) lgkmcnt(2)
	v_pk_fma_f32 v[122:123], v[144:145], v[188:189], v[122:123] op_sel_hi:[0,1,1] neg_lo:[1,0,0] neg_hi:[1,0,0]
	s_waitcnt vmcnt(36)
	v_pk_fma_f32 v[142:143], v[144:145], v[190:191], v[142:143] op_sel_hi:[0,1,1] neg_lo:[1,0,0] neg_hi:[1,0,0]
	s_waitcnt vmcnt(34) lgkmcnt(1)
	v_pk_fma_f32 v[120:121], v[144:145], v[192:193], v[120:121] op_sel_hi:[0,1,1] neg_lo:[1,0,0] neg_hi:[1,0,0]
	ds_read2_b64 v[188:191], v167 offset0:17 offset1:18
	s_waitcnt vmcnt(32)
	v_pk_fma_f32 v[140:141], v[144:145], v[194:195], v[140:141] op_sel_hi:[0,1,1] neg_lo:[1,0,0] neg_hi:[1,0,0]
	ds_read2_b64 v[192:195], v167 offset0:19 offset1:20
	s_waitcnt vmcnt(30) lgkmcnt(2)
	v_pk_fma_f32 v[118:119], v[144:145], v[196:197], v[118:119] op_sel_hi:[0,1,1] neg_lo:[1,0,0] neg_hi:[1,0,0]
	s_waitcnt vmcnt(28)
	v_pk_fma_f32 v[138:139], v[144:145], v[198:199], v[138:139] op_sel_hi:[0,1,1] neg_lo:[1,0,0] neg_hi:[1,0,0]
	s_waitcnt vmcnt(26) lgkmcnt(1)
	v_pk_fma_f32 v[116:117], v[144:145], v[188:189], v[116:117] op_sel_hi:[0,1,1] neg_lo:[1,0,0] neg_hi:[1,0,0]
	s_waitcnt vmcnt(24)
	v_pk_fma_f32 v[136:137], v[144:145], v[190:191], v[136:137] op_sel_hi:[0,1,1] neg_lo:[1,0,0] neg_hi:[1,0,0]
	ds_read2_b64 v[188:191], v167 offset0:21 offset1:22
	ds_read2_b64 v[196:199], v167 offset0:23 offset1:24
	s_waitcnt vmcnt(22) lgkmcnt(2)
	v_pk_fma_f32 v[114:115], v[144:145], v[192:193], v[114:115] op_sel_hi:[0,1,1] neg_lo:[1,0,0] neg_hi:[1,0,0]
	s_waitcnt vmcnt(20)
	v_pk_fma_f32 v[134:135], v[144:145], v[194:195], v[134:135] op_sel_hi:[0,1,1] neg_lo:[1,0,0] neg_hi:[1,0,0]
	ds_read2_b64 v[192:195], v167 offset0:25 offset1:26
	s_waitcnt vmcnt(18) lgkmcnt(2)
	v_pk_fma_f32 v[112:113], v[144:145], v[188:189], v[112:113] op_sel_hi:[0,1,1] neg_lo:[1,0,0] neg_hi:[1,0,0]
	s_waitcnt vmcnt(16)
	v_pk_fma_f32 v[132:133], v[144:145], v[190:191], v[132:133] op_sel_hi:[0,1,1] neg_lo:[1,0,0] neg_hi:[1,0,0]
	s_waitcnt vmcnt(14) lgkmcnt(1)
	v_pk_fma_f32 v[110:111], v[144:145], v[196:197], v[110:111] op_sel_hi:[0,1,1] neg_lo:[1,0,0] neg_hi:[1,0,0]
	s_waitcnt vmcnt(12)
	v_pk_fma_f32 v[130:131], v[144:145], v[198:199], v[130:131] op_sel_hi:[0,1,1] neg_lo:[1,0,0] neg_hi:[1,0,0]
	;; [unrolled: 4-line block ×3, first 2 shown]
.LBB107_114:
	s_or_b64 exec, exec, s[2:3]
	v_cmp_ne_u32_e32 vcc, 21, v163
	s_waitcnt lgkmcnt(0)
	s_barrier
	s_and_saveexec_b64 s[2:3], vcc
	s_xor_b64 s[2:3], exec, s[2:3]
	s_andn2_saveexec_b64 s[2:3], s[2:3]
	s_cbranch_execz .LBB107_118
; %bb.115:
	s_waitcnt vmcnt(40)
	ds_write_b32 v165, v145
	s_waitcnt vmcnt(36)
	ds_write2_b64 v167, v[122:123], v[142:143] offset0:11 offset1:12
	s_waitcnt vmcnt(32)
	ds_write2_b64 v167, v[120:121], v[140:141] offset0:13 offset1:14
	;; [unrolled: 2-line block ×8, first 2 shown]
	ds_read_b32 v188, v165
	s_waitcnt lgkmcnt(0)
	v_cmp_neq_f32_e32 vcc, 0, v188
	s_and_saveexec_b64 s[4:5], vcc
	s_cbranch_execz .LBB107_117
; %bb.116:
	v_div_scale_f32 v189, s[10:11], v188, v188, 1.0
	v_rcp_f32_e32 v190, v189
	v_div_scale_f32 v191, vcc, 1.0, v188, 1.0
	v_fma_f32 v192, -v189, v190, 1.0
	v_fmac_f32_e32 v190, v192, v190
	v_mul_f32_e32 v192, v191, v190
	v_fma_f32 v193, -v189, v192, v191
	v_fmac_f32_e32 v192, v193, v190
	v_fma_f32 v189, -v189, v192, v191
	v_div_fmas_f32 v189, v189, v190, v192
	v_div_fixup_f32 v188, v189, v188, 1.0
	ds_write_b32 v165, v188
.LBB107_117:
	s_or_b64 exec, exec, s[4:5]
.LBB107_118:
	s_or_b64 exec, exec, s[2:3]
	s_waitcnt lgkmcnt(0)
	s_barrier
	ds_read_b32 v188, v165
	v_cmp_lt_u32_e32 vcc, 21, v163
	s_and_saveexec_b64 s[2:3], vcc
	s_cbranch_execz .LBB107_120
; %bb.119:
	ds_read2_b64 v[190:193], v167 offset0:11 offset1:12
	ds_read2_b64 v[194:197], v167 offset0:13 offset1:14
	s_waitcnt vmcnt(40) lgkmcnt(2)
	v_mul_f32_e32 v202, v188, v145
	ds_read2_b64 v[198:201], v167 offset0:15 offset1:16
	v_mov_b32_e32 v145, v202
	s_waitcnt vmcnt(38) lgkmcnt(2)
	v_pk_fma_f32 v[122:123], v[202:203], v[190:191], v[122:123] op_sel_hi:[0,1,1] neg_lo:[1,0,0] neg_hi:[1,0,0]
	s_waitcnt vmcnt(36)
	v_pk_fma_f32 v[142:143], v[202:203], v[192:193], v[142:143] op_sel_hi:[0,1,1] neg_lo:[1,0,0] neg_hi:[1,0,0]
	s_waitcnt vmcnt(34) lgkmcnt(1)
	v_pk_fma_f32 v[120:121], v[202:203], v[194:195], v[120:121] op_sel_hi:[0,1,1] neg_lo:[1,0,0] neg_hi:[1,0,0]
	ds_read2_b64 v[190:193], v167 offset0:17 offset1:18
	s_waitcnt vmcnt(32)
	v_pk_fma_f32 v[140:141], v[202:203], v[196:197], v[140:141] op_sel_hi:[0,1,1] neg_lo:[1,0,0] neg_hi:[1,0,0]
	ds_read2_b64 v[194:197], v167 offset0:19 offset1:20
	s_waitcnt vmcnt(30) lgkmcnt(2)
	v_pk_fma_f32 v[118:119], v[202:203], v[198:199], v[118:119] op_sel_hi:[0,1,1] neg_lo:[1,0,0] neg_hi:[1,0,0]
	s_waitcnt vmcnt(28)
	v_pk_fma_f32 v[138:139], v[202:203], v[200:201], v[138:139] op_sel_hi:[0,1,1] neg_lo:[1,0,0] neg_hi:[1,0,0]
	s_waitcnt vmcnt(26) lgkmcnt(1)
	v_pk_fma_f32 v[116:117], v[202:203], v[190:191], v[116:117] op_sel_hi:[0,1,1] neg_lo:[1,0,0] neg_hi:[1,0,0]
	s_waitcnt vmcnt(24)
	v_pk_fma_f32 v[136:137], v[202:203], v[192:193], v[136:137] op_sel_hi:[0,1,1] neg_lo:[1,0,0] neg_hi:[1,0,0]
	ds_read2_b64 v[190:193], v167 offset0:21 offset1:22
	s_waitcnt vmcnt(22) lgkmcnt(1)
	v_pk_fma_f32 v[114:115], v[202:203], v[194:195], v[114:115] op_sel_hi:[0,1,1] neg_lo:[1,0,0] neg_hi:[1,0,0]
	ds_read2_b64 v[198:201], v167 offset0:23 offset1:24
	s_waitcnt vmcnt(20)
	v_pk_fma_f32 v[134:135], v[202:203], v[196:197], v[134:135] op_sel_hi:[0,1,1] neg_lo:[1,0,0] neg_hi:[1,0,0]
	ds_read2_b64 v[194:197], v167 offset0:25 offset1:26
	s_waitcnt vmcnt(18) lgkmcnt(2)
	v_pk_fma_f32 v[112:113], v[202:203], v[190:191], v[112:113] op_sel_hi:[0,1,1] neg_lo:[1,0,0] neg_hi:[1,0,0]
	s_waitcnt vmcnt(16)
	v_pk_fma_f32 v[132:133], v[202:203], v[192:193], v[132:133] op_sel_hi:[0,1,1] neg_lo:[1,0,0] neg_hi:[1,0,0]
	s_waitcnt vmcnt(14) lgkmcnt(1)
	v_pk_fma_f32 v[110:111], v[202:203], v[198:199], v[110:111] op_sel_hi:[0,1,1] neg_lo:[1,0,0] neg_hi:[1,0,0]
	s_waitcnt vmcnt(12)
	v_pk_fma_f32 v[130:131], v[202:203], v[200:201], v[130:131] op_sel_hi:[0,1,1] neg_lo:[1,0,0] neg_hi:[1,0,0]
	;; [unrolled: 4-line block ×3, first 2 shown]
.LBB107_120:
	s_or_b64 exec, exec, s[2:3]
	v_cmp_eq_u32_e32 vcc, 22, v163
	s_waitcnt lgkmcnt(0)
	s_barrier
	s_and_saveexec_b64 s[2:3], vcc
	s_cbranch_execz .LBB107_123
; %bb.121:
	s_waitcnt vmcnt(36)
	v_pk_mov_b32 v[190:191], v[122:123], v[142:143] op_sel:[1,0]
	ds_write_b32 v165, v122
	ds_write2_b32 v167, v190, v191 offset0:23 offset1:24
	s_waitcnt vmcnt(34)
	v_pk_mov_b32 v[190:191], v[142:143], v[120:121] op_sel:[1,0]
	ds_write2_b32 v167, v190, v191 offset0:25 offset1:26
	s_waitcnt vmcnt(32)
	v_pk_mov_b32 v[190:191], v[120:121], v[140:141] op_sel:[1,0]
	;; [unrolled: 3-line block ×14, first 2 shown]
	ds_write2_b32 v167, v190, v191 offset0:51 offset1:52
	ds_write_b32 v167, v153 offset:212
	ds_read_b32 v189, v165
	s_waitcnt lgkmcnt(0)
	v_cmp_neq_f32_e32 vcc, 0, v189
	s_and_b64 exec, exec, vcc
	s_cbranch_execz .LBB107_123
; %bb.122:
	v_div_scale_f32 v190, s[4:5], v189, v189, 1.0
	v_rcp_f32_e32 v191, v190
	v_div_scale_f32 v192, vcc, 1.0, v189, 1.0
	v_fma_f32 v193, -v190, v191, 1.0
	v_fmac_f32_e32 v191, v193, v191
	v_mul_f32_e32 v193, v192, v191
	v_fma_f32 v194, -v190, v193, v192
	v_fmac_f32_e32 v193, v194, v191
	v_fma_f32 v190, -v190, v193, v192
	v_div_fmas_f32 v190, v190, v191, v193
	v_div_fixup_f32 v189, v190, v189, 1.0
	ds_write_b32 v165, v189
.LBB107_123:
	s_or_b64 exec, exec, s[2:3]
	s_waitcnt lgkmcnt(0)
	s_barrier
	ds_read_b32 v189, v165
	v_cmp_lt_u32_e32 vcc, 22, v163
	s_and_saveexec_b64 s[2:3], vcc
	s_cbranch_execz .LBB107_125
; %bb.124:
	ds_read_b32 v202, v167 offset:92
	ds_read2_b64 v[190:193], v167 offset0:12 offset1:13
	ds_read2_b64 v[194:197], v167 offset0:14 offset1:15
	;; [unrolled: 1-line block ×3, first 2 shown]
	s_waitcnt vmcnt(39) lgkmcnt(4)
	v_mul_f32_e32 v122, v189, v122
	s_waitcnt vmcnt(38) lgkmcnt(3)
	v_fma_f32 v123, -v122, v202, v123
	s_waitcnt vmcnt(36) lgkmcnt(2)
	v_pk_fma_f32 v[142:143], v[122:123], v[190:191], v[142:143] op_sel_hi:[0,1,1] neg_lo:[1,0,0] neg_hi:[1,0,0]
	s_waitcnt vmcnt(34)
	v_pk_fma_f32 v[120:121], v[122:123], v[192:193], v[120:121] op_sel_hi:[0,1,1] neg_lo:[1,0,0] neg_hi:[1,0,0]
	s_waitcnt vmcnt(32) lgkmcnt(1)
	v_pk_fma_f32 v[140:141], v[122:123], v[194:195], v[140:141] op_sel_hi:[0,1,1] neg_lo:[1,0,0] neg_hi:[1,0,0]
	ds_read2_b64 v[190:193], v167 offset0:18 offset1:19
	s_waitcnt vmcnt(30)
	v_pk_fma_f32 v[118:119], v[122:123], v[196:197], v[118:119] op_sel_hi:[0,1,1] neg_lo:[1,0,0] neg_hi:[1,0,0]
	ds_read2_b64 v[194:197], v167 offset0:20 offset1:21
	s_waitcnt vmcnt(28) lgkmcnt(2)
	v_pk_fma_f32 v[138:139], v[122:123], v[198:199], v[138:139] op_sel_hi:[0,1,1] neg_lo:[1,0,0] neg_hi:[1,0,0]
	s_waitcnt vmcnt(26)
	v_pk_fma_f32 v[116:117], v[122:123], v[200:201], v[116:117] op_sel_hi:[0,1,1] neg_lo:[1,0,0] neg_hi:[1,0,0]
	s_waitcnt vmcnt(24) lgkmcnt(1)
	v_pk_fma_f32 v[136:137], v[122:123], v[190:191], v[136:137] op_sel_hi:[0,1,1] neg_lo:[1,0,0] neg_hi:[1,0,0]
	s_waitcnt vmcnt(22)
	v_pk_fma_f32 v[114:115], v[122:123], v[192:193], v[114:115] op_sel_hi:[0,1,1] neg_lo:[1,0,0] neg_hi:[1,0,0]
	ds_read2_b64 v[190:193], v167 offset0:22 offset1:23
	ds_read2_b64 v[198:201], v167 offset0:24 offset1:25
	s_waitcnt vmcnt(20) lgkmcnt(2)
	v_pk_fma_f32 v[134:135], v[122:123], v[194:195], v[134:135] op_sel_hi:[0,1,1] neg_lo:[1,0,0] neg_hi:[1,0,0]
	ds_read_b64 v[194:195], v167 offset:208
	s_waitcnt vmcnt(18)
	v_pk_fma_f32 v[112:113], v[122:123], v[196:197], v[112:113] op_sel_hi:[0,1,1] neg_lo:[1,0,0] neg_hi:[1,0,0]
	s_waitcnt vmcnt(16) lgkmcnt(2)
	v_pk_fma_f32 v[132:133], v[122:123], v[190:191], v[132:133] op_sel_hi:[0,1,1] neg_lo:[1,0,0] neg_hi:[1,0,0]
	s_waitcnt vmcnt(14)
	v_pk_fma_f32 v[110:111], v[122:123], v[192:193], v[110:111] op_sel_hi:[0,1,1] neg_lo:[1,0,0] neg_hi:[1,0,0]
	s_waitcnt vmcnt(12) lgkmcnt(1)
	v_pk_fma_f32 v[130:131], v[122:123], v[198:199], v[130:131] op_sel_hi:[0,1,1] neg_lo:[1,0,0] neg_hi:[1,0,0]
	;; [unrolled: 4-line block ×3, first 2 shown]
.LBB107_125:
	s_or_b64 exec, exec, s[2:3]
	v_cmp_ne_u32_e32 vcc, 23, v163
	s_waitcnt lgkmcnt(0)
	s_barrier
	s_and_saveexec_b64 s[2:3], vcc
	s_xor_b64 s[2:3], exec, s[2:3]
	s_andn2_saveexec_b64 s[2:3], s[2:3]
	s_cbranch_execz .LBB107_129
; %bb.126:
	s_waitcnt vmcnt(37)
	v_mov_b32_e32 v190, v142
	s_waitcnt vmcnt(36)
	v_mov_b32_e32 v191, v143
	;; [unrolled: 2-line block ×4, first 2 shown]
	ds_write_b32 v165, v123
	ds_write2_b64 v167, v[190:191], v[192:193] offset0:12 offset1:13
	s_waitcnt vmcnt(33)
	v_mov_b32_e32 v190, v140
	s_waitcnt vmcnt(32)
	v_mov_b32_e32 v191, v141
	s_waitcnt vmcnt(31)
	v_mov_b32_e32 v192, v118
	s_waitcnt vmcnt(30)
	v_mov_b32_e32 v193, v119
	ds_write2_b64 v167, v[190:191], v[192:193] offset0:14 offset1:15
	s_waitcnt vmcnt(29)
	v_mov_b32_e32 v190, v138
	s_waitcnt vmcnt(28)
	v_mov_b32_e32 v191, v139
	s_waitcnt vmcnt(27)
	v_mov_b32_e32 v192, v116
	s_waitcnt vmcnt(26)
	v_mov_b32_e32 v193, v117
	;; [unrolled: 9-line block ×6, first 2 shown]
	ds_write2_b64 v167, v[190:191], v[192:193] offset0:24 offset1:25
	s_waitcnt vmcnt(8)
	ds_write_b64 v167, v[152:153] offset:208
	ds_read_b32 v190, v165
	s_waitcnt lgkmcnt(0)
	v_cmp_neq_f32_e32 vcc, 0, v190
	s_and_saveexec_b64 s[4:5], vcc
	s_cbranch_execz .LBB107_128
; %bb.127:
	v_div_scale_f32 v191, s[10:11], v190, v190, 1.0
	v_rcp_f32_e32 v192, v191
	v_div_scale_f32 v193, vcc, 1.0, v190, 1.0
	v_fma_f32 v194, -v191, v192, 1.0
	v_fmac_f32_e32 v192, v194, v192
	v_mul_f32_e32 v194, v193, v192
	v_fma_f32 v195, -v191, v194, v193
	v_fmac_f32_e32 v194, v195, v192
	v_fma_f32 v191, -v191, v194, v193
	v_div_fmas_f32 v191, v191, v192, v194
	v_div_fixup_f32 v190, v191, v190, 1.0
	ds_write_b32 v165, v190
.LBB107_128:
	s_or_b64 exec, exec, s[4:5]
.LBB107_129:
	s_or_b64 exec, exec, s[2:3]
	s_waitcnt lgkmcnt(0)
	s_barrier
	ds_read_b32 v190, v165
	v_cmp_lt_u32_e32 vcc, 23, v163
	s_and_saveexec_b64 s[2:3], vcc
	s_cbranch_execz .LBB107_131
; %bb.130:
	ds_read2_b64 v[192:195], v167 offset0:12 offset1:13
	ds_read2_b64 v[196:199], v167 offset0:14 offset1:15
	s_waitcnt vmcnt(38) lgkmcnt(2)
	v_mul_f32_e32 v204, v190, v123
	ds_read2_b64 v[200:203], v167 offset0:16 offset1:17
	v_mov_b32_e32 v123, v204
	s_waitcnt vmcnt(36) lgkmcnt(2)
	v_pk_fma_f32 v[142:143], v[204:205], v[192:193], v[142:143] op_sel_hi:[0,1,1] neg_lo:[1,0,0] neg_hi:[1,0,0]
	s_waitcnt vmcnt(34)
	v_pk_fma_f32 v[120:121], v[204:205], v[194:195], v[120:121] op_sel_hi:[0,1,1] neg_lo:[1,0,0] neg_hi:[1,0,0]
	s_waitcnt vmcnt(32) lgkmcnt(1)
	v_pk_fma_f32 v[140:141], v[204:205], v[196:197], v[140:141] op_sel_hi:[0,1,1] neg_lo:[1,0,0] neg_hi:[1,0,0]
	ds_read2_b64 v[192:195], v167 offset0:18 offset1:19
	s_waitcnt vmcnt(30)
	v_pk_fma_f32 v[118:119], v[204:205], v[198:199], v[118:119] op_sel_hi:[0,1,1] neg_lo:[1,0,0] neg_hi:[1,0,0]
	ds_read2_b64 v[196:199], v167 offset0:20 offset1:21
	s_waitcnt vmcnt(28) lgkmcnt(2)
	v_pk_fma_f32 v[138:139], v[204:205], v[200:201], v[138:139] op_sel_hi:[0,1,1] neg_lo:[1,0,0] neg_hi:[1,0,0]
	s_waitcnt vmcnt(26)
	v_pk_fma_f32 v[116:117], v[204:205], v[202:203], v[116:117] op_sel_hi:[0,1,1] neg_lo:[1,0,0] neg_hi:[1,0,0]
	s_waitcnt vmcnt(24) lgkmcnt(1)
	v_pk_fma_f32 v[136:137], v[204:205], v[192:193], v[136:137] op_sel_hi:[0,1,1] neg_lo:[1,0,0] neg_hi:[1,0,0]
	s_waitcnt vmcnt(22)
	v_pk_fma_f32 v[114:115], v[204:205], v[194:195], v[114:115] op_sel_hi:[0,1,1] neg_lo:[1,0,0] neg_hi:[1,0,0]
	ds_read2_b64 v[192:195], v167 offset0:22 offset1:23
	s_waitcnt vmcnt(20) lgkmcnt(1)
	v_pk_fma_f32 v[134:135], v[204:205], v[196:197], v[134:135] op_sel_hi:[0,1,1] neg_lo:[1,0,0] neg_hi:[1,0,0]
	ds_read2_b64 v[200:203], v167 offset0:24 offset1:25
	ds_read_b64 v[196:197], v167 offset:208
	s_waitcnt vmcnt(18)
	v_pk_fma_f32 v[112:113], v[204:205], v[198:199], v[112:113] op_sel_hi:[0,1,1] neg_lo:[1,0,0] neg_hi:[1,0,0]
	s_waitcnt vmcnt(16) lgkmcnt(2)
	v_pk_fma_f32 v[132:133], v[204:205], v[192:193], v[132:133] op_sel_hi:[0,1,1] neg_lo:[1,0,0] neg_hi:[1,0,0]
	s_waitcnt vmcnt(14)
	v_pk_fma_f32 v[110:111], v[204:205], v[194:195], v[110:111] op_sel_hi:[0,1,1] neg_lo:[1,0,0] neg_hi:[1,0,0]
	s_waitcnt vmcnt(12) lgkmcnt(1)
	v_pk_fma_f32 v[130:131], v[204:205], v[200:201], v[130:131] op_sel_hi:[0,1,1] neg_lo:[1,0,0] neg_hi:[1,0,0]
	;; [unrolled: 4-line block ×3, first 2 shown]
.LBB107_131:
	s_or_b64 exec, exec, s[2:3]
	v_cmp_eq_u32_e32 vcc, 24, v163
	s_waitcnt lgkmcnt(0)
	s_barrier
	s_and_saveexec_b64 s[2:3], vcc
	s_cbranch_execz .LBB107_134
; %bb.132:
	s_waitcnt vmcnt(34)
	v_pk_mov_b32 v[192:193], v[142:143], v[120:121] op_sel:[1,0]
	ds_write_b32 v165, v142
	ds_write2_b32 v167, v192, v193 offset0:25 offset1:26
	s_waitcnt vmcnt(32)
	v_pk_mov_b32 v[192:193], v[120:121], v[140:141] op_sel:[1,0]
	ds_write2_b32 v167, v192, v193 offset0:27 offset1:28
	s_waitcnt vmcnt(30)
	v_pk_mov_b32 v[192:193], v[140:141], v[118:119] op_sel:[1,0]
	;; [unrolled: 3-line block ×13, first 2 shown]
	ds_write2_b32 v167, v192, v193 offset0:51 offset1:52
	ds_write_b32 v167, v153 offset:212
	ds_read_b32 v191, v165
	s_waitcnt lgkmcnt(0)
	v_cmp_neq_f32_e32 vcc, 0, v191
	s_and_b64 exec, exec, vcc
	s_cbranch_execz .LBB107_134
; %bb.133:
	v_div_scale_f32 v192, s[4:5], v191, v191, 1.0
	v_rcp_f32_e32 v193, v192
	v_div_scale_f32 v194, vcc, 1.0, v191, 1.0
	v_fma_f32 v195, -v192, v193, 1.0
	v_fmac_f32_e32 v193, v195, v193
	v_mul_f32_e32 v195, v194, v193
	v_fma_f32 v196, -v192, v195, v194
	v_fmac_f32_e32 v195, v196, v193
	v_fma_f32 v192, -v192, v195, v194
	v_div_fmas_f32 v192, v192, v193, v195
	v_div_fixup_f32 v191, v192, v191, 1.0
	ds_write_b32 v165, v191
.LBB107_134:
	s_or_b64 exec, exec, s[2:3]
	s_waitcnt lgkmcnt(0)
	s_barrier
	ds_read_b32 v191, v165
	v_cmp_lt_u32_e32 vcc, 24, v163
	s_and_saveexec_b64 s[2:3], vcc
	s_cbranch_execz .LBB107_136
; %bb.135:
	ds_read_b32 v204, v167 offset:100
	ds_read2_b64 v[192:195], v167 offset0:13 offset1:14
	s_waitcnt vmcnt(37) lgkmcnt(2)
	v_mul_f32_e32 v142, v191, v142
	ds_read2_b64 v[196:199], v167 offset0:15 offset1:16
	ds_read2_b64 v[200:203], v167 offset0:17 offset1:18
	s_waitcnt vmcnt(36) lgkmcnt(3)
	v_fma_f32 v143, -v142, v204, v143
	s_waitcnt vmcnt(34) lgkmcnt(2)
	v_pk_fma_f32 v[120:121], v[142:143], v[192:193], v[120:121] op_sel_hi:[0,1,1] neg_lo:[1,0,0] neg_hi:[1,0,0]
	s_waitcnt vmcnt(32)
	v_pk_fma_f32 v[140:141], v[142:143], v[194:195], v[140:141] op_sel_hi:[0,1,1] neg_lo:[1,0,0] neg_hi:[1,0,0]
	ds_read2_b64 v[192:195], v167 offset0:19 offset1:20
	s_waitcnt vmcnt(30) lgkmcnt(2)
	v_pk_fma_f32 v[118:119], v[142:143], v[196:197], v[118:119] op_sel_hi:[0,1,1] neg_lo:[1,0,0] neg_hi:[1,0,0]
	s_waitcnt vmcnt(28)
	v_pk_fma_f32 v[138:139], v[142:143], v[198:199], v[138:139] op_sel_hi:[0,1,1] neg_lo:[1,0,0] neg_hi:[1,0,0]
	s_waitcnt vmcnt(26) lgkmcnt(1)
	v_pk_fma_f32 v[116:117], v[142:143], v[200:201], v[116:117] op_sel_hi:[0,1,1] neg_lo:[1,0,0] neg_hi:[1,0,0]
	s_waitcnt vmcnt(24)
	v_pk_fma_f32 v[136:137], v[142:143], v[202:203], v[136:137] op_sel_hi:[0,1,1] neg_lo:[1,0,0] neg_hi:[1,0,0]
	ds_read2_b64 v[196:199], v167 offset0:21 offset1:22
	s_waitcnt vmcnt(22) lgkmcnt(1)
	v_pk_fma_f32 v[114:115], v[142:143], v[192:193], v[114:115] op_sel_hi:[0,1,1] neg_lo:[1,0,0] neg_hi:[1,0,0]
	ds_read2_b64 v[200:203], v167 offset0:23 offset1:24
	s_waitcnt vmcnt(20)
	v_pk_fma_f32 v[134:135], v[142:143], v[194:195], v[134:135] op_sel_hi:[0,1,1] neg_lo:[1,0,0] neg_hi:[1,0,0]
	ds_read2_b64 v[192:195], v167 offset0:25 offset1:26
	s_waitcnt vmcnt(18) lgkmcnt(2)
	v_pk_fma_f32 v[112:113], v[142:143], v[196:197], v[112:113] op_sel_hi:[0,1,1] neg_lo:[1,0,0] neg_hi:[1,0,0]
	s_waitcnt vmcnt(16)
	v_pk_fma_f32 v[132:133], v[142:143], v[198:199], v[132:133] op_sel_hi:[0,1,1] neg_lo:[1,0,0] neg_hi:[1,0,0]
	s_waitcnt vmcnt(14) lgkmcnt(1)
	v_pk_fma_f32 v[110:111], v[142:143], v[200:201], v[110:111] op_sel_hi:[0,1,1] neg_lo:[1,0,0] neg_hi:[1,0,0]
	s_waitcnt vmcnt(12)
	v_pk_fma_f32 v[130:131], v[142:143], v[202:203], v[130:131] op_sel_hi:[0,1,1] neg_lo:[1,0,0] neg_hi:[1,0,0]
	;; [unrolled: 4-line block ×3, first 2 shown]
.LBB107_136:
	s_or_b64 exec, exec, s[2:3]
	v_cmp_ne_u32_e32 vcc, 25, v163
	s_waitcnt lgkmcnt(0)
	s_barrier
	s_and_saveexec_b64 s[2:3], vcc
	s_xor_b64 s[2:3], exec, s[2:3]
	s_andn2_saveexec_b64 s[2:3], s[2:3]
	s_cbranch_execz .LBB107_140
; %bb.137:
	s_waitcnt vmcnt(36)
	ds_write_b32 v165, v143
	s_waitcnt vmcnt(32)
	ds_write2_b64 v167, v[120:121], v[140:141] offset0:13 offset1:14
	s_waitcnt vmcnt(28)
	ds_write2_b64 v167, v[118:119], v[138:139] offset0:15 offset1:16
	s_waitcnt vmcnt(24)
	ds_write2_b64 v167, v[116:117], v[136:137] offset0:17 offset1:18
	s_waitcnt vmcnt(20)
	ds_write2_b64 v167, v[114:115], v[134:135] offset0:19 offset1:20
	s_waitcnt vmcnt(16)
	ds_write2_b64 v167, v[112:113], v[132:133] offset0:21 offset1:22
	s_waitcnt vmcnt(12)
	ds_write2_b64 v167, v[110:111], v[130:131] offset0:23 offset1:24
	s_waitcnt vmcnt(8)
	ds_write2_b64 v167, v[108:109], v[152:153] offset0:25 offset1:26
	ds_read_b32 v192, v165
	s_waitcnt lgkmcnt(0)
	v_cmp_neq_f32_e32 vcc, 0, v192
	s_and_saveexec_b64 s[4:5], vcc
	s_cbranch_execz .LBB107_139
; %bb.138:
	v_div_scale_f32 v193, s[10:11], v192, v192, 1.0
	v_rcp_f32_e32 v194, v193
	v_div_scale_f32 v195, vcc, 1.0, v192, 1.0
	v_fma_f32 v196, -v193, v194, 1.0
	v_fmac_f32_e32 v194, v196, v194
	v_mul_f32_e32 v196, v195, v194
	v_fma_f32 v197, -v193, v196, v195
	v_fmac_f32_e32 v196, v197, v194
	v_fma_f32 v193, -v193, v196, v195
	v_div_fmas_f32 v193, v193, v194, v196
	v_div_fixup_f32 v192, v193, v192, 1.0
	ds_write_b32 v165, v192
.LBB107_139:
	s_or_b64 exec, exec, s[4:5]
.LBB107_140:
	s_or_b64 exec, exec, s[2:3]
	s_waitcnt lgkmcnt(0)
	s_barrier
	ds_read_b32 v192, v165
	v_cmp_lt_u32_e32 vcc, 25, v163
	s_and_saveexec_b64 s[2:3], vcc
	s_cbranch_execz .LBB107_142
; %bb.141:
	ds_read2_b64 v[194:197], v167 offset0:13 offset1:14
	ds_read2_b64 v[198:201], v167 offset0:15 offset1:16
	s_waitcnt vmcnt(36) lgkmcnt(2)
	v_mul_f32_e32 v206, v192, v143
	ds_read2_b64 v[202:205], v167 offset0:17 offset1:18
	v_mov_b32_e32 v143, v206
	s_waitcnt vmcnt(34) lgkmcnt(2)
	v_pk_fma_f32 v[120:121], v[206:207], v[194:195], v[120:121] op_sel_hi:[0,1,1] neg_lo:[1,0,0] neg_hi:[1,0,0]
	s_waitcnt vmcnt(32)
	v_pk_fma_f32 v[140:141], v[206:207], v[196:197], v[140:141] op_sel_hi:[0,1,1] neg_lo:[1,0,0] neg_hi:[1,0,0]
	ds_read2_b64 v[194:197], v167 offset0:19 offset1:20
	s_waitcnt vmcnt(30) lgkmcnt(2)
	v_pk_fma_f32 v[118:119], v[206:207], v[198:199], v[118:119] op_sel_hi:[0,1,1] neg_lo:[1,0,0] neg_hi:[1,0,0]
	s_waitcnt vmcnt(28)
	v_pk_fma_f32 v[138:139], v[206:207], v[200:201], v[138:139] op_sel_hi:[0,1,1] neg_lo:[1,0,0] neg_hi:[1,0,0]
	s_waitcnt vmcnt(26) lgkmcnt(1)
	v_pk_fma_f32 v[116:117], v[206:207], v[202:203], v[116:117] op_sel_hi:[0,1,1] neg_lo:[1,0,0] neg_hi:[1,0,0]
	s_waitcnt vmcnt(24)
	v_pk_fma_f32 v[136:137], v[206:207], v[204:205], v[136:137] op_sel_hi:[0,1,1] neg_lo:[1,0,0] neg_hi:[1,0,0]
	ds_read2_b64 v[198:201], v167 offset0:21 offset1:22
	ds_read2_b64 v[202:205], v167 offset0:23 offset1:24
	s_waitcnt vmcnt(22) lgkmcnt(2)
	v_pk_fma_f32 v[114:115], v[206:207], v[194:195], v[114:115] op_sel_hi:[0,1,1] neg_lo:[1,0,0] neg_hi:[1,0,0]
	s_waitcnt vmcnt(20)
	v_pk_fma_f32 v[134:135], v[206:207], v[196:197], v[134:135] op_sel_hi:[0,1,1] neg_lo:[1,0,0] neg_hi:[1,0,0]
	ds_read2_b64 v[194:197], v167 offset0:25 offset1:26
	s_waitcnt vmcnt(18) lgkmcnt(2)
	v_pk_fma_f32 v[112:113], v[206:207], v[198:199], v[112:113] op_sel_hi:[0,1,1] neg_lo:[1,0,0] neg_hi:[1,0,0]
	s_waitcnt vmcnt(16)
	v_pk_fma_f32 v[132:133], v[206:207], v[200:201], v[132:133] op_sel_hi:[0,1,1] neg_lo:[1,0,0] neg_hi:[1,0,0]
	s_waitcnt vmcnt(14) lgkmcnt(1)
	v_pk_fma_f32 v[110:111], v[206:207], v[202:203], v[110:111] op_sel_hi:[0,1,1] neg_lo:[1,0,0] neg_hi:[1,0,0]
	s_waitcnt vmcnt(12)
	v_pk_fma_f32 v[130:131], v[206:207], v[204:205], v[130:131] op_sel_hi:[0,1,1] neg_lo:[1,0,0] neg_hi:[1,0,0]
	s_waitcnt vmcnt(10) lgkmcnt(0)
	v_pk_fma_f32 v[108:109], v[206:207], v[194:195], v[108:109] op_sel_hi:[0,1,1] neg_lo:[1,0,0] neg_hi:[1,0,0]
	s_waitcnt vmcnt(8)
	v_pk_fma_f32 v[152:153], v[206:207], v[196:197], v[152:153] op_sel_hi:[0,1,1] neg_lo:[1,0,0] neg_hi:[1,0,0]
.LBB107_142:
	s_or_b64 exec, exec, s[2:3]
	v_cmp_eq_u32_e32 vcc, 26, v163
	s_waitcnt lgkmcnt(0)
	s_barrier
	s_and_saveexec_b64 s[2:3], vcc
	s_cbranch_execz .LBB107_145
; %bb.143:
	s_waitcnt vmcnt(32)
	v_pk_mov_b32 v[194:195], v[120:121], v[140:141] op_sel:[1,0]
	ds_write_b32 v165, v120
	ds_write2_b32 v167, v194, v195 offset0:27 offset1:28
	s_waitcnt vmcnt(30)
	v_pk_mov_b32 v[194:195], v[140:141], v[118:119] op_sel:[1,0]
	ds_write2_b32 v167, v194, v195 offset0:29 offset1:30
	s_waitcnt vmcnt(28)
	v_pk_mov_b32 v[194:195], v[118:119], v[138:139] op_sel:[1,0]
	;; [unrolled: 3-line block ×12, first 2 shown]
	ds_write2_b32 v167, v194, v195 offset0:51 offset1:52
	ds_write_b32 v167, v153 offset:212
	ds_read_b32 v193, v165
	s_waitcnt lgkmcnt(0)
	v_cmp_neq_f32_e32 vcc, 0, v193
	s_and_b64 exec, exec, vcc
	s_cbranch_execz .LBB107_145
; %bb.144:
	v_div_scale_f32 v194, s[4:5], v193, v193, 1.0
	v_rcp_f32_e32 v195, v194
	v_div_scale_f32 v196, vcc, 1.0, v193, 1.0
	v_fma_f32 v197, -v194, v195, 1.0
	v_fmac_f32_e32 v195, v197, v195
	v_mul_f32_e32 v197, v196, v195
	v_fma_f32 v198, -v194, v197, v196
	v_fmac_f32_e32 v197, v198, v195
	v_fma_f32 v194, -v194, v197, v196
	v_div_fmas_f32 v194, v194, v195, v197
	v_div_fixup_f32 v193, v194, v193, 1.0
	ds_write_b32 v165, v193
.LBB107_145:
	s_or_b64 exec, exec, s[2:3]
	s_waitcnt lgkmcnt(0)
	s_barrier
	ds_read_b32 v193, v165
	v_cmp_lt_u32_e32 vcc, 26, v163
	s_and_saveexec_b64 s[2:3], vcc
	s_cbranch_execz .LBB107_147
; %bb.146:
	ds_read_b32 v206, v167 offset:108
	ds_read2_b64 v[194:197], v167 offset0:14 offset1:15
	s_waitcnt vmcnt(35) lgkmcnt(2)
	v_mul_f32_e32 v120, v193, v120
	ds_read2_b64 v[198:201], v167 offset0:16 offset1:17
	ds_read2_b64 v[202:205], v167 offset0:18 offset1:19
	s_waitcnt vmcnt(34) lgkmcnt(3)
	v_fma_f32 v121, -v120, v206, v121
	s_waitcnt vmcnt(32) lgkmcnt(2)
	v_pk_fma_f32 v[140:141], v[120:121], v[194:195], v[140:141] op_sel_hi:[0,1,1] neg_lo:[1,0,0] neg_hi:[1,0,0]
	s_waitcnt vmcnt(30)
	v_pk_fma_f32 v[118:119], v[120:121], v[196:197], v[118:119] op_sel_hi:[0,1,1] neg_lo:[1,0,0] neg_hi:[1,0,0]
	ds_read2_b64 v[194:197], v167 offset0:20 offset1:21
	s_waitcnt vmcnt(28) lgkmcnt(2)
	v_pk_fma_f32 v[138:139], v[120:121], v[198:199], v[138:139] op_sel_hi:[0,1,1] neg_lo:[1,0,0] neg_hi:[1,0,0]
	s_waitcnt vmcnt(26)
	v_pk_fma_f32 v[116:117], v[120:121], v[200:201], v[116:117] op_sel_hi:[0,1,1] neg_lo:[1,0,0] neg_hi:[1,0,0]
	s_waitcnt vmcnt(24) lgkmcnt(1)
	v_pk_fma_f32 v[136:137], v[120:121], v[202:203], v[136:137] op_sel_hi:[0,1,1] neg_lo:[1,0,0] neg_hi:[1,0,0]
	s_waitcnt vmcnt(22)
	v_pk_fma_f32 v[114:115], v[120:121], v[204:205], v[114:115] op_sel_hi:[0,1,1] neg_lo:[1,0,0] neg_hi:[1,0,0]
	ds_read2_b64 v[198:201], v167 offset0:22 offset1:23
	s_waitcnt vmcnt(20) lgkmcnt(1)
	v_pk_fma_f32 v[134:135], v[120:121], v[194:195], v[134:135] op_sel_hi:[0,1,1] neg_lo:[1,0,0] neg_hi:[1,0,0]
	ds_read2_b64 v[202:205], v167 offset0:24 offset1:25
	ds_read_b64 v[194:195], v167 offset:208
	s_waitcnt vmcnt(18)
	v_pk_fma_f32 v[112:113], v[120:121], v[196:197], v[112:113] op_sel_hi:[0,1,1] neg_lo:[1,0,0] neg_hi:[1,0,0]
	s_waitcnt vmcnt(16) lgkmcnt(2)
	v_pk_fma_f32 v[132:133], v[120:121], v[198:199], v[132:133] op_sel_hi:[0,1,1] neg_lo:[1,0,0] neg_hi:[1,0,0]
	s_waitcnt vmcnt(14)
	v_pk_fma_f32 v[110:111], v[120:121], v[200:201], v[110:111] op_sel_hi:[0,1,1] neg_lo:[1,0,0] neg_hi:[1,0,0]
	s_waitcnt vmcnt(12) lgkmcnt(1)
	v_pk_fma_f32 v[130:131], v[120:121], v[202:203], v[130:131] op_sel_hi:[0,1,1] neg_lo:[1,0,0] neg_hi:[1,0,0]
	;; [unrolled: 4-line block ×3, first 2 shown]
.LBB107_147:
	s_or_b64 exec, exec, s[2:3]
	v_cmp_ne_u32_e32 vcc, 27, v163
	s_waitcnt lgkmcnt(0)
	s_barrier
	s_and_saveexec_b64 s[2:3], vcc
	s_xor_b64 s[2:3], exec, s[2:3]
	s_andn2_saveexec_b64 s[2:3], s[2:3]
	s_cbranch_execz .LBB107_151
; %bb.148:
	s_waitcnt vmcnt(33)
	v_mov_b32_e32 v194, v140
	s_waitcnt vmcnt(32)
	v_mov_b32_e32 v195, v141
	;; [unrolled: 2-line block ×4, first 2 shown]
	ds_write_b32 v165, v121
	ds_write2_b64 v167, v[194:195], v[196:197] offset0:14 offset1:15
	s_waitcnt vmcnt(29)
	v_mov_b32_e32 v194, v138
	s_waitcnt vmcnt(28)
	v_mov_b32_e32 v195, v139
	s_waitcnt vmcnt(27)
	v_mov_b32_e32 v196, v116
	s_waitcnt vmcnt(26)
	v_mov_b32_e32 v197, v117
	ds_write2_b64 v167, v[194:195], v[196:197] offset0:16 offset1:17
	s_waitcnt vmcnt(25)
	v_mov_b32_e32 v194, v136
	s_waitcnt vmcnt(24)
	v_mov_b32_e32 v195, v137
	s_waitcnt vmcnt(23)
	v_mov_b32_e32 v196, v114
	s_waitcnt vmcnt(22)
	v_mov_b32_e32 v197, v115
	ds_write2_b64 v167, v[194:195], v[196:197] offset0:18 offset1:19
	s_waitcnt vmcnt(21)
	v_mov_b32_e32 v194, v134
	s_waitcnt vmcnt(20)
	v_mov_b32_e32 v195, v135
	s_waitcnt vmcnt(19)
	v_mov_b32_e32 v196, v112
	s_waitcnt vmcnt(18)
	v_mov_b32_e32 v197, v113
	ds_write2_b64 v167, v[194:195], v[196:197] offset0:20 offset1:21
	s_waitcnt vmcnt(17)
	v_mov_b32_e32 v194, v132
	s_waitcnt vmcnt(16)
	v_mov_b32_e32 v195, v133
	s_waitcnt vmcnt(15)
	v_mov_b32_e32 v196, v110
	s_waitcnt vmcnt(14)
	v_mov_b32_e32 v197, v111
	ds_write2_b64 v167, v[194:195], v[196:197] offset0:22 offset1:23
	s_waitcnt vmcnt(13)
	v_mov_b32_e32 v194, v130
	s_waitcnt vmcnt(12)
	v_mov_b32_e32 v195, v131
	s_waitcnt vmcnt(11)
	v_mov_b32_e32 v196, v108
	s_waitcnt vmcnt(10)
	v_mov_b32_e32 v197, v109
	ds_write2_b64 v167, v[194:195], v[196:197] offset0:24 offset1:25
	s_waitcnt vmcnt(8)
	ds_write_b64 v167, v[152:153] offset:208
	ds_read_b32 v194, v165
	s_waitcnt lgkmcnt(0)
	v_cmp_neq_f32_e32 vcc, 0, v194
	s_and_saveexec_b64 s[4:5], vcc
	s_cbranch_execz .LBB107_150
; %bb.149:
	v_div_scale_f32 v195, s[10:11], v194, v194, 1.0
	v_rcp_f32_e32 v196, v195
	v_div_scale_f32 v197, vcc, 1.0, v194, 1.0
	v_fma_f32 v198, -v195, v196, 1.0
	v_fmac_f32_e32 v196, v198, v196
	v_mul_f32_e32 v198, v197, v196
	v_fma_f32 v199, -v195, v198, v197
	v_fmac_f32_e32 v198, v199, v196
	v_fma_f32 v195, -v195, v198, v197
	v_div_fmas_f32 v195, v195, v196, v198
	v_div_fixup_f32 v194, v195, v194, 1.0
	ds_write_b32 v165, v194
.LBB107_150:
	s_or_b64 exec, exec, s[4:5]
.LBB107_151:
	s_or_b64 exec, exec, s[2:3]
	s_waitcnt lgkmcnt(0)
	s_barrier
	ds_read_b32 v194, v165
	v_cmp_lt_u32_e32 vcc, 27, v163
	s_and_saveexec_b64 s[2:3], vcc
	s_cbranch_execz .LBB107_153
; %bb.152:
	ds_read2_b64 v[196:199], v167 offset0:14 offset1:15
	ds_read2_b64 v[200:203], v167 offset0:16 offset1:17
	s_waitcnt vmcnt(34) lgkmcnt(2)
	v_mul_f32_e32 v208, v194, v121
	ds_read2_b64 v[204:207], v167 offset0:18 offset1:19
	v_mov_b32_e32 v121, v208
	s_waitcnt vmcnt(32) lgkmcnt(2)
	v_pk_fma_f32 v[140:141], v[208:209], v[196:197], v[140:141] op_sel_hi:[0,1,1] neg_lo:[1,0,0] neg_hi:[1,0,0]
	s_waitcnt vmcnt(30)
	v_pk_fma_f32 v[118:119], v[208:209], v[198:199], v[118:119] op_sel_hi:[0,1,1] neg_lo:[1,0,0] neg_hi:[1,0,0]
	ds_read2_b64 v[196:199], v167 offset0:20 offset1:21
	s_waitcnt vmcnt(28) lgkmcnt(2)
	v_pk_fma_f32 v[138:139], v[208:209], v[200:201], v[138:139] op_sel_hi:[0,1,1] neg_lo:[1,0,0] neg_hi:[1,0,0]
	s_waitcnt vmcnt(26)
	v_pk_fma_f32 v[116:117], v[208:209], v[202:203], v[116:117] op_sel_hi:[0,1,1] neg_lo:[1,0,0] neg_hi:[1,0,0]
	s_waitcnt vmcnt(24) lgkmcnt(1)
	v_pk_fma_f32 v[136:137], v[208:209], v[204:205], v[136:137] op_sel_hi:[0,1,1] neg_lo:[1,0,0] neg_hi:[1,0,0]
	s_waitcnt vmcnt(22)
	v_pk_fma_f32 v[114:115], v[208:209], v[206:207], v[114:115] op_sel_hi:[0,1,1] neg_lo:[1,0,0] neg_hi:[1,0,0]
	ds_read2_b64 v[200:203], v167 offset0:22 offset1:23
	ds_read2_b64 v[204:207], v167 offset0:24 offset1:25
	s_waitcnt vmcnt(20) lgkmcnt(2)
	v_pk_fma_f32 v[134:135], v[208:209], v[196:197], v[134:135] op_sel_hi:[0,1,1] neg_lo:[1,0,0] neg_hi:[1,0,0]
	ds_read_b64 v[196:197], v167 offset:208
	s_waitcnt vmcnt(18)
	v_pk_fma_f32 v[112:113], v[208:209], v[198:199], v[112:113] op_sel_hi:[0,1,1] neg_lo:[1,0,0] neg_hi:[1,0,0]
	s_waitcnt vmcnt(16) lgkmcnt(2)
	v_pk_fma_f32 v[132:133], v[208:209], v[200:201], v[132:133] op_sel_hi:[0,1,1] neg_lo:[1,0,0] neg_hi:[1,0,0]
	s_waitcnt vmcnt(14)
	v_pk_fma_f32 v[110:111], v[208:209], v[202:203], v[110:111] op_sel_hi:[0,1,1] neg_lo:[1,0,0] neg_hi:[1,0,0]
	s_waitcnt vmcnt(12) lgkmcnt(1)
	v_pk_fma_f32 v[130:131], v[208:209], v[204:205], v[130:131] op_sel_hi:[0,1,1] neg_lo:[1,0,0] neg_hi:[1,0,0]
	;; [unrolled: 4-line block ×3, first 2 shown]
.LBB107_153:
	s_or_b64 exec, exec, s[2:3]
	v_cmp_eq_u32_e32 vcc, 28, v163
	s_waitcnt lgkmcnt(0)
	s_barrier
	s_and_saveexec_b64 s[2:3], vcc
	s_cbranch_execz .LBB107_156
; %bb.154:
	s_waitcnt vmcnt(30)
	v_pk_mov_b32 v[196:197], v[140:141], v[118:119] op_sel:[1,0]
	ds_write_b32 v165, v140
	ds_write2_b32 v167, v196, v197 offset0:29 offset1:30
	s_waitcnt vmcnt(28)
	v_pk_mov_b32 v[196:197], v[118:119], v[138:139] op_sel:[1,0]
	ds_write2_b32 v167, v196, v197 offset0:31 offset1:32
	s_waitcnt vmcnt(26)
	v_pk_mov_b32 v[196:197], v[138:139], v[116:117] op_sel:[1,0]
	;; [unrolled: 3-line block ×11, first 2 shown]
	ds_write2_b32 v167, v196, v197 offset0:51 offset1:52
	ds_write_b32 v167, v153 offset:212
	ds_read_b32 v195, v165
	s_waitcnt lgkmcnt(0)
	v_cmp_neq_f32_e32 vcc, 0, v195
	s_and_b64 exec, exec, vcc
	s_cbranch_execz .LBB107_156
; %bb.155:
	v_div_scale_f32 v196, s[4:5], v195, v195, 1.0
	v_rcp_f32_e32 v197, v196
	v_div_scale_f32 v198, vcc, 1.0, v195, 1.0
	v_fma_f32 v199, -v196, v197, 1.0
	v_fmac_f32_e32 v197, v199, v197
	v_mul_f32_e32 v199, v198, v197
	v_fma_f32 v200, -v196, v199, v198
	v_fmac_f32_e32 v199, v200, v197
	v_fma_f32 v196, -v196, v199, v198
	v_div_fmas_f32 v196, v196, v197, v199
	v_div_fixup_f32 v195, v196, v195, 1.0
	ds_write_b32 v165, v195
.LBB107_156:
	s_or_b64 exec, exec, s[2:3]
	s_waitcnt lgkmcnt(0)
	s_barrier
	ds_read_b32 v195, v165
	v_cmp_lt_u32_e32 vcc, 28, v163
	s_and_saveexec_b64 s[2:3], vcc
	s_cbranch_execz .LBB107_158
; %bb.157:
	ds_read_b32 v208, v167 offset:116
	ds_read2_b64 v[196:199], v167 offset0:15 offset1:16
	ds_read2_b64 v[200:203], v167 offset0:17 offset1:18
	ds_read2_b64 v[204:207], v167 offset0:19 offset1:20
	s_waitcnt vmcnt(33) lgkmcnt(4)
	v_mul_f32_e32 v140, v195, v140
	s_waitcnt vmcnt(32) lgkmcnt(3)
	v_fma_f32 v141, -v140, v208, v141
	s_waitcnt vmcnt(30) lgkmcnt(2)
	v_pk_fma_f32 v[118:119], v[140:141], v[196:197], v[118:119] op_sel_hi:[0,1,1] neg_lo:[1,0,0] neg_hi:[1,0,0]
	s_waitcnt vmcnt(28)
	v_pk_fma_f32 v[138:139], v[140:141], v[198:199], v[138:139] op_sel_hi:[0,1,1] neg_lo:[1,0,0] neg_hi:[1,0,0]
	s_waitcnt vmcnt(26) lgkmcnt(1)
	v_pk_fma_f32 v[116:117], v[140:141], v[200:201], v[116:117] op_sel_hi:[0,1,1] neg_lo:[1,0,0] neg_hi:[1,0,0]
	s_waitcnt vmcnt(24)
	v_pk_fma_f32 v[136:137], v[140:141], v[202:203], v[136:137] op_sel_hi:[0,1,1] neg_lo:[1,0,0] neg_hi:[1,0,0]
	ds_read2_b64 v[196:199], v167 offset0:21 offset1:22
	ds_read2_b64 v[200:203], v167 offset0:23 offset1:24
	s_waitcnt vmcnt(22) lgkmcnt(2)
	v_pk_fma_f32 v[114:115], v[140:141], v[204:205], v[114:115] op_sel_hi:[0,1,1] neg_lo:[1,0,0] neg_hi:[1,0,0]
	s_waitcnt vmcnt(20)
	v_pk_fma_f32 v[134:135], v[140:141], v[206:207], v[134:135] op_sel_hi:[0,1,1] neg_lo:[1,0,0] neg_hi:[1,0,0]
	ds_read2_b64 v[204:207], v167 offset0:25 offset1:26
	s_waitcnt vmcnt(18) lgkmcnt(2)
	v_pk_fma_f32 v[112:113], v[140:141], v[196:197], v[112:113] op_sel_hi:[0,1,1] neg_lo:[1,0,0] neg_hi:[1,0,0]
	s_waitcnt vmcnt(16)
	v_pk_fma_f32 v[132:133], v[140:141], v[198:199], v[132:133] op_sel_hi:[0,1,1] neg_lo:[1,0,0] neg_hi:[1,0,0]
	s_waitcnt vmcnt(14) lgkmcnt(1)
	v_pk_fma_f32 v[110:111], v[140:141], v[200:201], v[110:111] op_sel_hi:[0,1,1] neg_lo:[1,0,0] neg_hi:[1,0,0]
	s_waitcnt vmcnt(12)
	v_pk_fma_f32 v[130:131], v[140:141], v[202:203], v[130:131] op_sel_hi:[0,1,1] neg_lo:[1,0,0] neg_hi:[1,0,0]
	;; [unrolled: 4-line block ×3, first 2 shown]
.LBB107_158:
	s_or_b64 exec, exec, s[2:3]
	v_cmp_ne_u32_e32 vcc, 29, v163
	s_waitcnt lgkmcnt(0)
	s_barrier
	s_and_saveexec_b64 s[2:3], vcc
	s_xor_b64 s[2:3], exec, s[2:3]
	s_andn2_saveexec_b64 s[2:3], s[2:3]
	s_cbranch_execz .LBB107_162
; %bb.159:
	s_waitcnt vmcnt(32)
	ds_write_b32 v165, v141
	s_waitcnt vmcnt(28)
	ds_write2_b64 v167, v[118:119], v[138:139] offset0:15 offset1:16
	s_waitcnt vmcnt(24)
	ds_write2_b64 v167, v[116:117], v[136:137] offset0:17 offset1:18
	;; [unrolled: 2-line block ×6, first 2 shown]
	ds_read_b32 v196, v165
	s_waitcnt lgkmcnt(0)
	v_cmp_neq_f32_e32 vcc, 0, v196
	s_and_saveexec_b64 s[4:5], vcc
	s_cbranch_execz .LBB107_161
; %bb.160:
	v_div_scale_f32 v197, s[10:11], v196, v196, 1.0
	v_rcp_f32_e32 v198, v197
	v_div_scale_f32 v199, vcc, 1.0, v196, 1.0
	v_fma_f32 v200, -v197, v198, 1.0
	v_fmac_f32_e32 v198, v200, v198
	v_mul_f32_e32 v200, v199, v198
	v_fma_f32 v201, -v197, v200, v199
	v_fmac_f32_e32 v200, v201, v198
	v_fma_f32 v197, -v197, v200, v199
	v_div_fmas_f32 v197, v197, v198, v200
	v_div_fixup_f32 v196, v197, v196, 1.0
	ds_write_b32 v165, v196
.LBB107_161:
	s_or_b64 exec, exec, s[4:5]
.LBB107_162:
	s_or_b64 exec, exec, s[2:3]
	s_waitcnt lgkmcnt(0)
	s_barrier
	ds_read_b32 v196, v165
	v_cmp_lt_u32_e32 vcc, 29, v163
	s_and_saveexec_b64 s[2:3], vcc
	s_cbranch_execz .LBB107_164
; %bb.163:
	ds_read2_b64 v[198:201], v167 offset0:15 offset1:16
	ds_read2_b64 v[202:205], v167 offset0:17 offset1:18
	;; [unrolled: 1-line block ×3, first 2 shown]
	s_waitcnt vmcnt(32) lgkmcnt(3)
	v_mul_f32_e32 v210, v196, v141
	v_mov_b32_e32 v141, v210
	s_waitcnt vmcnt(30) lgkmcnt(2)
	v_pk_fma_f32 v[118:119], v[210:211], v[198:199], v[118:119] op_sel_hi:[0,1,1] neg_lo:[1,0,0] neg_hi:[1,0,0]
	s_waitcnt vmcnt(28)
	v_pk_fma_f32 v[138:139], v[210:211], v[200:201], v[138:139] op_sel_hi:[0,1,1] neg_lo:[1,0,0] neg_hi:[1,0,0]
	s_waitcnt vmcnt(26) lgkmcnt(1)
	v_pk_fma_f32 v[116:117], v[210:211], v[202:203], v[116:117] op_sel_hi:[0,1,1] neg_lo:[1,0,0] neg_hi:[1,0,0]
	s_waitcnt vmcnt(24)
	v_pk_fma_f32 v[136:137], v[210:211], v[204:205], v[136:137] op_sel_hi:[0,1,1] neg_lo:[1,0,0] neg_hi:[1,0,0]
	ds_read2_b64 v[198:201], v167 offset0:21 offset1:22
	s_waitcnt vmcnt(22) lgkmcnt(1)
	v_pk_fma_f32 v[114:115], v[210:211], v[206:207], v[114:115] op_sel_hi:[0,1,1] neg_lo:[1,0,0] neg_hi:[1,0,0]
	ds_read2_b64 v[202:205], v167 offset0:23 offset1:24
	s_waitcnt vmcnt(20)
	v_pk_fma_f32 v[134:135], v[210:211], v[208:209], v[134:135] op_sel_hi:[0,1,1] neg_lo:[1,0,0] neg_hi:[1,0,0]
	ds_read2_b64 v[206:209], v167 offset0:25 offset1:26
	s_waitcnt vmcnt(18) lgkmcnt(2)
	v_pk_fma_f32 v[112:113], v[210:211], v[198:199], v[112:113] op_sel_hi:[0,1,1] neg_lo:[1,0,0] neg_hi:[1,0,0]
	s_waitcnt vmcnt(16)
	v_pk_fma_f32 v[132:133], v[210:211], v[200:201], v[132:133] op_sel_hi:[0,1,1] neg_lo:[1,0,0] neg_hi:[1,0,0]
	s_waitcnt vmcnt(14) lgkmcnt(1)
	v_pk_fma_f32 v[110:111], v[210:211], v[202:203], v[110:111] op_sel_hi:[0,1,1] neg_lo:[1,0,0] neg_hi:[1,0,0]
	s_waitcnt vmcnt(12)
	v_pk_fma_f32 v[130:131], v[210:211], v[204:205], v[130:131] op_sel_hi:[0,1,1] neg_lo:[1,0,0] neg_hi:[1,0,0]
	;; [unrolled: 4-line block ×3, first 2 shown]
.LBB107_164:
	s_or_b64 exec, exec, s[2:3]
	v_cmp_eq_u32_e32 vcc, 30, v163
	s_waitcnt lgkmcnt(0)
	s_barrier
	s_and_saveexec_b64 s[2:3], vcc
	s_cbranch_execz .LBB107_167
; %bb.165:
	s_waitcnt vmcnt(28)
	v_pk_mov_b32 v[198:199], v[118:119], v[138:139] op_sel:[1,0]
	ds_write_b32 v165, v118
	ds_write2_b32 v167, v198, v199 offset0:31 offset1:32
	s_waitcnt vmcnt(26)
	v_pk_mov_b32 v[198:199], v[138:139], v[116:117] op_sel:[1,0]
	ds_write2_b32 v167, v198, v199 offset0:33 offset1:34
	s_waitcnt vmcnt(24)
	v_pk_mov_b32 v[198:199], v[116:117], v[136:137] op_sel:[1,0]
	;; [unrolled: 3-line block ×10, first 2 shown]
	ds_write2_b32 v167, v198, v199 offset0:51 offset1:52
	ds_write_b32 v167, v153 offset:212
	ds_read_b32 v197, v165
	s_waitcnt lgkmcnt(0)
	v_cmp_neq_f32_e32 vcc, 0, v197
	s_and_b64 exec, exec, vcc
	s_cbranch_execz .LBB107_167
; %bb.166:
	v_div_scale_f32 v198, s[4:5], v197, v197, 1.0
	v_rcp_f32_e32 v199, v198
	v_div_scale_f32 v200, vcc, 1.0, v197, 1.0
	v_fma_f32 v201, -v198, v199, 1.0
	v_fmac_f32_e32 v199, v201, v199
	v_mul_f32_e32 v201, v200, v199
	v_fma_f32 v202, -v198, v201, v200
	v_fmac_f32_e32 v201, v202, v199
	v_fma_f32 v198, -v198, v201, v200
	v_div_fmas_f32 v198, v198, v199, v201
	v_div_fixup_f32 v197, v198, v197, 1.0
	ds_write_b32 v165, v197
.LBB107_167:
	s_or_b64 exec, exec, s[2:3]
	s_waitcnt lgkmcnt(0)
	s_barrier
	ds_read_b32 v197, v165
	v_cmp_lt_u32_e32 vcc, 30, v163
	s_and_saveexec_b64 s[2:3], vcc
	s_cbranch_execz .LBB107_169
; %bb.168:
	ds_read_b32 v210, v167 offset:124
	ds_read2_b64 v[198:201], v167 offset0:16 offset1:17
	ds_read2_b64 v[202:205], v167 offset0:18 offset1:19
	;; [unrolled: 1-line block ×3, first 2 shown]
	s_waitcnt vmcnt(31) lgkmcnt(4)
	v_mul_f32_e32 v118, v197, v118
	s_waitcnt vmcnt(30) lgkmcnt(3)
	v_fma_f32 v119, -v118, v210, v119
	s_waitcnt vmcnt(28) lgkmcnt(2)
	v_pk_fma_f32 v[138:139], v[118:119], v[198:199], v[138:139] op_sel_hi:[0,1,1] neg_lo:[1,0,0] neg_hi:[1,0,0]
	s_waitcnt vmcnt(26)
	v_pk_fma_f32 v[116:117], v[118:119], v[200:201], v[116:117] op_sel_hi:[0,1,1] neg_lo:[1,0,0] neg_hi:[1,0,0]
	s_waitcnt vmcnt(24) lgkmcnt(1)
	v_pk_fma_f32 v[136:137], v[118:119], v[202:203], v[136:137] op_sel_hi:[0,1,1] neg_lo:[1,0,0] neg_hi:[1,0,0]
	s_waitcnt vmcnt(22)
	v_pk_fma_f32 v[114:115], v[118:119], v[204:205], v[114:115] op_sel_hi:[0,1,1] neg_lo:[1,0,0] neg_hi:[1,0,0]
	ds_read2_b64 v[198:201], v167 offset0:22 offset1:23
	ds_read2_b64 v[202:205], v167 offset0:24 offset1:25
	s_waitcnt vmcnt(20) lgkmcnt(2)
	v_pk_fma_f32 v[134:135], v[118:119], v[206:207], v[134:135] op_sel_hi:[0,1,1] neg_lo:[1,0,0] neg_hi:[1,0,0]
	ds_read_b64 v[206:207], v167 offset:208
	s_waitcnt vmcnt(18)
	v_pk_fma_f32 v[112:113], v[118:119], v[208:209], v[112:113] op_sel_hi:[0,1,1] neg_lo:[1,0,0] neg_hi:[1,0,0]
	s_waitcnt vmcnt(16) lgkmcnt(2)
	v_pk_fma_f32 v[132:133], v[118:119], v[198:199], v[132:133] op_sel_hi:[0,1,1] neg_lo:[1,0,0] neg_hi:[1,0,0]
	s_waitcnt vmcnt(14)
	v_pk_fma_f32 v[110:111], v[118:119], v[200:201], v[110:111] op_sel_hi:[0,1,1] neg_lo:[1,0,0] neg_hi:[1,0,0]
	s_waitcnt vmcnt(12) lgkmcnt(1)
	v_pk_fma_f32 v[130:131], v[118:119], v[202:203], v[130:131] op_sel_hi:[0,1,1] neg_lo:[1,0,0] neg_hi:[1,0,0]
	;; [unrolled: 4-line block ×3, first 2 shown]
.LBB107_169:
	s_or_b64 exec, exec, s[2:3]
	v_cmp_ne_u32_e32 vcc, 31, v163
	s_waitcnt lgkmcnt(0)
	s_barrier
	s_and_saveexec_b64 s[2:3], vcc
	s_xor_b64 s[2:3], exec, s[2:3]
	s_andn2_saveexec_b64 s[2:3], s[2:3]
	s_cbranch_execz .LBB107_173
; %bb.170:
	s_waitcnt vmcnt(29)
	v_mov_b32_e32 v198, v138
	s_waitcnt vmcnt(28)
	v_mov_b32_e32 v199, v139
	;; [unrolled: 2-line block ×4, first 2 shown]
	ds_write_b32 v165, v119
	ds_write2_b64 v167, v[198:199], v[200:201] offset0:16 offset1:17
	s_waitcnt vmcnt(25)
	v_mov_b32_e32 v198, v136
	s_waitcnt vmcnt(24)
	v_mov_b32_e32 v199, v137
	s_waitcnt vmcnt(23)
	v_mov_b32_e32 v200, v114
	s_waitcnt vmcnt(22)
	v_mov_b32_e32 v201, v115
	ds_write2_b64 v167, v[198:199], v[200:201] offset0:18 offset1:19
	s_waitcnt vmcnt(21)
	v_mov_b32_e32 v198, v134
	s_waitcnt vmcnt(20)
	v_mov_b32_e32 v199, v135
	s_waitcnt vmcnt(19)
	v_mov_b32_e32 v200, v112
	s_waitcnt vmcnt(18)
	v_mov_b32_e32 v201, v113
	;; [unrolled: 9-line block ×4, first 2 shown]
	ds_write2_b64 v167, v[198:199], v[200:201] offset0:24 offset1:25
	s_waitcnt vmcnt(8)
	ds_write_b64 v167, v[152:153] offset:208
	ds_read_b32 v198, v165
	s_waitcnt lgkmcnt(0)
	v_cmp_neq_f32_e32 vcc, 0, v198
	s_and_saveexec_b64 s[4:5], vcc
	s_cbranch_execz .LBB107_172
; %bb.171:
	v_div_scale_f32 v199, s[10:11], v198, v198, 1.0
	v_rcp_f32_e32 v200, v199
	v_div_scale_f32 v201, vcc, 1.0, v198, 1.0
	v_fma_f32 v202, -v199, v200, 1.0
	v_fmac_f32_e32 v200, v202, v200
	v_mul_f32_e32 v202, v201, v200
	v_fma_f32 v203, -v199, v202, v201
	v_fmac_f32_e32 v202, v203, v200
	v_fma_f32 v199, -v199, v202, v201
	v_div_fmas_f32 v199, v199, v200, v202
	v_div_fixup_f32 v198, v199, v198, 1.0
	ds_write_b32 v165, v198
.LBB107_172:
	s_or_b64 exec, exec, s[4:5]
.LBB107_173:
	s_or_b64 exec, exec, s[2:3]
	s_waitcnt lgkmcnt(0)
	s_barrier
	ds_read_b32 v198, v165
	v_cmp_lt_u32_e32 vcc, 31, v163
	s_and_saveexec_b64 s[2:3], vcc
	s_cbranch_execz .LBB107_175
; %bb.174:
	ds_read2_b64 v[200:203], v167 offset0:16 offset1:17
	ds_read2_b64 v[204:207], v167 offset0:18 offset1:19
	;; [unrolled: 1-line block ×3, first 2 shown]
	s_waitcnt vmcnt(30) lgkmcnt(3)
	v_mul_f32_e32 v212, v198, v119
	v_mov_b32_e32 v119, v212
	s_waitcnt vmcnt(28) lgkmcnt(2)
	v_pk_fma_f32 v[138:139], v[212:213], v[200:201], v[138:139] op_sel_hi:[0,1,1] neg_lo:[1,0,0] neg_hi:[1,0,0]
	s_waitcnt vmcnt(26)
	v_pk_fma_f32 v[116:117], v[212:213], v[202:203], v[116:117] op_sel_hi:[0,1,1] neg_lo:[1,0,0] neg_hi:[1,0,0]
	s_waitcnt vmcnt(24) lgkmcnt(1)
	v_pk_fma_f32 v[136:137], v[212:213], v[204:205], v[136:137] op_sel_hi:[0,1,1] neg_lo:[1,0,0] neg_hi:[1,0,0]
	s_waitcnt vmcnt(22)
	v_pk_fma_f32 v[114:115], v[212:213], v[206:207], v[114:115] op_sel_hi:[0,1,1] neg_lo:[1,0,0] neg_hi:[1,0,0]
	ds_read2_b64 v[200:203], v167 offset0:22 offset1:23
	s_waitcnt vmcnt(20) lgkmcnt(1)
	v_pk_fma_f32 v[134:135], v[212:213], v[208:209], v[134:135] op_sel_hi:[0,1,1] neg_lo:[1,0,0] neg_hi:[1,0,0]
	ds_read2_b64 v[204:207], v167 offset0:24 offset1:25
	ds_read_b64 v[208:209], v167 offset:208
	s_waitcnt vmcnt(18)
	v_pk_fma_f32 v[112:113], v[212:213], v[210:211], v[112:113] op_sel_hi:[0,1,1] neg_lo:[1,0,0] neg_hi:[1,0,0]
	s_waitcnt vmcnt(16) lgkmcnt(2)
	v_pk_fma_f32 v[132:133], v[212:213], v[200:201], v[132:133] op_sel_hi:[0,1,1] neg_lo:[1,0,0] neg_hi:[1,0,0]
	s_waitcnt vmcnt(14)
	v_pk_fma_f32 v[110:111], v[212:213], v[202:203], v[110:111] op_sel_hi:[0,1,1] neg_lo:[1,0,0] neg_hi:[1,0,0]
	s_waitcnt vmcnt(12) lgkmcnt(1)
	v_pk_fma_f32 v[130:131], v[212:213], v[204:205], v[130:131] op_sel_hi:[0,1,1] neg_lo:[1,0,0] neg_hi:[1,0,0]
	;; [unrolled: 4-line block ×3, first 2 shown]
.LBB107_175:
	s_or_b64 exec, exec, s[2:3]
	v_cmp_eq_u32_e32 vcc, 32, v163
	s_waitcnt lgkmcnt(0)
	s_barrier
	s_and_saveexec_b64 s[2:3], vcc
	s_cbranch_execz .LBB107_178
; %bb.176:
	s_waitcnt vmcnt(26)
	v_pk_mov_b32 v[200:201], v[138:139], v[116:117] op_sel:[1,0]
	ds_write_b32 v165, v138
	ds_write2_b32 v167, v200, v201 offset0:33 offset1:34
	s_waitcnt vmcnt(24)
	v_pk_mov_b32 v[200:201], v[116:117], v[136:137] op_sel:[1,0]
	ds_write2_b32 v167, v200, v201 offset0:35 offset1:36
	s_waitcnt vmcnt(22)
	v_pk_mov_b32 v[200:201], v[136:137], v[114:115] op_sel:[1,0]
	;; [unrolled: 3-line block ×9, first 2 shown]
	ds_write2_b32 v167, v200, v201 offset0:51 offset1:52
	ds_write_b32 v167, v153 offset:212
	ds_read_b32 v199, v165
	s_waitcnt lgkmcnt(0)
	v_cmp_neq_f32_e32 vcc, 0, v199
	s_and_b64 exec, exec, vcc
	s_cbranch_execz .LBB107_178
; %bb.177:
	v_div_scale_f32 v200, s[4:5], v199, v199, 1.0
	v_rcp_f32_e32 v201, v200
	v_div_scale_f32 v202, vcc, 1.0, v199, 1.0
	v_fma_f32 v203, -v200, v201, 1.0
	v_fmac_f32_e32 v201, v203, v201
	v_mul_f32_e32 v203, v202, v201
	v_fma_f32 v204, -v200, v203, v202
	v_fmac_f32_e32 v203, v204, v201
	v_fma_f32 v200, -v200, v203, v202
	v_div_fmas_f32 v200, v200, v201, v203
	v_div_fixup_f32 v199, v200, v199, 1.0
	ds_write_b32 v165, v199
.LBB107_178:
	s_or_b64 exec, exec, s[2:3]
	s_waitcnt lgkmcnt(0)
	s_barrier
	ds_read_b32 v199, v165
	v_cmp_lt_u32_e32 vcc, 32, v163
	s_and_saveexec_b64 s[2:3], vcc
	s_cbranch_execz .LBB107_180
; %bb.179:
	ds_read_b32 v208, v167 offset:132
	ds_read2_b64 v[200:203], v167 offset0:17 offset1:18
	ds_read2_b64 v[204:207], v167 offset0:19 offset1:20
	s_waitcnt vmcnt(29) lgkmcnt(3)
	v_mul_f32_e32 v138, v199, v138
	s_waitcnt vmcnt(28) lgkmcnt(2)
	v_fma_f32 v139, -v138, v208, v139
	s_waitcnt vmcnt(26) lgkmcnt(1)
	v_pk_fma_f32 v[116:117], v[138:139], v[200:201], v[116:117] op_sel_hi:[0,1,1] neg_lo:[1,0,0] neg_hi:[1,0,0]
	s_waitcnt vmcnt(24)
	v_pk_fma_f32 v[136:137], v[138:139], v[202:203], v[136:137] op_sel_hi:[0,1,1] neg_lo:[1,0,0] neg_hi:[1,0,0]
	ds_read2_b64 v[200:203], v167 offset0:21 offset1:22
	s_waitcnt vmcnt(22) lgkmcnt(1)
	v_pk_fma_f32 v[114:115], v[138:139], v[204:205], v[114:115] op_sel_hi:[0,1,1] neg_lo:[1,0,0] neg_hi:[1,0,0]
	ds_read2_b64 v[208:211], v167 offset0:23 offset1:24
	s_waitcnt vmcnt(20)
	v_pk_fma_f32 v[134:135], v[138:139], v[206:207], v[134:135] op_sel_hi:[0,1,1] neg_lo:[1,0,0] neg_hi:[1,0,0]
	ds_read2_b64 v[204:207], v167 offset0:25 offset1:26
	s_waitcnt vmcnt(18) lgkmcnt(2)
	v_pk_fma_f32 v[112:113], v[138:139], v[200:201], v[112:113] op_sel_hi:[0,1,1] neg_lo:[1,0,0] neg_hi:[1,0,0]
	s_waitcnt vmcnt(16)
	v_pk_fma_f32 v[132:133], v[138:139], v[202:203], v[132:133] op_sel_hi:[0,1,1] neg_lo:[1,0,0] neg_hi:[1,0,0]
	s_waitcnt vmcnt(14) lgkmcnt(1)
	v_pk_fma_f32 v[110:111], v[138:139], v[208:209], v[110:111] op_sel_hi:[0,1,1] neg_lo:[1,0,0] neg_hi:[1,0,0]
	s_waitcnt vmcnt(12)
	v_pk_fma_f32 v[130:131], v[138:139], v[210:211], v[130:131] op_sel_hi:[0,1,1] neg_lo:[1,0,0] neg_hi:[1,0,0]
	;; [unrolled: 4-line block ×3, first 2 shown]
.LBB107_180:
	s_or_b64 exec, exec, s[2:3]
	v_cmp_ne_u32_e32 vcc, 33, v163
	s_waitcnt lgkmcnt(0)
	s_barrier
	s_and_saveexec_b64 s[2:3], vcc
	s_xor_b64 s[2:3], exec, s[2:3]
	s_andn2_saveexec_b64 s[2:3], s[2:3]
	s_cbranch_execz .LBB107_184
; %bb.181:
	s_waitcnt vmcnt(28)
	ds_write_b32 v165, v139
	s_waitcnt vmcnt(24)
	ds_write2_b64 v167, v[116:117], v[136:137] offset0:17 offset1:18
	s_waitcnt vmcnt(20)
	ds_write2_b64 v167, v[114:115], v[134:135] offset0:19 offset1:20
	;; [unrolled: 2-line block ×5, first 2 shown]
	ds_read_b32 v200, v165
	s_waitcnt lgkmcnt(0)
	v_cmp_neq_f32_e32 vcc, 0, v200
	s_and_saveexec_b64 s[4:5], vcc
	s_cbranch_execz .LBB107_183
; %bb.182:
	v_div_scale_f32 v201, s[10:11], v200, v200, 1.0
	v_rcp_f32_e32 v202, v201
	v_div_scale_f32 v203, vcc, 1.0, v200, 1.0
	v_fma_f32 v204, -v201, v202, 1.0
	v_fmac_f32_e32 v202, v204, v202
	v_mul_f32_e32 v204, v203, v202
	v_fma_f32 v205, -v201, v204, v203
	v_fmac_f32_e32 v204, v205, v202
	v_fma_f32 v201, -v201, v204, v203
	v_div_fmas_f32 v201, v201, v202, v204
	v_div_fixup_f32 v200, v201, v200, 1.0
	ds_write_b32 v165, v200
.LBB107_183:
	s_or_b64 exec, exec, s[4:5]
.LBB107_184:
	s_or_b64 exec, exec, s[2:3]
	s_waitcnt lgkmcnt(0)
	s_barrier
	ds_read_b32 v200, v165
	v_cmp_lt_u32_e32 vcc, 33, v163
	s_and_saveexec_b64 s[2:3], vcc
	s_cbranch_execz .LBB107_186
; %bb.185:
	ds_read2_b64 v[202:205], v167 offset0:17 offset1:18
	ds_read2_b64 v[206:209], v167 offset0:19 offset1:20
	s_waitcnt vmcnt(28) lgkmcnt(2)
	v_mul_f32_e32 v214, v200, v139
	ds_read2_b64 v[210:213], v167 offset0:21 offset1:22
	v_mov_b32_e32 v139, v214
	s_waitcnt vmcnt(26) lgkmcnt(2)
	v_pk_fma_f32 v[116:117], v[214:215], v[202:203], v[116:117] op_sel_hi:[0,1,1] neg_lo:[1,0,0] neg_hi:[1,0,0]
	s_waitcnt vmcnt(24)
	v_pk_fma_f32 v[136:137], v[214:215], v[204:205], v[136:137] op_sel_hi:[0,1,1] neg_lo:[1,0,0] neg_hi:[1,0,0]
	s_waitcnt vmcnt(22) lgkmcnt(1)
	v_pk_fma_f32 v[114:115], v[214:215], v[206:207], v[114:115] op_sel_hi:[0,1,1] neg_lo:[1,0,0] neg_hi:[1,0,0]
	ds_read2_b64 v[202:205], v167 offset0:23 offset1:24
	s_waitcnt vmcnt(20)
	v_pk_fma_f32 v[134:135], v[214:215], v[208:209], v[134:135] op_sel_hi:[0,1,1] neg_lo:[1,0,0] neg_hi:[1,0,0]
	ds_read2_b64 v[206:209], v167 offset0:25 offset1:26
	s_waitcnt vmcnt(18) lgkmcnt(2)
	v_pk_fma_f32 v[112:113], v[214:215], v[210:211], v[112:113] op_sel_hi:[0,1,1] neg_lo:[1,0,0] neg_hi:[1,0,0]
	s_waitcnt vmcnt(16)
	v_pk_fma_f32 v[132:133], v[214:215], v[212:213], v[132:133] op_sel_hi:[0,1,1] neg_lo:[1,0,0] neg_hi:[1,0,0]
	s_waitcnt vmcnt(14) lgkmcnt(1)
	v_pk_fma_f32 v[110:111], v[214:215], v[202:203], v[110:111] op_sel_hi:[0,1,1] neg_lo:[1,0,0] neg_hi:[1,0,0]
	s_waitcnt vmcnt(12)
	v_pk_fma_f32 v[130:131], v[214:215], v[204:205], v[130:131] op_sel_hi:[0,1,1] neg_lo:[1,0,0] neg_hi:[1,0,0]
	;; [unrolled: 4-line block ×3, first 2 shown]
.LBB107_186:
	s_or_b64 exec, exec, s[2:3]
	v_cmp_eq_u32_e32 vcc, 34, v163
	s_waitcnt lgkmcnt(0)
	s_barrier
	s_and_saveexec_b64 s[2:3], vcc
	s_cbranch_execz .LBB107_189
; %bb.187:
	s_waitcnt vmcnt(24)
	v_pk_mov_b32 v[202:203], v[116:117], v[136:137] op_sel:[1,0]
	ds_write_b32 v165, v116
	ds_write2_b32 v167, v202, v203 offset0:35 offset1:36
	s_waitcnt vmcnt(22)
	v_pk_mov_b32 v[202:203], v[136:137], v[114:115] op_sel:[1,0]
	ds_write2_b32 v167, v202, v203 offset0:37 offset1:38
	s_waitcnt vmcnt(20)
	v_pk_mov_b32 v[202:203], v[114:115], v[134:135] op_sel:[1,0]
	;; [unrolled: 3-line block ×8, first 2 shown]
	ds_write2_b32 v167, v202, v203 offset0:51 offset1:52
	ds_write_b32 v167, v153 offset:212
	ds_read_b32 v201, v165
	s_waitcnt lgkmcnt(0)
	v_cmp_neq_f32_e32 vcc, 0, v201
	s_and_b64 exec, exec, vcc
	s_cbranch_execz .LBB107_189
; %bb.188:
	v_div_scale_f32 v202, s[4:5], v201, v201, 1.0
	v_rcp_f32_e32 v203, v202
	v_div_scale_f32 v204, vcc, 1.0, v201, 1.0
	v_fma_f32 v205, -v202, v203, 1.0
	v_fmac_f32_e32 v203, v205, v203
	v_mul_f32_e32 v205, v204, v203
	v_fma_f32 v206, -v202, v205, v204
	v_fmac_f32_e32 v205, v206, v203
	v_fma_f32 v202, -v202, v205, v204
	v_div_fmas_f32 v202, v202, v203, v205
	v_div_fixup_f32 v201, v202, v201, 1.0
	ds_write_b32 v165, v201
.LBB107_189:
	s_or_b64 exec, exec, s[2:3]
	s_waitcnt lgkmcnt(0)
	s_barrier
	ds_read_b32 v201, v165
	v_cmp_lt_u32_e32 vcc, 34, v163
	s_and_saveexec_b64 s[2:3], vcc
	s_cbranch_execz .LBB107_191
; %bb.190:
	ds_read_b32 v210, v167 offset:140
	ds_read2_b64 v[202:205], v167 offset0:18 offset1:19
	ds_read2_b64 v[206:209], v167 offset0:20 offset1:21
	s_waitcnt vmcnt(27) lgkmcnt(3)
	v_mul_f32_e32 v116, v201, v116
	s_waitcnt vmcnt(26) lgkmcnt(2)
	v_fma_f32 v117, -v116, v210, v117
	s_waitcnt vmcnt(24) lgkmcnt(1)
	v_pk_fma_f32 v[136:137], v[116:117], v[202:203], v[136:137] op_sel_hi:[0,1,1] neg_lo:[1,0,0] neg_hi:[1,0,0]
	s_waitcnt vmcnt(22)
	v_pk_fma_f32 v[114:115], v[116:117], v[204:205], v[114:115] op_sel_hi:[0,1,1] neg_lo:[1,0,0] neg_hi:[1,0,0]
	ds_read2_b64 v[202:205], v167 offset0:22 offset1:23
	s_waitcnt vmcnt(20) lgkmcnt(1)
	v_pk_fma_f32 v[134:135], v[116:117], v[206:207], v[134:135] op_sel_hi:[0,1,1] neg_lo:[1,0,0] neg_hi:[1,0,0]
	ds_read2_b64 v[210:213], v167 offset0:24 offset1:25
	ds_read_b64 v[206:207], v167 offset:208
	s_waitcnt vmcnt(18)
	v_pk_fma_f32 v[112:113], v[116:117], v[208:209], v[112:113] op_sel_hi:[0,1,1] neg_lo:[1,0,0] neg_hi:[1,0,0]
	s_waitcnt vmcnt(16) lgkmcnt(2)
	v_pk_fma_f32 v[132:133], v[116:117], v[202:203], v[132:133] op_sel_hi:[0,1,1] neg_lo:[1,0,0] neg_hi:[1,0,0]
	s_waitcnt vmcnt(14)
	v_pk_fma_f32 v[110:111], v[116:117], v[204:205], v[110:111] op_sel_hi:[0,1,1] neg_lo:[1,0,0] neg_hi:[1,0,0]
	s_waitcnt vmcnt(12) lgkmcnt(1)
	v_pk_fma_f32 v[130:131], v[116:117], v[210:211], v[130:131] op_sel_hi:[0,1,1] neg_lo:[1,0,0] neg_hi:[1,0,0]
	;; [unrolled: 4-line block ×3, first 2 shown]
.LBB107_191:
	s_or_b64 exec, exec, s[2:3]
	v_cmp_ne_u32_e32 vcc, 35, v163
	s_waitcnt lgkmcnt(0)
	s_barrier
	s_and_saveexec_b64 s[2:3], vcc
	s_xor_b64 s[2:3], exec, s[2:3]
	s_andn2_saveexec_b64 s[2:3], s[2:3]
	s_cbranch_execz .LBB107_195
; %bb.192:
	s_waitcnt vmcnt(25)
	v_mov_b32_e32 v202, v136
	s_waitcnt vmcnt(24)
	v_mov_b32_e32 v203, v137
	;; [unrolled: 2-line block ×4, first 2 shown]
	ds_write_b32 v165, v117
	ds_write2_b64 v167, v[202:203], v[204:205] offset0:18 offset1:19
	s_waitcnt vmcnt(21)
	v_mov_b32_e32 v202, v134
	s_waitcnt vmcnt(20)
	v_mov_b32_e32 v203, v135
	s_waitcnt vmcnt(19)
	v_mov_b32_e32 v204, v112
	s_waitcnt vmcnt(18)
	v_mov_b32_e32 v205, v113
	ds_write2_b64 v167, v[202:203], v[204:205] offset0:20 offset1:21
	s_waitcnt vmcnt(17)
	v_mov_b32_e32 v202, v132
	s_waitcnt vmcnt(16)
	v_mov_b32_e32 v203, v133
	s_waitcnt vmcnt(15)
	v_mov_b32_e32 v204, v110
	s_waitcnt vmcnt(14)
	v_mov_b32_e32 v205, v111
	ds_write2_b64 v167, v[202:203], v[204:205] offset0:22 offset1:23
	s_waitcnt vmcnt(13)
	v_mov_b32_e32 v202, v130
	s_waitcnt vmcnt(12)
	v_mov_b32_e32 v203, v131
	s_waitcnt vmcnt(11)
	v_mov_b32_e32 v204, v108
	s_waitcnt vmcnt(10)
	v_mov_b32_e32 v205, v109
	ds_write2_b64 v167, v[202:203], v[204:205] offset0:24 offset1:25
	s_waitcnt vmcnt(8)
	ds_write_b64 v167, v[152:153] offset:208
	ds_read_b32 v202, v165
	s_waitcnt lgkmcnt(0)
	v_cmp_neq_f32_e32 vcc, 0, v202
	s_and_saveexec_b64 s[4:5], vcc
	s_cbranch_execz .LBB107_194
; %bb.193:
	v_div_scale_f32 v203, s[10:11], v202, v202, 1.0
	v_rcp_f32_e32 v204, v203
	v_div_scale_f32 v205, vcc, 1.0, v202, 1.0
	v_fma_f32 v206, -v203, v204, 1.0
	v_fmac_f32_e32 v204, v206, v204
	v_mul_f32_e32 v206, v205, v204
	v_fma_f32 v207, -v203, v206, v205
	v_fmac_f32_e32 v206, v207, v204
	v_fma_f32 v203, -v203, v206, v205
	v_div_fmas_f32 v203, v203, v204, v206
	v_div_fixup_f32 v202, v203, v202, 1.0
	ds_write_b32 v165, v202
.LBB107_194:
	s_or_b64 exec, exec, s[4:5]
.LBB107_195:
	s_or_b64 exec, exec, s[2:3]
	s_waitcnt lgkmcnt(0)
	s_barrier
	ds_read_b32 v202, v165
	v_cmp_lt_u32_e32 vcc, 35, v163
	s_and_saveexec_b64 s[2:3], vcc
	s_cbranch_execz .LBB107_197
; %bb.196:
	ds_read2_b64 v[204:207], v167 offset0:18 offset1:19
	ds_read2_b64 v[208:211], v167 offset0:20 offset1:21
	s_waitcnt vmcnt(26) lgkmcnt(2)
	v_mul_f32_e32 v216, v202, v117
	ds_read2_b64 v[212:215], v167 offset0:22 offset1:23
	v_mov_b32_e32 v117, v216
	s_waitcnt vmcnt(24) lgkmcnt(2)
	v_pk_fma_f32 v[136:137], v[216:217], v[204:205], v[136:137] op_sel_hi:[0,1,1] neg_lo:[1,0,0] neg_hi:[1,0,0]
	s_waitcnt vmcnt(22)
	v_pk_fma_f32 v[114:115], v[216:217], v[206:207], v[114:115] op_sel_hi:[0,1,1] neg_lo:[1,0,0] neg_hi:[1,0,0]
	s_waitcnt vmcnt(20) lgkmcnt(1)
	v_pk_fma_f32 v[134:135], v[216:217], v[208:209], v[134:135] op_sel_hi:[0,1,1] neg_lo:[1,0,0] neg_hi:[1,0,0]
	ds_read2_b64 v[204:207], v167 offset0:24 offset1:25
	ds_read_b64 v[208:209], v167 offset:208
	s_waitcnt vmcnt(18)
	v_pk_fma_f32 v[112:113], v[216:217], v[210:211], v[112:113] op_sel_hi:[0,1,1] neg_lo:[1,0,0] neg_hi:[1,0,0]
	s_waitcnt vmcnt(16) lgkmcnt(2)
	v_pk_fma_f32 v[132:133], v[216:217], v[212:213], v[132:133] op_sel_hi:[0,1,1] neg_lo:[1,0,0] neg_hi:[1,0,0]
	s_waitcnt vmcnt(14)
	v_pk_fma_f32 v[110:111], v[216:217], v[214:215], v[110:111] op_sel_hi:[0,1,1] neg_lo:[1,0,0] neg_hi:[1,0,0]
	s_waitcnt vmcnt(12) lgkmcnt(1)
	v_pk_fma_f32 v[130:131], v[216:217], v[204:205], v[130:131] op_sel_hi:[0,1,1] neg_lo:[1,0,0] neg_hi:[1,0,0]
	;; [unrolled: 4-line block ×3, first 2 shown]
.LBB107_197:
	s_or_b64 exec, exec, s[2:3]
	v_cmp_eq_u32_e32 vcc, 36, v163
	s_waitcnt lgkmcnt(0)
	s_barrier
	s_and_saveexec_b64 s[2:3], vcc
	s_cbranch_execz .LBB107_200
; %bb.198:
	s_waitcnt vmcnt(22)
	v_pk_mov_b32 v[204:205], v[136:137], v[114:115] op_sel:[1,0]
	ds_write_b32 v165, v136
	ds_write2_b32 v167, v204, v205 offset0:37 offset1:38
	s_waitcnt vmcnt(20)
	v_pk_mov_b32 v[204:205], v[114:115], v[134:135] op_sel:[1,0]
	ds_write2_b32 v167, v204, v205 offset0:39 offset1:40
	s_waitcnt vmcnt(18)
	v_pk_mov_b32 v[204:205], v[134:135], v[112:113] op_sel:[1,0]
	;; [unrolled: 3-line block ×7, first 2 shown]
	ds_write2_b32 v167, v204, v205 offset0:51 offset1:52
	ds_write_b32 v167, v153 offset:212
	ds_read_b32 v203, v165
	s_waitcnt lgkmcnt(0)
	v_cmp_neq_f32_e32 vcc, 0, v203
	s_and_b64 exec, exec, vcc
	s_cbranch_execz .LBB107_200
; %bb.199:
	v_div_scale_f32 v204, s[4:5], v203, v203, 1.0
	v_rcp_f32_e32 v205, v204
	v_div_scale_f32 v206, vcc, 1.0, v203, 1.0
	v_fma_f32 v207, -v204, v205, 1.0
	v_fmac_f32_e32 v205, v207, v205
	v_mul_f32_e32 v207, v206, v205
	v_fma_f32 v208, -v204, v207, v206
	v_fmac_f32_e32 v207, v208, v205
	v_fma_f32 v204, -v204, v207, v206
	v_div_fmas_f32 v204, v204, v205, v207
	v_div_fixup_f32 v203, v204, v203, 1.0
	ds_write_b32 v165, v203
.LBB107_200:
	s_or_b64 exec, exec, s[2:3]
	s_waitcnt lgkmcnt(0)
	s_barrier
	ds_read_b32 v203, v165
	v_cmp_lt_u32_e32 vcc, 36, v163
	s_and_saveexec_b64 s[2:3], vcc
	s_cbranch_execz .LBB107_202
; %bb.201:
	ds_read_b32 v216, v167 offset:148
	ds_read2_b64 v[204:207], v167 offset0:19 offset1:20
	s_waitcnt vmcnt(25) lgkmcnt(2)
	v_mul_f32_e32 v136, v203, v136
	ds_read2_b64 v[208:211], v167 offset0:21 offset1:22
	ds_read2_b64 v[212:215], v167 offset0:23 offset1:24
	s_waitcnt vmcnt(24) lgkmcnt(3)
	v_fma_f32 v137, -v136, v216, v137
	s_waitcnt vmcnt(22) lgkmcnt(2)
	v_pk_fma_f32 v[114:115], v[136:137], v[204:205], v[114:115] op_sel_hi:[0,1,1] neg_lo:[1,0,0] neg_hi:[1,0,0]
	s_waitcnt vmcnt(20)
	v_pk_fma_f32 v[134:135], v[136:137], v[206:207], v[134:135] op_sel_hi:[0,1,1] neg_lo:[1,0,0] neg_hi:[1,0,0]
	ds_read2_b64 v[204:207], v167 offset0:25 offset1:26
	s_waitcnt vmcnt(18) lgkmcnt(2)
	v_pk_fma_f32 v[112:113], v[136:137], v[208:209], v[112:113] op_sel_hi:[0,1,1] neg_lo:[1,0,0] neg_hi:[1,0,0]
	s_waitcnt vmcnt(16)
	v_pk_fma_f32 v[132:133], v[136:137], v[210:211], v[132:133] op_sel_hi:[0,1,1] neg_lo:[1,0,0] neg_hi:[1,0,0]
	s_waitcnt vmcnt(14) lgkmcnt(1)
	v_pk_fma_f32 v[110:111], v[136:137], v[212:213], v[110:111] op_sel_hi:[0,1,1] neg_lo:[1,0,0] neg_hi:[1,0,0]
	s_waitcnt vmcnt(12)
	v_pk_fma_f32 v[130:131], v[136:137], v[214:215], v[130:131] op_sel_hi:[0,1,1] neg_lo:[1,0,0] neg_hi:[1,0,0]
	;; [unrolled: 4-line block ×3, first 2 shown]
.LBB107_202:
	s_or_b64 exec, exec, s[2:3]
	v_cmp_ne_u32_e32 vcc, 37, v163
	s_waitcnt lgkmcnt(0)
	s_barrier
	s_and_saveexec_b64 s[2:3], vcc
	s_xor_b64 s[2:3], exec, s[2:3]
	s_andn2_saveexec_b64 s[2:3], s[2:3]
	s_cbranch_execz .LBB107_206
; %bb.203:
	s_waitcnt vmcnt(24)
	ds_write_b32 v165, v137
	s_waitcnt vmcnt(20)
	ds_write2_b64 v167, v[114:115], v[134:135] offset0:19 offset1:20
	s_waitcnt vmcnt(16)
	ds_write2_b64 v167, v[112:113], v[132:133] offset0:21 offset1:22
	;; [unrolled: 2-line block ×4, first 2 shown]
	ds_read_b32 v204, v165
	s_waitcnt lgkmcnt(0)
	v_cmp_neq_f32_e32 vcc, 0, v204
	s_and_saveexec_b64 s[4:5], vcc
	s_cbranch_execz .LBB107_205
; %bb.204:
	v_div_scale_f32 v205, s[10:11], v204, v204, 1.0
	v_rcp_f32_e32 v206, v205
	v_div_scale_f32 v207, vcc, 1.0, v204, 1.0
	v_fma_f32 v208, -v205, v206, 1.0
	v_fmac_f32_e32 v206, v208, v206
	v_mul_f32_e32 v208, v207, v206
	v_fma_f32 v209, -v205, v208, v207
	v_fmac_f32_e32 v208, v209, v206
	v_fma_f32 v205, -v205, v208, v207
	v_div_fmas_f32 v205, v205, v206, v208
	v_div_fixup_f32 v204, v205, v204, 1.0
	ds_write_b32 v165, v204
.LBB107_205:
	s_or_b64 exec, exec, s[4:5]
.LBB107_206:
	s_or_b64 exec, exec, s[2:3]
	s_waitcnt lgkmcnt(0)
	s_barrier
	ds_read_b32 v204, v165
	v_cmp_lt_u32_e32 vcc, 37, v163
	s_and_saveexec_b64 s[2:3], vcc
	s_cbranch_execz .LBB107_208
; %bb.207:
	ds_read2_b64 v[206:209], v167 offset0:19 offset1:20
	s_waitcnt vmcnt(24) lgkmcnt(1)
	v_mul_f32_e32 v218, v204, v137
	ds_read2_b64 v[210:213], v167 offset0:21 offset1:22
	ds_read2_b64 v[214:217], v167 offset0:23 offset1:24
	v_mov_b32_e32 v137, v218
	s_waitcnt vmcnt(22) lgkmcnt(2)
	v_pk_fma_f32 v[114:115], v[218:219], v[206:207], v[114:115] op_sel_hi:[0,1,1] neg_lo:[1,0,0] neg_hi:[1,0,0]
	s_waitcnt vmcnt(20)
	v_pk_fma_f32 v[134:135], v[218:219], v[208:209], v[134:135] op_sel_hi:[0,1,1] neg_lo:[1,0,0] neg_hi:[1,0,0]
	ds_read2_b64 v[206:209], v167 offset0:25 offset1:26
	s_waitcnt vmcnt(18) lgkmcnt(2)
	v_pk_fma_f32 v[112:113], v[218:219], v[210:211], v[112:113] op_sel_hi:[0,1,1] neg_lo:[1,0,0] neg_hi:[1,0,0]
	s_waitcnt vmcnt(16)
	v_pk_fma_f32 v[132:133], v[218:219], v[212:213], v[132:133] op_sel_hi:[0,1,1] neg_lo:[1,0,0] neg_hi:[1,0,0]
	s_waitcnt vmcnt(14) lgkmcnt(1)
	v_pk_fma_f32 v[110:111], v[218:219], v[214:215], v[110:111] op_sel_hi:[0,1,1] neg_lo:[1,0,0] neg_hi:[1,0,0]
	s_waitcnt vmcnt(12)
	v_pk_fma_f32 v[130:131], v[218:219], v[216:217], v[130:131] op_sel_hi:[0,1,1] neg_lo:[1,0,0] neg_hi:[1,0,0]
	;; [unrolled: 4-line block ×3, first 2 shown]
.LBB107_208:
	s_or_b64 exec, exec, s[2:3]
	v_cmp_eq_u32_e32 vcc, 38, v163
	s_waitcnt lgkmcnt(0)
	s_barrier
	s_and_saveexec_b64 s[2:3], vcc
	s_cbranch_execz .LBB107_211
; %bb.209:
	s_waitcnt vmcnt(20)
	v_pk_mov_b32 v[206:207], v[114:115], v[134:135] op_sel:[1,0]
	ds_write_b32 v165, v114
	ds_write2_b32 v167, v206, v207 offset0:39 offset1:40
	s_waitcnt vmcnt(18)
	v_pk_mov_b32 v[206:207], v[134:135], v[112:113] op_sel:[1,0]
	ds_write2_b32 v167, v206, v207 offset0:41 offset1:42
	s_waitcnt vmcnt(16)
	v_pk_mov_b32 v[206:207], v[112:113], v[132:133] op_sel:[1,0]
	;; [unrolled: 3-line block ×6, first 2 shown]
	ds_write2_b32 v167, v206, v207 offset0:51 offset1:52
	ds_write_b32 v167, v153 offset:212
	ds_read_b32 v205, v165
	s_waitcnt lgkmcnt(0)
	v_cmp_neq_f32_e32 vcc, 0, v205
	s_and_b64 exec, exec, vcc
	s_cbranch_execz .LBB107_211
; %bb.210:
	v_div_scale_f32 v206, s[4:5], v205, v205, 1.0
	v_rcp_f32_e32 v207, v206
	v_div_scale_f32 v208, vcc, 1.0, v205, 1.0
	v_fma_f32 v209, -v206, v207, 1.0
	v_fmac_f32_e32 v207, v209, v207
	v_mul_f32_e32 v209, v208, v207
	v_fma_f32 v210, -v206, v209, v208
	v_fmac_f32_e32 v209, v210, v207
	v_fma_f32 v206, -v206, v209, v208
	v_div_fmas_f32 v206, v206, v207, v209
	v_div_fixup_f32 v205, v206, v205, 1.0
	ds_write_b32 v165, v205
.LBB107_211:
	s_or_b64 exec, exec, s[2:3]
	s_waitcnt lgkmcnt(0)
	s_barrier
	ds_read_b32 v205, v165
	v_cmp_lt_u32_e32 vcc, 38, v163
	s_and_saveexec_b64 s[2:3], vcc
	s_cbranch_execz .LBB107_213
; %bb.212:
	ds_read_b32 v214, v167 offset:156
	s_waitcnt vmcnt(23) lgkmcnt(1)
	v_mul_f32_e32 v114, v205, v114
	ds_read2_b64 v[206:209], v167 offset0:20 offset1:21
	ds_read_b64 v[218:219], v167 offset:208
	ds_read2_b64 v[210:213], v167 offset0:22 offset1:23
	s_waitcnt vmcnt(22) lgkmcnt(3)
	v_fma_f32 v115, -v114, v214, v115
	ds_read2_b64 v[214:217], v167 offset0:24 offset1:25
	s_waitcnt vmcnt(20) lgkmcnt(3)
	v_pk_fma_f32 v[134:135], v[114:115], v[206:207], v[134:135] op_sel_hi:[0,1,1] neg_lo:[1,0,0] neg_hi:[1,0,0]
	s_waitcnt vmcnt(18)
	v_pk_fma_f32 v[112:113], v[114:115], v[208:209], v[112:113] op_sel_hi:[0,1,1] neg_lo:[1,0,0] neg_hi:[1,0,0]
	s_waitcnt vmcnt(16) lgkmcnt(1)
	v_pk_fma_f32 v[132:133], v[114:115], v[210:211], v[132:133] op_sel_hi:[0,1,1] neg_lo:[1,0,0] neg_hi:[1,0,0]
	s_waitcnt vmcnt(14)
	v_pk_fma_f32 v[110:111], v[114:115], v[212:213], v[110:111] op_sel_hi:[0,1,1] neg_lo:[1,0,0] neg_hi:[1,0,0]
	;; [unrolled: 4-line block ×3, first 2 shown]
	s_waitcnt vmcnt(8)
	v_pk_fma_f32 v[152:153], v[114:115], v[218:219], v[152:153] op_sel_hi:[0,1,1] neg_lo:[1,0,0] neg_hi:[1,0,0]
.LBB107_213:
	s_or_b64 exec, exec, s[2:3]
	v_cmp_ne_u32_e32 vcc, 39, v163
	s_waitcnt lgkmcnt(0)
	s_barrier
	s_and_saveexec_b64 s[2:3], vcc
	s_xor_b64 s[2:3], exec, s[2:3]
	s_andn2_saveexec_b64 s[2:3], s[2:3]
	s_cbranch_execz .LBB107_217
; %bb.214:
	s_waitcnt vmcnt(21)
	v_mov_b32_e32 v206, v134
	s_waitcnt vmcnt(20)
	v_mov_b32_e32 v207, v135
	;; [unrolled: 2-line block ×4, first 2 shown]
	ds_write_b32 v165, v115
	ds_write2_b64 v167, v[206:207], v[208:209] offset0:20 offset1:21
	s_waitcnt vmcnt(17)
	v_mov_b32_e32 v206, v132
	s_waitcnt vmcnt(16)
	v_mov_b32_e32 v207, v133
	;; [unrolled: 2-line block ×4, first 2 shown]
	ds_write2_b64 v167, v[206:207], v[208:209] offset0:22 offset1:23
	s_waitcnt vmcnt(13)
	v_mov_b32_e32 v206, v130
	s_waitcnt vmcnt(12)
	v_mov_b32_e32 v207, v131
	;; [unrolled: 2-line block ×4, first 2 shown]
	ds_write2_b64 v167, v[206:207], v[208:209] offset0:24 offset1:25
	s_waitcnt vmcnt(8)
	ds_write_b64 v167, v[152:153] offset:208
	ds_read_b32 v206, v165
	s_waitcnt lgkmcnt(0)
	v_cmp_neq_f32_e32 vcc, 0, v206
	s_and_saveexec_b64 s[4:5], vcc
	s_cbranch_execz .LBB107_216
; %bb.215:
	v_div_scale_f32 v207, s[10:11], v206, v206, 1.0
	v_rcp_f32_e32 v208, v207
	v_div_scale_f32 v209, vcc, 1.0, v206, 1.0
	v_fma_f32 v210, -v207, v208, 1.0
	v_fmac_f32_e32 v208, v210, v208
	v_mul_f32_e32 v210, v209, v208
	v_fma_f32 v211, -v207, v210, v209
	v_fmac_f32_e32 v210, v211, v208
	v_fma_f32 v207, -v207, v210, v209
	v_div_fmas_f32 v207, v207, v208, v210
	v_div_fixup_f32 v206, v207, v206, 1.0
	ds_write_b32 v165, v206
.LBB107_216:
	s_or_b64 exec, exec, s[4:5]
.LBB107_217:
	s_or_b64 exec, exec, s[2:3]
	s_waitcnt lgkmcnt(0)
	s_barrier
	ds_read_b32 v206, v165
	v_cmp_lt_u32_e32 vcc, 39, v163
	s_and_saveexec_b64 s[2:3], vcc
	s_cbranch_execz .LBB107_219
; %bb.218:
	ds_read2_b64 v[208:211], v167 offset0:20 offset1:21
	s_waitcnt vmcnt(22) lgkmcnt(1)
	v_mul_f32_e32 v220, v206, v115
	ds_read2_b64 v[212:215], v167 offset0:22 offset1:23
	ds_read2_b64 v[216:219], v167 offset0:24 offset1:25
	v_mov_b32_e32 v115, v220
	s_waitcnt vmcnt(20) lgkmcnt(2)
	v_pk_fma_f32 v[134:135], v[220:221], v[208:209], v[134:135] op_sel_hi:[0,1,1] neg_lo:[1,0,0] neg_hi:[1,0,0]
	ds_read_b64 v[208:209], v167 offset:208
	s_waitcnt vmcnt(18)
	v_pk_fma_f32 v[112:113], v[220:221], v[210:211], v[112:113] op_sel_hi:[0,1,1] neg_lo:[1,0,0] neg_hi:[1,0,0]
	s_waitcnt vmcnt(16) lgkmcnt(2)
	v_pk_fma_f32 v[132:133], v[220:221], v[212:213], v[132:133] op_sel_hi:[0,1,1] neg_lo:[1,0,0] neg_hi:[1,0,0]
	s_waitcnt vmcnt(14)
	v_pk_fma_f32 v[110:111], v[220:221], v[214:215], v[110:111] op_sel_hi:[0,1,1] neg_lo:[1,0,0] neg_hi:[1,0,0]
	s_waitcnt vmcnt(12) lgkmcnt(1)
	v_pk_fma_f32 v[130:131], v[220:221], v[216:217], v[130:131] op_sel_hi:[0,1,1] neg_lo:[1,0,0] neg_hi:[1,0,0]
	;; [unrolled: 4-line block ×3, first 2 shown]
.LBB107_219:
	s_or_b64 exec, exec, s[2:3]
	v_cmp_eq_u32_e32 vcc, 40, v163
	s_waitcnt lgkmcnt(0)
	s_barrier
	s_and_saveexec_b64 s[2:3], vcc
	s_cbranch_execz .LBB107_222
; %bb.220:
	s_waitcnt vmcnt(18)
	v_pk_mov_b32 v[208:209], v[134:135], v[112:113] op_sel:[1,0]
	ds_write_b32 v165, v134
	ds_write2_b32 v167, v208, v209 offset0:41 offset1:42
	s_waitcnt vmcnt(16)
	v_pk_mov_b32 v[208:209], v[112:113], v[132:133] op_sel:[1,0]
	ds_write2_b32 v167, v208, v209 offset0:43 offset1:44
	s_waitcnt vmcnt(14)
	v_pk_mov_b32 v[208:209], v[132:133], v[110:111] op_sel:[1,0]
	;; [unrolled: 3-line block ×5, first 2 shown]
	ds_write2_b32 v167, v208, v209 offset0:51 offset1:52
	ds_write_b32 v167, v153 offset:212
	ds_read_b32 v207, v165
	s_waitcnt lgkmcnt(0)
	v_cmp_neq_f32_e32 vcc, 0, v207
	s_and_b64 exec, exec, vcc
	s_cbranch_execz .LBB107_222
; %bb.221:
	v_div_scale_f32 v208, s[4:5], v207, v207, 1.0
	v_rcp_f32_e32 v209, v208
	v_div_scale_f32 v210, vcc, 1.0, v207, 1.0
	v_fma_f32 v211, -v208, v209, 1.0
	v_fmac_f32_e32 v209, v211, v209
	v_mul_f32_e32 v211, v210, v209
	v_fma_f32 v212, -v208, v211, v210
	v_fmac_f32_e32 v211, v212, v209
	v_fma_f32 v208, -v208, v211, v210
	v_div_fmas_f32 v208, v208, v209, v211
	v_div_fixup_f32 v207, v208, v207, 1.0
	ds_write_b32 v165, v207
.LBB107_222:
	s_or_b64 exec, exec, s[2:3]
	s_waitcnt lgkmcnt(0)
	s_barrier
	ds_read_b32 v207, v165
	v_cmp_lt_u32_e32 vcc, 40, v163
	s_and_saveexec_b64 s[2:3], vcc
	s_cbranch_execz .LBB107_224
; %bb.223:
	ds_read_b32 v220, v167 offset:164
	ds_read2_b64 v[208:211], v167 offset0:21 offset1:22
	ds_read2_b64 v[212:215], v167 offset0:23 offset1:24
	;; [unrolled: 1-line block ×3, first 2 shown]
	s_waitcnt vmcnt(21) lgkmcnt(4)
	v_mul_f32_e32 v134, v207, v134
	s_waitcnt vmcnt(20) lgkmcnt(3)
	v_fma_f32 v135, -v134, v220, v135
	s_waitcnt vmcnt(18) lgkmcnt(2)
	v_pk_fma_f32 v[112:113], v[134:135], v[208:209], v[112:113] op_sel_hi:[0,1,1] neg_lo:[1,0,0] neg_hi:[1,0,0]
	s_waitcnt vmcnt(16)
	v_pk_fma_f32 v[132:133], v[134:135], v[210:211], v[132:133] op_sel_hi:[0,1,1] neg_lo:[1,0,0] neg_hi:[1,0,0]
	s_waitcnt vmcnt(14) lgkmcnt(1)
	v_pk_fma_f32 v[110:111], v[134:135], v[212:213], v[110:111] op_sel_hi:[0,1,1] neg_lo:[1,0,0] neg_hi:[1,0,0]
	s_waitcnt vmcnt(12)
	v_pk_fma_f32 v[130:131], v[134:135], v[214:215], v[130:131] op_sel_hi:[0,1,1] neg_lo:[1,0,0] neg_hi:[1,0,0]
	;; [unrolled: 4-line block ×3, first 2 shown]
.LBB107_224:
	s_or_b64 exec, exec, s[2:3]
	v_cmp_ne_u32_e32 vcc, 41, v163
	s_waitcnt lgkmcnt(0)
	s_barrier
	s_and_saveexec_b64 s[2:3], vcc
	s_xor_b64 s[2:3], exec, s[2:3]
	s_andn2_saveexec_b64 s[2:3], s[2:3]
	s_cbranch_execz .LBB107_228
; %bb.225:
	s_waitcnt vmcnt(20)
	ds_write_b32 v165, v135
	s_waitcnt vmcnt(16)
	ds_write2_b64 v167, v[112:113], v[132:133] offset0:21 offset1:22
	s_waitcnt vmcnt(12)
	ds_write2_b64 v167, v[110:111], v[130:131] offset0:23 offset1:24
	s_waitcnt vmcnt(8)
	ds_write2_b64 v167, v[108:109], v[152:153] offset0:25 offset1:26
	ds_read_b32 v208, v165
	s_waitcnt lgkmcnt(0)
	v_cmp_neq_f32_e32 vcc, 0, v208
	s_and_saveexec_b64 s[4:5], vcc
	s_cbranch_execz .LBB107_227
; %bb.226:
	v_div_scale_f32 v209, s[10:11], v208, v208, 1.0
	v_rcp_f32_e32 v210, v209
	v_div_scale_f32 v211, vcc, 1.0, v208, 1.0
	v_fma_f32 v212, -v209, v210, 1.0
	v_fmac_f32_e32 v210, v212, v210
	v_mul_f32_e32 v212, v211, v210
	v_fma_f32 v213, -v209, v212, v211
	v_fmac_f32_e32 v212, v213, v210
	v_fma_f32 v209, -v209, v212, v211
	v_div_fmas_f32 v209, v209, v210, v212
	v_div_fixup_f32 v208, v209, v208, 1.0
	ds_write_b32 v165, v208
.LBB107_227:
	s_or_b64 exec, exec, s[4:5]
.LBB107_228:
	s_or_b64 exec, exec, s[2:3]
	s_waitcnt lgkmcnt(0)
	s_barrier
	ds_read_b32 v208, v165
	v_cmp_lt_u32_e32 vcc, 41, v163
	s_and_saveexec_b64 s[2:3], vcc
	s_cbranch_execz .LBB107_230
; %bb.229:
	ds_read2_b64 v[210:213], v167 offset0:21 offset1:22
	ds_read2_b64 v[214:217], v167 offset0:23 offset1:24
	ds_read2_b64 v[218:221], v167 offset0:25 offset1:26
	s_waitcnt vmcnt(20) lgkmcnt(3)
	v_mul_f32_e32 v222, v208, v135
	v_mov_b32_e32 v135, v222
	s_waitcnt vmcnt(18) lgkmcnt(2)
	v_pk_fma_f32 v[112:113], v[222:223], v[210:211], v[112:113] op_sel_hi:[0,1,1] neg_lo:[1,0,0] neg_hi:[1,0,0]
	s_waitcnt vmcnt(16)
	v_pk_fma_f32 v[132:133], v[222:223], v[212:213], v[132:133] op_sel_hi:[0,1,1] neg_lo:[1,0,0] neg_hi:[1,0,0]
	s_waitcnt vmcnt(14) lgkmcnt(1)
	v_pk_fma_f32 v[110:111], v[222:223], v[214:215], v[110:111] op_sel_hi:[0,1,1] neg_lo:[1,0,0] neg_hi:[1,0,0]
	s_waitcnt vmcnt(12)
	v_pk_fma_f32 v[130:131], v[222:223], v[216:217], v[130:131] op_sel_hi:[0,1,1] neg_lo:[1,0,0] neg_hi:[1,0,0]
	;; [unrolled: 4-line block ×3, first 2 shown]
.LBB107_230:
	s_or_b64 exec, exec, s[2:3]
	v_cmp_eq_u32_e32 vcc, 42, v163
	s_waitcnt lgkmcnt(0)
	s_barrier
	s_and_saveexec_b64 s[2:3], vcc
	s_cbranch_execz .LBB107_233
; %bb.231:
	s_waitcnt vmcnt(16)
	v_pk_mov_b32 v[210:211], v[112:113], v[132:133] op_sel:[1,0]
	ds_write_b32 v165, v112
	ds_write2_b32 v167, v210, v211 offset0:43 offset1:44
	s_waitcnt vmcnt(14)
	v_pk_mov_b32 v[210:211], v[132:133], v[110:111] op_sel:[1,0]
	ds_write2_b32 v167, v210, v211 offset0:45 offset1:46
	s_waitcnt vmcnt(12)
	v_pk_mov_b32 v[210:211], v[110:111], v[130:131] op_sel:[1,0]
	;; [unrolled: 3-line block ×4, first 2 shown]
	ds_write2_b32 v167, v210, v211 offset0:51 offset1:52
	ds_write_b32 v167, v153 offset:212
	ds_read_b32 v209, v165
	s_waitcnt lgkmcnt(0)
	v_cmp_neq_f32_e32 vcc, 0, v209
	s_and_b64 exec, exec, vcc
	s_cbranch_execz .LBB107_233
; %bb.232:
	v_div_scale_f32 v210, s[4:5], v209, v209, 1.0
	v_rcp_f32_e32 v211, v210
	v_div_scale_f32 v212, vcc, 1.0, v209, 1.0
	v_fma_f32 v213, -v210, v211, 1.0
	v_fmac_f32_e32 v211, v213, v211
	v_mul_f32_e32 v213, v212, v211
	v_fma_f32 v214, -v210, v213, v212
	v_fmac_f32_e32 v213, v214, v211
	v_fma_f32 v210, -v210, v213, v212
	v_div_fmas_f32 v210, v210, v211, v213
	v_div_fixup_f32 v209, v210, v209, 1.0
	ds_write_b32 v165, v209
.LBB107_233:
	s_or_b64 exec, exec, s[2:3]
	s_waitcnt lgkmcnt(0)
	s_barrier
	ds_read_b32 v209, v165
	v_cmp_lt_u32_e32 vcc, 42, v163
	s_and_saveexec_b64 s[2:3], vcc
	s_cbranch_execz .LBB107_235
; %bb.234:
	ds_read_b32 v220, v167 offset:172
	ds_read2_b64 v[210:213], v167 offset0:22 offset1:23
	ds_read_b64 v[218:219], v167 offset:208
	ds_read2_b64 v[214:217], v167 offset0:24 offset1:25
	s_waitcnt vmcnt(19) lgkmcnt(4)
	v_mul_f32_e32 v112, v209, v112
	s_waitcnt vmcnt(18) lgkmcnt(3)
	v_fma_f32 v113, -v112, v220, v113
	s_waitcnt vmcnt(16) lgkmcnt(2)
	v_pk_fma_f32 v[132:133], v[112:113], v[210:211], v[132:133] op_sel_hi:[0,1,1] neg_lo:[1,0,0] neg_hi:[1,0,0]
	s_waitcnt vmcnt(14)
	v_pk_fma_f32 v[110:111], v[112:113], v[212:213], v[110:111] op_sel_hi:[0,1,1] neg_lo:[1,0,0] neg_hi:[1,0,0]
	s_waitcnt vmcnt(12) lgkmcnt(0)
	v_pk_fma_f32 v[130:131], v[112:113], v[214:215], v[130:131] op_sel_hi:[0,1,1] neg_lo:[1,0,0] neg_hi:[1,0,0]
	s_waitcnt vmcnt(10)
	v_pk_fma_f32 v[108:109], v[112:113], v[216:217], v[108:109] op_sel_hi:[0,1,1] neg_lo:[1,0,0] neg_hi:[1,0,0]
	s_waitcnt vmcnt(8)
	v_pk_fma_f32 v[152:153], v[112:113], v[218:219], v[152:153] op_sel_hi:[0,1,1] neg_lo:[1,0,0] neg_hi:[1,0,0]
.LBB107_235:
	s_or_b64 exec, exec, s[2:3]
	v_cmp_ne_u32_e32 vcc, 43, v163
	s_waitcnt lgkmcnt(0)
	s_barrier
	s_and_saveexec_b64 s[2:3], vcc
	s_xor_b64 s[2:3], exec, s[2:3]
	s_andn2_saveexec_b64 s[2:3], s[2:3]
	s_cbranch_execz .LBB107_239
; %bb.236:
	s_waitcnt vmcnt(17)
	v_mov_b32_e32 v210, v132
	s_waitcnt vmcnt(16)
	v_mov_b32_e32 v211, v133
	;; [unrolled: 2-line block ×4, first 2 shown]
	ds_write_b32 v165, v113
	ds_write2_b64 v167, v[210:211], v[212:213] offset0:22 offset1:23
	s_waitcnt vmcnt(13)
	v_mov_b32_e32 v210, v130
	s_waitcnt vmcnt(12)
	v_mov_b32_e32 v211, v131
	s_waitcnt vmcnt(11)
	v_mov_b32_e32 v212, v108
	s_waitcnt vmcnt(10)
	v_mov_b32_e32 v213, v109
	ds_write2_b64 v167, v[210:211], v[212:213] offset0:24 offset1:25
	s_waitcnt vmcnt(8)
	ds_write_b64 v167, v[152:153] offset:208
	ds_read_b32 v210, v165
	s_waitcnt lgkmcnt(0)
	v_cmp_neq_f32_e32 vcc, 0, v210
	s_and_saveexec_b64 s[4:5], vcc
	s_cbranch_execz .LBB107_238
; %bb.237:
	v_div_scale_f32 v211, s[10:11], v210, v210, 1.0
	v_rcp_f32_e32 v212, v211
	v_div_scale_f32 v213, vcc, 1.0, v210, 1.0
	v_fma_f32 v214, -v211, v212, 1.0
	v_fmac_f32_e32 v212, v214, v212
	v_mul_f32_e32 v214, v213, v212
	v_fma_f32 v215, -v211, v214, v213
	v_fmac_f32_e32 v214, v215, v212
	v_fma_f32 v211, -v211, v214, v213
	v_div_fmas_f32 v211, v211, v212, v214
	v_div_fixup_f32 v210, v211, v210, 1.0
	ds_write_b32 v165, v210
.LBB107_238:
	s_or_b64 exec, exec, s[4:5]
.LBB107_239:
	s_or_b64 exec, exec, s[2:3]
	s_waitcnt lgkmcnt(0)
	s_barrier
	ds_read_b32 v210, v165
	v_cmp_lt_u32_e32 vcc, 43, v163
	s_and_saveexec_b64 s[2:3], vcc
	s_cbranch_execz .LBB107_241
; %bb.240:
	ds_read2_b64 v[212:215], v167 offset0:22 offset1:23
	ds_read2_b64 v[216:219], v167 offset0:24 offset1:25
	ds_read_b64 v[222:223], v167 offset:208
	s_waitcnt vmcnt(18) lgkmcnt(3)
	v_mul_f32_e32 v220, v210, v113
	v_mov_b32_e32 v113, v220
	s_waitcnt vmcnt(16) lgkmcnt(2)
	v_pk_fma_f32 v[132:133], v[220:221], v[212:213], v[132:133] op_sel_hi:[0,1,1] neg_lo:[1,0,0] neg_hi:[1,0,0]
	s_waitcnt vmcnt(14)
	v_pk_fma_f32 v[110:111], v[220:221], v[214:215], v[110:111] op_sel_hi:[0,1,1] neg_lo:[1,0,0] neg_hi:[1,0,0]
	s_waitcnt vmcnt(12) lgkmcnt(1)
	v_pk_fma_f32 v[130:131], v[220:221], v[216:217], v[130:131] op_sel_hi:[0,1,1] neg_lo:[1,0,0] neg_hi:[1,0,0]
	s_waitcnt vmcnt(10)
	v_pk_fma_f32 v[108:109], v[220:221], v[218:219], v[108:109] op_sel_hi:[0,1,1] neg_lo:[1,0,0] neg_hi:[1,0,0]
	s_waitcnt vmcnt(8) lgkmcnt(0)
	v_pk_fma_f32 v[152:153], v[220:221], v[222:223], v[152:153] op_sel_hi:[0,1,1] neg_lo:[1,0,0] neg_hi:[1,0,0]
.LBB107_241:
	s_or_b64 exec, exec, s[2:3]
	v_cmp_eq_u32_e32 vcc, 44, v163
	s_waitcnt lgkmcnt(0)
	s_barrier
	s_and_saveexec_b64 s[2:3], vcc
	s_cbranch_execz .LBB107_244
; %bb.242:
	s_waitcnt vmcnt(14)
	v_pk_mov_b32 v[212:213], v[132:133], v[110:111] op_sel:[1,0]
	ds_write_b32 v165, v132
	ds_write2_b32 v167, v212, v213 offset0:45 offset1:46
	s_waitcnt vmcnt(12)
	v_pk_mov_b32 v[212:213], v[110:111], v[130:131] op_sel:[1,0]
	ds_write2_b32 v167, v212, v213 offset0:47 offset1:48
	s_waitcnt vmcnt(10)
	v_pk_mov_b32 v[212:213], v[130:131], v[108:109] op_sel:[1,0]
	;; [unrolled: 3-line block ×3, first 2 shown]
	ds_write2_b32 v167, v212, v213 offset0:51 offset1:52
	ds_write_b32 v167, v153 offset:212
	ds_read_b32 v211, v165
	s_waitcnt lgkmcnt(0)
	v_cmp_neq_f32_e32 vcc, 0, v211
	s_and_b64 exec, exec, vcc
	s_cbranch_execz .LBB107_244
; %bb.243:
	v_div_scale_f32 v212, s[4:5], v211, v211, 1.0
	v_rcp_f32_e32 v213, v212
	v_div_scale_f32 v214, vcc, 1.0, v211, 1.0
	v_fma_f32 v215, -v212, v213, 1.0
	v_fmac_f32_e32 v213, v215, v213
	v_mul_f32_e32 v215, v214, v213
	v_fma_f32 v216, -v212, v215, v214
	v_fmac_f32_e32 v215, v216, v213
	v_fma_f32 v212, -v212, v215, v214
	v_div_fmas_f32 v212, v212, v213, v215
	v_div_fixup_f32 v211, v212, v211, 1.0
	ds_write_b32 v165, v211
.LBB107_244:
	s_or_b64 exec, exec, s[2:3]
	s_waitcnt lgkmcnt(0)
	s_barrier
	ds_read_b32 v211, v165
	v_cmp_lt_u32_e32 vcc, 44, v163
	s_and_saveexec_b64 s[2:3], vcc
	s_cbranch_execz .LBB107_246
; %bb.245:
	ds_read_b32 v220, v167 offset:180
	ds_read2_b64 v[212:215], v167 offset0:23 offset1:24
	ds_read2_b64 v[216:219], v167 offset0:25 offset1:26
	s_waitcnt vmcnt(17) lgkmcnt(3)
	v_mul_f32_e32 v132, v211, v132
	s_waitcnt vmcnt(16) lgkmcnt(2)
	v_fma_f32 v133, -v132, v220, v133
	s_waitcnt vmcnt(14) lgkmcnt(1)
	v_pk_fma_f32 v[110:111], v[132:133], v[212:213], v[110:111] op_sel_hi:[0,1,1] neg_lo:[1,0,0] neg_hi:[1,0,0]
	s_waitcnt vmcnt(12)
	v_pk_fma_f32 v[130:131], v[132:133], v[214:215], v[130:131] op_sel_hi:[0,1,1] neg_lo:[1,0,0] neg_hi:[1,0,0]
	s_waitcnt vmcnt(10) lgkmcnt(0)
	v_pk_fma_f32 v[108:109], v[132:133], v[216:217], v[108:109] op_sel_hi:[0,1,1] neg_lo:[1,0,0] neg_hi:[1,0,0]
	s_waitcnt vmcnt(8)
	v_pk_fma_f32 v[152:153], v[132:133], v[218:219], v[152:153] op_sel_hi:[0,1,1] neg_lo:[1,0,0] neg_hi:[1,0,0]
.LBB107_246:
	s_or_b64 exec, exec, s[2:3]
	v_cmp_ne_u32_e32 vcc, 45, v163
	s_waitcnt lgkmcnt(0)
	s_barrier
	s_and_saveexec_b64 s[2:3], vcc
	s_xor_b64 s[2:3], exec, s[2:3]
	s_andn2_saveexec_b64 s[2:3], s[2:3]
	s_cbranch_execz .LBB107_250
; %bb.247:
	s_waitcnt vmcnt(16)
	ds_write_b32 v165, v133
	s_waitcnt vmcnt(12)
	ds_write2_b64 v167, v[110:111], v[130:131] offset0:23 offset1:24
	s_waitcnt vmcnt(8)
	ds_write2_b64 v167, v[108:109], v[152:153] offset0:25 offset1:26
	ds_read_b32 v212, v165
	s_waitcnt lgkmcnt(0)
	v_cmp_neq_f32_e32 vcc, 0, v212
	s_and_saveexec_b64 s[4:5], vcc
	s_cbranch_execz .LBB107_249
; %bb.248:
	v_div_scale_f32 v213, s[10:11], v212, v212, 1.0
	v_rcp_f32_e32 v214, v213
	v_div_scale_f32 v215, vcc, 1.0, v212, 1.0
	v_fma_f32 v216, -v213, v214, 1.0
	v_fmac_f32_e32 v214, v216, v214
	v_mul_f32_e32 v216, v215, v214
	v_fma_f32 v217, -v213, v216, v215
	v_fmac_f32_e32 v216, v217, v214
	v_fma_f32 v213, -v213, v216, v215
	v_div_fmas_f32 v213, v213, v214, v216
	v_div_fixup_f32 v212, v213, v212, 1.0
	ds_write_b32 v165, v212
.LBB107_249:
	s_or_b64 exec, exec, s[4:5]
.LBB107_250:
	s_or_b64 exec, exec, s[2:3]
	s_waitcnt lgkmcnt(0)
	s_barrier
	ds_read_b32 v212, v165
	v_cmp_lt_u32_e32 vcc, 45, v163
	s_and_saveexec_b64 s[2:3], vcc
	s_cbranch_execz .LBB107_252
; %bb.251:
	ds_read2_b64 v[214:217], v167 offset0:23 offset1:24
	ds_read2_b64 v[218:221], v167 offset0:25 offset1:26
	s_waitcnt vmcnt(16) lgkmcnt(2)
	v_mul_f32_e32 v222, v212, v133
	v_mov_b32_e32 v133, v222
	s_waitcnt vmcnt(14) lgkmcnt(1)
	v_pk_fma_f32 v[110:111], v[222:223], v[214:215], v[110:111] op_sel_hi:[0,1,1] neg_lo:[1,0,0] neg_hi:[1,0,0]
	s_waitcnt vmcnt(12)
	v_pk_fma_f32 v[130:131], v[222:223], v[216:217], v[130:131] op_sel_hi:[0,1,1] neg_lo:[1,0,0] neg_hi:[1,0,0]
	s_waitcnt vmcnt(10) lgkmcnt(0)
	v_pk_fma_f32 v[108:109], v[222:223], v[218:219], v[108:109] op_sel_hi:[0,1,1] neg_lo:[1,0,0] neg_hi:[1,0,0]
	s_waitcnt vmcnt(8)
	v_pk_fma_f32 v[152:153], v[222:223], v[220:221], v[152:153] op_sel_hi:[0,1,1] neg_lo:[1,0,0] neg_hi:[1,0,0]
.LBB107_252:
	s_or_b64 exec, exec, s[2:3]
	v_cmp_eq_u32_e32 vcc, 46, v163
	s_waitcnt lgkmcnt(0)
	s_barrier
	s_and_saveexec_b64 s[2:3], vcc
	s_cbranch_execz .LBB107_255
; %bb.253:
	s_waitcnt vmcnt(12)
	v_pk_mov_b32 v[214:215], v[110:111], v[130:131] op_sel:[1,0]
	ds_write_b32 v165, v110
	ds_write2_b32 v167, v214, v215 offset0:47 offset1:48
	s_waitcnt vmcnt(10)
	v_pk_mov_b32 v[214:215], v[130:131], v[108:109] op_sel:[1,0]
	ds_write2_b32 v167, v214, v215 offset0:49 offset1:50
	s_waitcnt vmcnt(8)
	v_pk_mov_b32 v[214:215], v[108:109], v[152:153] op_sel:[1,0]
	ds_write2_b32 v167, v214, v215 offset0:51 offset1:52
	ds_write_b32 v167, v153 offset:212
	ds_read_b32 v213, v165
	s_waitcnt lgkmcnt(0)
	v_cmp_neq_f32_e32 vcc, 0, v213
	s_and_b64 exec, exec, vcc
	s_cbranch_execz .LBB107_255
; %bb.254:
	v_div_scale_f32 v214, s[4:5], v213, v213, 1.0
	v_rcp_f32_e32 v215, v214
	v_div_scale_f32 v216, vcc, 1.0, v213, 1.0
	v_fma_f32 v217, -v214, v215, 1.0
	v_fmac_f32_e32 v215, v217, v215
	v_mul_f32_e32 v217, v216, v215
	v_fma_f32 v218, -v214, v217, v216
	v_fmac_f32_e32 v217, v218, v215
	v_fma_f32 v214, -v214, v217, v216
	v_div_fmas_f32 v214, v214, v215, v217
	v_div_fixup_f32 v213, v214, v213, 1.0
	ds_write_b32 v165, v213
.LBB107_255:
	s_or_b64 exec, exec, s[2:3]
	s_waitcnt lgkmcnt(0)
	s_barrier
	ds_read_b32 v213, v165
	v_cmp_lt_u32_e32 vcc, 46, v163
	s_and_saveexec_b64 s[2:3], vcc
	s_cbranch_execz .LBB107_257
; %bb.256:
	ds_read_b32 v220, v167 offset:188
	ds_read2_b64 v[214:217], v167 offset0:24 offset1:25
	ds_read_b64 v[218:219], v167 offset:208
	s_waitcnt vmcnt(15) lgkmcnt(3)
	v_mul_f32_e32 v110, v213, v110
	s_waitcnt vmcnt(14) lgkmcnt(2)
	v_fma_f32 v111, -v110, v220, v111
	s_waitcnt vmcnt(12) lgkmcnt(1)
	v_pk_fma_f32 v[130:131], v[110:111], v[214:215], v[130:131] op_sel_hi:[0,1,1] neg_lo:[1,0,0] neg_hi:[1,0,0]
	s_waitcnt vmcnt(10)
	v_pk_fma_f32 v[108:109], v[110:111], v[216:217], v[108:109] op_sel_hi:[0,1,1] neg_lo:[1,0,0] neg_hi:[1,0,0]
	s_waitcnt vmcnt(8) lgkmcnt(0)
	v_pk_fma_f32 v[152:153], v[110:111], v[218:219], v[152:153] op_sel_hi:[0,1,1] neg_lo:[1,0,0] neg_hi:[1,0,0]
.LBB107_257:
	s_or_b64 exec, exec, s[2:3]
	v_cmp_ne_u32_e32 vcc, 47, v163
	s_waitcnt lgkmcnt(0)
	s_barrier
	s_and_saveexec_b64 s[2:3], vcc
	s_xor_b64 s[2:3], exec, s[2:3]
	s_andn2_saveexec_b64 s[2:3], s[2:3]
	s_cbranch_execz .LBB107_261
; %bb.258:
	s_waitcnt vmcnt(13)
	v_mov_b32_e32 v214, v130
	s_waitcnt vmcnt(12)
	v_mov_b32_e32 v215, v131
	;; [unrolled: 2-line block ×4, first 2 shown]
	ds_write_b32 v165, v111
	ds_write2_b64 v167, v[214:215], v[216:217] offset0:24 offset1:25
	s_waitcnt vmcnt(8)
	ds_write_b64 v167, v[152:153] offset:208
	ds_read_b32 v214, v165
	s_waitcnt lgkmcnt(0)
	v_cmp_neq_f32_e32 vcc, 0, v214
	s_and_saveexec_b64 s[4:5], vcc
	s_cbranch_execz .LBB107_260
; %bb.259:
	v_div_scale_f32 v215, s[10:11], v214, v214, 1.0
	v_rcp_f32_e32 v216, v215
	v_div_scale_f32 v217, vcc, 1.0, v214, 1.0
	v_fma_f32 v218, -v215, v216, 1.0
	v_fmac_f32_e32 v216, v218, v216
	v_mul_f32_e32 v218, v217, v216
	v_fma_f32 v219, -v215, v218, v217
	v_fmac_f32_e32 v218, v219, v216
	v_fma_f32 v215, -v215, v218, v217
	v_div_fmas_f32 v215, v215, v216, v218
	v_div_fixup_f32 v214, v215, v214, 1.0
	ds_write_b32 v165, v214
.LBB107_260:
	s_or_b64 exec, exec, s[4:5]
.LBB107_261:
	s_or_b64 exec, exec, s[2:3]
	s_waitcnt lgkmcnt(0)
	s_barrier
	ds_read_b32 v214, v165
	v_cmp_lt_u32_e32 vcc, 47, v163
	s_and_saveexec_b64 s[2:3], vcc
	s_cbranch_execz .LBB107_263
; %bb.262:
	ds_read2_b64 v[216:219], v167 offset0:24 offset1:25
	ds_read_b64 v[220:221], v167 offset:208
	s_waitcnt vmcnt(14) lgkmcnt(2)
	v_mul_f32_e32 v222, v214, v111
	v_mov_b32_e32 v111, v222
	s_waitcnt vmcnt(12) lgkmcnt(1)
	v_pk_fma_f32 v[130:131], v[222:223], v[216:217], v[130:131] op_sel_hi:[0,1,1] neg_lo:[1,0,0] neg_hi:[1,0,0]
	s_waitcnt vmcnt(10)
	v_pk_fma_f32 v[108:109], v[222:223], v[218:219], v[108:109] op_sel_hi:[0,1,1] neg_lo:[1,0,0] neg_hi:[1,0,0]
	s_waitcnt vmcnt(8) lgkmcnt(0)
	v_pk_fma_f32 v[152:153], v[222:223], v[220:221], v[152:153] op_sel_hi:[0,1,1] neg_lo:[1,0,0] neg_hi:[1,0,0]
.LBB107_263:
	s_or_b64 exec, exec, s[2:3]
	v_cmp_eq_u32_e32 vcc, 48, v163
	s_waitcnt lgkmcnt(0)
	s_barrier
	s_and_saveexec_b64 s[2:3], vcc
	s_cbranch_execz .LBB107_266
; %bb.264:
	s_waitcnt vmcnt(10)
	v_pk_mov_b32 v[216:217], v[130:131], v[108:109] op_sel:[1,0]
	ds_write_b32 v165, v130
	ds_write2_b32 v167, v216, v217 offset0:49 offset1:50
	s_waitcnt vmcnt(8)
	v_pk_mov_b32 v[216:217], v[108:109], v[152:153] op_sel:[1,0]
	ds_write2_b32 v167, v216, v217 offset0:51 offset1:52
	ds_write_b32 v167, v153 offset:212
	ds_read_b32 v215, v165
	s_waitcnt lgkmcnt(0)
	v_cmp_neq_f32_e32 vcc, 0, v215
	s_and_b64 exec, exec, vcc
	s_cbranch_execz .LBB107_266
; %bb.265:
	v_div_scale_f32 v216, s[4:5], v215, v215, 1.0
	v_rcp_f32_e32 v217, v216
	v_div_scale_f32 v218, vcc, 1.0, v215, 1.0
	v_fma_f32 v219, -v216, v217, 1.0
	v_fmac_f32_e32 v217, v219, v217
	v_mul_f32_e32 v219, v218, v217
	v_fma_f32 v220, -v216, v219, v218
	v_fmac_f32_e32 v219, v220, v217
	v_fma_f32 v216, -v216, v219, v218
	v_div_fmas_f32 v216, v216, v217, v219
	v_div_fixup_f32 v215, v216, v215, 1.0
	ds_write_b32 v165, v215
.LBB107_266:
	s_or_b64 exec, exec, s[2:3]
	s_waitcnt lgkmcnt(0)
	s_barrier
	ds_read_b32 v215, v165
	v_cmp_lt_u32_e32 vcc, 48, v163
	s_and_saveexec_b64 s[2:3], vcc
	s_cbranch_execz .LBB107_268
; %bb.267:
	ds_read_b32 v220, v167 offset:196
	ds_read2_b64 v[216:219], v167 offset0:25 offset1:26
	s_waitcnt vmcnt(13) lgkmcnt(2)
	v_mul_f32_e32 v130, v215, v130
	s_waitcnt vmcnt(12) lgkmcnt(1)
	v_fma_f32 v131, -v130, v220, v131
	s_waitcnt vmcnt(10) lgkmcnt(0)
	v_pk_fma_f32 v[108:109], v[130:131], v[216:217], v[108:109] op_sel_hi:[0,1,1] neg_lo:[1,0,0] neg_hi:[1,0,0]
	s_waitcnt vmcnt(8)
	v_pk_fma_f32 v[152:153], v[130:131], v[218:219], v[152:153] op_sel_hi:[0,1,1] neg_lo:[1,0,0] neg_hi:[1,0,0]
.LBB107_268:
	s_or_b64 exec, exec, s[2:3]
	v_cmp_ne_u32_e32 vcc, 49, v163
	s_waitcnt lgkmcnt(0)
	s_barrier
	s_and_saveexec_b64 s[2:3], vcc
	s_xor_b64 s[2:3], exec, s[2:3]
	s_andn2_saveexec_b64 s[2:3], s[2:3]
	s_cbranch_execz .LBB107_272
; %bb.269:
	s_waitcnt vmcnt(12)
	ds_write_b32 v165, v131
	s_waitcnt vmcnt(8)
	ds_write2_b64 v167, v[108:109], v[152:153] offset0:25 offset1:26
	ds_read_b32 v216, v165
	s_waitcnt lgkmcnt(0)
	v_cmp_neq_f32_e32 vcc, 0, v216
	s_and_saveexec_b64 s[4:5], vcc
	s_cbranch_execz .LBB107_271
; %bb.270:
	v_div_scale_f32 v217, s[10:11], v216, v216, 1.0
	v_rcp_f32_e32 v218, v217
	v_div_scale_f32 v219, vcc, 1.0, v216, 1.0
	v_fma_f32 v220, -v217, v218, 1.0
	v_fmac_f32_e32 v218, v220, v218
	v_mul_f32_e32 v220, v219, v218
	v_fma_f32 v221, -v217, v220, v219
	v_fmac_f32_e32 v220, v221, v218
	v_fma_f32 v217, -v217, v220, v219
	v_div_fmas_f32 v217, v217, v218, v220
	v_div_fixup_f32 v216, v217, v216, 1.0
	ds_write_b32 v165, v216
.LBB107_271:
	s_or_b64 exec, exec, s[4:5]
.LBB107_272:
	s_or_b64 exec, exec, s[2:3]
	s_waitcnt lgkmcnt(0)
	s_barrier
	ds_read_b32 v216, v165
	v_cmp_lt_u32_e32 vcc, 49, v163
	s_and_saveexec_b64 s[2:3], vcc
	s_cbranch_execz .LBB107_274
; %bb.273:
	ds_read2_b64 v[218:221], v167 offset0:25 offset1:26
	s_waitcnt vmcnt(12) lgkmcnt(1)
	v_mul_f32_e32 v222, v216, v131
	v_mov_b32_e32 v131, v222
	s_waitcnt vmcnt(10) lgkmcnt(0)
	v_pk_fma_f32 v[108:109], v[222:223], v[218:219], v[108:109] op_sel_hi:[0,1,1] neg_lo:[1,0,0] neg_hi:[1,0,0]
	s_waitcnt vmcnt(8)
	v_pk_fma_f32 v[152:153], v[222:223], v[220:221], v[152:153] op_sel_hi:[0,1,1] neg_lo:[1,0,0] neg_hi:[1,0,0]
.LBB107_274:
	s_or_b64 exec, exec, s[2:3]
	v_cmp_eq_u32_e32 vcc, 50, v163
	s_waitcnt lgkmcnt(0)
	s_barrier
	s_and_saveexec_b64 s[2:3], vcc
	s_cbranch_execz .LBB107_277
; %bb.275:
	s_waitcnt vmcnt(8)
	v_pk_mov_b32 v[218:219], v[108:109], v[152:153] op_sel:[1,0]
	ds_write_b32 v165, v108
	ds_write2_b32 v167, v218, v219 offset0:51 offset1:52
	ds_write_b32 v167, v153 offset:212
	ds_read_b32 v217, v165
	s_waitcnt lgkmcnt(0)
	v_cmp_neq_f32_e32 vcc, 0, v217
	s_and_b64 exec, exec, vcc
	s_cbranch_execz .LBB107_277
; %bb.276:
	v_div_scale_f32 v218, s[4:5], v217, v217, 1.0
	v_rcp_f32_e32 v219, v218
	v_div_scale_f32 v220, vcc, 1.0, v217, 1.0
	v_fma_f32 v221, -v218, v219, 1.0
	v_fmac_f32_e32 v219, v221, v219
	v_mul_f32_e32 v221, v220, v219
	v_fma_f32 v222, -v218, v221, v220
	v_fmac_f32_e32 v221, v222, v219
	v_fma_f32 v218, -v218, v221, v220
	v_div_fmas_f32 v218, v218, v219, v221
	v_div_fixup_f32 v217, v218, v217, 1.0
	ds_write_b32 v165, v217
.LBB107_277:
	s_or_b64 exec, exec, s[2:3]
	s_waitcnt lgkmcnt(0)
	s_barrier
	ds_read_b32 v217, v165
	v_cmp_lt_u32_e32 vcc, 50, v163
	s_and_saveexec_b64 s[2:3], vcc
	s_cbranch_execz .LBB107_279
; %bb.278:
	ds_read_b32 v220, v167 offset:204
	ds_read_b64 v[218:219], v167 offset:208
	s_waitcnt vmcnt(11) lgkmcnt(2)
	v_mul_f32_e32 v108, v217, v108
	s_waitcnt vmcnt(10) lgkmcnt(1)
	v_fma_f32 v109, -v108, v220, v109
	s_waitcnt vmcnt(8) lgkmcnt(0)
	v_pk_fma_f32 v[152:153], v[108:109], v[218:219], v[152:153] op_sel_hi:[0,1,1] neg_lo:[1,0,0] neg_hi:[1,0,0]
.LBB107_279:
	s_or_b64 exec, exec, s[2:3]
	v_cmp_ne_u32_e32 vcc, 51, v163
	s_waitcnt lgkmcnt(0)
	s_barrier
	s_and_saveexec_b64 s[2:3], vcc
	s_xor_b64 s[2:3], exec, s[2:3]
	s_andn2_saveexec_b64 s[2:3], s[2:3]
	s_cbranch_execz .LBB107_283
; %bb.280:
	s_waitcnt vmcnt(10)
	ds_write_b32 v165, v109
	s_waitcnt vmcnt(8)
	ds_write_b64 v167, v[152:153] offset:208
	ds_read_b32 v218, v165
	s_waitcnt lgkmcnt(0)
	v_cmp_neq_f32_e32 vcc, 0, v218
	s_and_saveexec_b64 s[4:5], vcc
	s_cbranch_execz .LBB107_282
; %bb.281:
	v_div_scale_f32 v219, s[10:11], v218, v218, 1.0
	v_rcp_f32_e32 v220, v219
	v_div_scale_f32 v221, vcc, 1.0, v218, 1.0
	v_fma_f32 v222, -v219, v220, 1.0
	v_fmac_f32_e32 v220, v222, v220
	v_mul_f32_e32 v222, v221, v220
	v_fma_f32 v223, -v219, v222, v221
	v_fmac_f32_e32 v222, v223, v220
	v_fma_f32 v219, -v219, v222, v221
	v_div_fmas_f32 v219, v219, v220, v222
	v_div_fixup_f32 v218, v219, v218, 1.0
	ds_write_b32 v165, v218
.LBB107_282:
	s_or_b64 exec, exec, s[4:5]
.LBB107_283:
	s_or_b64 exec, exec, s[2:3]
	s_waitcnt lgkmcnt(0)
	s_barrier
	ds_read_b32 v218, v165
	v_cmp_lt_u32_e32 vcc, 51, v163
	s_and_saveexec_b64 s[2:3], vcc
	s_cbranch_execz .LBB107_285
; %bb.284:
	ds_read_b64 v[220:221], v167 offset:208
	s_waitcnt vmcnt(10) lgkmcnt(1)
	v_mul_f32_e32 v222, v218, v109
	v_mov_b32_e32 v109, v222
	s_waitcnt vmcnt(8) lgkmcnt(0)
	v_pk_fma_f32 v[152:153], v[222:223], v[220:221], v[152:153] op_sel_hi:[0,1,1] neg_lo:[1,0,0] neg_hi:[1,0,0]
.LBB107_285:
	s_or_b64 exec, exec, s[2:3]
	v_cmp_eq_u32_e32 vcc, 52, v163
	s_waitcnt lgkmcnt(0)
	s_barrier
	s_and_saveexec_b64 s[2:3], vcc
	s_cbranch_execz .LBB107_288
; %bb.286:
	s_waitcnt vmcnt(9)
	ds_write_b32 v165, v152
	s_waitcnt vmcnt(8)
	ds_write_b32 v167, v153 offset:212
	ds_read_b32 v219, v165
	s_waitcnt lgkmcnt(0)
	v_cmp_neq_f32_e32 vcc, 0, v219
	s_and_b64 exec, exec, vcc
	s_cbranch_execz .LBB107_288
; %bb.287:
	v_div_scale_f32 v220, s[4:5], v219, v219, 1.0
	v_rcp_f32_e32 v221, v220
	v_div_scale_f32 v222, vcc, 1.0, v219, 1.0
	v_fma_f32 v223, -v220, v221, 1.0
	v_fmac_f32_e32 v221, v223, v221
	v_mul_f32_e32 v223, v222, v221
	v_fma_f32 v224, -v220, v223, v222
	v_fmac_f32_e32 v223, v224, v221
	v_fma_f32 v220, -v220, v223, v222
	v_div_fmas_f32 v220, v220, v221, v223
	v_div_fixup_f32 v219, v220, v219, 1.0
	ds_write_b32 v165, v219
.LBB107_288:
	s_or_b64 exec, exec, s[2:3]
	s_waitcnt lgkmcnt(0)
	s_barrier
	ds_read_b32 v219, v165
	v_cmp_lt_u32_e32 vcc, 52, v163
	s_and_saveexec_b64 s[2:3], vcc
	s_cbranch_execz .LBB107_290
; %bb.289:
	ds_read_b32 v167, v167 offset:212
	s_waitcnt vmcnt(9) lgkmcnt(1)
	v_mul_f32_e32 v152, v219, v152
	s_waitcnt vmcnt(8) lgkmcnt(0)
	v_fma_f32 v153, -v152, v167, v153
.LBB107_290:
	s_or_b64 exec, exec, s[2:3]
	v_cmp_ne_u32_e32 vcc, 53, v163
	s_waitcnt lgkmcnt(0)
	s_barrier
	s_and_saveexec_b64 s[2:3], vcc
	s_xor_b64 s[2:3], exec, s[2:3]
	s_andn2_saveexec_b64 s[2:3], s[2:3]
	s_cbranch_execz .LBB107_294
; %bb.291:
	s_waitcnt vmcnt(8)
	v_cmp_neq_f32_e32 vcc, 0, v153
	ds_write_b32 v165, v153
	s_and_saveexec_b64 s[4:5], vcc
	s_cbranch_execz .LBB107_293
; %bb.292:
	v_div_scale_f32 v167, s[10:11], v153, v153, 1.0
	v_rcp_f32_e32 v220, v167
	v_div_scale_f32 v221, vcc, 1.0, v153, 1.0
	v_fma_f32 v222, -v167, v220, 1.0
	v_fmac_f32_e32 v220, v222, v220
	v_mul_f32_e32 v222, v221, v220
	v_fma_f32 v223, -v167, v222, v221
	v_fmac_f32_e32 v222, v223, v220
	v_fma_f32 v167, -v167, v222, v221
	v_div_fmas_f32 v167, v167, v220, v222
	v_div_fixup_f32 v167, v167, v153, 1.0
	ds_write_b32 v165, v167
.LBB107_293:
	s_or_b64 exec, exec, s[4:5]
.LBB107_294:
	s_or_b64 exec, exec, s[2:3]
	s_waitcnt lgkmcnt(0)
	s_barrier
	ds_read_b32 v165, v165
	s_waitcnt lgkmcnt(0)
	s_barrier
	s_and_saveexec_b64 s[2:3], s[0:1]
	s_cbranch_execz .LBB107_297
; %bb.295:
	v_cmp_eq_f32_e32 vcc, 0, v166
	v_cmp_neq_f32_e64 s[0:1], 0, v168
	v_mov_b32_e32 v167, s7
	v_cndmask_b32_e64 v166, 0, 1, vcc
	s_or_b64 vcc, s[0:1], vcc
	v_cndmask_b32_e32 v166, 2, v166, vcc
	v_cmp_eq_f32_e32 vcc, 0, v169
	v_cmp_eq_u32_e64 s[0:1], 0, v166
	s_and_b64 s[0:1], vcc, s[0:1]
	v_cmp_eq_f32_e32 vcc, 0, v170
	v_cndmask_b32_e64 v166, v166, 3, s[0:1]
	v_cmp_eq_u32_e64 s[0:1], 0, v166
	s_and_b64 s[0:1], vcc, s[0:1]
	v_cmp_eq_f32_e32 vcc, 0, v171
	v_cndmask_b32_e64 v166, v166, 4, s[0:1]
	;; [unrolled: 4-line block ×32, first 2 shown]
	v_mov_b32_e32 v166, s6
	v_lshl_add_u64 v[24:25], v[24:25], 2, v[166:167]
	global_load_dword v167, v[24:25], off
	v_cmp_eq_u32_e64 s[0:1], 0, v168
	s_and_b64 s[0:1], vcc, s[0:1]
	v_cmp_eq_f32_e32 vcc, 0, v202
	v_cndmask_b32_e64 v166, v168, 35, s[0:1]
	v_cmp_eq_u32_e64 s[0:1], 0, v166
	s_and_b64 s[0:1], vcc, s[0:1]
	v_cmp_eq_f32_e32 vcc, 0, v203
	v_cndmask_b32_e64 v166, v166, 36, s[0:1]
	;; [unrolled: 4-line block ×19, first 2 shown]
	v_cmp_eq_u32_e64 s[0:1], 0, v166
	s_and_b64 s[0:1], vcc, s[0:1]
	s_waitcnt vmcnt(0)
	v_cmp_eq_u32_e32 vcc, 0, v167
	v_cndmask_b32_e64 v166, v166, 54, s[0:1]
	v_cmp_ne_u32_e64 s[0:1], 0, v166
	s_and_b64 s[0:1], vcc, s[0:1]
	s_and_b64 exec, exec, s[0:1]
	s_cbranch_execz .LBB107_297
; %bb.296:
	v_add_u32_e32 v166, s9, v166
	global_store_dword v[24:25], v166, off
.LBB107_297:
	s_or_b64 exec, exec, s[2:3]
	s_waitcnt vmcnt(8)
	v_mul_f32_e32 v24, v165, v153
	v_cmp_lt_u32_e32 vcc, 53, v163
	s_nop 1
	v_cndmask_b32_e32 v24, v153, v24, vcc
	s_waitcnt vmcnt(1)
	global_store_dword v[0:1], v162, off
	s_waitcnt vmcnt(1)
	global_store_dword v[160:161], v164, off
	global_store_dword v[2:3], v156, off
	;; [unrolled: 1-line block ×53, first 2 shown]
.LBB107_298:
	s_endpgm
	.section	.rodata,"a",@progbits
	.p2align	6, 0x0
	.amdhsa_kernel _ZN9rocsolver6v33100L23getf2_npvt_small_kernelILi54EfiiPfEEvT1_T3_lS3_lPT2_S3_S3_
		.amdhsa_group_segment_fixed_size 0
		.amdhsa_private_segment_fixed_size 0
		.amdhsa_kernarg_size 312
		.amdhsa_user_sgpr_count 2
		.amdhsa_user_sgpr_dispatch_ptr 0
		.amdhsa_user_sgpr_queue_ptr 0
		.amdhsa_user_sgpr_kernarg_segment_ptr 1
		.amdhsa_user_sgpr_dispatch_id 0
		.amdhsa_user_sgpr_kernarg_preload_length 0
		.amdhsa_user_sgpr_kernarg_preload_offset 0
		.amdhsa_user_sgpr_private_segment_size 0
		.amdhsa_uses_dynamic_stack 0
		.amdhsa_enable_private_segment 0
		.amdhsa_system_sgpr_workgroup_id_x 1
		.amdhsa_system_sgpr_workgroup_id_y 1
		.amdhsa_system_sgpr_workgroup_id_z 0
		.amdhsa_system_sgpr_workgroup_info 0
		.amdhsa_system_vgpr_workitem_id 1
		.amdhsa_next_free_vgpr 225
		.amdhsa_next_free_sgpr 16
		.amdhsa_accum_offset 228
		.amdhsa_reserve_vcc 1
		.amdhsa_float_round_mode_32 0
		.amdhsa_float_round_mode_16_64 0
		.amdhsa_float_denorm_mode_32 3
		.amdhsa_float_denorm_mode_16_64 3
		.amdhsa_dx10_clamp 1
		.amdhsa_ieee_mode 1
		.amdhsa_fp16_overflow 0
		.amdhsa_tg_split 0
		.amdhsa_exception_fp_ieee_invalid_op 0
		.amdhsa_exception_fp_denorm_src 0
		.amdhsa_exception_fp_ieee_div_zero 0
		.amdhsa_exception_fp_ieee_overflow 0
		.amdhsa_exception_fp_ieee_underflow 0
		.amdhsa_exception_fp_ieee_inexact 0
		.amdhsa_exception_int_div_zero 0
	.end_amdhsa_kernel
	.section	.text._ZN9rocsolver6v33100L23getf2_npvt_small_kernelILi54EfiiPfEEvT1_T3_lS3_lPT2_S3_S3_,"axG",@progbits,_ZN9rocsolver6v33100L23getf2_npvt_small_kernelILi54EfiiPfEEvT1_T3_lS3_lPT2_S3_S3_,comdat
.Lfunc_end107:
	.size	_ZN9rocsolver6v33100L23getf2_npvt_small_kernelILi54EfiiPfEEvT1_T3_lS3_lPT2_S3_S3_, .Lfunc_end107-_ZN9rocsolver6v33100L23getf2_npvt_small_kernelILi54EfiiPfEEvT1_T3_lS3_lPT2_S3_S3_
                                        ; -- End function
	.set _ZN9rocsolver6v33100L23getf2_npvt_small_kernelILi54EfiiPfEEvT1_T3_lS3_lPT2_S3_S3_.num_vgpr, 225
	.set _ZN9rocsolver6v33100L23getf2_npvt_small_kernelILi54EfiiPfEEvT1_T3_lS3_lPT2_S3_S3_.num_agpr, 0
	.set _ZN9rocsolver6v33100L23getf2_npvt_small_kernelILi54EfiiPfEEvT1_T3_lS3_lPT2_S3_S3_.numbered_sgpr, 16
	.set _ZN9rocsolver6v33100L23getf2_npvt_small_kernelILi54EfiiPfEEvT1_T3_lS3_lPT2_S3_S3_.num_named_barrier, 0
	.set _ZN9rocsolver6v33100L23getf2_npvt_small_kernelILi54EfiiPfEEvT1_T3_lS3_lPT2_S3_S3_.private_seg_size, 0
	.set _ZN9rocsolver6v33100L23getf2_npvt_small_kernelILi54EfiiPfEEvT1_T3_lS3_lPT2_S3_S3_.uses_vcc, 1
	.set _ZN9rocsolver6v33100L23getf2_npvt_small_kernelILi54EfiiPfEEvT1_T3_lS3_lPT2_S3_S3_.uses_flat_scratch, 0
	.set _ZN9rocsolver6v33100L23getf2_npvt_small_kernelILi54EfiiPfEEvT1_T3_lS3_lPT2_S3_S3_.has_dyn_sized_stack, 0
	.set _ZN9rocsolver6v33100L23getf2_npvt_small_kernelILi54EfiiPfEEvT1_T3_lS3_lPT2_S3_S3_.has_recursion, 0
	.set _ZN9rocsolver6v33100L23getf2_npvt_small_kernelILi54EfiiPfEEvT1_T3_lS3_lPT2_S3_S3_.has_indirect_call, 0
	.section	.AMDGPU.csdata,"",@progbits
; Kernel info:
; codeLenInByte = 35324
; TotalNumSgprs: 22
; NumVgprs: 225
; NumAgprs: 0
; TotalNumVgprs: 225
; ScratchSize: 0
; MemoryBound: 0
; FloatMode: 240
; IeeeMode: 1
; LDSByteSize: 0 bytes/workgroup (compile time only)
; SGPRBlocks: 2
; VGPRBlocks: 28
; NumSGPRsForWavesPerEU: 22
; NumVGPRsForWavesPerEU: 225
; AccumOffset: 228
; Occupancy: 2
; WaveLimiterHint : 0
; COMPUTE_PGM_RSRC2:SCRATCH_EN: 0
; COMPUTE_PGM_RSRC2:USER_SGPR: 2
; COMPUTE_PGM_RSRC2:TRAP_HANDLER: 0
; COMPUTE_PGM_RSRC2:TGID_X_EN: 1
; COMPUTE_PGM_RSRC2:TGID_Y_EN: 1
; COMPUTE_PGM_RSRC2:TGID_Z_EN: 0
; COMPUTE_PGM_RSRC2:TIDIG_COMP_CNT: 1
; COMPUTE_PGM_RSRC3_GFX90A:ACCUM_OFFSET: 56
; COMPUTE_PGM_RSRC3_GFX90A:TG_SPLIT: 0
	.section	.text._ZN9rocsolver6v33100L18getf2_small_kernelILi55EfiiPfEEvT1_T3_lS3_lPS3_llPT2_S3_S3_S5_l,"axG",@progbits,_ZN9rocsolver6v33100L18getf2_small_kernelILi55EfiiPfEEvT1_T3_lS3_lPS3_llPT2_S3_S3_S5_l,comdat
	.globl	_ZN9rocsolver6v33100L18getf2_small_kernelILi55EfiiPfEEvT1_T3_lS3_lPS3_llPT2_S3_S3_S5_l ; -- Begin function _ZN9rocsolver6v33100L18getf2_small_kernelILi55EfiiPfEEvT1_T3_lS3_lPS3_llPT2_S3_S3_S5_l
	.p2align	8
	.type	_ZN9rocsolver6v33100L18getf2_small_kernelILi55EfiiPfEEvT1_T3_lS3_lPS3_llPT2_S3_S3_S5_l,@function
_ZN9rocsolver6v33100L18getf2_small_kernelILi55EfiiPfEEvT1_T3_lS3_lPS3_llPT2_S3_S3_S5_l: ; @_ZN9rocsolver6v33100L18getf2_small_kernelILi55EfiiPfEEvT1_T3_lS3_lPS3_llPT2_S3_S3_S5_l
; %bb.0:
	s_load_dword s2, s[0:1], 0x6c
	s_load_dwordx2 s[18:19], s[0:1], 0x48
	v_bfe_u32 v61, v0, 10, 10
	s_waitcnt lgkmcnt(0)
	s_lshr_b32 s2, s2, 16
	s_mul_i32 s3, s3, s2
	v_add_u32_e32 v2, s3, v61
	v_cmp_gt_i32_e32 vcc, s18, v2
	s_and_saveexec_b64 s[2:3], vcc
	s_cbranch_execz .LBB108_932
; %bb.1:
	s_load_dwordx4 s[4:7], s[0:1], 0x50
	v_ashrrev_i32_e32 v3, 31, v2
	v_mov_b64_e32 v[4:5], 0
	s_waitcnt lgkmcnt(0)
	s_cmp_eq_u64 s[4:5], 0
	s_cselect_b64 s[20:21], -1, 0
	s_and_b64 vcc, exec, s[20:21]
	s_cbranch_vccnz .LBB108_3
; %bb.2:
	v_mul_lo_u32 v1, s7, v2
	v_mul_lo_u32 v6, s6, v3
	v_mad_u64_u32 v[4:5], s[2:3], s6, v2, 0
	v_add3_u32 v5, v5, v6, v1
	v_lshl_add_u64 v[4:5], v[4:5], 2, s[4:5]
.LBB108_3:
	s_load_dwordx4 s[12:15], s[0:1], 0x8
	s_load_dwordx8 s[4:11], s[0:1], 0x20
	s_load_dword s16, s[0:1], 0x18
	s_load_dword s22, s[0:1], 0x0
	v_and_b32_e32 v66, 0x3ff, v0
	s_waitcnt lgkmcnt(0)
	v_mov_b32_e32 v6, s12
	v_mul_lo_u32 v1, s5, v2
	v_mul_lo_u32 v10, s4, v3
	v_mad_u64_u32 v[8:9], s[2:3], s4, v2, 0
	v_mov_b32_e32 v7, s13
	v_add3_u32 v9, v9, v10, v1
	s_add_i32 s18, s16, s16
	v_lshl_add_u64 v[6:7], v[8:9], 2, v[6:7]
	v_add_u32_e32 v8, s18, v66
	v_lshl_add_u64 v[6:7], s[14:15], 2, v[6:7]
	v_ashrrev_i32_e32 v9, 31, v8
	v_lshl_add_u64 v[10:11], v[8:9], 2, v[6:7]
	v_add_u32_e32 v8, s16, v8
	v_ashrrev_i32_e32 v9, 31, v8
	v_lshl_add_u64 v[12:13], v[8:9], 2, v[6:7]
	v_add_u32_e32 v8, s16, v8
	v_add_u32_e32 v52, s16, v8
	;; [unrolled: 1-line block ×10, first 2 shown]
	v_lshlrev_b32_e32 v62, 2, v66
	v_mov_b32_e32 v63, 0
	v_add_u32_e32 v76, s16, v74
	v_lshl_add_u64 v[50:51], v[6:7], 0, v[62:63]
	s_ashr_i32 s17, s16, 31
	v_add_u32_e32 v78, s16, v76
	v_lshl_add_u64 v[0:1], s[16:17], 2, v[50:51]
	v_ashrrev_i32_e32 v9, 31, v8
	v_add_u32_e32 v48, s16, v78
	v_lshl_add_u64 v[14:15], v[8:9], 2, v[6:7]
	global_load_dword v46, v[0:1], off
	global_load_dword v47, v[10:11], off
	global_load_dword v44, v[12:13], off
	global_load_dword v45, v[14:15], off
	v_add_u32_e32 v0, s16, v48
	v_ashrrev_i32_e32 v1, 31, v0
	v_lshl_add_u64 v[8:9], v[0:1], 2, v[6:7]
	v_add_u32_e32 v0, s16, v0
	v_ashrrev_i32_e32 v1, 31, v0
	v_lshl_add_u64 v[10:11], v[0:1], 2, v[6:7]
	;; [unrolled: 3-line block ×7, first 2 shown]
	v_add_u32_e32 v0, s16, v0
	v_ashrrev_i32_e32 v1, 31, v0
	global_load_dword v42, v[8:9], off
	global_load_dword v43, v[10:11], off
	;; [unrolled: 1-line block ×7, first 2 shown]
	v_lshl_add_u64 v[8:9], v[0:1], 2, v[6:7]
	v_add_u32_e32 v0, s16, v0
	v_ashrrev_i32_e32 v1, 31, v0
	v_lshl_add_u64 v[10:11], v[0:1], 2, v[6:7]
	v_add_u32_e32 v0, s16, v0
	v_ashrrev_i32_e32 v1, 31, v0
	;; [unrolled: 3-line block ×8, first 2 shown]
	global_load_dword v27, v[8:9], off
	global_load_dword v40, v[10:11], off
	;; [unrolled: 1-line block ×8, first 2 shown]
	v_lshl_add_u64 v[8:9], v[0:1], 2, v[6:7]
	v_add_u32_e32 v0, s16, v0
	v_ashrrev_i32_e32 v1, 31, v0
	v_lshl_add_u64 v[10:11], v[0:1], 2, v[6:7]
	v_add_u32_e32 v0, s16, v0
	v_ashrrev_i32_e32 v1, 31, v0
	;; [unrolled: 3-line block ×8, first 2 shown]
	global_load_dword v21, v[8:9], off
	global_load_dword v36, v[10:11], off
	;; [unrolled: 1-line block ×8, first 2 shown]
	v_lshl_add_u64 v[8:9], v[0:1], 2, v[6:7]
	v_add_u32_e32 v0, s16, v0
	v_ashrrev_i32_e32 v1, 31, v0
	v_lshl_add_u64 v[10:11], v[0:1], 2, v[6:7]
	v_add_u32_e32 v0, s16, v0
	v_ashrrev_i32_e32 v1, 31, v0
	;; [unrolled: 3-line block ×3, first 2 shown]
	global_load_dword v15, v[8:9], off
	global_load_dword v18, v[10:11], off
	;; [unrolled: 1-line block ×3, first 2 shown]
	v_lshl_add_u64 v[10:11], v[0:1], 2, v[6:7]
	v_add_u32_e32 v0, s16, v0
	v_ashrrev_i32_e32 v1, 31, v0
	v_lshl_add_u64 v[12:13], v[0:1], 2, v[6:7]
	v_add_u32_e32 v0, s16, v0
	v_ashrrev_i32_e32 v1, 31, v0
	;; [unrolled: 3-line block ×5, first 2 shown]
	global_load_dword v24, v[10:11], off
	global_load_dword v25, v[12:13], off
	;; [unrolled: 1-line block ×5, first 2 shown]
	v_lshl_add_u64 v[10:11], v[0:1], 2, v[6:7]
	v_add_u32_e32 v0, s16, v0
	v_ashrrev_i32_e32 v1, 31, v0
	v_lshl_add_u64 v[12:13], v[0:1], 2, v[6:7]
	v_add_u32_e32 v0, s16, v0
	v_ashrrev_i32_e32 v1, 31, v0
	global_load_dword v9, v[10:11], off
	v_lshl_add_u64 v[80:81], v[0:1], 2, v[6:7]
	global_load_dword v10, v[12:13], off
	global_load_dword v11, v[80:81], off
	v_add_u32_e32 v12, s16, v0
	v_ashrrev_i32_e32 v13, 31, v12
	v_lshl_add_u64 v[0:1], v[12:13], 2, v[6:7]
	v_add_u32_e32 v12, s16, v12
	v_ashrrev_i32_e32 v13, 31, v12
	v_lshl_add_u64 v[80:81], v[12:13], 2, v[6:7]
	v_add_u32_e32 v12, s16, v12
	v_ashrrev_i32_e32 v13, 31, v12
	global_load_dword v0, v[0:1], off
	v_ashrrev_i32_e32 v49, 31, v48
	global_load_dword v1, v[80:81], off
	v_lshl_add_u64 v[80:81], v[12:13], 2, v[6:7]
	v_add_u32_e32 v12, s16, v12
	v_ashrrev_i32_e32 v13, 31, v12
	v_ashrrev_i32_e32 v53, 31, v52
	;; [unrolled: 1-line block ×4, first 2 shown]
	v_lshl_add_u64 v[82:83], v[12:13], 2, v[6:7]
	global_load_dword v12, v[80:81], off
	global_load_dword v13, v[82:83], off
	v_lshl_add_u64 v[48:49], v[48:49], 2, v[6:7]
	v_lshl_add_u64 v[52:53], v[52:53], 2, v[6:7]
	;; [unrolled: 1-line block ×4, first 2 shown]
	v_ashrrev_i32_e32 v69, 31, v68
	v_ashrrev_i32_e32 v71, 31, v70
	;; [unrolled: 1-line block ×8, first 2 shown]
	global_load_dword v49, v[48:49], off
	v_lshl_add_u64 v[68:69], v[68:69], 2, v[6:7]
	v_lshl_add_u64 v[70:71], v[70:71], 2, v[6:7]
	;; [unrolled: 1-line block ×7, first 2 shown]
	global_load_dword v58, v[52:53], off
	global_load_dword v59, v[54:55], off
	;; [unrolled: 1-line block ×4, first 2 shown]
	v_lshl_add_u64 v[64:65], v[64:65], 2, v[6:7]
	global_load_dword v54, v[80:81], off
	global_load_dword v55, v[68:69], off
	;; [unrolled: 1-line block ×7, first 2 shown]
                                        ; kill: killed $vgpr80_vgpr81
                                        ; kill: killed $vgpr68_vgpr69
                                        ; kill: killed $vgpr70_vgpr71
                                        ; kill: killed $vgpr72_vgpr73
                                        ; kill: killed $vgpr74_vgpr75
                                        ; kill: killed $vgpr76_vgpr77
                                        ; kill: killed $vgpr78_vgpr79
	global_load_dword v57, v[64:65], off
	s_max_i32 s2, s22, 55
	v_mul_lo_u32 v64, s2, v61
	v_lshl_add_u32 v61, v64, 2, 0
	v_add_u32_e32 v62, v61, v62
	s_load_dwordx2 s[4:5], s[0:1], 0x40
	s_cmp_lt_i32 s22, 2
	v_lshlrev_b32_e32 v64, 2, v64
	s_waitcnt vmcnt(8)
	ds_write_b32 v62, v60
	s_waitcnt lgkmcnt(0)
	s_barrier
	ds_read_b32 v62, v61
	s_cbranch_scc1 .LBB108_6
; %bb.4:
	v_add3_u32 v65, v64, 0, 4
	v_mov_b32_e32 v63, 0
	s_mov_b32 s0, 1
.LBB108_5:                              ; =>This Inner Loop Header: Depth=1
	ds_read_b32 v67, v65
	v_mov_b32_e32 v68, s0
	s_add_i32 s0, s0, 1
	v_add_u32_e32 v65, 4, v65
	s_cmp_eq_u32 s22, s0
	s_waitcnt lgkmcnt(0)
	v_cmp_lt_f32_e64 vcc, |v62|, |v67|
	s_nop 1
	v_cndmask_b32_e32 v62, v62, v67, vcc
	v_cndmask_b32_e32 v63, v63, v68, vcc
	s_cbranch_scc0 .LBB108_5
.LBB108_6:
	v_cmp_ne_u32_e32 vcc, v66, v63
                                        ; implicit-def: $vgpr65
	s_and_saveexec_b64 s[0:1], vcc
	s_xor_b64 s[0:1], exec, s[0:1]
	s_cbranch_execz .LBB108_12
; %bb.7:
	v_cmp_eq_u32_e32 vcc, 0, v66
	s_and_saveexec_b64 s[2:3], vcc
	s_cbranch_execz .LBB108_11
; %bb.8:
	v_cmp_ne_u32_e32 vcc, 0, v63
	s_xor_b64 s[12:13], s[20:21], -1
	s_and_b64 s[14:15], s[12:13], vcc
	s_and_saveexec_b64 s[12:13], s[14:15]
	s_cbranch_execz .LBB108_10
; %bb.9:
	v_ashrrev_i32_e32 v67, 31, v63
	v_mov_b32_e32 v66, v63
	v_lshl_add_u64 v[66:67], v[66:67], 2, v[4:5]
	global_load_dword v65, v[66:67], off
	global_load_dword v68, v[4:5], off
	s_waitcnt vmcnt(1)
	global_store_dword v[4:5], v65, off
	s_waitcnt vmcnt(1)
	global_store_dword v[66:67], v68, off
.LBB108_10:
	s_or_b64 exec, exec, s[12:13]
	v_mov_b32_e32 v66, v63
.LBB108_11:
	s_or_b64 exec, exec, s[2:3]
	v_mov_b32_e32 v65, v66
                                        ; implicit-def: $vgpr66
.LBB108_12:
	s_or_saveexec_b64 s[0:1], s[0:1]
	v_mov_b32_e32 v63, v65
	s_xor_b64 exec, exec, s[0:1]
	s_cbranch_execz .LBB108_14
; %bb.13:
	v_mov_b32_e32 v65, 0
	v_mov_b32_e32 v63, v66
	ds_write2_b32 v61, v46, v47 offset0:1 offset1:2
	ds_write2_b32 v61, v44, v45 offset0:3 offset1:4
	;; [unrolled: 1-line block ×3, first 2 shown]
	s_waitcnt vmcnt(0)
	ds_write2_b32 v61, v56, v57 offset0:7 offset1:8
	ds_write2_b32 v61, v54, v55 offset0:9 offset1:10
	;; [unrolled: 1-line block ×24, first 2 shown]
.LBB108_14:
	s_or_b64 exec, exec, s[0:1]
	s_waitcnt lgkmcnt(0)
	v_cmp_eq_f32_e64 s[0:1], 0, v62
	v_cmp_lt_i32_e32 vcc, 0, v65
	s_barrier
	s_and_saveexec_b64 s[2:3], vcc
	s_cbranch_execz .LBB108_16
; %bb.15:
	v_div_scale_f32 v66, s[12:13], v62, v62, 1.0
	v_rcp_f32_e32 v67, v66
	v_div_scale_f32 v68, vcc, 1.0, v62, 1.0
	v_fma_f32 v69, -v66, v67, 1.0
	v_fmac_f32_e32 v67, v69, v67
	v_mul_f32_e32 v69, v68, v67
	v_fma_f32 v70, -v66, v69, v68
	v_fmac_f32_e32 v69, v70, v67
	v_fma_f32 v66, -v66, v69, v68
	v_div_fmas_f32 v66, v66, v67, v69
	v_div_fixup_f32 v66, v66, v62, 1.0
	v_cndmask_b32_e64 v62, v66, v62, s[0:1]
	ds_read2_b32 v[66:67], v61 offset0:1 offset1:2
	ds_read2_b32 v[68:69], v61 offset0:3 offset1:4
	;; [unrolled: 1-line block ×3, first 2 shown]
	v_mul_f32_e32 v60, v62, v60
	ds_read2_b32 v[72:73], v61 offset0:7 offset1:8
	s_waitcnt lgkmcnt(3)
	v_pk_fma_f32 v[46:47], v[60:61], v[66:67], v[46:47] op_sel_hi:[0,1,1] neg_lo:[1,0,0] neg_hi:[1,0,0]
	s_waitcnt lgkmcnt(2)
	v_pk_fma_f32 v[44:45], v[60:61], v[68:69], v[44:45] op_sel_hi:[0,1,1] neg_lo:[1,0,0] neg_hi:[1,0,0]
	;; [unrolled: 2-line block ×3, first 2 shown]
	ds_read2_b32 v[66:67], v61 offset0:9 offset1:10
	ds_read2_b32 v[68:69], v61 offset0:11 offset1:12
	;; [unrolled: 1-line block ×3, first 2 shown]
	s_waitcnt vmcnt(0) lgkmcnt(3)
	v_pk_fma_f32 v[56:57], v[60:61], v[72:73], v[56:57] op_sel_hi:[0,1,1] neg_lo:[1,0,0] neg_hi:[1,0,0]
	ds_read2_b32 v[72:73], v61 offset0:15 offset1:16
	s_waitcnt lgkmcnt(3)
	v_pk_fma_f32 v[54:55], v[60:61], v[66:67], v[54:55] op_sel_hi:[0,1,1] neg_lo:[1,0,0] neg_hi:[1,0,0]
	s_waitcnt lgkmcnt(2)
	v_pk_fma_f32 v[52:53], v[60:61], v[68:69], v[52:53] op_sel_hi:[0,1,1] neg_lo:[1,0,0] neg_hi:[1,0,0]
	s_waitcnt lgkmcnt(1)
	v_pk_fma_f32 v[50:51], v[60:61], v[70:71], v[50:51] op_sel_hi:[0,1,1] neg_lo:[1,0,0] neg_hi:[1,0,0]
	ds_read2_b32 v[66:67], v61 offset0:17 offset1:18
	ds_read2_b32 v[68:69], v61 offset0:19 offset1:20
	ds_read2_b32 v[70:71], v61 offset0:21 offset1:22
	s_waitcnt lgkmcnt(3)
	v_pk_fma_f32 v[48:49], v[60:61], v[72:73], v[48:49] op_sel_hi:[0,1,1] neg_lo:[1,0,0] neg_hi:[1,0,0]
	ds_read2_b32 v[72:73], v61 offset0:23 offset1:24
	s_waitcnt lgkmcnt(3)
	v_pk_fma_f32 v[42:43], v[60:61], v[66:67], v[42:43] op_sel_hi:[0,1,1] neg_lo:[1,0,0] neg_hi:[1,0,0]
	s_waitcnt lgkmcnt(2)
	v_pk_fma_f32 v[38:39], v[60:61], v[68:69], v[38:39] op_sel_hi:[0,1,1] neg_lo:[1,0,0] neg_hi:[1,0,0]
	s_waitcnt lgkmcnt(1)
	v_pk_fma_f32 v[32:33], v[60:61], v[70:71], v[32:33] op_sel_hi:[0,1,1] neg_lo:[1,0,0] neg_hi:[1,0,0]
	ds_read2_b32 v[66:67], v61 offset0:25 offset1:26
	ds_read2_b32 v[68:69], v61 offset0:27 offset1:28
	ds_read2_b32 v[70:71], v61 offset0:29 offset1:30
	s_waitcnt lgkmcnt(3)
	;; [unrolled: 12-line block ×3, first 2 shown]
	v_pk_fma_f32 v[20:21], v[60:61], v[72:73], v[20:21] op_sel_hi:[0,1,1] neg_lo:[1,0,0] neg_hi:[1,0,0]
	ds_read2_b32 v[72:73], v61 offset0:39 offset1:40
	s_waitcnt lgkmcnt(3)
	v_pk_fma_f32 v[36:37], v[60:61], v[66:67], v[36:37] op_sel_hi:[0,1,1] neg_lo:[1,0,0] neg_hi:[1,0,0]
	s_waitcnt lgkmcnt(2)
	v_pk_fma_f32 v[30:31], v[60:61], v[68:69], v[30:31] op_sel_hi:[0,1,1] neg_lo:[1,0,0] neg_hi:[1,0,0]
	ds_read2_b32 v[66:67], v61 offset0:41 offset1:42
	ds_read2_b32 v[68:69], v61 offset0:43 offset1:44
	s_waitcnt lgkmcnt(3)
	v_pk_fma_f32 v[22:23], v[60:61], v[70:71], v[22:23] op_sel_hi:[0,1,1] neg_lo:[1,0,0] neg_hi:[1,0,0]
	s_waitcnt lgkmcnt(2)
	v_pk_fma_f32 v[14:15], v[60:61], v[72:73], v[14:15] op_sel_hi:[0,1,1] neg_lo:[1,0,0] neg_hi:[1,0,0]
	ds_read2_b32 v[70:71], v61 offset0:45 offset1:46
	;; [unrolled: 6-line block ×3, first 2 shown]
	ds_read2_b32 v[68:69], v61 offset0:51 offset1:52
	ds_read2_b32 v[74:75], v61 offset0:53 offset1:54
	s_waitcnt lgkmcnt(4)
	v_pk_fma_f32 v[16:17], v[60:61], v[70:71], v[16:17] op_sel_hi:[0,1,1] neg_lo:[1,0,0] neg_hi:[1,0,0]
	s_waitcnt lgkmcnt(3)
	v_pk_fma_f32 v[8:9], v[60:61], v[72:73], v[8:9] op_sel_hi:[0,1,1] neg_lo:[1,0,0] neg_hi:[1,0,0]
	;; [unrolled: 2-line block ×5, first 2 shown]
.LBB108_16:
	s_or_b64 exec, exec, s[2:3]
	v_lshl_add_u32 v62, v65, 2, v61
	s_barrier
	ds_write_b32 v62, v46
	s_waitcnt lgkmcnt(0)
	s_barrier
	ds_read_b32 v66, v61 offset:4
	s_mov_b32 s2, 2
	s_cmp_lt_i32 s22, 3
	v_mov_b32_e32 v62, 1
	s_cbranch_scc1 .LBB108_19
; %bb.17:
	v_add3_u32 v67, v64, 0, 8
	v_mov_b32_e32 v62, 1
.LBB108_18:                             ; =>This Inner Loop Header: Depth=1
	ds_read_b32 v68, v67
	v_mov_b32_e32 v69, s2
	s_add_i32 s2, s2, 1
	v_add_u32_e32 v67, 4, v67
	s_cmp_lg_u32 s22, s2
	s_waitcnt lgkmcnt(0)
	v_cmp_lt_f32_e64 vcc, |v66|, |v68|
	s_nop 1
	v_cndmask_b32_e32 v66, v66, v68, vcc
	v_cndmask_b32_e32 v62, v62, v69, vcc
	s_cbranch_scc1 .LBB108_18
.LBB108_19:
	v_cmp_ne_u32_e32 vcc, v65, v62
	s_and_saveexec_b64 s[2:3], vcc
	s_xor_b64 s[2:3], exec, s[2:3]
	s_cbranch_execz .LBB108_25
; %bb.20:
	v_cmp_eq_u32_e32 vcc, 1, v65
	s_and_saveexec_b64 s[12:13], vcc
	s_cbranch_execz .LBB108_24
; %bb.21:
	v_cmp_ne_u32_e32 vcc, 1, v62
	s_xor_b64 s[14:15], s[20:21], -1
	s_and_b64 s[24:25], s[14:15], vcc
	s_and_saveexec_b64 s[14:15], s[24:25]
	s_cbranch_execz .LBB108_23
; %bb.22:
	v_ashrrev_i32_e32 v63, 31, v62
	v_lshl_add_u64 v[68:69], v[62:63], 2, v[4:5]
	global_load_dword v63, v[68:69], off
	global_load_dword v65, v[4:5], off offset:4
	s_waitcnt vmcnt(1)
	global_store_dword v[4:5], v63, off offset:4
	s_waitcnt vmcnt(1)
	global_store_dword v[68:69], v65, off
.LBB108_23:
	s_or_b64 exec, exec, s[14:15]
	v_mov_b32_e32 v63, v62
	v_mov_b32_e32 v65, v62
.LBB108_24:
	s_or_b64 exec, exec, s[12:13]
.LBB108_25:
	s_andn2_saveexec_b64 s[2:3], s[2:3]
	s_cbranch_execz .LBB108_27
; %bb.26:
	v_pk_mov_b32 v[68:69], v[46:47], v[44:45] op_sel:[1,0]
	ds_write2_b32 v61, v68, v69 offset0:2 offset1:3
	v_pk_mov_b32 v[68:69], v[44:45], v[58:59] op_sel:[1,0]
	ds_write2_b32 v61, v68, v69 offset0:4 offset1:5
	s_waitcnt vmcnt(0)
	v_pk_mov_b32 v[68:69], v[58:59], v[56:57] op_sel:[1,0]
	ds_write2_b32 v61, v68, v69 offset0:6 offset1:7
	v_pk_mov_b32 v[68:69], v[56:57], v[54:55] op_sel:[1,0]
	ds_write2_b32 v61, v68, v69 offset0:8 offset1:9
	;; [unrolled: 2-line block ×23, first 2 shown]
	v_pk_mov_b32 v[68:69], v[0:1], v[12:13] op_sel:[1,0]
	v_mov_b32_e32 v65, 1
	ds_write2_b32 v61, v68, v69 offset0:52 offset1:53
	ds_write_b32 v61, v13 offset:216
.LBB108_27:
	s_or_b64 exec, exec, s[2:3]
	s_waitcnt lgkmcnt(0)
	v_cmp_neq_f32_e64 s[2:3], 0, v66
	v_cmp_lt_i32_e32 vcc, 1, v65
	s_barrier
	s_and_saveexec_b64 s[12:13], vcc
	s_cbranch_execz .LBB108_29
; %bb.28:
	v_div_scale_f32 v62, s[14:15], v66, v66, 1.0
	v_rcp_f32_e32 v67, v62
	s_nop 0
	v_fma_f32 v68, -v62, v67, 1.0
	v_fmac_f32_e32 v67, v68, v67
	v_div_scale_f32 v68, vcc, 1.0, v66, 1.0
	v_mul_f32_e32 v69, v68, v67
	v_fma_f32 v70, -v62, v69, v68
	v_fmac_f32_e32 v69, v70, v67
	v_fma_f32 v62, -v62, v69, v68
	v_div_fmas_f32 v62, v62, v67, v69
	v_div_fixup_f32 v62, v62, v66, 1.0
	v_cndmask_b32_e64 v62, v66, v62, s[2:3]
	v_mul_f32_e32 v46, v62, v46
	ds_read_b32 v62, v61 offset:8
	ds_read2_b32 v[66:67], v61 offset0:3 offset1:4
	s_waitcnt lgkmcnt(1)
	v_fma_f32 v47, -v46, v62, v47
	s_waitcnt lgkmcnt(0)
	v_pk_fma_f32 v[44:45], v[46:47], v[66:67], v[44:45] op_sel_hi:[0,1,1] neg_lo:[1,0,0] neg_hi:[1,0,0]
	ds_read2_b32 v[66:67], v61 offset0:5 offset1:6
	s_waitcnt lgkmcnt(0)
	v_pk_fma_f32 v[58:59], v[46:47], v[66:67], v[58:59] op_sel_hi:[0,1,1] neg_lo:[1,0,0] neg_hi:[1,0,0]
	ds_read2_b32 v[66:67], v61 offset0:7 offset1:8
	s_waitcnt vmcnt(0) lgkmcnt(0)
	v_pk_fma_f32 v[56:57], v[46:47], v[66:67], v[56:57] op_sel_hi:[0,1,1] neg_lo:[1,0,0] neg_hi:[1,0,0]
	ds_read2_b32 v[66:67], v61 offset0:9 offset1:10
	s_waitcnt lgkmcnt(0)
	v_pk_fma_f32 v[54:55], v[46:47], v[66:67], v[54:55] op_sel_hi:[0,1,1] neg_lo:[1,0,0] neg_hi:[1,0,0]
	ds_read2_b32 v[66:67], v61 offset0:11 offset1:12
	s_waitcnt lgkmcnt(0)
	;; [unrolled: 3-line block ×23, first 2 shown]
	v_pk_fma_f32 v[12:13], v[46:47], v[66:67], v[12:13] op_sel_hi:[0,1,1] neg_lo:[1,0,0] neg_hi:[1,0,0]
.LBB108_29:
	s_or_b64 exec, exec, s[12:13]
	v_lshl_add_u32 v62, v65, 2, v61
	s_barrier
	ds_write_b32 v62, v47
	s_waitcnt lgkmcnt(0)
	s_barrier
	ds_read_b32 v67, v61 offset:8
	s_cmp_lt_i32 s22, 4
	v_mov_b32_e32 v62, 2
	s_cbranch_scc1 .LBB108_32
; %bb.30:
	v_mov_b32_e32 v62, 2
	v_add3_u32 v66, v64, 0, 12
	s_mov_b32 s12, 3
.LBB108_31:                             ; =>This Inner Loop Header: Depth=1
	ds_read_b32 v68, v66
	v_mov_b32_e32 v69, s12
	s_add_i32 s12, s12, 1
	v_add_u32_e32 v66, 4, v66
	s_cmp_lg_u32 s22, s12
	s_waitcnt lgkmcnt(0)
	v_cmp_lt_f32_e64 vcc, |v67|, |v68|
	s_nop 1
	v_cndmask_b32_e32 v67, v67, v68, vcc
	v_cndmask_b32_e32 v62, v62, v69, vcc
	s_cbranch_scc1 .LBB108_31
.LBB108_32:
	v_cndmask_b32_e64 v66, 2, 1, s[0:1]
	v_cndmask_b32_e64 v68, 0, 1, s[0:1]
	;; [unrolled: 1-line block ×3, first 2 shown]
	s_waitcnt lgkmcnt(0)
	v_cmp_eq_f32_e32 vcc, 0, v67
	s_and_saveexec_b64 s[0:1], vcc
	s_xor_b64 s[0:1], exec, s[0:1]
; %bb.33:
	v_cmp_ne_u32_e32 vcc, 0, v66
	s_nop 1
	v_cndmask_b32_e32 v66, 3, v66, vcc
; %bb.34:
	s_andn2_saveexec_b64 s[0:1], s[0:1]
	s_cbranch_execz .LBB108_36
; %bb.35:
	v_div_scale_f32 v68, s[2:3], v67, v67, 1.0
	v_rcp_f32_e32 v69, v68
	v_div_scale_f32 v70, vcc, 1.0, v67, 1.0
	v_fma_f32 v71, -v68, v69, 1.0
	v_fmac_f32_e32 v69, v71, v69
	v_mul_f32_e32 v71, v70, v69
	v_fma_f32 v72, -v68, v71, v70
	v_fmac_f32_e32 v71, v72, v69
	v_fma_f32 v68, -v68, v71, v70
	v_div_fmas_f32 v68, v68, v69, v71
	v_div_fixup_f32 v67, v68, v67, 1.0
.LBB108_36:
	s_or_b64 exec, exec, s[0:1]
	v_cmp_ne_u32_e32 vcc, v65, v62
	s_and_saveexec_b64 s[0:1], vcc
	s_xor_b64 s[0:1], exec, s[0:1]
	s_cbranch_execz .LBB108_42
; %bb.37:
	v_cmp_eq_u32_e32 vcc, 2, v65
	s_and_saveexec_b64 s[2:3], vcc
	s_cbranch_execz .LBB108_41
; %bb.38:
	v_cmp_ne_u32_e32 vcc, 2, v62
	s_xor_b64 s[12:13], s[20:21], -1
	s_and_b64 s[14:15], s[12:13], vcc
	s_and_saveexec_b64 s[12:13], s[14:15]
	s_cbranch_execz .LBB108_40
; %bb.39:
	v_ashrrev_i32_e32 v63, 31, v62
	v_lshl_add_u64 v[68:69], v[62:63], 2, v[4:5]
	global_load_dword v63, v[68:69], off
	global_load_dword v65, v[4:5], off offset:8
	s_waitcnt vmcnt(1)
	global_store_dword v[4:5], v63, off offset:8
	s_waitcnt vmcnt(1)
	global_store_dword v[68:69], v65, off
.LBB108_40:
	s_or_b64 exec, exec, s[12:13]
	v_mov_b32_e32 v63, v62
	v_mov_b32_e32 v65, v62
.LBB108_41:
	s_or_b64 exec, exec, s[2:3]
.LBB108_42:
	s_andn2_saveexec_b64 s[0:1], s[0:1]
	s_cbranch_execz .LBB108_44
; %bb.43:
	v_mov_b32_e32 v65, 2
	ds_write2_b32 v61, v44, v45 offset0:3 offset1:4
	ds_write2_b32 v61, v58, v59 offset0:5 offset1:6
	s_waitcnt vmcnt(0)
	ds_write2_b32 v61, v56, v57 offset0:7 offset1:8
	ds_write2_b32 v61, v54, v55 offset0:9 offset1:10
	;; [unrolled: 1-line block ×24, first 2 shown]
.LBB108_44:
	s_or_b64 exec, exec, s[0:1]
	v_cmp_lt_i32_e32 vcc, 2, v65
	s_waitcnt lgkmcnt(0)
	s_barrier
	s_and_saveexec_b64 s[0:1], vcc
	s_cbranch_execz .LBB108_46
; %bb.45:
	ds_read2_b32 v[68:69], v61 offset0:3 offset1:4
	ds_read2_b32 v[70:71], v61 offset0:5 offset1:6
	;; [unrolled: 1-line block ×4, first 2 shown]
	v_mul_f32_e32 v62, v67, v47
	s_waitcnt lgkmcnt(3)
	v_pk_fma_f32 v[44:45], v[62:63], v[68:69], v[44:45] op_sel_hi:[0,1,1] neg_lo:[1,0,0] neg_hi:[1,0,0]
	s_waitcnt lgkmcnt(2)
	v_pk_fma_f32 v[58:59], v[62:63], v[70:71], v[58:59] op_sel_hi:[0,1,1] neg_lo:[1,0,0] neg_hi:[1,0,0]
	s_waitcnt vmcnt(0) lgkmcnt(1)
	v_pk_fma_f32 v[56:57], v[62:63], v[72:73], v[56:57] op_sel_hi:[0,1,1] neg_lo:[1,0,0] neg_hi:[1,0,0]
	ds_read2_b32 v[68:69], v61 offset0:11 offset1:12
	ds_read2_b32 v[70:71], v61 offset0:13 offset1:14
	ds_read2_b32 v[72:73], v61 offset0:15 offset1:16
	s_waitcnt lgkmcnt(3)
	v_pk_fma_f32 v[54:55], v[62:63], v[74:75], v[54:55] op_sel_hi:[0,1,1] neg_lo:[1,0,0] neg_hi:[1,0,0]
	ds_read2_b32 v[74:75], v61 offset0:17 offset1:18
	s_waitcnt lgkmcnt(3)
	v_pk_fma_f32 v[52:53], v[62:63], v[68:69], v[52:53] op_sel_hi:[0,1,1] neg_lo:[1,0,0] neg_hi:[1,0,0]
	s_waitcnt lgkmcnt(2)
	v_pk_fma_f32 v[50:51], v[62:63], v[70:71], v[50:51] op_sel_hi:[0,1,1] neg_lo:[1,0,0] neg_hi:[1,0,0]
	s_waitcnt lgkmcnt(1)
	v_pk_fma_f32 v[48:49], v[62:63], v[72:73], v[48:49] op_sel_hi:[0,1,1] neg_lo:[1,0,0] neg_hi:[1,0,0]
	ds_read2_b32 v[68:69], v61 offset0:19 offset1:20
	ds_read2_b32 v[70:71], v61 offset0:21 offset1:22
	ds_read2_b32 v[72:73], v61 offset0:23 offset1:24
	s_waitcnt lgkmcnt(3)
	v_pk_fma_f32 v[42:43], v[62:63], v[74:75], v[42:43] op_sel_hi:[0,1,1] neg_lo:[1,0,0] neg_hi:[1,0,0]
	ds_read2_b32 v[74:75], v61 offset0:25 offset1:26
	s_waitcnt lgkmcnt(3)
	v_pk_fma_f32 v[38:39], v[62:63], v[68:69], v[38:39] op_sel_hi:[0,1,1] neg_lo:[1,0,0] neg_hi:[1,0,0]
	s_waitcnt lgkmcnt(2)
	v_pk_fma_f32 v[32:33], v[62:63], v[70:71], v[32:33] op_sel_hi:[0,1,1] neg_lo:[1,0,0] neg_hi:[1,0,0]
	s_waitcnt lgkmcnt(1)
	;; [unrolled: 12-line block ×3, first 2 shown]
	v_pk_fma_f32 v[20:21], v[62:63], v[72:73], v[20:21] op_sel_hi:[0,1,1] neg_lo:[1,0,0] neg_hi:[1,0,0]
	ds_read2_b32 v[68:69], v61 offset0:35 offset1:36
	ds_read2_b32 v[70:71], v61 offset0:37 offset1:38
	;; [unrolled: 1-line block ×3, first 2 shown]
	s_waitcnt lgkmcnt(3)
	v_pk_fma_f32 v[36:37], v[62:63], v[74:75], v[36:37] op_sel_hi:[0,1,1] neg_lo:[1,0,0] neg_hi:[1,0,0]
	ds_read2_b32 v[74:75], v61 offset0:41 offset1:42
	s_waitcnt lgkmcnt(3)
	v_pk_fma_f32 v[30:31], v[62:63], v[68:69], v[30:31] op_sel_hi:[0,1,1] neg_lo:[1,0,0] neg_hi:[1,0,0]
	ds_read2_b32 v[68:69], v61 offset0:43 offset1:44
	s_waitcnt lgkmcnt(3)
	v_pk_fma_f32 v[22:23], v[62:63], v[70:71], v[22:23] op_sel_hi:[0,1,1] neg_lo:[1,0,0] neg_hi:[1,0,0]
	s_waitcnt lgkmcnt(2)
	v_pk_fma_f32 v[14:15], v[62:63], v[72:73], v[14:15] op_sel_hi:[0,1,1] neg_lo:[1,0,0] neg_hi:[1,0,0]
	;; [unrolled: 2-line block ×3, first 2 shown]
	ds_read2_b32 v[70:71], v61 offset0:45 offset1:46
	ds_read2_b32 v[72:73], v61 offset0:47 offset1:48
	;; [unrolled: 1-line block ×3, first 2 shown]
	s_waitcnt lgkmcnt(3)
	v_pk_fma_f32 v[24:25], v[62:63], v[68:69], v[24:25] op_sel_hi:[0,1,1] neg_lo:[1,0,0] neg_hi:[1,0,0]
	ds_read2_b32 v[68:69], v61 offset0:51 offset1:52
	ds_read2_b32 v[76:77], v61 offset0:53 offset1:54
	s_waitcnt lgkmcnt(4)
	v_pk_fma_f32 v[16:17], v[62:63], v[70:71], v[16:17] op_sel_hi:[0,1,1] neg_lo:[1,0,0] neg_hi:[1,0,0]
	s_waitcnt lgkmcnt(3)
	v_pk_fma_f32 v[8:9], v[62:63], v[72:73], v[8:9] op_sel_hi:[0,1,1] neg_lo:[1,0,0] neg_hi:[1,0,0]
	s_waitcnt lgkmcnt(2)
	v_pk_fma_f32 v[10:11], v[62:63], v[74:75], v[10:11] op_sel_hi:[0,1,1] neg_lo:[1,0,0] neg_hi:[1,0,0]
	s_waitcnt lgkmcnt(1)
	v_pk_fma_f32 v[0:1], v[62:63], v[68:69], v[0:1] op_sel_hi:[0,1,1] neg_lo:[1,0,0] neg_hi:[1,0,0]
	s_waitcnt lgkmcnt(0)
	v_pk_fma_f32 v[12:13], v[62:63], v[76:77], v[12:13] op_sel_hi:[0,1,1] neg_lo:[1,0,0] neg_hi:[1,0,0]
	v_mov_b32_e32 v47, v62
.LBB108_46:
	s_or_b64 exec, exec, s[0:1]
	v_lshl_add_u32 v62, v65, 2, v61
	s_barrier
	ds_write_b32 v62, v44
	s_waitcnt lgkmcnt(0)
	s_barrier
	ds_read_b32 v67, v61 offset:12
	s_cmp_lt_i32 s22, 5
	v_mov_b32_e32 v62, 3
	s_cbranch_scc1 .LBB108_49
; %bb.47:
	v_add3_u32 v68, v64, 0, 16
	v_mov_b32_e32 v62, 3
	s_mov_b32 s0, 4
.LBB108_48:                             ; =>This Inner Loop Header: Depth=1
	ds_read_b32 v69, v68
	v_mov_b32_e32 v70, s0
	s_add_i32 s0, s0, 1
	v_add_u32_e32 v68, 4, v68
	s_cmp_lg_u32 s22, s0
	s_waitcnt lgkmcnt(0)
	v_cmp_lt_f32_e64 vcc, |v67|, |v69|
	s_nop 1
	v_cndmask_b32_e32 v67, v67, v69, vcc
	v_cndmask_b32_e32 v62, v62, v70, vcc
	s_cbranch_scc1 .LBB108_48
.LBB108_49:
	s_waitcnt lgkmcnt(0)
	v_cmp_eq_f32_e32 vcc, 0, v67
	s_and_saveexec_b64 s[0:1], vcc
	s_xor_b64 s[0:1], exec, s[0:1]
; %bb.50:
	v_cmp_ne_u32_e32 vcc, 0, v66
	s_nop 1
	v_cndmask_b32_e32 v66, 4, v66, vcc
; %bb.51:
	s_andn2_saveexec_b64 s[0:1], s[0:1]
	s_cbranch_execz .LBB108_53
; %bb.52:
	v_div_scale_f32 v68, s[2:3], v67, v67, 1.0
	v_rcp_f32_e32 v69, v68
	v_div_scale_f32 v70, vcc, 1.0, v67, 1.0
	v_fma_f32 v71, -v68, v69, 1.0
	v_fmac_f32_e32 v69, v71, v69
	v_mul_f32_e32 v71, v70, v69
	v_fma_f32 v72, -v68, v71, v70
	v_fmac_f32_e32 v71, v72, v69
	v_fma_f32 v68, -v68, v71, v70
	v_div_fmas_f32 v68, v68, v69, v71
	v_div_fixup_f32 v67, v68, v67, 1.0
.LBB108_53:
	s_or_b64 exec, exec, s[0:1]
	v_cmp_ne_u32_e32 vcc, v65, v62
	s_and_saveexec_b64 s[0:1], vcc
	s_xor_b64 s[0:1], exec, s[0:1]
	s_cbranch_execz .LBB108_59
; %bb.54:
	v_cmp_eq_u32_e32 vcc, 3, v65
	s_and_saveexec_b64 s[2:3], vcc
	s_cbranch_execz .LBB108_58
; %bb.55:
	v_cmp_ne_u32_e32 vcc, 3, v62
	s_xor_b64 s[12:13], s[20:21], -1
	s_and_b64 s[14:15], s[12:13], vcc
	s_and_saveexec_b64 s[12:13], s[14:15]
	s_cbranch_execz .LBB108_57
; %bb.56:
	v_ashrrev_i32_e32 v63, 31, v62
	v_lshl_add_u64 v[68:69], v[62:63], 2, v[4:5]
	global_load_dword v63, v[68:69], off
	global_load_dword v65, v[4:5], off offset:12
	s_waitcnt vmcnt(1)
	global_store_dword v[4:5], v63, off offset:12
	s_waitcnt vmcnt(1)
	global_store_dword v[68:69], v65, off
.LBB108_57:
	s_or_b64 exec, exec, s[12:13]
	v_mov_b32_e32 v63, v62
	v_mov_b32_e32 v65, v62
.LBB108_58:
	s_or_b64 exec, exec, s[2:3]
.LBB108_59:
	s_andn2_saveexec_b64 s[0:1], s[0:1]
	s_cbranch_execz .LBB108_61
; %bb.60:
	v_pk_mov_b32 v[68:69], v[44:45], v[58:59] op_sel:[1,0]
	ds_write2_b32 v61, v68, v69 offset0:4 offset1:5
	s_waitcnt vmcnt(0)
	v_pk_mov_b32 v[68:69], v[58:59], v[56:57] op_sel:[1,0]
	ds_write2_b32 v61, v68, v69 offset0:6 offset1:7
	v_pk_mov_b32 v[68:69], v[56:57], v[54:55] op_sel:[1,0]
	ds_write2_b32 v61, v68, v69 offset0:8 offset1:9
	;; [unrolled: 2-line block ×23, first 2 shown]
	v_pk_mov_b32 v[68:69], v[0:1], v[12:13] op_sel:[1,0]
	v_mov_b32_e32 v65, 3
	ds_write2_b32 v61, v68, v69 offset0:52 offset1:53
	ds_write_b32 v61, v13 offset:216
.LBB108_61:
	s_or_b64 exec, exec, s[0:1]
	v_cmp_lt_i32_e32 vcc, 3, v65
	s_waitcnt lgkmcnt(0)
	s_barrier
	s_and_saveexec_b64 s[0:1], vcc
	s_cbranch_execz .LBB108_63
; %bb.62:
	ds_read_b32 v62, v61 offset:16
	ds_read2_b32 v[68:69], v61 offset0:5 offset1:6
	ds_read2_b32 v[70:71], v61 offset0:7 offset1:8
	v_mul_f32_e32 v44, v67, v44
	ds_read2_b32 v[72:73], v61 offset0:9 offset1:10
	s_waitcnt lgkmcnt(3)
	v_fma_f32 v45, -v44, v62, v45
	s_waitcnt lgkmcnt(2)
	v_pk_fma_f32 v[58:59], v[44:45], v[68:69], v[58:59] op_sel_hi:[0,1,1] neg_lo:[1,0,0] neg_hi:[1,0,0]
	s_waitcnt vmcnt(0) lgkmcnt(1)
	v_pk_fma_f32 v[56:57], v[44:45], v[70:71], v[56:57] op_sel_hi:[0,1,1] neg_lo:[1,0,0] neg_hi:[1,0,0]
	ds_read2_b32 v[68:69], v61 offset0:11 offset1:12
	ds_read2_b32 v[70:71], v61 offset0:13 offset1:14
	ds_read2_b32 v[74:75], v61 offset0:15 offset1:16
	s_waitcnt lgkmcnt(3)
	v_pk_fma_f32 v[54:55], v[44:45], v[72:73], v[54:55] op_sel_hi:[0,1,1] neg_lo:[1,0,0] neg_hi:[1,0,0]
	ds_read2_b32 v[72:73], v61 offset0:17 offset1:18
	s_waitcnt lgkmcnt(3)
	v_pk_fma_f32 v[52:53], v[44:45], v[68:69], v[52:53] op_sel_hi:[0,1,1] neg_lo:[1,0,0] neg_hi:[1,0,0]
	s_waitcnt lgkmcnt(2)
	v_pk_fma_f32 v[50:51], v[44:45], v[70:71], v[50:51] op_sel_hi:[0,1,1] neg_lo:[1,0,0] neg_hi:[1,0,0]
	s_waitcnt lgkmcnt(1)
	v_pk_fma_f32 v[48:49], v[44:45], v[74:75], v[48:49] op_sel_hi:[0,1,1] neg_lo:[1,0,0] neg_hi:[1,0,0]
	ds_read2_b32 v[68:69], v61 offset0:19 offset1:20
	ds_read2_b32 v[70:71], v61 offset0:21 offset1:22
	ds_read2_b32 v[74:75], v61 offset0:23 offset1:24
	s_waitcnt lgkmcnt(3)
	v_pk_fma_f32 v[42:43], v[44:45], v[72:73], v[42:43] op_sel_hi:[0,1,1] neg_lo:[1,0,0] neg_hi:[1,0,0]
	ds_read2_b32 v[72:73], v61 offset0:25 offset1:26
	s_waitcnt lgkmcnt(3)
	v_pk_fma_f32 v[38:39], v[44:45], v[68:69], v[38:39] op_sel_hi:[0,1,1] neg_lo:[1,0,0] neg_hi:[1,0,0]
	s_waitcnt lgkmcnt(2)
	v_pk_fma_f32 v[32:33], v[44:45], v[70:71], v[32:33] op_sel_hi:[0,1,1] neg_lo:[1,0,0] neg_hi:[1,0,0]
	s_waitcnt lgkmcnt(1)
	;; [unrolled: 12-line block ×3, first 2 shown]
	v_pk_fma_f32 v[20:21], v[44:45], v[74:75], v[20:21] op_sel_hi:[0,1,1] neg_lo:[1,0,0] neg_hi:[1,0,0]
	ds_read2_b32 v[68:69], v61 offset0:35 offset1:36
	ds_read2_b32 v[70:71], v61 offset0:37 offset1:38
	;; [unrolled: 1-line block ×3, first 2 shown]
	s_waitcnt lgkmcnt(3)
	v_pk_fma_f32 v[36:37], v[44:45], v[72:73], v[36:37] op_sel_hi:[0,1,1] neg_lo:[1,0,0] neg_hi:[1,0,0]
	ds_read2_b32 v[72:73], v61 offset0:41 offset1:42
	s_waitcnt lgkmcnt(3)
	v_pk_fma_f32 v[30:31], v[44:45], v[68:69], v[30:31] op_sel_hi:[0,1,1] neg_lo:[1,0,0] neg_hi:[1,0,0]
	ds_read2_b32 v[68:69], v61 offset0:43 offset1:44
	s_waitcnt lgkmcnt(3)
	v_pk_fma_f32 v[22:23], v[44:45], v[70:71], v[22:23] op_sel_hi:[0,1,1] neg_lo:[1,0,0] neg_hi:[1,0,0]
	s_waitcnt lgkmcnt(2)
	v_pk_fma_f32 v[14:15], v[44:45], v[74:75], v[14:15] op_sel_hi:[0,1,1] neg_lo:[1,0,0] neg_hi:[1,0,0]
	;; [unrolled: 2-line block ×3, first 2 shown]
	ds_read2_b32 v[70:71], v61 offset0:45 offset1:46
	ds_read2_b32 v[72:73], v61 offset0:47 offset1:48
	;; [unrolled: 1-line block ×3, first 2 shown]
	s_waitcnt lgkmcnt(3)
	v_pk_fma_f32 v[24:25], v[44:45], v[68:69], v[24:25] op_sel_hi:[0,1,1] neg_lo:[1,0,0] neg_hi:[1,0,0]
	ds_read2_b32 v[68:69], v61 offset0:51 offset1:52
	ds_read2_b32 v[76:77], v61 offset0:53 offset1:54
	s_waitcnt lgkmcnt(4)
	v_pk_fma_f32 v[16:17], v[44:45], v[70:71], v[16:17] op_sel_hi:[0,1,1] neg_lo:[1,0,0] neg_hi:[1,0,0]
	s_waitcnt lgkmcnt(3)
	v_pk_fma_f32 v[8:9], v[44:45], v[72:73], v[8:9] op_sel_hi:[0,1,1] neg_lo:[1,0,0] neg_hi:[1,0,0]
	;; [unrolled: 2-line block ×5, first 2 shown]
.LBB108_63:
	s_or_b64 exec, exec, s[0:1]
	v_lshl_add_u32 v62, v65, 2, v61
	s_barrier
	ds_write_b32 v62, v45
	s_waitcnt lgkmcnt(0)
	s_barrier
	ds_read_b32 v67, v61 offset:16
	s_cmp_lt_i32 s22, 6
	v_mov_b32_e32 v62, 4
	s_cbranch_scc1 .LBB108_66
; %bb.64:
	v_add3_u32 v68, v64, 0, 20
	v_mov_b32_e32 v62, 4
	s_mov_b32 s0, 5
.LBB108_65:                             ; =>This Inner Loop Header: Depth=1
	ds_read_b32 v69, v68
	v_mov_b32_e32 v70, s0
	s_add_i32 s0, s0, 1
	v_add_u32_e32 v68, 4, v68
	s_cmp_lg_u32 s22, s0
	s_waitcnt lgkmcnt(0)
	v_cmp_lt_f32_e64 vcc, |v67|, |v69|
	s_nop 1
	v_cndmask_b32_e32 v67, v67, v69, vcc
	v_cndmask_b32_e32 v62, v62, v70, vcc
	s_cbranch_scc1 .LBB108_65
.LBB108_66:
	s_waitcnt lgkmcnt(0)
	v_cmp_eq_f32_e32 vcc, 0, v67
	s_and_saveexec_b64 s[0:1], vcc
	s_xor_b64 s[0:1], exec, s[0:1]
; %bb.67:
	v_cmp_ne_u32_e32 vcc, 0, v66
	s_nop 1
	v_cndmask_b32_e32 v66, 5, v66, vcc
; %bb.68:
	s_andn2_saveexec_b64 s[0:1], s[0:1]
	s_cbranch_execz .LBB108_70
; %bb.69:
	v_div_scale_f32 v68, s[2:3], v67, v67, 1.0
	v_rcp_f32_e32 v69, v68
	v_div_scale_f32 v70, vcc, 1.0, v67, 1.0
	v_fma_f32 v71, -v68, v69, 1.0
	v_fmac_f32_e32 v69, v71, v69
	v_mul_f32_e32 v71, v70, v69
	v_fma_f32 v72, -v68, v71, v70
	v_fmac_f32_e32 v71, v72, v69
	v_fma_f32 v68, -v68, v71, v70
	v_div_fmas_f32 v68, v68, v69, v71
	v_div_fixup_f32 v67, v68, v67, 1.0
.LBB108_70:
	s_or_b64 exec, exec, s[0:1]
	v_cmp_ne_u32_e32 vcc, v65, v62
	s_and_saveexec_b64 s[0:1], vcc
	s_xor_b64 s[0:1], exec, s[0:1]
	s_cbranch_execz .LBB108_76
; %bb.71:
	v_cmp_eq_u32_e32 vcc, 4, v65
	s_and_saveexec_b64 s[2:3], vcc
	s_cbranch_execz .LBB108_75
; %bb.72:
	v_cmp_ne_u32_e32 vcc, 4, v62
	s_xor_b64 s[12:13], s[20:21], -1
	s_and_b64 s[14:15], s[12:13], vcc
	s_and_saveexec_b64 s[12:13], s[14:15]
	s_cbranch_execz .LBB108_74
; %bb.73:
	v_ashrrev_i32_e32 v63, 31, v62
	v_lshl_add_u64 v[68:69], v[62:63], 2, v[4:5]
	global_load_dword v63, v[68:69], off
	global_load_dword v65, v[4:5], off offset:16
	s_waitcnt vmcnt(1)
	global_store_dword v[4:5], v63, off offset:16
	s_waitcnt vmcnt(1)
	global_store_dword v[68:69], v65, off
.LBB108_74:
	s_or_b64 exec, exec, s[12:13]
	v_mov_b32_e32 v63, v62
	v_mov_b32_e32 v65, v62
.LBB108_75:
	s_or_b64 exec, exec, s[2:3]
.LBB108_76:
	s_andn2_saveexec_b64 s[0:1], s[0:1]
	s_cbranch_execz .LBB108_78
; %bb.77:
	v_mov_b32_e32 v65, 4
	ds_write2_b32 v61, v58, v59 offset0:5 offset1:6
	s_waitcnt vmcnt(0)
	ds_write2_b32 v61, v56, v57 offset0:7 offset1:8
	ds_write2_b32 v61, v54, v55 offset0:9 offset1:10
	;; [unrolled: 1-line block ×24, first 2 shown]
.LBB108_78:
	s_or_b64 exec, exec, s[0:1]
	v_cmp_lt_i32_e32 vcc, 4, v65
	s_waitcnt lgkmcnt(0)
	s_barrier
	s_and_saveexec_b64 s[0:1], vcc
	s_cbranch_execz .LBB108_80
; %bb.79:
	ds_read2_b32 v[68:69], v61 offset0:5 offset1:6
	ds_read2_b32 v[70:71], v61 offset0:7 offset1:8
	;; [unrolled: 1-line block ×3, first 2 shown]
	v_mul_f32_e32 v62, v67, v45
	ds_read2_b32 v[74:75], v61 offset0:11 offset1:12
	s_waitcnt lgkmcnt(3)
	v_pk_fma_f32 v[58:59], v[62:63], v[68:69], v[58:59] op_sel_hi:[0,1,1] neg_lo:[1,0,0] neg_hi:[1,0,0]
	s_waitcnt vmcnt(0) lgkmcnt(2)
	v_pk_fma_f32 v[56:57], v[62:63], v[70:71], v[56:57] op_sel_hi:[0,1,1] neg_lo:[1,0,0] neg_hi:[1,0,0]
	s_waitcnt lgkmcnt(1)
	v_pk_fma_f32 v[54:55], v[62:63], v[72:73], v[54:55] op_sel_hi:[0,1,1] neg_lo:[1,0,0] neg_hi:[1,0,0]
	ds_read2_b32 v[68:69], v61 offset0:13 offset1:14
	ds_read2_b32 v[70:71], v61 offset0:15 offset1:16
	ds_read2_b32 v[72:73], v61 offset0:17 offset1:18
	s_waitcnt lgkmcnt(3)
	v_pk_fma_f32 v[52:53], v[62:63], v[74:75], v[52:53] op_sel_hi:[0,1,1] neg_lo:[1,0,0] neg_hi:[1,0,0]
	ds_read2_b32 v[74:75], v61 offset0:19 offset1:20
	s_waitcnt lgkmcnt(3)
	v_pk_fma_f32 v[50:51], v[62:63], v[68:69], v[50:51] op_sel_hi:[0,1,1] neg_lo:[1,0,0] neg_hi:[1,0,0]
	s_waitcnt lgkmcnt(2)
	v_pk_fma_f32 v[48:49], v[62:63], v[70:71], v[48:49] op_sel_hi:[0,1,1] neg_lo:[1,0,0] neg_hi:[1,0,0]
	s_waitcnt lgkmcnt(1)
	v_pk_fma_f32 v[42:43], v[62:63], v[72:73], v[42:43] op_sel_hi:[0,1,1] neg_lo:[1,0,0] neg_hi:[1,0,0]
	ds_read2_b32 v[68:69], v61 offset0:21 offset1:22
	ds_read2_b32 v[70:71], v61 offset0:23 offset1:24
	ds_read2_b32 v[72:73], v61 offset0:25 offset1:26
	s_waitcnt lgkmcnt(3)
	v_pk_fma_f32 v[38:39], v[62:63], v[74:75], v[38:39] op_sel_hi:[0,1,1] neg_lo:[1,0,0] neg_hi:[1,0,0]
	ds_read2_b32 v[74:75], v61 offset0:27 offset1:28
	s_waitcnt lgkmcnt(3)
	v_pk_fma_f32 v[32:33], v[62:63], v[68:69], v[32:33] op_sel_hi:[0,1,1] neg_lo:[1,0,0] neg_hi:[1,0,0]
	s_waitcnt lgkmcnt(2)
	;; [unrolled: 12-line block ×3, first 2 shown]
	v_pk_fma_f32 v[20:21], v[62:63], v[70:71], v[20:21] op_sel_hi:[0,1,1] neg_lo:[1,0,0] neg_hi:[1,0,0]
	s_waitcnt lgkmcnt(1)
	v_pk_fma_f32 v[36:37], v[62:63], v[72:73], v[36:37] op_sel_hi:[0,1,1] neg_lo:[1,0,0] neg_hi:[1,0,0]
	ds_read2_b32 v[68:69], v61 offset0:37 offset1:38
	ds_read2_b32 v[70:71], v61 offset0:39 offset1:40
	;; [unrolled: 1-line block ×4, first 2 shown]
	s_waitcnt lgkmcnt(4)
	v_pk_fma_f32 v[30:31], v[62:63], v[74:75], v[30:31] op_sel_hi:[0,1,1] neg_lo:[1,0,0] neg_hi:[1,0,0]
	s_waitcnt lgkmcnt(3)
	v_pk_fma_f32 v[22:23], v[62:63], v[68:69], v[22:23] op_sel_hi:[0,1,1] neg_lo:[1,0,0] neg_hi:[1,0,0]
	;; [unrolled: 2-line block ×5, first 2 shown]
	ds_read2_b32 v[68:69], v61 offset0:45 offset1:46
	ds_read2_b32 v[70:71], v61 offset0:47 offset1:48
	;; [unrolled: 1-line block ×5, first 2 shown]
	s_waitcnt lgkmcnt(4)
	v_pk_fma_f32 v[16:17], v[62:63], v[68:69], v[16:17] op_sel_hi:[0,1,1] neg_lo:[1,0,0] neg_hi:[1,0,0]
	s_waitcnt lgkmcnt(3)
	v_pk_fma_f32 v[8:9], v[62:63], v[70:71], v[8:9] op_sel_hi:[0,1,1] neg_lo:[1,0,0] neg_hi:[1,0,0]
	s_waitcnt lgkmcnt(2)
	v_pk_fma_f32 v[10:11], v[62:63], v[72:73], v[10:11] op_sel_hi:[0,1,1] neg_lo:[1,0,0] neg_hi:[1,0,0]
	s_waitcnt lgkmcnt(1)
	v_pk_fma_f32 v[0:1], v[62:63], v[74:75], v[0:1] op_sel_hi:[0,1,1] neg_lo:[1,0,0] neg_hi:[1,0,0]
	s_waitcnt lgkmcnt(0)
	v_pk_fma_f32 v[12:13], v[62:63], v[76:77], v[12:13] op_sel_hi:[0,1,1] neg_lo:[1,0,0] neg_hi:[1,0,0]
	v_mov_b32_e32 v45, v62
.LBB108_80:
	s_or_b64 exec, exec, s[0:1]
	v_lshl_add_u32 v62, v65, 2, v61
	s_barrier
	ds_write_b32 v62, v58
	s_waitcnt lgkmcnt(0)
	s_barrier
	ds_read_b32 v67, v61 offset:20
	s_cmp_lt_i32 s22, 7
	v_mov_b32_e32 v62, 5
	s_cbranch_scc1 .LBB108_83
; %bb.81:
	v_add3_u32 v68, v64, 0, 24
	v_mov_b32_e32 v62, 5
	s_mov_b32 s0, 6
.LBB108_82:                             ; =>This Inner Loop Header: Depth=1
	ds_read_b32 v69, v68
	v_mov_b32_e32 v70, s0
	s_add_i32 s0, s0, 1
	v_add_u32_e32 v68, 4, v68
	s_cmp_lg_u32 s22, s0
	s_waitcnt lgkmcnt(0)
	v_cmp_lt_f32_e64 vcc, |v67|, |v69|
	s_nop 1
	v_cndmask_b32_e32 v67, v67, v69, vcc
	v_cndmask_b32_e32 v62, v62, v70, vcc
	s_cbranch_scc1 .LBB108_82
.LBB108_83:
	s_waitcnt lgkmcnt(0)
	v_cmp_eq_f32_e32 vcc, 0, v67
	s_and_saveexec_b64 s[0:1], vcc
	s_xor_b64 s[0:1], exec, s[0:1]
; %bb.84:
	v_cmp_ne_u32_e32 vcc, 0, v66
	s_nop 1
	v_cndmask_b32_e32 v66, 6, v66, vcc
; %bb.85:
	s_andn2_saveexec_b64 s[0:1], s[0:1]
	s_cbranch_execz .LBB108_87
; %bb.86:
	v_div_scale_f32 v68, s[2:3], v67, v67, 1.0
	v_rcp_f32_e32 v69, v68
	v_div_scale_f32 v70, vcc, 1.0, v67, 1.0
	v_fma_f32 v71, -v68, v69, 1.0
	v_fmac_f32_e32 v69, v71, v69
	v_mul_f32_e32 v71, v70, v69
	v_fma_f32 v72, -v68, v71, v70
	v_fmac_f32_e32 v71, v72, v69
	v_fma_f32 v68, -v68, v71, v70
	v_div_fmas_f32 v68, v68, v69, v71
	v_div_fixup_f32 v67, v68, v67, 1.0
.LBB108_87:
	s_or_b64 exec, exec, s[0:1]
	v_cmp_ne_u32_e32 vcc, v65, v62
	s_and_saveexec_b64 s[0:1], vcc
	s_xor_b64 s[0:1], exec, s[0:1]
	s_cbranch_execz .LBB108_93
; %bb.88:
	v_cmp_eq_u32_e32 vcc, 5, v65
	s_and_saveexec_b64 s[2:3], vcc
	s_cbranch_execz .LBB108_92
; %bb.89:
	v_cmp_ne_u32_e32 vcc, 5, v62
	s_xor_b64 s[12:13], s[20:21], -1
	s_and_b64 s[14:15], s[12:13], vcc
	s_and_saveexec_b64 s[12:13], s[14:15]
	s_cbranch_execz .LBB108_91
; %bb.90:
	v_ashrrev_i32_e32 v63, 31, v62
	v_lshl_add_u64 v[68:69], v[62:63], 2, v[4:5]
	global_load_dword v63, v[68:69], off
	global_load_dword v65, v[4:5], off offset:20
	s_waitcnt vmcnt(1)
	global_store_dword v[4:5], v63, off offset:20
	s_waitcnt vmcnt(1)
	global_store_dword v[68:69], v65, off
.LBB108_91:
	s_or_b64 exec, exec, s[12:13]
	v_mov_b32_e32 v63, v62
	v_mov_b32_e32 v65, v62
.LBB108_92:
	s_or_b64 exec, exec, s[2:3]
.LBB108_93:
	s_andn2_saveexec_b64 s[0:1], s[0:1]
	s_cbranch_execz .LBB108_95
; %bb.94:
	s_waitcnt vmcnt(0)
	v_pk_mov_b32 v[68:69], v[58:59], v[56:57] op_sel:[1,0]
	ds_write2_b32 v61, v68, v69 offset0:6 offset1:7
	v_pk_mov_b32 v[68:69], v[56:57], v[54:55] op_sel:[1,0]
	ds_write2_b32 v61, v68, v69 offset0:8 offset1:9
	;; [unrolled: 2-line block ×23, first 2 shown]
	v_pk_mov_b32 v[68:69], v[0:1], v[12:13] op_sel:[1,0]
	v_mov_b32_e32 v65, 5
	ds_write2_b32 v61, v68, v69 offset0:52 offset1:53
	ds_write_b32 v61, v13 offset:216
.LBB108_95:
	s_or_b64 exec, exec, s[0:1]
	v_cmp_lt_i32_e32 vcc, 5, v65
	s_waitcnt lgkmcnt(0)
	s_barrier
	s_and_saveexec_b64 s[0:1], vcc
	s_cbranch_execz .LBB108_97
; %bb.96:
	ds_read_b32 v62, v61 offset:24
	ds_read2_b32 v[68:69], v61 offset0:7 offset1:8
	ds_read2_b32 v[70:71], v61 offset0:9 offset1:10
	v_mul_f32_e32 v58, v67, v58
	ds_read2_b32 v[72:73], v61 offset0:11 offset1:12
	s_waitcnt lgkmcnt(3)
	v_fma_f32 v59, -v58, v62, v59
	s_waitcnt vmcnt(0) lgkmcnt(2)
	v_pk_fma_f32 v[56:57], v[58:59], v[68:69], v[56:57] op_sel_hi:[0,1,1] neg_lo:[1,0,0] neg_hi:[1,0,0]
	s_waitcnt lgkmcnt(1)
	v_pk_fma_f32 v[54:55], v[58:59], v[70:71], v[54:55] op_sel_hi:[0,1,1] neg_lo:[1,0,0] neg_hi:[1,0,0]
	ds_read2_b32 v[68:69], v61 offset0:13 offset1:14
	ds_read2_b32 v[70:71], v61 offset0:15 offset1:16
	ds_read2_b32 v[74:75], v61 offset0:17 offset1:18
	s_waitcnt lgkmcnt(3)
	v_pk_fma_f32 v[52:53], v[58:59], v[72:73], v[52:53] op_sel_hi:[0,1,1] neg_lo:[1,0,0] neg_hi:[1,0,0]
	ds_read2_b32 v[72:73], v61 offset0:19 offset1:20
	s_waitcnt lgkmcnt(3)
	v_pk_fma_f32 v[50:51], v[58:59], v[68:69], v[50:51] op_sel_hi:[0,1,1] neg_lo:[1,0,0] neg_hi:[1,0,0]
	s_waitcnt lgkmcnt(2)
	v_pk_fma_f32 v[48:49], v[58:59], v[70:71], v[48:49] op_sel_hi:[0,1,1] neg_lo:[1,0,0] neg_hi:[1,0,0]
	s_waitcnt lgkmcnt(1)
	v_pk_fma_f32 v[42:43], v[58:59], v[74:75], v[42:43] op_sel_hi:[0,1,1] neg_lo:[1,0,0] neg_hi:[1,0,0]
	ds_read2_b32 v[68:69], v61 offset0:21 offset1:22
	ds_read2_b32 v[70:71], v61 offset0:23 offset1:24
	ds_read2_b32 v[74:75], v61 offset0:25 offset1:26
	s_waitcnt lgkmcnt(3)
	v_pk_fma_f32 v[38:39], v[58:59], v[72:73], v[38:39] op_sel_hi:[0,1,1] neg_lo:[1,0,0] neg_hi:[1,0,0]
	ds_read2_b32 v[72:73], v61 offset0:27 offset1:28
	s_waitcnt lgkmcnt(3)
	v_pk_fma_f32 v[32:33], v[58:59], v[68:69], v[32:33] op_sel_hi:[0,1,1] neg_lo:[1,0,0] neg_hi:[1,0,0]
	s_waitcnt lgkmcnt(2)
	;; [unrolled: 12-line block ×3, first 2 shown]
	v_pk_fma_f32 v[20:21], v[58:59], v[70:71], v[20:21] op_sel_hi:[0,1,1] neg_lo:[1,0,0] neg_hi:[1,0,0]
	s_waitcnt lgkmcnt(1)
	v_pk_fma_f32 v[36:37], v[58:59], v[74:75], v[36:37] op_sel_hi:[0,1,1] neg_lo:[1,0,0] neg_hi:[1,0,0]
	ds_read2_b32 v[68:69], v61 offset0:37 offset1:38
	ds_read2_b32 v[70:71], v61 offset0:39 offset1:40
	;; [unrolled: 1-line block ×4, first 2 shown]
	s_waitcnt lgkmcnt(4)
	v_pk_fma_f32 v[30:31], v[58:59], v[72:73], v[30:31] op_sel_hi:[0,1,1] neg_lo:[1,0,0] neg_hi:[1,0,0]
	s_waitcnt lgkmcnt(3)
	v_pk_fma_f32 v[22:23], v[58:59], v[68:69], v[22:23] op_sel_hi:[0,1,1] neg_lo:[1,0,0] neg_hi:[1,0,0]
	;; [unrolled: 2-line block ×5, first 2 shown]
	ds_read2_b32 v[68:69], v61 offset0:45 offset1:46
	ds_read2_b32 v[70:71], v61 offset0:47 offset1:48
	ds_read2_b32 v[72:73], v61 offset0:49 offset1:50
	ds_read2_b32 v[74:75], v61 offset0:51 offset1:52
	ds_read2_b32 v[76:77], v61 offset0:53 offset1:54
	s_waitcnt lgkmcnt(4)
	v_pk_fma_f32 v[16:17], v[58:59], v[68:69], v[16:17] op_sel_hi:[0,1,1] neg_lo:[1,0,0] neg_hi:[1,0,0]
	s_waitcnt lgkmcnt(3)
	v_pk_fma_f32 v[8:9], v[58:59], v[70:71], v[8:9] op_sel_hi:[0,1,1] neg_lo:[1,0,0] neg_hi:[1,0,0]
	;; [unrolled: 2-line block ×5, first 2 shown]
.LBB108_97:
	s_or_b64 exec, exec, s[0:1]
	v_lshl_add_u32 v62, v65, 2, v61
	s_barrier
	ds_write_b32 v62, v59
	s_waitcnt lgkmcnt(0)
	s_barrier
	ds_read_b32 v67, v61 offset:24
	s_cmp_lt_i32 s22, 8
	v_mov_b32_e32 v62, 6
	s_cbranch_scc1 .LBB108_100
; %bb.98:
	v_add3_u32 v68, v64, 0, 28
	v_mov_b32_e32 v62, 6
	s_mov_b32 s0, 7
.LBB108_99:                             ; =>This Inner Loop Header: Depth=1
	ds_read_b32 v69, v68
	v_mov_b32_e32 v70, s0
	s_add_i32 s0, s0, 1
	v_add_u32_e32 v68, 4, v68
	s_cmp_lg_u32 s22, s0
	s_waitcnt lgkmcnt(0)
	v_cmp_lt_f32_e64 vcc, |v67|, |v69|
	s_nop 1
	v_cndmask_b32_e32 v67, v67, v69, vcc
	v_cndmask_b32_e32 v62, v62, v70, vcc
	s_cbranch_scc1 .LBB108_99
.LBB108_100:
	s_waitcnt lgkmcnt(0)
	v_cmp_eq_f32_e32 vcc, 0, v67
	s_and_saveexec_b64 s[0:1], vcc
	s_xor_b64 s[0:1], exec, s[0:1]
; %bb.101:
	v_cmp_ne_u32_e32 vcc, 0, v66
	s_nop 1
	v_cndmask_b32_e32 v66, 7, v66, vcc
; %bb.102:
	s_andn2_saveexec_b64 s[0:1], s[0:1]
	s_cbranch_execz .LBB108_104
; %bb.103:
	v_div_scale_f32 v68, s[2:3], v67, v67, 1.0
	v_rcp_f32_e32 v69, v68
	v_div_scale_f32 v70, vcc, 1.0, v67, 1.0
	v_fma_f32 v71, -v68, v69, 1.0
	v_fmac_f32_e32 v69, v71, v69
	v_mul_f32_e32 v71, v70, v69
	v_fma_f32 v72, -v68, v71, v70
	v_fmac_f32_e32 v71, v72, v69
	v_fma_f32 v68, -v68, v71, v70
	v_div_fmas_f32 v68, v68, v69, v71
	v_div_fixup_f32 v67, v68, v67, 1.0
.LBB108_104:
	s_or_b64 exec, exec, s[0:1]
	v_cmp_ne_u32_e32 vcc, v65, v62
	s_and_saveexec_b64 s[0:1], vcc
	s_xor_b64 s[0:1], exec, s[0:1]
	s_cbranch_execz .LBB108_110
; %bb.105:
	v_cmp_eq_u32_e32 vcc, 6, v65
	s_and_saveexec_b64 s[2:3], vcc
	s_cbranch_execz .LBB108_109
; %bb.106:
	v_cmp_ne_u32_e32 vcc, 6, v62
	s_xor_b64 s[12:13], s[20:21], -1
	s_and_b64 s[14:15], s[12:13], vcc
	s_and_saveexec_b64 s[12:13], s[14:15]
	s_cbranch_execz .LBB108_108
; %bb.107:
	v_ashrrev_i32_e32 v63, 31, v62
	v_lshl_add_u64 v[68:69], v[62:63], 2, v[4:5]
	global_load_dword v63, v[68:69], off
	global_load_dword v65, v[4:5], off offset:24
	s_waitcnt vmcnt(1)
	global_store_dword v[4:5], v63, off offset:24
	s_waitcnt vmcnt(1)
	global_store_dword v[68:69], v65, off
.LBB108_108:
	s_or_b64 exec, exec, s[12:13]
	v_mov_b32_e32 v63, v62
	v_mov_b32_e32 v65, v62
.LBB108_109:
	s_or_b64 exec, exec, s[2:3]
.LBB108_110:
	s_andn2_saveexec_b64 s[0:1], s[0:1]
	s_cbranch_execz .LBB108_112
; %bb.111:
	v_mov_b32_e32 v65, 6
	s_waitcnt vmcnt(0)
	ds_write2_b32 v61, v56, v57 offset0:7 offset1:8
	ds_write2_b32 v61, v54, v55 offset0:9 offset1:10
	;; [unrolled: 1-line block ×24, first 2 shown]
.LBB108_112:
	s_or_b64 exec, exec, s[0:1]
	v_cmp_lt_i32_e32 vcc, 6, v65
	s_waitcnt lgkmcnt(0)
	s_barrier
	s_and_saveexec_b64 s[0:1], vcc
	s_cbranch_execz .LBB108_114
; %bb.113:
	ds_read2_b32 v[68:69], v61 offset0:7 offset1:8
	ds_read2_b32 v[70:71], v61 offset0:9 offset1:10
	;; [unrolled: 1-line block ×3, first 2 shown]
	v_mul_f32_e32 v62, v67, v59
	ds_read2_b32 v[74:75], v61 offset0:13 offset1:14
	s_waitcnt vmcnt(0) lgkmcnt(3)
	v_pk_fma_f32 v[56:57], v[62:63], v[68:69], v[56:57] op_sel_hi:[0,1,1] neg_lo:[1,0,0] neg_hi:[1,0,0]
	s_waitcnt lgkmcnt(2)
	v_pk_fma_f32 v[54:55], v[62:63], v[70:71], v[54:55] op_sel_hi:[0,1,1] neg_lo:[1,0,0] neg_hi:[1,0,0]
	s_waitcnt lgkmcnt(1)
	v_pk_fma_f32 v[52:53], v[62:63], v[72:73], v[52:53] op_sel_hi:[0,1,1] neg_lo:[1,0,0] neg_hi:[1,0,0]
	ds_read2_b32 v[68:69], v61 offset0:15 offset1:16
	ds_read2_b32 v[70:71], v61 offset0:17 offset1:18
	ds_read2_b32 v[72:73], v61 offset0:19 offset1:20
	s_waitcnt lgkmcnt(3)
	v_pk_fma_f32 v[50:51], v[62:63], v[74:75], v[50:51] op_sel_hi:[0,1,1] neg_lo:[1,0,0] neg_hi:[1,0,0]
	ds_read2_b32 v[74:75], v61 offset0:21 offset1:22
	s_waitcnt lgkmcnt(3)
	v_pk_fma_f32 v[48:49], v[62:63], v[68:69], v[48:49] op_sel_hi:[0,1,1] neg_lo:[1,0,0] neg_hi:[1,0,0]
	s_waitcnt lgkmcnt(2)
	v_pk_fma_f32 v[42:43], v[62:63], v[70:71], v[42:43] op_sel_hi:[0,1,1] neg_lo:[1,0,0] neg_hi:[1,0,0]
	s_waitcnt lgkmcnt(1)
	v_pk_fma_f32 v[38:39], v[62:63], v[72:73], v[38:39] op_sel_hi:[0,1,1] neg_lo:[1,0,0] neg_hi:[1,0,0]
	ds_read2_b32 v[68:69], v61 offset0:23 offset1:24
	ds_read2_b32 v[70:71], v61 offset0:25 offset1:26
	ds_read2_b32 v[72:73], v61 offset0:27 offset1:28
	s_waitcnt lgkmcnt(3)
	v_pk_fma_f32 v[32:33], v[62:63], v[74:75], v[32:33] op_sel_hi:[0,1,1] neg_lo:[1,0,0] neg_hi:[1,0,0]
	ds_read2_b32 v[74:75], v61 offset0:29 offset1:30
	s_waitcnt lgkmcnt(3)
	;; [unrolled: 12-line block ×4, first 2 shown]
	v_pk_fma_f32 v[14:15], v[62:63], v[68:69], v[14:15] op_sel_hi:[0,1,1] neg_lo:[1,0,0] neg_hi:[1,0,0]
	s_waitcnt lgkmcnt(2)
	v_pk_fma_f32 v[18:19], v[62:63], v[70:71], v[18:19] op_sel_hi:[0,1,1] neg_lo:[1,0,0] neg_hi:[1,0,0]
	s_waitcnt lgkmcnt(1)
	v_pk_fma_f32 v[24:25], v[62:63], v[72:73], v[24:25] op_sel_hi:[0,1,1] neg_lo:[1,0,0] neg_hi:[1,0,0]
	ds_read2_b32 v[68:69], v61 offset0:47 offset1:48
	ds_read2_b32 v[70:71], v61 offset0:49 offset1:50
	;; [unrolled: 1-line block ×4, first 2 shown]
	s_waitcnt lgkmcnt(4)
	v_pk_fma_f32 v[16:17], v[62:63], v[74:75], v[16:17] op_sel_hi:[0,1,1] neg_lo:[1,0,0] neg_hi:[1,0,0]
	s_waitcnt lgkmcnt(3)
	v_pk_fma_f32 v[8:9], v[62:63], v[68:69], v[8:9] op_sel_hi:[0,1,1] neg_lo:[1,0,0] neg_hi:[1,0,0]
	;; [unrolled: 2-line block ×5, first 2 shown]
	v_mov_b32_e32 v59, v62
.LBB108_114:
	s_or_b64 exec, exec, s[0:1]
	v_lshl_add_u32 v62, v65, 2, v61
	s_barrier
	ds_write_b32 v62, v56
	s_waitcnt lgkmcnt(0)
	s_barrier
	ds_read_b32 v67, v61 offset:28
	s_cmp_lt_i32 s22, 9
	v_mov_b32_e32 v62, 7
	s_cbranch_scc1 .LBB108_117
; %bb.115:
	v_add3_u32 v68, v64, 0, 32
	v_mov_b32_e32 v62, 7
	s_mov_b32 s0, 8
.LBB108_116:                            ; =>This Inner Loop Header: Depth=1
	ds_read_b32 v69, v68
	v_mov_b32_e32 v70, s0
	s_add_i32 s0, s0, 1
	v_add_u32_e32 v68, 4, v68
	s_cmp_lg_u32 s22, s0
	s_waitcnt lgkmcnt(0)
	v_cmp_lt_f32_e64 vcc, |v67|, |v69|
	s_nop 1
	v_cndmask_b32_e32 v67, v67, v69, vcc
	v_cndmask_b32_e32 v62, v62, v70, vcc
	s_cbranch_scc1 .LBB108_116
.LBB108_117:
	s_waitcnt lgkmcnt(0)
	v_cmp_eq_f32_e32 vcc, 0, v67
	s_and_saveexec_b64 s[0:1], vcc
	s_xor_b64 s[0:1], exec, s[0:1]
; %bb.118:
	v_cmp_ne_u32_e32 vcc, 0, v66
	s_nop 1
	v_cndmask_b32_e32 v66, 8, v66, vcc
; %bb.119:
	s_andn2_saveexec_b64 s[0:1], s[0:1]
	s_cbranch_execz .LBB108_121
; %bb.120:
	v_div_scale_f32 v68, s[2:3], v67, v67, 1.0
	v_rcp_f32_e32 v69, v68
	v_div_scale_f32 v70, vcc, 1.0, v67, 1.0
	v_fma_f32 v71, -v68, v69, 1.0
	v_fmac_f32_e32 v69, v71, v69
	v_mul_f32_e32 v71, v70, v69
	v_fma_f32 v72, -v68, v71, v70
	v_fmac_f32_e32 v71, v72, v69
	v_fma_f32 v68, -v68, v71, v70
	v_div_fmas_f32 v68, v68, v69, v71
	v_div_fixup_f32 v67, v68, v67, 1.0
.LBB108_121:
	s_or_b64 exec, exec, s[0:1]
	v_cmp_ne_u32_e32 vcc, v65, v62
	s_and_saveexec_b64 s[0:1], vcc
	s_xor_b64 s[0:1], exec, s[0:1]
	s_cbranch_execz .LBB108_127
; %bb.122:
	v_cmp_eq_u32_e32 vcc, 7, v65
	s_and_saveexec_b64 s[2:3], vcc
	s_cbranch_execz .LBB108_126
; %bb.123:
	v_cmp_ne_u32_e32 vcc, 7, v62
	s_xor_b64 s[12:13], s[20:21], -1
	s_and_b64 s[14:15], s[12:13], vcc
	s_and_saveexec_b64 s[12:13], s[14:15]
	s_cbranch_execz .LBB108_125
; %bb.124:
	v_ashrrev_i32_e32 v63, 31, v62
	v_lshl_add_u64 v[68:69], v[62:63], 2, v[4:5]
	global_load_dword v63, v[68:69], off
	global_load_dword v65, v[4:5], off offset:28
	s_waitcnt vmcnt(1)
	global_store_dword v[4:5], v63, off offset:28
	s_waitcnt vmcnt(1)
	global_store_dword v[68:69], v65, off
.LBB108_125:
	s_or_b64 exec, exec, s[12:13]
	v_mov_b32_e32 v63, v62
	v_mov_b32_e32 v65, v62
.LBB108_126:
	s_or_b64 exec, exec, s[2:3]
.LBB108_127:
	s_andn2_saveexec_b64 s[0:1], s[0:1]
	s_cbranch_execz .LBB108_129
; %bb.128:
	s_waitcnt vmcnt(0)
	v_pk_mov_b32 v[68:69], v[56:57], v[54:55] op_sel:[1,0]
	ds_write2_b32 v61, v68, v69 offset0:8 offset1:9
	v_pk_mov_b32 v[68:69], v[54:55], v[52:53] op_sel:[1,0]
	ds_write2_b32 v61, v68, v69 offset0:10 offset1:11
	v_pk_mov_b32 v[68:69], v[52:53], v[50:51] op_sel:[1,0]
	ds_write2_b32 v61, v68, v69 offset0:12 offset1:13
	v_pk_mov_b32 v[68:69], v[50:51], v[48:49] op_sel:[1,0]
	ds_write2_b32 v61, v68, v69 offset0:14 offset1:15
	v_pk_mov_b32 v[68:69], v[48:49], v[42:43] op_sel:[1,0]
	ds_write2_b32 v61, v68, v69 offset0:16 offset1:17
	v_pk_mov_b32 v[68:69], v[42:43], v[38:39] op_sel:[1,0]
	ds_write2_b32 v61, v68, v69 offset0:18 offset1:19
	v_pk_mov_b32 v[68:69], v[38:39], v[32:33] op_sel:[1,0]
	ds_write2_b32 v61, v68, v69 offset0:20 offset1:21
	v_pk_mov_b32 v[68:69], v[32:33], v[26:27] op_sel:[1,0]
	ds_write2_b32 v61, v68, v69 offset0:22 offset1:23
	v_pk_mov_b32 v[68:69], v[26:27], v[40:41] op_sel:[1,0]
	ds_write2_b32 v61, v68, v69 offset0:24 offset1:25
	v_pk_mov_b32 v[68:69], v[40:41], v[34:35] op_sel:[1,0]
	ds_write2_b32 v61, v68, v69 offset0:26 offset1:27
	v_pk_mov_b32 v[68:69], v[34:35], v[28:29] op_sel:[1,0]
	ds_write2_b32 v61, v68, v69 offset0:28 offset1:29
	v_pk_mov_b32 v[68:69], v[28:29], v[20:21] op_sel:[1,0]
	ds_write2_b32 v61, v68, v69 offset0:30 offset1:31
	v_pk_mov_b32 v[68:69], v[20:21], v[36:37] op_sel:[1,0]
	ds_write2_b32 v61, v68, v69 offset0:32 offset1:33
	v_pk_mov_b32 v[68:69], v[36:37], v[30:31] op_sel:[1,0]
	ds_write2_b32 v61, v68, v69 offset0:34 offset1:35
	v_pk_mov_b32 v[68:69], v[30:31], v[22:23] op_sel:[1,0]
	ds_write2_b32 v61, v68, v69 offset0:36 offset1:37
	v_pk_mov_b32 v[68:69], v[22:23], v[14:15] op_sel:[1,0]
	ds_write2_b32 v61, v68, v69 offset0:38 offset1:39
	v_pk_mov_b32 v[68:69], v[14:15], v[18:19] op_sel:[1,0]
	ds_write2_b32 v61, v68, v69 offset0:40 offset1:41
	v_pk_mov_b32 v[68:69], v[18:19], v[24:25] op_sel:[1,0]
	ds_write2_b32 v61, v68, v69 offset0:42 offset1:43
	v_pk_mov_b32 v[68:69], v[24:25], v[16:17] op_sel:[1,0]
	ds_write2_b32 v61, v68, v69 offset0:44 offset1:45
	v_pk_mov_b32 v[68:69], v[16:17], v[8:9] op_sel:[1,0]
	ds_write2_b32 v61, v68, v69 offset0:46 offset1:47
	v_pk_mov_b32 v[68:69], v[8:9], v[10:11] op_sel:[1,0]
	ds_write2_b32 v61, v68, v69 offset0:48 offset1:49
	v_pk_mov_b32 v[68:69], v[10:11], v[0:1] op_sel:[1,0]
	ds_write2_b32 v61, v68, v69 offset0:50 offset1:51
	v_pk_mov_b32 v[68:69], v[0:1], v[12:13] op_sel:[1,0]
	v_mov_b32_e32 v65, 7
	ds_write2_b32 v61, v68, v69 offset0:52 offset1:53
	ds_write_b32 v61, v13 offset:216
.LBB108_129:
	s_or_b64 exec, exec, s[0:1]
	v_cmp_lt_i32_e32 vcc, 7, v65
	s_waitcnt lgkmcnt(0)
	s_barrier
	s_and_saveexec_b64 s[0:1], vcc
	s_cbranch_execz .LBB108_131
; %bb.130:
	ds_read_b32 v62, v61 offset:32
	ds_read2_b32 v[68:69], v61 offset0:9 offset1:10
	ds_read2_b32 v[70:71], v61 offset0:11 offset1:12
	v_mul_f32_e32 v56, v67, v56
	ds_read2_b32 v[72:73], v61 offset0:13 offset1:14
	s_waitcnt vmcnt(0) lgkmcnt(3)
	v_fma_f32 v57, -v56, v62, v57
	s_waitcnt lgkmcnt(2)
	v_pk_fma_f32 v[54:55], v[56:57], v[68:69], v[54:55] op_sel_hi:[0,1,1] neg_lo:[1,0,0] neg_hi:[1,0,0]
	s_waitcnt lgkmcnt(1)
	v_pk_fma_f32 v[52:53], v[56:57], v[70:71], v[52:53] op_sel_hi:[0,1,1] neg_lo:[1,0,0] neg_hi:[1,0,0]
	ds_read2_b32 v[68:69], v61 offset0:15 offset1:16
	ds_read2_b32 v[70:71], v61 offset0:17 offset1:18
	ds_read2_b32 v[74:75], v61 offset0:19 offset1:20
	s_waitcnt lgkmcnt(3)
	v_pk_fma_f32 v[50:51], v[56:57], v[72:73], v[50:51] op_sel_hi:[0,1,1] neg_lo:[1,0,0] neg_hi:[1,0,0]
	ds_read2_b32 v[72:73], v61 offset0:21 offset1:22
	s_waitcnt lgkmcnt(3)
	v_pk_fma_f32 v[48:49], v[56:57], v[68:69], v[48:49] op_sel_hi:[0,1,1] neg_lo:[1,0,0] neg_hi:[1,0,0]
	s_waitcnt lgkmcnt(2)
	v_pk_fma_f32 v[42:43], v[56:57], v[70:71], v[42:43] op_sel_hi:[0,1,1] neg_lo:[1,0,0] neg_hi:[1,0,0]
	s_waitcnt lgkmcnt(1)
	v_pk_fma_f32 v[38:39], v[56:57], v[74:75], v[38:39] op_sel_hi:[0,1,1] neg_lo:[1,0,0] neg_hi:[1,0,0]
	ds_read2_b32 v[68:69], v61 offset0:23 offset1:24
	ds_read2_b32 v[70:71], v61 offset0:25 offset1:26
	ds_read2_b32 v[74:75], v61 offset0:27 offset1:28
	s_waitcnt lgkmcnt(3)
	v_pk_fma_f32 v[32:33], v[56:57], v[72:73], v[32:33] op_sel_hi:[0,1,1] neg_lo:[1,0,0] neg_hi:[1,0,0]
	ds_read2_b32 v[72:73], v61 offset0:29 offset1:30
	s_waitcnt lgkmcnt(3)
	v_pk_fma_f32 v[26:27], v[56:57], v[68:69], v[26:27] op_sel_hi:[0,1,1] neg_lo:[1,0,0] neg_hi:[1,0,0]
	;; [unrolled: 12-line block ×4, first 2 shown]
	s_waitcnt lgkmcnt(2)
	v_pk_fma_f32 v[18:19], v[56:57], v[70:71], v[18:19] op_sel_hi:[0,1,1] neg_lo:[1,0,0] neg_hi:[1,0,0]
	s_waitcnt lgkmcnt(1)
	v_pk_fma_f32 v[24:25], v[56:57], v[74:75], v[24:25] op_sel_hi:[0,1,1] neg_lo:[1,0,0] neg_hi:[1,0,0]
	ds_read2_b32 v[68:69], v61 offset0:47 offset1:48
	ds_read2_b32 v[70:71], v61 offset0:49 offset1:50
	;; [unrolled: 1-line block ×4, first 2 shown]
	s_waitcnt lgkmcnt(4)
	v_pk_fma_f32 v[16:17], v[56:57], v[72:73], v[16:17] op_sel_hi:[0,1,1] neg_lo:[1,0,0] neg_hi:[1,0,0]
	s_waitcnt lgkmcnt(3)
	v_pk_fma_f32 v[8:9], v[56:57], v[68:69], v[8:9] op_sel_hi:[0,1,1] neg_lo:[1,0,0] neg_hi:[1,0,0]
	;; [unrolled: 2-line block ×5, first 2 shown]
.LBB108_131:
	s_or_b64 exec, exec, s[0:1]
	v_lshl_add_u32 v62, v65, 2, v61
	s_barrier
	s_waitcnt vmcnt(0)
	ds_write_b32 v62, v57
	s_waitcnt lgkmcnt(0)
	s_barrier
	ds_read_b32 v67, v61 offset:32
	s_cmp_lt_i32 s22, 10
	v_mov_b32_e32 v62, 8
	s_cbranch_scc1 .LBB108_134
; %bb.132:
	v_add3_u32 v68, v64, 0, 36
	v_mov_b32_e32 v62, 8
	s_mov_b32 s0, 9
.LBB108_133:                            ; =>This Inner Loop Header: Depth=1
	ds_read_b32 v69, v68
	v_mov_b32_e32 v70, s0
	s_add_i32 s0, s0, 1
	v_add_u32_e32 v68, 4, v68
	s_cmp_lg_u32 s22, s0
	s_waitcnt lgkmcnt(0)
	v_cmp_lt_f32_e64 vcc, |v67|, |v69|
	s_nop 1
	v_cndmask_b32_e32 v67, v67, v69, vcc
	v_cndmask_b32_e32 v62, v62, v70, vcc
	s_cbranch_scc1 .LBB108_133
.LBB108_134:
	s_waitcnt lgkmcnt(0)
	v_cmp_eq_f32_e32 vcc, 0, v67
	s_and_saveexec_b64 s[0:1], vcc
	s_xor_b64 s[0:1], exec, s[0:1]
; %bb.135:
	v_cmp_ne_u32_e32 vcc, 0, v66
	s_nop 1
	v_cndmask_b32_e32 v66, 9, v66, vcc
; %bb.136:
	s_andn2_saveexec_b64 s[0:1], s[0:1]
	s_cbranch_execz .LBB108_138
; %bb.137:
	v_div_scale_f32 v68, s[2:3], v67, v67, 1.0
	v_rcp_f32_e32 v69, v68
	v_div_scale_f32 v70, vcc, 1.0, v67, 1.0
	v_fma_f32 v71, -v68, v69, 1.0
	v_fmac_f32_e32 v69, v71, v69
	v_mul_f32_e32 v71, v70, v69
	v_fma_f32 v72, -v68, v71, v70
	v_fmac_f32_e32 v71, v72, v69
	v_fma_f32 v68, -v68, v71, v70
	v_div_fmas_f32 v68, v68, v69, v71
	v_div_fixup_f32 v67, v68, v67, 1.0
.LBB108_138:
	s_or_b64 exec, exec, s[0:1]
	v_cmp_ne_u32_e32 vcc, v65, v62
	s_and_saveexec_b64 s[0:1], vcc
	s_xor_b64 s[0:1], exec, s[0:1]
	s_cbranch_execz .LBB108_144
; %bb.139:
	v_cmp_eq_u32_e32 vcc, 8, v65
	s_and_saveexec_b64 s[2:3], vcc
	s_cbranch_execz .LBB108_143
; %bb.140:
	v_cmp_ne_u32_e32 vcc, 8, v62
	s_xor_b64 s[12:13], s[20:21], -1
	s_and_b64 s[14:15], s[12:13], vcc
	s_and_saveexec_b64 s[12:13], s[14:15]
	s_cbranch_execz .LBB108_142
; %bb.141:
	v_ashrrev_i32_e32 v63, 31, v62
	v_lshl_add_u64 v[68:69], v[62:63], 2, v[4:5]
	global_load_dword v63, v[68:69], off
	global_load_dword v65, v[4:5], off offset:32
	s_waitcnt vmcnt(1)
	global_store_dword v[4:5], v63, off offset:32
	s_waitcnt vmcnt(1)
	global_store_dword v[68:69], v65, off
.LBB108_142:
	s_or_b64 exec, exec, s[12:13]
	v_mov_b32_e32 v63, v62
	v_mov_b32_e32 v65, v62
.LBB108_143:
	s_or_b64 exec, exec, s[2:3]
.LBB108_144:
	s_andn2_saveexec_b64 s[0:1], s[0:1]
	s_cbranch_execz .LBB108_146
; %bb.145:
	v_mov_b32_e32 v65, 8
	ds_write2_b32 v61, v54, v55 offset0:9 offset1:10
	ds_write2_b32 v61, v52, v53 offset0:11 offset1:12
	;; [unrolled: 1-line block ×23, first 2 shown]
.LBB108_146:
	s_or_b64 exec, exec, s[0:1]
	v_cmp_lt_i32_e32 vcc, 8, v65
	s_waitcnt lgkmcnt(0)
	s_barrier
	s_and_saveexec_b64 s[0:1], vcc
	s_cbranch_execz .LBB108_148
; %bb.147:
	ds_read2_b32 v[68:69], v61 offset0:9 offset1:10
	ds_read2_b32 v[70:71], v61 offset0:11 offset1:12
	;; [unrolled: 1-line block ×3, first 2 shown]
	v_mul_f32_e32 v62, v67, v57
	ds_read2_b32 v[74:75], v61 offset0:15 offset1:16
	s_waitcnt lgkmcnt(3)
	v_pk_fma_f32 v[54:55], v[62:63], v[68:69], v[54:55] op_sel_hi:[0,1,1] neg_lo:[1,0,0] neg_hi:[1,0,0]
	s_waitcnt lgkmcnt(2)
	v_pk_fma_f32 v[52:53], v[62:63], v[70:71], v[52:53] op_sel_hi:[0,1,1] neg_lo:[1,0,0] neg_hi:[1,0,0]
	s_waitcnt lgkmcnt(1)
	v_pk_fma_f32 v[50:51], v[62:63], v[72:73], v[50:51] op_sel_hi:[0,1,1] neg_lo:[1,0,0] neg_hi:[1,0,0]
	ds_read2_b32 v[68:69], v61 offset0:17 offset1:18
	ds_read2_b32 v[70:71], v61 offset0:19 offset1:20
	ds_read2_b32 v[72:73], v61 offset0:21 offset1:22
	s_waitcnt lgkmcnt(3)
	v_pk_fma_f32 v[48:49], v[62:63], v[74:75], v[48:49] op_sel_hi:[0,1,1] neg_lo:[1,0,0] neg_hi:[1,0,0]
	ds_read2_b32 v[74:75], v61 offset0:23 offset1:24
	s_waitcnt lgkmcnt(3)
	v_pk_fma_f32 v[42:43], v[62:63], v[68:69], v[42:43] op_sel_hi:[0,1,1] neg_lo:[1,0,0] neg_hi:[1,0,0]
	s_waitcnt lgkmcnt(2)
	v_pk_fma_f32 v[38:39], v[62:63], v[70:71], v[38:39] op_sel_hi:[0,1,1] neg_lo:[1,0,0] neg_hi:[1,0,0]
	s_waitcnt lgkmcnt(1)
	v_pk_fma_f32 v[32:33], v[62:63], v[72:73], v[32:33] op_sel_hi:[0,1,1] neg_lo:[1,0,0] neg_hi:[1,0,0]
	ds_read2_b32 v[68:69], v61 offset0:25 offset1:26
	ds_read2_b32 v[70:71], v61 offset0:27 offset1:28
	ds_read2_b32 v[72:73], v61 offset0:29 offset1:30
	s_waitcnt lgkmcnt(3)
	v_pk_fma_f32 v[26:27], v[62:63], v[74:75], v[26:27] op_sel_hi:[0,1,1] neg_lo:[1,0,0] neg_hi:[1,0,0]
	;; [unrolled: 12-line block ×3, first 2 shown]
	ds_read2_b32 v[74:75], v61 offset0:39 offset1:40
	s_waitcnt lgkmcnt(3)
	v_pk_fma_f32 v[36:37], v[62:63], v[68:69], v[36:37] op_sel_hi:[0,1,1] neg_lo:[1,0,0] neg_hi:[1,0,0]
	s_waitcnt lgkmcnt(2)
	v_pk_fma_f32 v[30:31], v[62:63], v[70:71], v[30:31] op_sel_hi:[0,1,1] neg_lo:[1,0,0] neg_hi:[1,0,0]
	ds_read2_b32 v[68:69], v61 offset0:41 offset1:42
	ds_read2_b32 v[70:71], v61 offset0:43 offset1:44
	s_waitcnt lgkmcnt(3)
	v_pk_fma_f32 v[22:23], v[62:63], v[72:73], v[22:23] op_sel_hi:[0,1,1] neg_lo:[1,0,0] neg_hi:[1,0,0]
	s_waitcnt lgkmcnt(2)
	v_pk_fma_f32 v[14:15], v[62:63], v[74:75], v[14:15] op_sel_hi:[0,1,1] neg_lo:[1,0,0] neg_hi:[1,0,0]
	ds_read2_b32 v[72:73], v61 offset0:45 offset1:46
	;; [unrolled: 6-line block ×3, first 2 shown]
	ds_read2_b32 v[70:71], v61 offset0:51 offset1:52
	ds_read2_b32 v[76:77], v61 offset0:53 offset1:54
	s_waitcnt lgkmcnt(4)
	v_pk_fma_f32 v[16:17], v[62:63], v[72:73], v[16:17] op_sel_hi:[0,1,1] neg_lo:[1,0,0] neg_hi:[1,0,0]
	s_waitcnt lgkmcnt(3)
	v_pk_fma_f32 v[8:9], v[62:63], v[74:75], v[8:9] op_sel_hi:[0,1,1] neg_lo:[1,0,0] neg_hi:[1,0,0]
	;; [unrolled: 2-line block ×5, first 2 shown]
	v_mov_b32_e32 v57, v62
.LBB108_148:
	s_or_b64 exec, exec, s[0:1]
	v_lshl_add_u32 v62, v65, 2, v61
	s_barrier
	ds_write_b32 v62, v54
	s_waitcnt lgkmcnt(0)
	s_barrier
	ds_read_b32 v67, v61 offset:36
	s_cmp_lt_i32 s22, 11
	v_mov_b32_e32 v62, 9
	s_cbranch_scc1 .LBB108_151
; %bb.149:
	v_add3_u32 v68, v64, 0, 40
	v_mov_b32_e32 v62, 9
	s_mov_b32 s0, 10
.LBB108_150:                            ; =>This Inner Loop Header: Depth=1
	ds_read_b32 v69, v68
	v_mov_b32_e32 v70, s0
	s_add_i32 s0, s0, 1
	v_add_u32_e32 v68, 4, v68
	s_cmp_lg_u32 s22, s0
	s_waitcnt lgkmcnt(0)
	v_cmp_lt_f32_e64 vcc, |v67|, |v69|
	s_nop 1
	v_cndmask_b32_e32 v67, v67, v69, vcc
	v_cndmask_b32_e32 v62, v62, v70, vcc
	s_cbranch_scc1 .LBB108_150
.LBB108_151:
	s_waitcnt lgkmcnt(0)
	v_cmp_eq_f32_e32 vcc, 0, v67
	s_and_saveexec_b64 s[0:1], vcc
	s_xor_b64 s[0:1], exec, s[0:1]
; %bb.152:
	v_cmp_ne_u32_e32 vcc, 0, v66
	s_nop 1
	v_cndmask_b32_e32 v66, 10, v66, vcc
; %bb.153:
	s_andn2_saveexec_b64 s[0:1], s[0:1]
	s_cbranch_execz .LBB108_155
; %bb.154:
	v_div_scale_f32 v68, s[2:3], v67, v67, 1.0
	v_rcp_f32_e32 v69, v68
	v_div_scale_f32 v70, vcc, 1.0, v67, 1.0
	v_fma_f32 v71, -v68, v69, 1.0
	v_fmac_f32_e32 v69, v71, v69
	v_mul_f32_e32 v71, v70, v69
	v_fma_f32 v72, -v68, v71, v70
	v_fmac_f32_e32 v71, v72, v69
	v_fma_f32 v68, -v68, v71, v70
	v_div_fmas_f32 v68, v68, v69, v71
	v_div_fixup_f32 v67, v68, v67, 1.0
.LBB108_155:
	s_or_b64 exec, exec, s[0:1]
	v_cmp_ne_u32_e32 vcc, v65, v62
	s_and_saveexec_b64 s[0:1], vcc
	s_xor_b64 s[0:1], exec, s[0:1]
	s_cbranch_execz .LBB108_161
; %bb.156:
	v_cmp_eq_u32_e32 vcc, 9, v65
	s_and_saveexec_b64 s[2:3], vcc
	s_cbranch_execz .LBB108_160
; %bb.157:
	v_cmp_ne_u32_e32 vcc, 9, v62
	s_xor_b64 s[12:13], s[20:21], -1
	s_and_b64 s[14:15], s[12:13], vcc
	s_and_saveexec_b64 s[12:13], s[14:15]
	s_cbranch_execz .LBB108_159
; %bb.158:
	v_ashrrev_i32_e32 v63, 31, v62
	v_lshl_add_u64 v[68:69], v[62:63], 2, v[4:5]
	global_load_dword v63, v[68:69], off
	global_load_dword v65, v[4:5], off offset:36
	s_waitcnt vmcnt(1)
	global_store_dword v[4:5], v63, off offset:36
	s_waitcnt vmcnt(1)
	global_store_dword v[68:69], v65, off
.LBB108_159:
	s_or_b64 exec, exec, s[12:13]
	v_mov_b32_e32 v63, v62
	v_mov_b32_e32 v65, v62
.LBB108_160:
	s_or_b64 exec, exec, s[2:3]
.LBB108_161:
	s_andn2_saveexec_b64 s[0:1], s[0:1]
	s_cbranch_execz .LBB108_163
; %bb.162:
	v_pk_mov_b32 v[68:69], v[54:55], v[52:53] op_sel:[1,0]
	ds_write2_b32 v61, v68, v69 offset0:10 offset1:11
	v_pk_mov_b32 v[68:69], v[52:53], v[50:51] op_sel:[1,0]
	ds_write2_b32 v61, v68, v69 offset0:12 offset1:13
	;; [unrolled: 2-line block ×21, first 2 shown]
	v_pk_mov_b32 v[68:69], v[0:1], v[12:13] op_sel:[1,0]
	v_mov_b32_e32 v65, 9
	ds_write2_b32 v61, v68, v69 offset0:52 offset1:53
	ds_write_b32 v61, v13 offset:216
.LBB108_163:
	s_or_b64 exec, exec, s[0:1]
	v_cmp_lt_i32_e32 vcc, 9, v65
	s_waitcnt lgkmcnt(0)
	s_barrier
	s_and_saveexec_b64 s[0:1], vcc
	s_cbranch_execz .LBB108_165
; %bb.164:
	ds_read_b32 v62, v61 offset:40
	ds_read2_b32 v[68:69], v61 offset0:11 offset1:12
	ds_read2_b32 v[70:71], v61 offset0:13 offset1:14
	v_mul_f32_e32 v54, v67, v54
	ds_read2_b32 v[72:73], v61 offset0:15 offset1:16
	s_waitcnt lgkmcnt(3)
	v_fma_f32 v55, -v54, v62, v55
	s_waitcnt lgkmcnt(2)
	v_pk_fma_f32 v[52:53], v[54:55], v[68:69], v[52:53] op_sel_hi:[0,1,1] neg_lo:[1,0,0] neg_hi:[1,0,0]
	s_waitcnt lgkmcnt(1)
	v_pk_fma_f32 v[50:51], v[54:55], v[70:71], v[50:51] op_sel_hi:[0,1,1] neg_lo:[1,0,0] neg_hi:[1,0,0]
	ds_read2_b32 v[68:69], v61 offset0:17 offset1:18
	ds_read2_b32 v[70:71], v61 offset0:19 offset1:20
	ds_read2_b32 v[74:75], v61 offset0:21 offset1:22
	s_waitcnt lgkmcnt(3)
	v_pk_fma_f32 v[48:49], v[54:55], v[72:73], v[48:49] op_sel_hi:[0,1,1] neg_lo:[1,0,0] neg_hi:[1,0,0]
	ds_read2_b32 v[72:73], v61 offset0:23 offset1:24
	s_waitcnt lgkmcnt(3)
	v_pk_fma_f32 v[42:43], v[54:55], v[68:69], v[42:43] op_sel_hi:[0,1,1] neg_lo:[1,0,0] neg_hi:[1,0,0]
	s_waitcnt lgkmcnt(2)
	v_pk_fma_f32 v[38:39], v[54:55], v[70:71], v[38:39] op_sel_hi:[0,1,1] neg_lo:[1,0,0] neg_hi:[1,0,0]
	s_waitcnt lgkmcnt(1)
	v_pk_fma_f32 v[32:33], v[54:55], v[74:75], v[32:33] op_sel_hi:[0,1,1] neg_lo:[1,0,0] neg_hi:[1,0,0]
	ds_read2_b32 v[68:69], v61 offset0:25 offset1:26
	ds_read2_b32 v[70:71], v61 offset0:27 offset1:28
	ds_read2_b32 v[74:75], v61 offset0:29 offset1:30
	s_waitcnt lgkmcnt(3)
	v_pk_fma_f32 v[26:27], v[54:55], v[72:73], v[26:27] op_sel_hi:[0,1,1] neg_lo:[1,0,0] neg_hi:[1,0,0]
	ds_read2_b32 v[72:73], v61 offset0:31 offset1:32
	s_waitcnt lgkmcnt(3)
	v_pk_fma_f32 v[40:41], v[54:55], v[68:69], v[40:41] op_sel_hi:[0,1,1] neg_lo:[1,0,0] neg_hi:[1,0,0]
	;; [unrolled: 12-line block ×3, first 2 shown]
	s_waitcnt lgkmcnt(2)
	v_pk_fma_f32 v[30:31], v[54:55], v[70:71], v[30:31] op_sel_hi:[0,1,1] neg_lo:[1,0,0] neg_hi:[1,0,0]
	ds_read2_b32 v[68:69], v61 offset0:41 offset1:42
	ds_read2_b32 v[70:71], v61 offset0:43 offset1:44
	s_waitcnt lgkmcnt(3)
	v_pk_fma_f32 v[22:23], v[54:55], v[74:75], v[22:23] op_sel_hi:[0,1,1] neg_lo:[1,0,0] neg_hi:[1,0,0]
	s_waitcnt lgkmcnt(2)
	v_pk_fma_f32 v[14:15], v[54:55], v[72:73], v[14:15] op_sel_hi:[0,1,1] neg_lo:[1,0,0] neg_hi:[1,0,0]
	ds_read2_b32 v[72:73], v61 offset0:45 offset1:46
	ds_read2_b32 v[74:75], v61 offset0:47 offset1:48
	s_waitcnt lgkmcnt(3)
	v_pk_fma_f32 v[18:19], v[54:55], v[68:69], v[18:19] op_sel_hi:[0,1,1] neg_lo:[1,0,0] neg_hi:[1,0,0]
	s_waitcnt lgkmcnt(2)
	v_pk_fma_f32 v[24:25], v[54:55], v[70:71], v[24:25] op_sel_hi:[0,1,1] neg_lo:[1,0,0] neg_hi:[1,0,0]
	ds_read2_b32 v[68:69], v61 offset0:49 offset1:50
	ds_read2_b32 v[70:71], v61 offset0:51 offset1:52
	;; [unrolled: 1-line block ×3, first 2 shown]
	s_waitcnt lgkmcnt(4)
	v_pk_fma_f32 v[16:17], v[54:55], v[72:73], v[16:17] op_sel_hi:[0,1,1] neg_lo:[1,0,0] neg_hi:[1,0,0]
	s_waitcnt lgkmcnt(3)
	v_pk_fma_f32 v[8:9], v[54:55], v[74:75], v[8:9] op_sel_hi:[0,1,1] neg_lo:[1,0,0] neg_hi:[1,0,0]
	;; [unrolled: 2-line block ×5, first 2 shown]
.LBB108_165:
	s_or_b64 exec, exec, s[0:1]
	v_lshl_add_u32 v62, v65, 2, v61
	s_barrier
	ds_write_b32 v62, v55
	s_waitcnt lgkmcnt(0)
	s_barrier
	ds_read_b32 v67, v61 offset:40
	s_cmp_lt_i32 s22, 12
	v_mov_b32_e32 v62, 10
	s_cbranch_scc1 .LBB108_168
; %bb.166:
	v_add3_u32 v68, v64, 0, 44
	v_mov_b32_e32 v62, 10
	s_mov_b32 s0, 11
.LBB108_167:                            ; =>This Inner Loop Header: Depth=1
	ds_read_b32 v69, v68
	v_mov_b32_e32 v70, s0
	s_add_i32 s0, s0, 1
	v_add_u32_e32 v68, 4, v68
	s_cmp_lg_u32 s22, s0
	s_waitcnt lgkmcnt(0)
	v_cmp_lt_f32_e64 vcc, |v67|, |v69|
	s_nop 1
	v_cndmask_b32_e32 v67, v67, v69, vcc
	v_cndmask_b32_e32 v62, v62, v70, vcc
	s_cbranch_scc1 .LBB108_167
.LBB108_168:
	s_waitcnt lgkmcnt(0)
	v_cmp_eq_f32_e32 vcc, 0, v67
	s_and_saveexec_b64 s[0:1], vcc
	s_xor_b64 s[0:1], exec, s[0:1]
; %bb.169:
	v_cmp_ne_u32_e32 vcc, 0, v66
	s_nop 1
	v_cndmask_b32_e32 v66, 11, v66, vcc
; %bb.170:
	s_andn2_saveexec_b64 s[0:1], s[0:1]
	s_cbranch_execz .LBB108_172
; %bb.171:
	v_div_scale_f32 v68, s[2:3], v67, v67, 1.0
	v_rcp_f32_e32 v69, v68
	v_div_scale_f32 v70, vcc, 1.0, v67, 1.0
	v_fma_f32 v71, -v68, v69, 1.0
	v_fmac_f32_e32 v69, v71, v69
	v_mul_f32_e32 v71, v70, v69
	v_fma_f32 v72, -v68, v71, v70
	v_fmac_f32_e32 v71, v72, v69
	v_fma_f32 v68, -v68, v71, v70
	v_div_fmas_f32 v68, v68, v69, v71
	v_div_fixup_f32 v67, v68, v67, 1.0
.LBB108_172:
	s_or_b64 exec, exec, s[0:1]
	v_cmp_ne_u32_e32 vcc, v65, v62
	s_and_saveexec_b64 s[0:1], vcc
	s_xor_b64 s[0:1], exec, s[0:1]
	s_cbranch_execz .LBB108_178
; %bb.173:
	v_cmp_eq_u32_e32 vcc, 10, v65
	s_and_saveexec_b64 s[2:3], vcc
	s_cbranch_execz .LBB108_177
; %bb.174:
	v_cmp_ne_u32_e32 vcc, 10, v62
	s_xor_b64 s[12:13], s[20:21], -1
	s_and_b64 s[14:15], s[12:13], vcc
	s_and_saveexec_b64 s[12:13], s[14:15]
	s_cbranch_execz .LBB108_176
; %bb.175:
	v_ashrrev_i32_e32 v63, 31, v62
	v_lshl_add_u64 v[68:69], v[62:63], 2, v[4:5]
	global_load_dword v63, v[68:69], off
	global_load_dword v65, v[4:5], off offset:40
	s_waitcnt vmcnt(1)
	global_store_dword v[4:5], v63, off offset:40
	s_waitcnt vmcnt(1)
	global_store_dword v[68:69], v65, off
.LBB108_176:
	s_or_b64 exec, exec, s[12:13]
	v_mov_b32_e32 v63, v62
	v_mov_b32_e32 v65, v62
.LBB108_177:
	s_or_b64 exec, exec, s[2:3]
.LBB108_178:
	s_andn2_saveexec_b64 s[0:1], s[0:1]
	s_cbranch_execz .LBB108_180
; %bb.179:
	v_mov_b32_e32 v65, 10
	ds_write2_b32 v61, v52, v53 offset0:11 offset1:12
	ds_write2_b32 v61, v50, v51 offset0:13 offset1:14
	;; [unrolled: 1-line block ×22, first 2 shown]
.LBB108_180:
	s_or_b64 exec, exec, s[0:1]
	v_cmp_lt_i32_e32 vcc, 10, v65
	s_waitcnt lgkmcnt(0)
	s_barrier
	s_and_saveexec_b64 s[0:1], vcc
	s_cbranch_execz .LBB108_182
; %bb.181:
	ds_read2_b32 v[68:69], v61 offset0:11 offset1:12
	ds_read2_b32 v[70:71], v61 offset0:13 offset1:14
	;; [unrolled: 1-line block ×4, first 2 shown]
	v_mul_f32_e32 v62, v67, v55
	s_waitcnt lgkmcnt(3)
	v_pk_fma_f32 v[52:53], v[62:63], v[68:69], v[52:53] op_sel_hi:[0,1,1] neg_lo:[1,0,0] neg_hi:[1,0,0]
	s_waitcnt lgkmcnt(2)
	v_pk_fma_f32 v[50:51], v[62:63], v[70:71], v[50:51] op_sel_hi:[0,1,1] neg_lo:[1,0,0] neg_hi:[1,0,0]
	s_waitcnt lgkmcnt(1)
	v_pk_fma_f32 v[48:49], v[62:63], v[72:73], v[48:49] op_sel_hi:[0,1,1] neg_lo:[1,0,0] neg_hi:[1,0,0]
	ds_read2_b32 v[68:69], v61 offset0:19 offset1:20
	ds_read2_b32 v[70:71], v61 offset0:21 offset1:22
	ds_read2_b32 v[72:73], v61 offset0:23 offset1:24
	s_waitcnt lgkmcnt(3)
	v_pk_fma_f32 v[42:43], v[62:63], v[74:75], v[42:43] op_sel_hi:[0,1,1] neg_lo:[1,0,0] neg_hi:[1,0,0]
	ds_read2_b32 v[74:75], v61 offset0:25 offset1:26
	s_waitcnt lgkmcnt(3)
	v_pk_fma_f32 v[38:39], v[62:63], v[68:69], v[38:39] op_sel_hi:[0,1,1] neg_lo:[1,0,0] neg_hi:[1,0,0]
	s_waitcnt lgkmcnt(2)
	v_pk_fma_f32 v[32:33], v[62:63], v[70:71], v[32:33] op_sel_hi:[0,1,1] neg_lo:[1,0,0] neg_hi:[1,0,0]
	s_waitcnt lgkmcnt(1)
	v_pk_fma_f32 v[26:27], v[62:63], v[72:73], v[26:27] op_sel_hi:[0,1,1] neg_lo:[1,0,0] neg_hi:[1,0,0]
	ds_read2_b32 v[68:69], v61 offset0:27 offset1:28
	ds_read2_b32 v[70:71], v61 offset0:29 offset1:30
	ds_read2_b32 v[72:73], v61 offset0:31 offset1:32
	s_waitcnt lgkmcnt(3)
	v_pk_fma_f32 v[40:41], v[62:63], v[74:75], v[40:41] op_sel_hi:[0,1,1] neg_lo:[1,0,0] neg_hi:[1,0,0]
	ds_read2_b32 v[74:75], v61 offset0:33 offset1:34
	;; [unrolled: 12-line block ×3, first 2 shown]
	s_waitcnt lgkmcnt(3)
	v_pk_fma_f32 v[30:31], v[62:63], v[68:69], v[30:31] op_sel_hi:[0,1,1] neg_lo:[1,0,0] neg_hi:[1,0,0]
	ds_read2_b32 v[68:69], v61 offset0:43 offset1:44
	s_waitcnt lgkmcnt(3)
	v_pk_fma_f32 v[22:23], v[62:63], v[70:71], v[22:23] op_sel_hi:[0,1,1] neg_lo:[1,0,0] neg_hi:[1,0,0]
	s_waitcnt lgkmcnt(2)
	v_pk_fma_f32 v[14:15], v[62:63], v[72:73], v[14:15] op_sel_hi:[0,1,1] neg_lo:[1,0,0] neg_hi:[1,0,0]
	;; [unrolled: 2-line block ×3, first 2 shown]
	ds_read2_b32 v[70:71], v61 offset0:45 offset1:46
	ds_read2_b32 v[72:73], v61 offset0:47 offset1:48
	;; [unrolled: 1-line block ×3, first 2 shown]
	s_waitcnt lgkmcnt(3)
	v_pk_fma_f32 v[24:25], v[62:63], v[68:69], v[24:25] op_sel_hi:[0,1,1] neg_lo:[1,0,0] neg_hi:[1,0,0]
	ds_read2_b32 v[68:69], v61 offset0:51 offset1:52
	ds_read2_b32 v[76:77], v61 offset0:53 offset1:54
	s_waitcnt lgkmcnt(4)
	v_pk_fma_f32 v[16:17], v[62:63], v[70:71], v[16:17] op_sel_hi:[0,1,1] neg_lo:[1,0,0] neg_hi:[1,0,0]
	s_waitcnt lgkmcnt(3)
	v_pk_fma_f32 v[8:9], v[62:63], v[72:73], v[8:9] op_sel_hi:[0,1,1] neg_lo:[1,0,0] neg_hi:[1,0,0]
	;; [unrolled: 2-line block ×5, first 2 shown]
	v_mov_b32_e32 v55, v62
.LBB108_182:
	s_or_b64 exec, exec, s[0:1]
	v_lshl_add_u32 v62, v65, 2, v61
	s_barrier
	ds_write_b32 v62, v52
	s_waitcnt lgkmcnt(0)
	s_barrier
	ds_read_b32 v67, v61 offset:44
	s_cmp_lt_i32 s22, 13
	v_mov_b32_e32 v62, 11
	s_cbranch_scc1 .LBB108_185
; %bb.183:
	v_add3_u32 v68, v64, 0, 48
	v_mov_b32_e32 v62, 11
	s_mov_b32 s0, 12
.LBB108_184:                            ; =>This Inner Loop Header: Depth=1
	ds_read_b32 v69, v68
	v_mov_b32_e32 v70, s0
	s_add_i32 s0, s0, 1
	v_add_u32_e32 v68, 4, v68
	s_cmp_lg_u32 s22, s0
	s_waitcnt lgkmcnt(0)
	v_cmp_lt_f32_e64 vcc, |v67|, |v69|
	s_nop 1
	v_cndmask_b32_e32 v67, v67, v69, vcc
	v_cndmask_b32_e32 v62, v62, v70, vcc
	s_cbranch_scc1 .LBB108_184
.LBB108_185:
	s_waitcnt lgkmcnt(0)
	v_cmp_eq_f32_e32 vcc, 0, v67
	s_and_saveexec_b64 s[0:1], vcc
	s_xor_b64 s[0:1], exec, s[0:1]
; %bb.186:
	v_cmp_ne_u32_e32 vcc, 0, v66
	s_nop 1
	v_cndmask_b32_e32 v66, 12, v66, vcc
; %bb.187:
	s_andn2_saveexec_b64 s[0:1], s[0:1]
	s_cbranch_execz .LBB108_189
; %bb.188:
	v_div_scale_f32 v68, s[2:3], v67, v67, 1.0
	v_rcp_f32_e32 v69, v68
	v_div_scale_f32 v70, vcc, 1.0, v67, 1.0
	v_fma_f32 v71, -v68, v69, 1.0
	v_fmac_f32_e32 v69, v71, v69
	v_mul_f32_e32 v71, v70, v69
	v_fma_f32 v72, -v68, v71, v70
	v_fmac_f32_e32 v71, v72, v69
	v_fma_f32 v68, -v68, v71, v70
	v_div_fmas_f32 v68, v68, v69, v71
	v_div_fixup_f32 v67, v68, v67, 1.0
.LBB108_189:
	s_or_b64 exec, exec, s[0:1]
	v_cmp_ne_u32_e32 vcc, v65, v62
	s_and_saveexec_b64 s[0:1], vcc
	s_xor_b64 s[0:1], exec, s[0:1]
	s_cbranch_execz .LBB108_195
; %bb.190:
	v_cmp_eq_u32_e32 vcc, 11, v65
	s_and_saveexec_b64 s[2:3], vcc
	s_cbranch_execz .LBB108_194
; %bb.191:
	v_cmp_ne_u32_e32 vcc, 11, v62
	s_xor_b64 s[12:13], s[20:21], -1
	s_and_b64 s[14:15], s[12:13], vcc
	s_and_saveexec_b64 s[12:13], s[14:15]
	s_cbranch_execz .LBB108_193
; %bb.192:
	v_ashrrev_i32_e32 v63, 31, v62
	v_lshl_add_u64 v[68:69], v[62:63], 2, v[4:5]
	global_load_dword v63, v[68:69], off
	global_load_dword v65, v[4:5], off offset:44
	s_waitcnt vmcnt(1)
	global_store_dword v[4:5], v63, off offset:44
	s_waitcnt vmcnt(1)
	global_store_dword v[68:69], v65, off
.LBB108_193:
	s_or_b64 exec, exec, s[12:13]
	v_mov_b32_e32 v63, v62
	v_mov_b32_e32 v65, v62
.LBB108_194:
	s_or_b64 exec, exec, s[2:3]
.LBB108_195:
	s_andn2_saveexec_b64 s[0:1], s[0:1]
	s_cbranch_execz .LBB108_197
; %bb.196:
	v_pk_mov_b32 v[68:69], v[52:53], v[50:51] op_sel:[1,0]
	ds_write2_b32 v61, v68, v69 offset0:12 offset1:13
	v_pk_mov_b32 v[68:69], v[50:51], v[48:49] op_sel:[1,0]
	ds_write2_b32 v61, v68, v69 offset0:14 offset1:15
	;; [unrolled: 2-line block ×20, first 2 shown]
	v_pk_mov_b32 v[68:69], v[0:1], v[12:13] op_sel:[1,0]
	v_mov_b32_e32 v65, 11
	ds_write2_b32 v61, v68, v69 offset0:52 offset1:53
	ds_write_b32 v61, v13 offset:216
.LBB108_197:
	s_or_b64 exec, exec, s[0:1]
	v_cmp_lt_i32_e32 vcc, 11, v65
	s_waitcnt lgkmcnt(0)
	s_barrier
	s_and_saveexec_b64 s[0:1], vcc
	s_cbranch_execz .LBB108_199
; %bb.198:
	ds_read_b32 v62, v61 offset:48
	ds_read2_b32 v[68:69], v61 offset0:13 offset1:14
	ds_read2_b32 v[70:71], v61 offset0:15 offset1:16
	v_mul_f32_e32 v52, v67, v52
	ds_read2_b32 v[72:73], v61 offset0:17 offset1:18
	s_waitcnt lgkmcnt(3)
	v_fma_f32 v53, -v52, v62, v53
	s_waitcnt lgkmcnt(2)
	v_pk_fma_f32 v[50:51], v[52:53], v[68:69], v[50:51] op_sel_hi:[0,1,1] neg_lo:[1,0,0] neg_hi:[1,0,0]
	s_waitcnt lgkmcnt(1)
	v_pk_fma_f32 v[48:49], v[52:53], v[70:71], v[48:49] op_sel_hi:[0,1,1] neg_lo:[1,0,0] neg_hi:[1,0,0]
	ds_read2_b32 v[68:69], v61 offset0:19 offset1:20
	ds_read2_b32 v[70:71], v61 offset0:21 offset1:22
	ds_read2_b32 v[74:75], v61 offset0:23 offset1:24
	s_waitcnt lgkmcnt(3)
	v_pk_fma_f32 v[42:43], v[52:53], v[72:73], v[42:43] op_sel_hi:[0,1,1] neg_lo:[1,0,0] neg_hi:[1,0,0]
	ds_read2_b32 v[72:73], v61 offset0:25 offset1:26
	s_waitcnt lgkmcnt(3)
	v_pk_fma_f32 v[38:39], v[52:53], v[68:69], v[38:39] op_sel_hi:[0,1,1] neg_lo:[1,0,0] neg_hi:[1,0,0]
	s_waitcnt lgkmcnt(2)
	v_pk_fma_f32 v[32:33], v[52:53], v[70:71], v[32:33] op_sel_hi:[0,1,1] neg_lo:[1,0,0] neg_hi:[1,0,0]
	s_waitcnt lgkmcnt(1)
	v_pk_fma_f32 v[26:27], v[52:53], v[74:75], v[26:27] op_sel_hi:[0,1,1] neg_lo:[1,0,0] neg_hi:[1,0,0]
	ds_read2_b32 v[68:69], v61 offset0:27 offset1:28
	ds_read2_b32 v[70:71], v61 offset0:29 offset1:30
	ds_read2_b32 v[74:75], v61 offset0:31 offset1:32
	s_waitcnt lgkmcnt(3)
	v_pk_fma_f32 v[40:41], v[52:53], v[72:73], v[40:41] op_sel_hi:[0,1,1] neg_lo:[1,0,0] neg_hi:[1,0,0]
	ds_read2_b32 v[72:73], v61 offset0:33 offset1:34
	s_waitcnt lgkmcnt(3)
	v_pk_fma_f32 v[34:35], v[52:53], v[68:69], v[34:35] op_sel_hi:[0,1,1] neg_lo:[1,0,0] neg_hi:[1,0,0]
	;; [unrolled: 12-line block ×3, first 2 shown]
	ds_read2_b32 v[68:69], v61 offset0:43 offset1:44
	s_waitcnt lgkmcnt(3)
	v_pk_fma_f32 v[22:23], v[52:53], v[70:71], v[22:23] op_sel_hi:[0,1,1] neg_lo:[1,0,0] neg_hi:[1,0,0]
	s_waitcnt lgkmcnt(2)
	v_pk_fma_f32 v[14:15], v[52:53], v[74:75], v[14:15] op_sel_hi:[0,1,1] neg_lo:[1,0,0] neg_hi:[1,0,0]
	;; [unrolled: 2-line block ×3, first 2 shown]
	ds_read2_b32 v[70:71], v61 offset0:45 offset1:46
	ds_read2_b32 v[72:73], v61 offset0:47 offset1:48
	;; [unrolled: 1-line block ×3, first 2 shown]
	s_waitcnt lgkmcnt(3)
	v_pk_fma_f32 v[24:25], v[52:53], v[68:69], v[24:25] op_sel_hi:[0,1,1] neg_lo:[1,0,0] neg_hi:[1,0,0]
	ds_read2_b32 v[68:69], v61 offset0:51 offset1:52
	ds_read2_b32 v[76:77], v61 offset0:53 offset1:54
	s_waitcnt lgkmcnt(4)
	v_pk_fma_f32 v[16:17], v[52:53], v[70:71], v[16:17] op_sel_hi:[0,1,1] neg_lo:[1,0,0] neg_hi:[1,0,0]
	s_waitcnt lgkmcnt(3)
	v_pk_fma_f32 v[8:9], v[52:53], v[72:73], v[8:9] op_sel_hi:[0,1,1] neg_lo:[1,0,0] neg_hi:[1,0,0]
	;; [unrolled: 2-line block ×5, first 2 shown]
.LBB108_199:
	s_or_b64 exec, exec, s[0:1]
	v_lshl_add_u32 v62, v65, 2, v61
	s_barrier
	ds_write_b32 v62, v53
	s_waitcnt lgkmcnt(0)
	s_barrier
	ds_read_b32 v67, v61 offset:48
	s_cmp_lt_i32 s22, 14
	v_mov_b32_e32 v62, 12
	s_cbranch_scc1 .LBB108_202
; %bb.200:
	v_add3_u32 v68, v64, 0, 52
	v_mov_b32_e32 v62, 12
	s_mov_b32 s0, 13
.LBB108_201:                            ; =>This Inner Loop Header: Depth=1
	ds_read_b32 v69, v68
	v_mov_b32_e32 v70, s0
	s_add_i32 s0, s0, 1
	v_add_u32_e32 v68, 4, v68
	s_cmp_lg_u32 s22, s0
	s_waitcnt lgkmcnt(0)
	v_cmp_lt_f32_e64 vcc, |v67|, |v69|
	s_nop 1
	v_cndmask_b32_e32 v67, v67, v69, vcc
	v_cndmask_b32_e32 v62, v62, v70, vcc
	s_cbranch_scc1 .LBB108_201
.LBB108_202:
	s_waitcnt lgkmcnt(0)
	v_cmp_eq_f32_e32 vcc, 0, v67
	s_and_saveexec_b64 s[0:1], vcc
	s_xor_b64 s[0:1], exec, s[0:1]
; %bb.203:
	v_cmp_ne_u32_e32 vcc, 0, v66
	s_nop 1
	v_cndmask_b32_e32 v66, 13, v66, vcc
; %bb.204:
	s_andn2_saveexec_b64 s[0:1], s[0:1]
	s_cbranch_execz .LBB108_206
; %bb.205:
	v_div_scale_f32 v68, s[2:3], v67, v67, 1.0
	v_rcp_f32_e32 v69, v68
	v_div_scale_f32 v70, vcc, 1.0, v67, 1.0
	v_fma_f32 v71, -v68, v69, 1.0
	v_fmac_f32_e32 v69, v71, v69
	v_mul_f32_e32 v71, v70, v69
	v_fma_f32 v72, -v68, v71, v70
	v_fmac_f32_e32 v71, v72, v69
	v_fma_f32 v68, -v68, v71, v70
	v_div_fmas_f32 v68, v68, v69, v71
	v_div_fixup_f32 v67, v68, v67, 1.0
.LBB108_206:
	s_or_b64 exec, exec, s[0:1]
	v_cmp_ne_u32_e32 vcc, v65, v62
	s_and_saveexec_b64 s[0:1], vcc
	s_xor_b64 s[0:1], exec, s[0:1]
	s_cbranch_execz .LBB108_212
; %bb.207:
	v_cmp_eq_u32_e32 vcc, 12, v65
	s_and_saveexec_b64 s[2:3], vcc
	s_cbranch_execz .LBB108_211
; %bb.208:
	v_cmp_ne_u32_e32 vcc, 12, v62
	s_xor_b64 s[12:13], s[20:21], -1
	s_and_b64 s[14:15], s[12:13], vcc
	s_and_saveexec_b64 s[12:13], s[14:15]
	s_cbranch_execz .LBB108_210
; %bb.209:
	v_ashrrev_i32_e32 v63, 31, v62
	v_lshl_add_u64 v[68:69], v[62:63], 2, v[4:5]
	global_load_dword v63, v[68:69], off
	global_load_dword v65, v[4:5], off offset:48
	s_waitcnt vmcnt(1)
	global_store_dword v[4:5], v63, off offset:48
	s_waitcnt vmcnt(1)
	global_store_dword v[68:69], v65, off
.LBB108_210:
	s_or_b64 exec, exec, s[12:13]
	v_mov_b32_e32 v63, v62
	v_mov_b32_e32 v65, v62
.LBB108_211:
	s_or_b64 exec, exec, s[2:3]
.LBB108_212:
	s_andn2_saveexec_b64 s[0:1], s[0:1]
	s_cbranch_execz .LBB108_214
; %bb.213:
	v_mov_b32_e32 v65, 12
	ds_write2_b32 v61, v50, v51 offset0:13 offset1:14
	ds_write2_b32 v61, v48, v49 offset0:15 offset1:16
	;; [unrolled: 1-line block ×21, first 2 shown]
.LBB108_214:
	s_or_b64 exec, exec, s[0:1]
	v_cmp_lt_i32_e32 vcc, 12, v65
	s_waitcnt lgkmcnt(0)
	s_barrier
	s_and_saveexec_b64 s[0:1], vcc
	s_cbranch_execz .LBB108_216
; %bb.215:
	ds_read2_b32 v[68:69], v61 offset0:13 offset1:14
	ds_read2_b32 v[70:71], v61 offset0:15 offset1:16
	;; [unrolled: 1-line block ×3, first 2 shown]
	v_mul_f32_e32 v62, v67, v53
	ds_read2_b32 v[74:75], v61 offset0:19 offset1:20
	s_waitcnt lgkmcnt(3)
	v_pk_fma_f32 v[50:51], v[62:63], v[68:69], v[50:51] op_sel_hi:[0,1,1] neg_lo:[1,0,0] neg_hi:[1,0,0]
	s_waitcnt lgkmcnt(2)
	v_pk_fma_f32 v[48:49], v[62:63], v[70:71], v[48:49] op_sel_hi:[0,1,1] neg_lo:[1,0,0] neg_hi:[1,0,0]
	;; [unrolled: 2-line block ×3, first 2 shown]
	ds_read2_b32 v[68:69], v61 offset0:21 offset1:22
	ds_read2_b32 v[70:71], v61 offset0:23 offset1:24
	;; [unrolled: 1-line block ×3, first 2 shown]
	s_waitcnt lgkmcnt(3)
	v_pk_fma_f32 v[38:39], v[62:63], v[74:75], v[38:39] op_sel_hi:[0,1,1] neg_lo:[1,0,0] neg_hi:[1,0,0]
	ds_read2_b32 v[74:75], v61 offset0:27 offset1:28
	s_waitcnt lgkmcnt(3)
	v_pk_fma_f32 v[32:33], v[62:63], v[68:69], v[32:33] op_sel_hi:[0,1,1] neg_lo:[1,0,0] neg_hi:[1,0,0]
	s_waitcnt lgkmcnt(2)
	v_pk_fma_f32 v[26:27], v[62:63], v[70:71], v[26:27] op_sel_hi:[0,1,1] neg_lo:[1,0,0] neg_hi:[1,0,0]
	;; [unrolled: 2-line block ×3, first 2 shown]
	ds_read2_b32 v[68:69], v61 offset0:29 offset1:30
	ds_read2_b32 v[70:71], v61 offset0:31 offset1:32
	ds_read2_b32 v[72:73], v61 offset0:33 offset1:34
	s_waitcnt lgkmcnt(3)
	v_pk_fma_f32 v[34:35], v[62:63], v[74:75], v[34:35] op_sel_hi:[0,1,1] neg_lo:[1,0,0] neg_hi:[1,0,0]
	ds_read2_b32 v[74:75], v61 offset0:35 offset1:36
	s_waitcnt lgkmcnt(3)
	v_pk_fma_f32 v[28:29], v[62:63], v[68:69], v[28:29] op_sel_hi:[0,1,1] neg_lo:[1,0,0] neg_hi:[1,0,0]
	s_waitcnt lgkmcnt(2)
	v_pk_fma_f32 v[20:21], v[62:63], v[70:71], v[20:21] op_sel_hi:[0,1,1] neg_lo:[1,0,0] neg_hi:[1,0,0]
	;; [unrolled: 2-line block ×3, first 2 shown]
	ds_read2_b32 v[68:69], v61 offset0:37 offset1:38
	ds_read2_b32 v[70:71], v61 offset0:39 offset1:40
	;; [unrolled: 1-line block ×4, first 2 shown]
	s_waitcnt lgkmcnt(4)
	v_pk_fma_f32 v[30:31], v[62:63], v[74:75], v[30:31] op_sel_hi:[0,1,1] neg_lo:[1,0,0] neg_hi:[1,0,0]
	s_waitcnt lgkmcnt(3)
	v_pk_fma_f32 v[22:23], v[62:63], v[68:69], v[22:23] op_sel_hi:[0,1,1] neg_lo:[1,0,0] neg_hi:[1,0,0]
	;; [unrolled: 2-line block ×5, first 2 shown]
	ds_read2_b32 v[68:69], v61 offset0:45 offset1:46
	ds_read2_b32 v[70:71], v61 offset0:47 offset1:48
	;; [unrolled: 1-line block ×5, first 2 shown]
	s_waitcnt lgkmcnt(4)
	v_pk_fma_f32 v[16:17], v[62:63], v[68:69], v[16:17] op_sel_hi:[0,1,1] neg_lo:[1,0,0] neg_hi:[1,0,0]
	s_waitcnt lgkmcnt(3)
	v_pk_fma_f32 v[8:9], v[62:63], v[70:71], v[8:9] op_sel_hi:[0,1,1] neg_lo:[1,0,0] neg_hi:[1,0,0]
	;; [unrolled: 2-line block ×5, first 2 shown]
	v_mov_b32_e32 v53, v62
.LBB108_216:
	s_or_b64 exec, exec, s[0:1]
	v_lshl_add_u32 v62, v65, 2, v61
	s_barrier
	ds_write_b32 v62, v50
	s_waitcnt lgkmcnt(0)
	s_barrier
	ds_read_b32 v67, v61 offset:52
	s_cmp_lt_i32 s22, 15
	v_mov_b32_e32 v62, 13
	s_cbranch_scc1 .LBB108_219
; %bb.217:
	v_add3_u32 v68, v64, 0, 56
	v_mov_b32_e32 v62, 13
	s_mov_b32 s0, 14
.LBB108_218:                            ; =>This Inner Loop Header: Depth=1
	ds_read_b32 v69, v68
	v_mov_b32_e32 v70, s0
	s_add_i32 s0, s0, 1
	v_add_u32_e32 v68, 4, v68
	s_cmp_lg_u32 s22, s0
	s_waitcnt lgkmcnt(0)
	v_cmp_lt_f32_e64 vcc, |v67|, |v69|
	s_nop 1
	v_cndmask_b32_e32 v67, v67, v69, vcc
	v_cndmask_b32_e32 v62, v62, v70, vcc
	s_cbranch_scc1 .LBB108_218
.LBB108_219:
	s_waitcnt lgkmcnt(0)
	v_cmp_eq_f32_e32 vcc, 0, v67
	s_and_saveexec_b64 s[0:1], vcc
	s_xor_b64 s[0:1], exec, s[0:1]
; %bb.220:
	v_cmp_ne_u32_e32 vcc, 0, v66
	s_nop 1
	v_cndmask_b32_e32 v66, 14, v66, vcc
; %bb.221:
	s_andn2_saveexec_b64 s[0:1], s[0:1]
	s_cbranch_execz .LBB108_223
; %bb.222:
	v_div_scale_f32 v68, s[2:3], v67, v67, 1.0
	v_rcp_f32_e32 v69, v68
	v_div_scale_f32 v70, vcc, 1.0, v67, 1.0
	v_fma_f32 v71, -v68, v69, 1.0
	v_fmac_f32_e32 v69, v71, v69
	v_mul_f32_e32 v71, v70, v69
	v_fma_f32 v72, -v68, v71, v70
	v_fmac_f32_e32 v71, v72, v69
	v_fma_f32 v68, -v68, v71, v70
	v_div_fmas_f32 v68, v68, v69, v71
	v_div_fixup_f32 v67, v68, v67, 1.0
.LBB108_223:
	s_or_b64 exec, exec, s[0:1]
	v_cmp_ne_u32_e32 vcc, v65, v62
	s_and_saveexec_b64 s[0:1], vcc
	s_xor_b64 s[0:1], exec, s[0:1]
	s_cbranch_execz .LBB108_229
; %bb.224:
	v_cmp_eq_u32_e32 vcc, 13, v65
	s_and_saveexec_b64 s[2:3], vcc
	s_cbranch_execz .LBB108_228
; %bb.225:
	v_cmp_ne_u32_e32 vcc, 13, v62
	s_xor_b64 s[12:13], s[20:21], -1
	s_and_b64 s[14:15], s[12:13], vcc
	s_and_saveexec_b64 s[12:13], s[14:15]
	s_cbranch_execz .LBB108_227
; %bb.226:
	v_ashrrev_i32_e32 v63, 31, v62
	v_lshl_add_u64 v[68:69], v[62:63], 2, v[4:5]
	global_load_dword v63, v[68:69], off
	global_load_dword v65, v[4:5], off offset:52
	s_waitcnt vmcnt(1)
	global_store_dword v[4:5], v63, off offset:52
	s_waitcnt vmcnt(1)
	global_store_dword v[68:69], v65, off
.LBB108_227:
	s_or_b64 exec, exec, s[12:13]
	v_mov_b32_e32 v63, v62
	v_mov_b32_e32 v65, v62
.LBB108_228:
	s_or_b64 exec, exec, s[2:3]
.LBB108_229:
	s_andn2_saveexec_b64 s[0:1], s[0:1]
	s_cbranch_execz .LBB108_231
; %bb.230:
	v_pk_mov_b32 v[68:69], v[50:51], v[48:49] op_sel:[1,0]
	ds_write2_b32 v61, v68, v69 offset0:14 offset1:15
	v_pk_mov_b32 v[68:69], v[48:49], v[42:43] op_sel:[1,0]
	ds_write2_b32 v61, v68, v69 offset0:16 offset1:17
	;; [unrolled: 2-line block ×19, first 2 shown]
	v_pk_mov_b32 v[68:69], v[0:1], v[12:13] op_sel:[1,0]
	v_mov_b32_e32 v65, 13
	ds_write2_b32 v61, v68, v69 offset0:52 offset1:53
	ds_write_b32 v61, v13 offset:216
.LBB108_231:
	s_or_b64 exec, exec, s[0:1]
	v_cmp_lt_i32_e32 vcc, 13, v65
	s_waitcnt lgkmcnt(0)
	s_barrier
	s_and_saveexec_b64 s[0:1], vcc
	s_cbranch_execz .LBB108_233
; %bb.232:
	ds_read_b32 v62, v61 offset:56
	ds_read2_b32 v[68:69], v61 offset0:15 offset1:16
	ds_read2_b32 v[70:71], v61 offset0:17 offset1:18
	v_mul_f32_e32 v50, v67, v50
	ds_read2_b32 v[72:73], v61 offset0:19 offset1:20
	s_waitcnt lgkmcnt(3)
	v_fma_f32 v51, -v50, v62, v51
	s_waitcnt lgkmcnt(2)
	v_pk_fma_f32 v[48:49], v[50:51], v[68:69], v[48:49] op_sel_hi:[0,1,1] neg_lo:[1,0,0] neg_hi:[1,0,0]
	s_waitcnt lgkmcnt(1)
	v_pk_fma_f32 v[42:43], v[50:51], v[70:71], v[42:43] op_sel_hi:[0,1,1] neg_lo:[1,0,0] neg_hi:[1,0,0]
	ds_read2_b32 v[68:69], v61 offset0:21 offset1:22
	ds_read2_b32 v[70:71], v61 offset0:23 offset1:24
	;; [unrolled: 1-line block ×3, first 2 shown]
	s_waitcnt lgkmcnt(3)
	v_pk_fma_f32 v[38:39], v[50:51], v[72:73], v[38:39] op_sel_hi:[0,1,1] neg_lo:[1,0,0] neg_hi:[1,0,0]
	ds_read2_b32 v[72:73], v61 offset0:27 offset1:28
	s_waitcnt lgkmcnt(3)
	v_pk_fma_f32 v[32:33], v[50:51], v[68:69], v[32:33] op_sel_hi:[0,1,1] neg_lo:[1,0,0] neg_hi:[1,0,0]
	s_waitcnt lgkmcnt(2)
	v_pk_fma_f32 v[26:27], v[50:51], v[70:71], v[26:27] op_sel_hi:[0,1,1] neg_lo:[1,0,0] neg_hi:[1,0,0]
	;; [unrolled: 2-line block ×3, first 2 shown]
	ds_read2_b32 v[68:69], v61 offset0:29 offset1:30
	ds_read2_b32 v[70:71], v61 offset0:31 offset1:32
	;; [unrolled: 1-line block ×3, first 2 shown]
	s_waitcnt lgkmcnt(3)
	v_pk_fma_f32 v[34:35], v[50:51], v[72:73], v[34:35] op_sel_hi:[0,1,1] neg_lo:[1,0,0] neg_hi:[1,0,0]
	ds_read2_b32 v[72:73], v61 offset0:35 offset1:36
	s_waitcnt lgkmcnt(3)
	v_pk_fma_f32 v[28:29], v[50:51], v[68:69], v[28:29] op_sel_hi:[0,1,1] neg_lo:[1,0,0] neg_hi:[1,0,0]
	s_waitcnt lgkmcnt(2)
	v_pk_fma_f32 v[20:21], v[50:51], v[70:71], v[20:21] op_sel_hi:[0,1,1] neg_lo:[1,0,0] neg_hi:[1,0,0]
	s_waitcnt lgkmcnt(1)
	v_pk_fma_f32 v[36:37], v[50:51], v[74:75], v[36:37] op_sel_hi:[0,1,1] neg_lo:[1,0,0] neg_hi:[1,0,0]
	ds_read2_b32 v[68:69], v61 offset0:37 offset1:38
	ds_read2_b32 v[70:71], v61 offset0:39 offset1:40
	;; [unrolled: 1-line block ×4, first 2 shown]
	s_waitcnt lgkmcnt(4)
	v_pk_fma_f32 v[30:31], v[50:51], v[72:73], v[30:31] op_sel_hi:[0,1,1] neg_lo:[1,0,0] neg_hi:[1,0,0]
	s_waitcnt lgkmcnt(3)
	v_pk_fma_f32 v[22:23], v[50:51], v[68:69], v[22:23] op_sel_hi:[0,1,1] neg_lo:[1,0,0] neg_hi:[1,0,0]
	;; [unrolled: 2-line block ×5, first 2 shown]
	ds_read2_b32 v[68:69], v61 offset0:45 offset1:46
	ds_read2_b32 v[70:71], v61 offset0:47 offset1:48
	;; [unrolled: 1-line block ×5, first 2 shown]
	s_waitcnt lgkmcnt(4)
	v_pk_fma_f32 v[16:17], v[50:51], v[68:69], v[16:17] op_sel_hi:[0,1,1] neg_lo:[1,0,0] neg_hi:[1,0,0]
	s_waitcnt lgkmcnt(3)
	v_pk_fma_f32 v[8:9], v[50:51], v[70:71], v[8:9] op_sel_hi:[0,1,1] neg_lo:[1,0,0] neg_hi:[1,0,0]
	;; [unrolled: 2-line block ×5, first 2 shown]
.LBB108_233:
	s_or_b64 exec, exec, s[0:1]
	v_lshl_add_u32 v62, v65, 2, v61
	s_barrier
	ds_write_b32 v62, v51
	s_waitcnt lgkmcnt(0)
	s_barrier
	ds_read_b32 v67, v61 offset:56
	s_cmp_lt_i32 s22, 16
	v_mov_b32_e32 v62, 14
	s_cbranch_scc1 .LBB108_236
; %bb.234:
	v_add3_u32 v68, v64, 0, 60
	v_mov_b32_e32 v62, 14
	s_mov_b32 s0, 15
.LBB108_235:                            ; =>This Inner Loop Header: Depth=1
	ds_read_b32 v69, v68
	v_mov_b32_e32 v70, s0
	s_add_i32 s0, s0, 1
	v_add_u32_e32 v68, 4, v68
	s_cmp_lg_u32 s22, s0
	s_waitcnt lgkmcnt(0)
	v_cmp_lt_f32_e64 vcc, |v67|, |v69|
	s_nop 1
	v_cndmask_b32_e32 v67, v67, v69, vcc
	v_cndmask_b32_e32 v62, v62, v70, vcc
	s_cbranch_scc1 .LBB108_235
.LBB108_236:
	s_waitcnt lgkmcnt(0)
	v_cmp_eq_f32_e32 vcc, 0, v67
	s_and_saveexec_b64 s[0:1], vcc
	s_xor_b64 s[0:1], exec, s[0:1]
; %bb.237:
	v_cmp_ne_u32_e32 vcc, 0, v66
	s_nop 1
	v_cndmask_b32_e32 v66, 15, v66, vcc
; %bb.238:
	s_andn2_saveexec_b64 s[0:1], s[0:1]
	s_cbranch_execz .LBB108_240
; %bb.239:
	v_div_scale_f32 v68, s[2:3], v67, v67, 1.0
	v_rcp_f32_e32 v69, v68
	v_div_scale_f32 v70, vcc, 1.0, v67, 1.0
	v_fma_f32 v71, -v68, v69, 1.0
	v_fmac_f32_e32 v69, v71, v69
	v_mul_f32_e32 v71, v70, v69
	v_fma_f32 v72, -v68, v71, v70
	v_fmac_f32_e32 v71, v72, v69
	v_fma_f32 v68, -v68, v71, v70
	v_div_fmas_f32 v68, v68, v69, v71
	v_div_fixup_f32 v67, v68, v67, 1.0
.LBB108_240:
	s_or_b64 exec, exec, s[0:1]
	v_cmp_ne_u32_e32 vcc, v65, v62
	s_and_saveexec_b64 s[0:1], vcc
	s_xor_b64 s[0:1], exec, s[0:1]
	s_cbranch_execz .LBB108_246
; %bb.241:
	v_cmp_eq_u32_e32 vcc, 14, v65
	s_and_saveexec_b64 s[2:3], vcc
	s_cbranch_execz .LBB108_245
; %bb.242:
	v_cmp_ne_u32_e32 vcc, 14, v62
	s_xor_b64 s[12:13], s[20:21], -1
	s_and_b64 s[14:15], s[12:13], vcc
	s_and_saveexec_b64 s[12:13], s[14:15]
	s_cbranch_execz .LBB108_244
; %bb.243:
	v_ashrrev_i32_e32 v63, 31, v62
	v_lshl_add_u64 v[68:69], v[62:63], 2, v[4:5]
	global_load_dword v63, v[68:69], off
	global_load_dword v65, v[4:5], off offset:56
	s_waitcnt vmcnt(1)
	global_store_dword v[4:5], v63, off offset:56
	s_waitcnt vmcnt(1)
	global_store_dword v[68:69], v65, off
.LBB108_244:
	s_or_b64 exec, exec, s[12:13]
	v_mov_b32_e32 v63, v62
	v_mov_b32_e32 v65, v62
.LBB108_245:
	s_or_b64 exec, exec, s[2:3]
.LBB108_246:
	s_andn2_saveexec_b64 s[0:1], s[0:1]
	s_cbranch_execz .LBB108_248
; %bb.247:
	v_mov_b32_e32 v65, 14
	ds_write2_b32 v61, v48, v49 offset0:15 offset1:16
	ds_write2_b32 v61, v42, v43 offset0:17 offset1:18
	ds_write2_b32 v61, v38, v39 offset0:19 offset1:20
	ds_write2_b32 v61, v32, v33 offset0:21 offset1:22
	ds_write2_b32 v61, v26, v27 offset0:23 offset1:24
	ds_write2_b32 v61, v40, v41 offset0:25 offset1:26
	ds_write2_b32 v61, v34, v35 offset0:27 offset1:28
	ds_write2_b32 v61, v28, v29 offset0:29 offset1:30
	ds_write2_b32 v61, v20, v21 offset0:31 offset1:32
	ds_write2_b32 v61, v36, v37 offset0:33 offset1:34
	ds_write2_b32 v61, v30, v31 offset0:35 offset1:36
	ds_write2_b32 v61, v22, v23 offset0:37 offset1:38
	ds_write2_b32 v61, v14, v15 offset0:39 offset1:40
	ds_write2_b32 v61, v18, v19 offset0:41 offset1:42
	ds_write2_b32 v61, v24, v25 offset0:43 offset1:44
	ds_write2_b32 v61, v16, v17 offset0:45 offset1:46
	ds_write2_b32 v61, v8, v9 offset0:47 offset1:48
	ds_write2_b32 v61, v10, v11 offset0:49 offset1:50
	ds_write2_b32 v61, v0, v1 offset0:51 offset1:52
	ds_write2_b32 v61, v12, v13 offset0:53 offset1:54
.LBB108_248:
	s_or_b64 exec, exec, s[0:1]
	v_cmp_lt_i32_e32 vcc, 14, v65
	s_waitcnt lgkmcnt(0)
	s_barrier
	s_and_saveexec_b64 s[0:1], vcc
	s_cbranch_execz .LBB108_250
; %bb.249:
	ds_read2_b32 v[68:69], v61 offset0:15 offset1:16
	ds_read2_b32 v[70:71], v61 offset0:17 offset1:18
	;; [unrolled: 1-line block ×3, first 2 shown]
	v_mul_f32_e32 v62, v67, v51
	ds_read2_b32 v[74:75], v61 offset0:21 offset1:22
	s_waitcnt lgkmcnt(3)
	v_pk_fma_f32 v[48:49], v[62:63], v[68:69], v[48:49] op_sel_hi:[0,1,1] neg_lo:[1,0,0] neg_hi:[1,0,0]
	s_waitcnt lgkmcnt(2)
	v_pk_fma_f32 v[42:43], v[62:63], v[70:71], v[42:43] op_sel_hi:[0,1,1] neg_lo:[1,0,0] neg_hi:[1,0,0]
	s_waitcnt lgkmcnt(1)
	v_pk_fma_f32 v[38:39], v[62:63], v[72:73], v[38:39] op_sel_hi:[0,1,1] neg_lo:[1,0,0] neg_hi:[1,0,0]
	ds_read2_b32 v[68:69], v61 offset0:23 offset1:24
	ds_read2_b32 v[70:71], v61 offset0:25 offset1:26
	ds_read2_b32 v[72:73], v61 offset0:27 offset1:28
	s_waitcnt lgkmcnt(3)
	v_pk_fma_f32 v[32:33], v[62:63], v[74:75], v[32:33] op_sel_hi:[0,1,1] neg_lo:[1,0,0] neg_hi:[1,0,0]
	ds_read2_b32 v[74:75], v61 offset0:29 offset1:30
	s_waitcnt lgkmcnt(3)
	v_pk_fma_f32 v[26:27], v[62:63], v[68:69], v[26:27] op_sel_hi:[0,1,1] neg_lo:[1,0,0] neg_hi:[1,0,0]
	s_waitcnt lgkmcnt(2)
	v_pk_fma_f32 v[40:41], v[62:63], v[70:71], v[40:41] op_sel_hi:[0,1,1] neg_lo:[1,0,0] neg_hi:[1,0,0]
	s_waitcnt lgkmcnt(1)
	v_pk_fma_f32 v[34:35], v[62:63], v[72:73], v[34:35] op_sel_hi:[0,1,1] neg_lo:[1,0,0] neg_hi:[1,0,0]
	ds_read2_b32 v[68:69], v61 offset0:31 offset1:32
	ds_read2_b32 v[70:71], v61 offset0:33 offset1:34
	ds_read2_b32 v[72:73], v61 offset0:35 offset1:36
	s_waitcnt lgkmcnt(3)
	v_pk_fma_f32 v[28:29], v[62:63], v[74:75], v[28:29] op_sel_hi:[0,1,1] neg_lo:[1,0,0] neg_hi:[1,0,0]
	;; [unrolled: 12-line block ×3, first 2 shown]
	ds_read2_b32 v[74:75], v61 offset0:45 offset1:46
	s_waitcnt lgkmcnt(3)
	v_pk_fma_f32 v[14:15], v[62:63], v[68:69], v[14:15] op_sel_hi:[0,1,1] neg_lo:[1,0,0] neg_hi:[1,0,0]
	s_waitcnt lgkmcnt(2)
	v_pk_fma_f32 v[18:19], v[62:63], v[70:71], v[18:19] op_sel_hi:[0,1,1] neg_lo:[1,0,0] neg_hi:[1,0,0]
	;; [unrolled: 2-line block ×3, first 2 shown]
	ds_read2_b32 v[68:69], v61 offset0:47 offset1:48
	ds_read2_b32 v[70:71], v61 offset0:49 offset1:50
	;; [unrolled: 1-line block ×4, first 2 shown]
	s_waitcnt lgkmcnt(4)
	v_pk_fma_f32 v[16:17], v[62:63], v[74:75], v[16:17] op_sel_hi:[0,1,1] neg_lo:[1,0,0] neg_hi:[1,0,0]
	s_waitcnt lgkmcnt(3)
	v_pk_fma_f32 v[8:9], v[62:63], v[68:69], v[8:9] op_sel_hi:[0,1,1] neg_lo:[1,0,0] neg_hi:[1,0,0]
	;; [unrolled: 2-line block ×5, first 2 shown]
	v_mov_b32_e32 v51, v62
.LBB108_250:
	s_or_b64 exec, exec, s[0:1]
	v_lshl_add_u32 v62, v65, 2, v61
	s_barrier
	ds_write_b32 v62, v48
	s_waitcnt lgkmcnt(0)
	s_barrier
	ds_read_b32 v67, v61 offset:60
	s_cmp_lt_i32 s22, 17
	v_mov_b32_e32 v62, 15
	s_cbranch_scc1 .LBB108_253
; %bb.251:
	v_add3_u32 v64, v64, 0, 64
	v_mov_b32_e32 v62, 15
	s_mov_b32 s0, 16
.LBB108_252:                            ; =>This Inner Loop Header: Depth=1
	ds_read_b32 v68, v64
	v_mov_b32_e32 v69, s0
	s_add_i32 s0, s0, 1
	v_add_u32_e32 v64, 4, v64
	s_cmp_lg_u32 s22, s0
	s_waitcnt lgkmcnt(0)
	v_cmp_lt_f32_e64 vcc, |v67|, |v68|
	s_nop 1
	v_cndmask_b32_e32 v67, v67, v68, vcc
	v_cndmask_b32_e32 v62, v62, v69, vcc
	s_cbranch_scc1 .LBB108_252
.LBB108_253:
	s_waitcnt lgkmcnt(0)
	v_cmp_eq_f32_e32 vcc, 0, v67
	s_and_saveexec_b64 s[0:1], vcc
	s_xor_b64 s[0:1], exec, s[0:1]
; %bb.254:
	v_cmp_ne_u32_e32 vcc, 0, v66
	s_nop 1
	v_cndmask_b32_e32 v66, 16, v66, vcc
; %bb.255:
	s_andn2_saveexec_b64 s[0:1], s[0:1]
	s_cbranch_execz .LBB108_257
; %bb.256:
	v_div_scale_f32 v64, s[2:3], v67, v67, 1.0
	v_rcp_f32_e32 v68, v64
	v_div_scale_f32 v69, vcc, 1.0, v67, 1.0
	v_fma_f32 v70, -v64, v68, 1.0
	v_fmac_f32_e32 v68, v70, v68
	v_mul_f32_e32 v70, v69, v68
	v_fma_f32 v71, -v64, v70, v69
	v_fmac_f32_e32 v70, v71, v68
	v_fma_f32 v64, -v64, v70, v69
	v_div_fmas_f32 v64, v64, v68, v70
	v_div_fixup_f32 v67, v64, v67, 1.0
.LBB108_257:
	s_or_b64 exec, exec, s[0:1]
	v_cmp_ne_u32_e32 vcc, v65, v62
	s_and_saveexec_b64 s[0:1], vcc
	s_xor_b64 s[0:1], exec, s[0:1]
	s_cbranch_execz .LBB108_263
; %bb.258:
	v_cmp_eq_u32_e32 vcc, 15, v65
	s_and_saveexec_b64 s[2:3], vcc
	s_cbranch_execz .LBB108_262
; %bb.259:
	v_cmp_ne_u32_e32 vcc, 15, v62
	s_xor_b64 s[12:13], s[20:21], -1
	s_and_b64 s[14:15], s[12:13], vcc
	s_and_saveexec_b64 s[12:13], s[14:15]
	s_cbranch_execz .LBB108_261
; %bb.260:
	v_ashrrev_i32_e32 v63, 31, v62
	v_lshl_add_u64 v[64:65], v[62:63], 2, v[4:5]
	global_load_dword v63, v[64:65], off
	global_load_dword v68, v[4:5], off offset:60
	s_waitcnt vmcnt(1)
	global_store_dword v[4:5], v63, off offset:60
	s_waitcnt vmcnt(1)
	global_store_dword v[64:65], v68, off
.LBB108_261:
	s_or_b64 exec, exec, s[12:13]
	v_mov_b32_e32 v63, v62
	v_mov_b32_e32 v65, v62
.LBB108_262:
	s_or_b64 exec, exec, s[2:3]
.LBB108_263:
	s_andn2_saveexec_b64 s[0:1], s[0:1]
	s_cbranch_execz .LBB108_265
; %bb.264:
	v_pk_mov_b32 v[64:65], v[48:49], v[42:43] op_sel:[1,0]
	ds_write2_b32 v61, v64, v65 offset0:16 offset1:17
	v_pk_mov_b32 v[64:65], v[42:43], v[38:39] op_sel:[1,0]
	ds_write2_b32 v61, v64, v65 offset0:18 offset1:19
	;; [unrolled: 2-line block ×19, first 2 shown]
	ds_write_b32 v61, v13 offset:216
	v_mov_b32_e32 v65, 15
.LBB108_265:
	s_or_b64 exec, exec, s[0:1]
	v_cmp_lt_i32_e32 vcc, 15, v65
	s_waitcnt lgkmcnt(0)
	s_barrier
	s_and_saveexec_b64 s[0:1], vcc
	s_cbranch_execz .LBB108_267
; %bb.266:
	ds_read_b32 v62, v61 offset:64
	ds_read2_b32 v[68:69], v61 offset0:17 offset1:18
	ds_read2_b32 v[70:71], v61 offset0:19 offset1:20
	v_mul_f32_e32 v48, v67, v48
	ds_read2_b32 v[72:73], v61 offset0:21 offset1:22
	s_waitcnt lgkmcnt(3)
	v_fma_f32 v49, -v48, v62, v49
	s_waitcnt lgkmcnt(2)
	v_pk_fma_f32 v[42:43], v[48:49], v[68:69], v[42:43] op_sel_hi:[0,1,1] neg_lo:[1,0,0] neg_hi:[1,0,0]
	s_waitcnt lgkmcnt(1)
	v_pk_fma_f32 v[38:39], v[48:49], v[70:71], v[38:39] op_sel_hi:[0,1,1] neg_lo:[1,0,0] neg_hi:[1,0,0]
	ds_read2_b32 v[68:69], v61 offset0:23 offset1:24
	ds_read2_b32 v[70:71], v61 offset0:25 offset1:26
	ds_read2_b32 v[74:75], v61 offset0:27 offset1:28
	s_waitcnt lgkmcnt(3)
	v_pk_fma_f32 v[32:33], v[48:49], v[72:73], v[32:33] op_sel_hi:[0,1,1] neg_lo:[1,0,0] neg_hi:[1,0,0]
	ds_read2_b32 v[72:73], v61 offset0:29 offset1:30
	s_waitcnt lgkmcnt(3)
	v_pk_fma_f32 v[26:27], v[48:49], v[68:69], v[26:27] op_sel_hi:[0,1,1] neg_lo:[1,0,0] neg_hi:[1,0,0]
	s_waitcnt lgkmcnt(2)
	v_pk_fma_f32 v[40:41], v[48:49], v[70:71], v[40:41] op_sel_hi:[0,1,1] neg_lo:[1,0,0] neg_hi:[1,0,0]
	s_waitcnt lgkmcnt(1)
	v_pk_fma_f32 v[34:35], v[48:49], v[74:75], v[34:35] op_sel_hi:[0,1,1] neg_lo:[1,0,0] neg_hi:[1,0,0]
	ds_read2_b32 v[68:69], v61 offset0:31 offset1:32
	ds_read2_b32 v[70:71], v61 offset0:33 offset1:34
	ds_read2_b32 v[74:75], v61 offset0:35 offset1:36
	s_waitcnt lgkmcnt(3)
	v_pk_fma_f32 v[28:29], v[48:49], v[72:73], v[28:29] op_sel_hi:[0,1,1] neg_lo:[1,0,0] neg_hi:[1,0,0]
	ds_read2_b32 v[72:73], v61 offset0:37 offset1:38
	s_waitcnt lgkmcnt(3)
	v_pk_fma_f32 v[20:21], v[48:49], v[68:69], v[20:21] op_sel_hi:[0,1,1] neg_lo:[1,0,0] neg_hi:[1,0,0]
	;; [unrolled: 12-line block ×3, first 2 shown]
	s_waitcnt lgkmcnt(2)
	v_pk_fma_f32 v[18:19], v[48:49], v[70:71], v[18:19] op_sel_hi:[0,1,1] neg_lo:[1,0,0] neg_hi:[1,0,0]
	s_waitcnt lgkmcnt(1)
	v_pk_fma_f32 v[24:25], v[48:49], v[74:75], v[24:25] op_sel_hi:[0,1,1] neg_lo:[1,0,0] neg_hi:[1,0,0]
	ds_read2_b32 v[68:69], v61 offset0:47 offset1:48
	ds_read2_b32 v[70:71], v61 offset0:49 offset1:50
	;; [unrolled: 1-line block ×4, first 2 shown]
	s_waitcnt lgkmcnt(4)
	v_pk_fma_f32 v[16:17], v[48:49], v[72:73], v[16:17] op_sel_hi:[0,1,1] neg_lo:[1,0,0] neg_hi:[1,0,0]
	s_waitcnt lgkmcnt(3)
	v_pk_fma_f32 v[8:9], v[48:49], v[68:69], v[8:9] op_sel_hi:[0,1,1] neg_lo:[1,0,0] neg_hi:[1,0,0]
	;; [unrolled: 2-line block ×5, first 2 shown]
.LBB108_267:
	s_or_b64 exec, exec, s[0:1]
	v_lshl_add_u32 v62, v65, 2, v61
	s_barrier
	ds_write_b32 v62, v49
	s_waitcnt lgkmcnt(0)
	s_barrier
	ds_read_b32 v64, v61 offset:64
	s_cmp_lt_i32 s22, 18
	v_mov_b32_e32 v62, 16
	s_cbranch_scc1 .LBB108_270
; %bb.268:
	v_add_u32_e32 v67, 0x44, v61
	v_mov_b32_e32 v62, 16
	s_mov_b32 s0, 17
.LBB108_269:                            ; =>This Inner Loop Header: Depth=1
	ds_read_b32 v68, v67
	v_mov_b32_e32 v69, s0
	s_add_i32 s0, s0, 1
	v_add_u32_e32 v67, 4, v67
	s_cmp_lg_u32 s22, s0
	s_waitcnt lgkmcnt(0)
	v_cmp_lt_f32_e64 vcc, |v64|, |v68|
	s_nop 1
	v_cndmask_b32_e32 v64, v64, v68, vcc
	v_cndmask_b32_e32 v62, v62, v69, vcc
	s_cbranch_scc1 .LBB108_269
.LBB108_270:
	s_waitcnt lgkmcnt(0)
	v_cmp_eq_f32_e32 vcc, 0, v64
	s_and_saveexec_b64 s[0:1], vcc
	s_xor_b64 s[0:1], exec, s[0:1]
; %bb.271:
	v_cmp_ne_u32_e32 vcc, 0, v66
	s_nop 1
	v_cndmask_b32_e32 v66, 17, v66, vcc
; %bb.272:
	s_andn2_saveexec_b64 s[0:1], s[0:1]
	s_cbranch_execz .LBB108_274
; %bb.273:
	v_div_scale_f32 v67, s[2:3], v64, v64, 1.0
	v_rcp_f32_e32 v68, v67
	v_div_scale_f32 v69, vcc, 1.0, v64, 1.0
	v_fma_f32 v70, -v67, v68, 1.0
	v_fmac_f32_e32 v68, v70, v68
	v_mul_f32_e32 v70, v69, v68
	v_fma_f32 v71, -v67, v70, v69
	v_fmac_f32_e32 v70, v71, v68
	v_fma_f32 v67, -v67, v70, v69
	v_div_fmas_f32 v67, v67, v68, v70
	v_div_fixup_f32 v64, v67, v64, 1.0
.LBB108_274:
	s_or_b64 exec, exec, s[0:1]
	v_cmp_ne_u32_e32 vcc, v65, v62
	s_and_saveexec_b64 s[0:1], vcc
	s_xor_b64 s[0:1], exec, s[0:1]
	s_cbranch_execz .LBB108_280
; %bb.275:
	v_cmp_eq_u32_e32 vcc, 16, v65
	s_and_saveexec_b64 s[2:3], vcc
	s_cbranch_execz .LBB108_279
; %bb.276:
	v_cmp_ne_u32_e32 vcc, 16, v62
	s_xor_b64 s[12:13], s[20:21], -1
	s_and_b64 s[14:15], s[12:13], vcc
	s_and_saveexec_b64 s[12:13], s[14:15]
	s_cbranch_execz .LBB108_278
; %bb.277:
	v_ashrrev_i32_e32 v63, 31, v62
	v_lshl_add_u64 v[68:69], v[62:63], 2, v[4:5]
	global_load_dword v63, v[68:69], off
	global_load_dword v65, v[4:5], off offset:64
	s_waitcnt vmcnt(1)
	global_store_dword v[4:5], v63, off offset:64
	s_waitcnt vmcnt(1)
	global_store_dword v[68:69], v65, off
.LBB108_278:
	s_or_b64 exec, exec, s[12:13]
	v_mov_b32_e32 v63, v62
	v_mov_b32_e32 v65, v62
.LBB108_279:
	s_or_b64 exec, exec, s[2:3]
.LBB108_280:
	s_andn2_saveexec_b64 s[0:1], s[0:1]
	s_cbranch_execz .LBB108_282
; %bb.281:
	v_mov_b32_e32 v65, 16
	ds_write2_b32 v61, v42, v43 offset0:17 offset1:18
	ds_write2_b32 v61, v38, v39 offset0:19 offset1:20
	;; [unrolled: 1-line block ×19, first 2 shown]
.LBB108_282:
	s_or_b64 exec, exec, s[0:1]
	v_cmp_lt_i32_e32 vcc, 16, v65
	s_waitcnt lgkmcnt(0)
	s_barrier
	s_and_saveexec_b64 s[0:1], vcc
	s_cbranch_execz .LBB108_284
; %bb.283:
	ds_read2_b32 v[68:69], v61 offset0:17 offset1:18
	ds_read2_b32 v[70:71], v61 offset0:19 offset1:20
	;; [unrolled: 1-line block ×3, first 2 shown]
	v_mul_f32_e32 v62, v64, v49
	ds_read2_b32 v[74:75], v61 offset0:23 offset1:24
	s_waitcnt lgkmcnt(3)
	v_pk_fma_f32 v[42:43], v[62:63], v[68:69], v[42:43] op_sel_hi:[0,1,1] neg_lo:[1,0,0] neg_hi:[1,0,0]
	s_waitcnt lgkmcnt(2)
	v_pk_fma_f32 v[38:39], v[62:63], v[70:71], v[38:39] op_sel_hi:[0,1,1] neg_lo:[1,0,0] neg_hi:[1,0,0]
	;; [unrolled: 2-line block ×3, first 2 shown]
	ds_read2_b32 v[68:69], v61 offset0:25 offset1:26
	ds_read2_b32 v[70:71], v61 offset0:27 offset1:28
	;; [unrolled: 1-line block ×3, first 2 shown]
	s_waitcnt lgkmcnt(3)
	v_pk_fma_f32 v[26:27], v[62:63], v[74:75], v[26:27] op_sel_hi:[0,1,1] neg_lo:[1,0,0] neg_hi:[1,0,0]
	ds_read2_b32 v[74:75], v61 offset0:31 offset1:32
	s_waitcnt lgkmcnt(3)
	v_pk_fma_f32 v[40:41], v[62:63], v[68:69], v[40:41] op_sel_hi:[0,1,1] neg_lo:[1,0,0] neg_hi:[1,0,0]
	s_waitcnt lgkmcnt(2)
	v_pk_fma_f32 v[34:35], v[62:63], v[70:71], v[34:35] op_sel_hi:[0,1,1] neg_lo:[1,0,0] neg_hi:[1,0,0]
	;; [unrolled: 2-line block ×3, first 2 shown]
	ds_read2_b32 v[68:69], v61 offset0:33 offset1:34
	ds_read2_b32 v[70:71], v61 offset0:35 offset1:36
	;; [unrolled: 1-line block ×3, first 2 shown]
	s_waitcnt lgkmcnt(3)
	v_pk_fma_f32 v[20:21], v[62:63], v[74:75], v[20:21] op_sel_hi:[0,1,1] neg_lo:[1,0,0] neg_hi:[1,0,0]
	ds_read2_b32 v[74:75], v61 offset0:39 offset1:40
	s_waitcnt lgkmcnt(3)
	v_pk_fma_f32 v[36:37], v[62:63], v[68:69], v[36:37] op_sel_hi:[0,1,1] neg_lo:[1,0,0] neg_hi:[1,0,0]
	s_waitcnt lgkmcnt(2)
	v_pk_fma_f32 v[30:31], v[62:63], v[70:71], v[30:31] op_sel_hi:[0,1,1] neg_lo:[1,0,0] neg_hi:[1,0,0]
	ds_read2_b32 v[68:69], v61 offset0:41 offset1:42
	ds_read2_b32 v[70:71], v61 offset0:43 offset1:44
	s_waitcnt lgkmcnt(3)
	v_pk_fma_f32 v[22:23], v[62:63], v[72:73], v[22:23] op_sel_hi:[0,1,1] neg_lo:[1,0,0] neg_hi:[1,0,0]
	s_waitcnt lgkmcnt(2)
	v_pk_fma_f32 v[14:15], v[62:63], v[74:75], v[14:15] op_sel_hi:[0,1,1] neg_lo:[1,0,0] neg_hi:[1,0,0]
	ds_read2_b32 v[72:73], v61 offset0:45 offset1:46
	;; [unrolled: 6-line block ×3, first 2 shown]
	ds_read2_b32 v[70:71], v61 offset0:51 offset1:52
	ds_read2_b32 v[76:77], v61 offset0:53 offset1:54
	s_waitcnt lgkmcnt(4)
	v_pk_fma_f32 v[16:17], v[62:63], v[72:73], v[16:17] op_sel_hi:[0,1,1] neg_lo:[1,0,0] neg_hi:[1,0,0]
	s_waitcnt lgkmcnt(3)
	v_pk_fma_f32 v[8:9], v[62:63], v[74:75], v[8:9] op_sel_hi:[0,1,1] neg_lo:[1,0,0] neg_hi:[1,0,0]
	;; [unrolled: 2-line block ×5, first 2 shown]
	v_mov_b32_e32 v49, v62
.LBB108_284:
	s_or_b64 exec, exec, s[0:1]
	v_lshl_add_u32 v62, v65, 2, v61
	s_barrier
	ds_write_b32 v62, v42
	s_waitcnt lgkmcnt(0)
	s_barrier
	ds_read_b32 v64, v61 offset:68
	s_cmp_lt_i32 s22, 19
	v_mov_b32_e32 v62, 17
	s_cbranch_scc1 .LBB108_287
; %bb.285:
	v_add_u32_e32 v67, 0x48, v61
	v_mov_b32_e32 v62, 17
	s_mov_b32 s0, 18
.LBB108_286:                            ; =>This Inner Loop Header: Depth=1
	ds_read_b32 v68, v67
	v_mov_b32_e32 v69, s0
	s_add_i32 s0, s0, 1
	v_add_u32_e32 v67, 4, v67
	s_cmp_lg_u32 s22, s0
	s_waitcnt lgkmcnt(0)
	v_cmp_lt_f32_e64 vcc, |v64|, |v68|
	s_nop 1
	v_cndmask_b32_e32 v64, v64, v68, vcc
	v_cndmask_b32_e32 v62, v62, v69, vcc
	s_cbranch_scc1 .LBB108_286
.LBB108_287:
	s_waitcnt lgkmcnt(0)
	v_cmp_eq_f32_e32 vcc, 0, v64
	s_and_saveexec_b64 s[0:1], vcc
	s_xor_b64 s[0:1], exec, s[0:1]
; %bb.288:
	v_cmp_ne_u32_e32 vcc, 0, v66
	s_nop 1
	v_cndmask_b32_e32 v66, 18, v66, vcc
; %bb.289:
	s_andn2_saveexec_b64 s[0:1], s[0:1]
	s_cbranch_execz .LBB108_291
; %bb.290:
	v_div_scale_f32 v67, s[2:3], v64, v64, 1.0
	v_rcp_f32_e32 v68, v67
	v_div_scale_f32 v69, vcc, 1.0, v64, 1.0
	v_fma_f32 v70, -v67, v68, 1.0
	v_fmac_f32_e32 v68, v70, v68
	v_mul_f32_e32 v70, v69, v68
	v_fma_f32 v71, -v67, v70, v69
	v_fmac_f32_e32 v70, v71, v68
	v_fma_f32 v67, -v67, v70, v69
	v_div_fmas_f32 v67, v67, v68, v70
	v_div_fixup_f32 v64, v67, v64, 1.0
.LBB108_291:
	s_or_b64 exec, exec, s[0:1]
	v_cmp_ne_u32_e32 vcc, v65, v62
	s_and_saveexec_b64 s[0:1], vcc
	s_xor_b64 s[0:1], exec, s[0:1]
	s_cbranch_execz .LBB108_297
; %bb.292:
	v_cmp_eq_u32_e32 vcc, 17, v65
	s_and_saveexec_b64 s[2:3], vcc
	s_cbranch_execz .LBB108_296
; %bb.293:
	v_cmp_ne_u32_e32 vcc, 17, v62
	s_xor_b64 s[12:13], s[20:21], -1
	s_and_b64 s[14:15], s[12:13], vcc
	s_and_saveexec_b64 s[12:13], s[14:15]
	s_cbranch_execz .LBB108_295
; %bb.294:
	v_ashrrev_i32_e32 v63, 31, v62
	v_lshl_add_u64 v[68:69], v[62:63], 2, v[4:5]
	global_load_dword v63, v[68:69], off
	global_load_dword v65, v[4:5], off offset:68
	s_waitcnt vmcnt(1)
	global_store_dword v[4:5], v63, off offset:68
	s_waitcnt vmcnt(1)
	global_store_dword v[68:69], v65, off
.LBB108_295:
	s_or_b64 exec, exec, s[12:13]
	v_mov_b32_e32 v63, v62
	v_mov_b32_e32 v65, v62
.LBB108_296:
	s_or_b64 exec, exec, s[2:3]
.LBB108_297:
	s_andn2_saveexec_b64 s[0:1], s[0:1]
	s_cbranch_execz .LBB108_299
; %bb.298:
	v_pk_mov_b32 v[68:69], v[42:43], v[38:39] op_sel:[1,0]
	ds_write2_b32 v61, v68, v69 offset0:18 offset1:19
	v_pk_mov_b32 v[68:69], v[38:39], v[32:33] op_sel:[1,0]
	ds_write2_b32 v61, v68, v69 offset0:20 offset1:21
	;; [unrolled: 2-line block ×17, first 2 shown]
	v_pk_mov_b32 v[68:69], v[0:1], v[12:13] op_sel:[1,0]
	v_mov_b32_e32 v65, 17
	ds_write2_b32 v61, v68, v69 offset0:52 offset1:53
	ds_write_b32 v61, v13 offset:216
.LBB108_299:
	s_or_b64 exec, exec, s[0:1]
	v_cmp_lt_i32_e32 vcc, 17, v65
	s_waitcnt lgkmcnt(0)
	s_barrier
	s_and_saveexec_b64 s[0:1], vcc
	s_cbranch_execz .LBB108_301
; %bb.300:
	ds_read_b32 v62, v61 offset:72
	ds_read2_b32 v[68:69], v61 offset0:19 offset1:20
	ds_read2_b32 v[70:71], v61 offset0:21 offset1:22
	v_mul_f32_e32 v42, v64, v42
	ds_read2_b32 v[72:73], v61 offset0:23 offset1:24
	s_waitcnt lgkmcnt(3)
	v_fma_f32 v43, -v42, v62, v43
	s_waitcnt lgkmcnt(2)
	v_pk_fma_f32 v[38:39], v[42:43], v[68:69], v[38:39] op_sel_hi:[0,1,1] neg_lo:[1,0,0] neg_hi:[1,0,0]
	s_waitcnt lgkmcnt(1)
	v_pk_fma_f32 v[32:33], v[42:43], v[70:71], v[32:33] op_sel_hi:[0,1,1] neg_lo:[1,0,0] neg_hi:[1,0,0]
	ds_read2_b32 v[68:69], v61 offset0:25 offset1:26
	ds_read2_b32 v[70:71], v61 offset0:27 offset1:28
	ds_read2_b32 v[74:75], v61 offset0:29 offset1:30
	s_waitcnt lgkmcnt(3)
	v_pk_fma_f32 v[26:27], v[42:43], v[72:73], v[26:27] op_sel_hi:[0,1,1] neg_lo:[1,0,0] neg_hi:[1,0,0]
	ds_read2_b32 v[72:73], v61 offset0:31 offset1:32
	s_waitcnt lgkmcnt(3)
	v_pk_fma_f32 v[40:41], v[42:43], v[68:69], v[40:41] op_sel_hi:[0,1,1] neg_lo:[1,0,0] neg_hi:[1,0,0]
	s_waitcnt lgkmcnt(2)
	v_pk_fma_f32 v[34:35], v[42:43], v[70:71], v[34:35] op_sel_hi:[0,1,1] neg_lo:[1,0,0] neg_hi:[1,0,0]
	;; [unrolled: 2-line block ×3, first 2 shown]
	ds_read2_b32 v[68:69], v61 offset0:33 offset1:34
	ds_read2_b32 v[70:71], v61 offset0:35 offset1:36
	;; [unrolled: 1-line block ×3, first 2 shown]
	s_waitcnt lgkmcnt(3)
	v_pk_fma_f32 v[20:21], v[42:43], v[72:73], v[20:21] op_sel_hi:[0,1,1] neg_lo:[1,0,0] neg_hi:[1,0,0]
	ds_read2_b32 v[72:73], v61 offset0:39 offset1:40
	s_waitcnt lgkmcnt(3)
	v_pk_fma_f32 v[36:37], v[42:43], v[68:69], v[36:37] op_sel_hi:[0,1,1] neg_lo:[1,0,0] neg_hi:[1,0,0]
	s_waitcnt lgkmcnt(2)
	v_pk_fma_f32 v[30:31], v[42:43], v[70:71], v[30:31] op_sel_hi:[0,1,1] neg_lo:[1,0,0] neg_hi:[1,0,0]
	ds_read2_b32 v[68:69], v61 offset0:41 offset1:42
	ds_read2_b32 v[70:71], v61 offset0:43 offset1:44
	s_waitcnt lgkmcnt(3)
	v_pk_fma_f32 v[22:23], v[42:43], v[74:75], v[22:23] op_sel_hi:[0,1,1] neg_lo:[1,0,0] neg_hi:[1,0,0]
	s_waitcnt lgkmcnt(2)
	v_pk_fma_f32 v[14:15], v[42:43], v[72:73], v[14:15] op_sel_hi:[0,1,1] neg_lo:[1,0,0] neg_hi:[1,0,0]
	ds_read2_b32 v[72:73], v61 offset0:45 offset1:46
	;; [unrolled: 6-line block ×3, first 2 shown]
	ds_read2_b32 v[70:71], v61 offset0:51 offset1:52
	ds_read2_b32 v[76:77], v61 offset0:53 offset1:54
	s_waitcnt lgkmcnt(4)
	v_pk_fma_f32 v[16:17], v[42:43], v[72:73], v[16:17] op_sel_hi:[0,1,1] neg_lo:[1,0,0] neg_hi:[1,0,0]
	s_waitcnt lgkmcnt(3)
	v_pk_fma_f32 v[8:9], v[42:43], v[74:75], v[8:9] op_sel_hi:[0,1,1] neg_lo:[1,0,0] neg_hi:[1,0,0]
	;; [unrolled: 2-line block ×5, first 2 shown]
.LBB108_301:
	s_or_b64 exec, exec, s[0:1]
	v_lshl_add_u32 v62, v65, 2, v61
	s_barrier
	ds_write_b32 v62, v43
	s_waitcnt lgkmcnt(0)
	s_barrier
	ds_read_b32 v64, v61 offset:72
	s_cmp_lt_i32 s22, 20
	v_mov_b32_e32 v62, 18
	s_cbranch_scc1 .LBB108_304
; %bb.302:
	v_add_u32_e32 v67, 0x4c, v61
	v_mov_b32_e32 v62, 18
	s_mov_b32 s0, 19
.LBB108_303:                            ; =>This Inner Loop Header: Depth=1
	ds_read_b32 v68, v67
	v_mov_b32_e32 v69, s0
	s_add_i32 s0, s0, 1
	v_add_u32_e32 v67, 4, v67
	s_cmp_lg_u32 s22, s0
	s_waitcnt lgkmcnt(0)
	v_cmp_lt_f32_e64 vcc, |v64|, |v68|
	s_nop 1
	v_cndmask_b32_e32 v64, v64, v68, vcc
	v_cndmask_b32_e32 v62, v62, v69, vcc
	s_cbranch_scc1 .LBB108_303
.LBB108_304:
	s_waitcnt lgkmcnt(0)
	v_cmp_eq_f32_e32 vcc, 0, v64
	s_and_saveexec_b64 s[0:1], vcc
	s_xor_b64 s[0:1], exec, s[0:1]
; %bb.305:
	v_cmp_ne_u32_e32 vcc, 0, v66
	s_nop 1
	v_cndmask_b32_e32 v66, 19, v66, vcc
; %bb.306:
	s_andn2_saveexec_b64 s[0:1], s[0:1]
	s_cbranch_execz .LBB108_308
; %bb.307:
	v_div_scale_f32 v67, s[2:3], v64, v64, 1.0
	v_rcp_f32_e32 v68, v67
	v_div_scale_f32 v69, vcc, 1.0, v64, 1.0
	v_fma_f32 v70, -v67, v68, 1.0
	v_fmac_f32_e32 v68, v70, v68
	v_mul_f32_e32 v70, v69, v68
	v_fma_f32 v71, -v67, v70, v69
	v_fmac_f32_e32 v70, v71, v68
	v_fma_f32 v67, -v67, v70, v69
	v_div_fmas_f32 v67, v67, v68, v70
	v_div_fixup_f32 v64, v67, v64, 1.0
.LBB108_308:
	s_or_b64 exec, exec, s[0:1]
	v_cmp_ne_u32_e32 vcc, v65, v62
	s_and_saveexec_b64 s[0:1], vcc
	s_xor_b64 s[0:1], exec, s[0:1]
	s_cbranch_execz .LBB108_314
; %bb.309:
	v_cmp_eq_u32_e32 vcc, 18, v65
	s_and_saveexec_b64 s[2:3], vcc
	s_cbranch_execz .LBB108_313
; %bb.310:
	v_cmp_ne_u32_e32 vcc, 18, v62
	s_xor_b64 s[12:13], s[20:21], -1
	s_and_b64 s[14:15], s[12:13], vcc
	s_and_saveexec_b64 s[12:13], s[14:15]
	s_cbranch_execz .LBB108_312
; %bb.311:
	v_ashrrev_i32_e32 v63, 31, v62
	v_lshl_add_u64 v[68:69], v[62:63], 2, v[4:5]
	global_load_dword v63, v[68:69], off
	global_load_dword v65, v[4:5], off offset:72
	s_waitcnt vmcnt(1)
	global_store_dword v[4:5], v63, off offset:72
	s_waitcnt vmcnt(1)
	global_store_dword v[68:69], v65, off
.LBB108_312:
	s_or_b64 exec, exec, s[12:13]
	v_mov_b32_e32 v63, v62
	v_mov_b32_e32 v65, v62
.LBB108_313:
	s_or_b64 exec, exec, s[2:3]
.LBB108_314:
	s_andn2_saveexec_b64 s[0:1], s[0:1]
	s_cbranch_execz .LBB108_316
; %bb.315:
	v_mov_b32_e32 v65, 18
	ds_write2_b32 v61, v38, v39 offset0:19 offset1:20
	ds_write2_b32 v61, v32, v33 offset0:21 offset1:22
	;; [unrolled: 1-line block ×18, first 2 shown]
.LBB108_316:
	s_or_b64 exec, exec, s[0:1]
	v_cmp_lt_i32_e32 vcc, 18, v65
	s_waitcnt lgkmcnt(0)
	s_barrier
	s_and_saveexec_b64 s[0:1], vcc
	s_cbranch_execz .LBB108_318
; %bb.317:
	ds_read2_b32 v[68:69], v61 offset0:19 offset1:20
	ds_read2_b32 v[70:71], v61 offset0:21 offset1:22
	;; [unrolled: 1-line block ×4, first 2 shown]
	v_mul_f32_e32 v62, v64, v43
	s_waitcnt lgkmcnt(3)
	v_pk_fma_f32 v[38:39], v[62:63], v[68:69], v[38:39] op_sel_hi:[0,1,1] neg_lo:[1,0,0] neg_hi:[1,0,0]
	s_waitcnt lgkmcnt(2)
	v_pk_fma_f32 v[32:33], v[62:63], v[70:71], v[32:33] op_sel_hi:[0,1,1] neg_lo:[1,0,0] neg_hi:[1,0,0]
	;; [unrolled: 2-line block ×3, first 2 shown]
	ds_read2_b32 v[68:69], v61 offset0:27 offset1:28
	ds_read2_b32 v[70:71], v61 offset0:29 offset1:30
	;; [unrolled: 1-line block ×3, first 2 shown]
	s_waitcnt lgkmcnt(3)
	v_pk_fma_f32 v[40:41], v[62:63], v[74:75], v[40:41] op_sel_hi:[0,1,1] neg_lo:[1,0,0] neg_hi:[1,0,0]
	ds_read2_b32 v[74:75], v61 offset0:33 offset1:34
	s_waitcnt lgkmcnt(3)
	v_pk_fma_f32 v[34:35], v[62:63], v[68:69], v[34:35] op_sel_hi:[0,1,1] neg_lo:[1,0,0] neg_hi:[1,0,0]
	s_waitcnt lgkmcnt(2)
	v_pk_fma_f32 v[28:29], v[62:63], v[70:71], v[28:29] op_sel_hi:[0,1,1] neg_lo:[1,0,0] neg_hi:[1,0,0]
	;; [unrolled: 2-line block ×3, first 2 shown]
	ds_read2_b32 v[68:69], v61 offset0:35 offset1:36
	ds_read2_b32 v[70:71], v61 offset0:37 offset1:38
	;; [unrolled: 1-line block ×3, first 2 shown]
	s_waitcnt lgkmcnt(3)
	v_pk_fma_f32 v[36:37], v[62:63], v[74:75], v[36:37] op_sel_hi:[0,1,1] neg_lo:[1,0,0] neg_hi:[1,0,0]
	ds_read2_b32 v[74:75], v61 offset0:41 offset1:42
	s_waitcnt lgkmcnt(3)
	v_pk_fma_f32 v[30:31], v[62:63], v[68:69], v[30:31] op_sel_hi:[0,1,1] neg_lo:[1,0,0] neg_hi:[1,0,0]
	ds_read2_b32 v[68:69], v61 offset0:43 offset1:44
	s_waitcnt lgkmcnt(3)
	v_pk_fma_f32 v[22:23], v[62:63], v[70:71], v[22:23] op_sel_hi:[0,1,1] neg_lo:[1,0,0] neg_hi:[1,0,0]
	s_waitcnt lgkmcnt(2)
	v_pk_fma_f32 v[14:15], v[62:63], v[72:73], v[14:15] op_sel_hi:[0,1,1] neg_lo:[1,0,0] neg_hi:[1,0,0]
	s_waitcnt lgkmcnt(1)
	v_pk_fma_f32 v[18:19], v[62:63], v[74:75], v[18:19] op_sel_hi:[0,1,1] neg_lo:[1,0,0] neg_hi:[1,0,0]
	ds_read2_b32 v[70:71], v61 offset0:45 offset1:46
	ds_read2_b32 v[72:73], v61 offset0:47 offset1:48
	;; [unrolled: 1-line block ×3, first 2 shown]
	s_waitcnt lgkmcnt(3)
	v_pk_fma_f32 v[24:25], v[62:63], v[68:69], v[24:25] op_sel_hi:[0,1,1] neg_lo:[1,0,0] neg_hi:[1,0,0]
	ds_read2_b32 v[68:69], v61 offset0:51 offset1:52
	ds_read2_b32 v[76:77], v61 offset0:53 offset1:54
	s_waitcnt lgkmcnt(4)
	v_pk_fma_f32 v[16:17], v[62:63], v[70:71], v[16:17] op_sel_hi:[0,1,1] neg_lo:[1,0,0] neg_hi:[1,0,0]
	s_waitcnt lgkmcnt(3)
	v_pk_fma_f32 v[8:9], v[62:63], v[72:73], v[8:9] op_sel_hi:[0,1,1] neg_lo:[1,0,0] neg_hi:[1,0,0]
	;; [unrolled: 2-line block ×5, first 2 shown]
	v_mov_b32_e32 v43, v62
.LBB108_318:
	s_or_b64 exec, exec, s[0:1]
	v_lshl_add_u32 v62, v65, 2, v61
	s_barrier
	ds_write_b32 v62, v38
	s_waitcnt lgkmcnt(0)
	s_barrier
	ds_read_b32 v64, v61 offset:76
	s_cmp_lt_i32 s22, 21
	v_mov_b32_e32 v62, 19
	s_cbranch_scc1 .LBB108_321
; %bb.319:
	v_add_u32_e32 v67, 0x50, v61
	v_mov_b32_e32 v62, 19
	s_mov_b32 s0, 20
.LBB108_320:                            ; =>This Inner Loop Header: Depth=1
	ds_read_b32 v68, v67
	v_mov_b32_e32 v69, s0
	s_add_i32 s0, s0, 1
	v_add_u32_e32 v67, 4, v67
	s_cmp_lg_u32 s22, s0
	s_waitcnt lgkmcnt(0)
	v_cmp_lt_f32_e64 vcc, |v64|, |v68|
	s_nop 1
	v_cndmask_b32_e32 v64, v64, v68, vcc
	v_cndmask_b32_e32 v62, v62, v69, vcc
	s_cbranch_scc1 .LBB108_320
.LBB108_321:
	s_waitcnt lgkmcnt(0)
	v_cmp_eq_f32_e32 vcc, 0, v64
	s_and_saveexec_b64 s[0:1], vcc
	s_xor_b64 s[0:1], exec, s[0:1]
; %bb.322:
	v_cmp_ne_u32_e32 vcc, 0, v66
	s_nop 1
	v_cndmask_b32_e32 v66, 20, v66, vcc
; %bb.323:
	s_andn2_saveexec_b64 s[0:1], s[0:1]
	s_cbranch_execz .LBB108_325
; %bb.324:
	v_div_scale_f32 v67, s[2:3], v64, v64, 1.0
	v_rcp_f32_e32 v68, v67
	v_div_scale_f32 v69, vcc, 1.0, v64, 1.0
	v_fma_f32 v70, -v67, v68, 1.0
	v_fmac_f32_e32 v68, v70, v68
	v_mul_f32_e32 v70, v69, v68
	v_fma_f32 v71, -v67, v70, v69
	v_fmac_f32_e32 v70, v71, v68
	v_fma_f32 v67, -v67, v70, v69
	v_div_fmas_f32 v67, v67, v68, v70
	v_div_fixup_f32 v64, v67, v64, 1.0
.LBB108_325:
	s_or_b64 exec, exec, s[0:1]
	v_cmp_ne_u32_e32 vcc, v65, v62
	s_and_saveexec_b64 s[0:1], vcc
	s_xor_b64 s[0:1], exec, s[0:1]
	s_cbranch_execz .LBB108_331
; %bb.326:
	v_cmp_eq_u32_e32 vcc, 19, v65
	s_and_saveexec_b64 s[2:3], vcc
	s_cbranch_execz .LBB108_330
; %bb.327:
	v_cmp_ne_u32_e32 vcc, 19, v62
	s_xor_b64 s[12:13], s[20:21], -1
	s_and_b64 s[14:15], s[12:13], vcc
	s_and_saveexec_b64 s[12:13], s[14:15]
	s_cbranch_execz .LBB108_329
; %bb.328:
	v_ashrrev_i32_e32 v63, 31, v62
	v_lshl_add_u64 v[68:69], v[62:63], 2, v[4:5]
	global_load_dword v63, v[68:69], off
	global_load_dword v65, v[4:5], off offset:76
	s_waitcnt vmcnt(1)
	global_store_dword v[4:5], v63, off offset:76
	s_waitcnt vmcnt(1)
	global_store_dword v[68:69], v65, off
.LBB108_329:
	s_or_b64 exec, exec, s[12:13]
	v_mov_b32_e32 v63, v62
	v_mov_b32_e32 v65, v62
.LBB108_330:
	s_or_b64 exec, exec, s[2:3]
.LBB108_331:
	s_andn2_saveexec_b64 s[0:1], s[0:1]
	s_cbranch_execz .LBB108_333
; %bb.332:
	v_pk_mov_b32 v[68:69], v[38:39], v[32:33] op_sel:[1,0]
	ds_write2_b32 v61, v68, v69 offset0:20 offset1:21
	v_pk_mov_b32 v[68:69], v[32:33], v[26:27] op_sel:[1,0]
	ds_write2_b32 v61, v68, v69 offset0:22 offset1:23
	;; [unrolled: 2-line block ×16, first 2 shown]
	v_pk_mov_b32 v[68:69], v[0:1], v[12:13] op_sel:[1,0]
	v_mov_b32_e32 v65, 19
	ds_write2_b32 v61, v68, v69 offset0:52 offset1:53
	ds_write_b32 v61, v13 offset:216
.LBB108_333:
	s_or_b64 exec, exec, s[0:1]
	v_cmp_lt_i32_e32 vcc, 19, v65
	s_waitcnt lgkmcnt(0)
	s_barrier
	s_and_saveexec_b64 s[0:1], vcc
	s_cbranch_execz .LBB108_335
; %bb.334:
	ds_read_b32 v62, v61 offset:80
	ds_read2_b32 v[68:69], v61 offset0:21 offset1:22
	ds_read2_b32 v[70:71], v61 offset0:23 offset1:24
	v_mul_f32_e32 v38, v64, v38
	ds_read2_b32 v[72:73], v61 offset0:25 offset1:26
	s_waitcnt lgkmcnt(3)
	v_fma_f32 v39, -v38, v62, v39
	s_waitcnt lgkmcnt(2)
	v_pk_fma_f32 v[32:33], v[38:39], v[68:69], v[32:33] op_sel_hi:[0,1,1] neg_lo:[1,0,0] neg_hi:[1,0,0]
	s_waitcnt lgkmcnt(1)
	v_pk_fma_f32 v[26:27], v[38:39], v[70:71], v[26:27] op_sel_hi:[0,1,1] neg_lo:[1,0,0] neg_hi:[1,0,0]
	ds_read2_b32 v[68:69], v61 offset0:27 offset1:28
	ds_read2_b32 v[70:71], v61 offset0:29 offset1:30
	;; [unrolled: 1-line block ×3, first 2 shown]
	s_waitcnt lgkmcnt(3)
	v_pk_fma_f32 v[40:41], v[38:39], v[72:73], v[40:41] op_sel_hi:[0,1,1] neg_lo:[1,0,0] neg_hi:[1,0,0]
	ds_read2_b32 v[72:73], v61 offset0:33 offset1:34
	s_waitcnt lgkmcnt(3)
	v_pk_fma_f32 v[34:35], v[38:39], v[68:69], v[34:35] op_sel_hi:[0,1,1] neg_lo:[1,0,0] neg_hi:[1,0,0]
	s_waitcnt lgkmcnt(2)
	v_pk_fma_f32 v[28:29], v[38:39], v[70:71], v[28:29] op_sel_hi:[0,1,1] neg_lo:[1,0,0] neg_hi:[1,0,0]
	;; [unrolled: 2-line block ×3, first 2 shown]
	ds_read2_b32 v[68:69], v61 offset0:35 offset1:36
	ds_read2_b32 v[70:71], v61 offset0:37 offset1:38
	;; [unrolled: 1-line block ×3, first 2 shown]
	s_waitcnt lgkmcnt(3)
	v_pk_fma_f32 v[36:37], v[38:39], v[72:73], v[36:37] op_sel_hi:[0,1,1] neg_lo:[1,0,0] neg_hi:[1,0,0]
	ds_read2_b32 v[72:73], v61 offset0:41 offset1:42
	s_waitcnt lgkmcnt(3)
	v_pk_fma_f32 v[30:31], v[38:39], v[68:69], v[30:31] op_sel_hi:[0,1,1] neg_lo:[1,0,0] neg_hi:[1,0,0]
	ds_read2_b32 v[68:69], v61 offset0:43 offset1:44
	s_waitcnt lgkmcnt(3)
	v_pk_fma_f32 v[22:23], v[38:39], v[70:71], v[22:23] op_sel_hi:[0,1,1] neg_lo:[1,0,0] neg_hi:[1,0,0]
	s_waitcnt lgkmcnt(2)
	v_pk_fma_f32 v[14:15], v[38:39], v[74:75], v[14:15] op_sel_hi:[0,1,1] neg_lo:[1,0,0] neg_hi:[1,0,0]
	;; [unrolled: 2-line block ×3, first 2 shown]
	ds_read2_b32 v[70:71], v61 offset0:45 offset1:46
	ds_read2_b32 v[72:73], v61 offset0:47 offset1:48
	;; [unrolled: 1-line block ×3, first 2 shown]
	s_waitcnt lgkmcnt(3)
	v_pk_fma_f32 v[24:25], v[38:39], v[68:69], v[24:25] op_sel_hi:[0,1,1] neg_lo:[1,0,0] neg_hi:[1,0,0]
	ds_read2_b32 v[68:69], v61 offset0:51 offset1:52
	ds_read2_b32 v[76:77], v61 offset0:53 offset1:54
	s_waitcnt lgkmcnt(4)
	v_pk_fma_f32 v[16:17], v[38:39], v[70:71], v[16:17] op_sel_hi:[0,1,1] neg_lo:[1,0,0] neg_hi:[1,0,0]
	s_waitcnt lgkmcnt(3)
	v_pk_fma_f32 v[8:9], v[38:39], v[72:73], v[8:9] op_sel_hi:[0,1,1] neg_lo:[1,0,0] neg_hi:[1,0,0]
	s_waitcnt lgkmcnt(2)
	v_pk_fma_f32 v[10:11], v[38:39], v[74:75], v[10:11] op_sel_hi:[0,1,1] neg_lo:[1,0,0] neg_hi:[1,0,0]
	s_waitcnt lgkmcnt(1)
	v_pk_fma_f32 v[0:1], v[38:39], v[68:69], v[0:1] op_sel_hi:[0,1,1] neg_lo:[1,0,0] neg_hi:[1,0,0]
	s_waitcnt lgkmcnt(0)
	v_pk_fma_f32 v[12:13], v[38:39], v[76:77], v[12:13] op_sel_hi:[0,1,1] neg_lo:[1,0,0] neg_hi:[1,0,0]
.LBB108_335:
	s_or_b64 exec, exec, s[0:1]
	v_lshl_add_u32 v62, v65, 2, v61
	s_barrier
	ds_write_b32 v62, v39
	s_waitcnt lgkmcnt(0)
	s_barrier
	ds_read_b32 v64, v61 offset:80
	s_cmp_lt_i32 s22, 22
	v_mov_b32_e32 v62, 20
	s_cbranch_scc1 .LBB108_338
; %bb.336:
	v_add_u32_e32 v67, 0x54, v61
	v_mov_b32_e32 v62, 20
	s_mov_b32 s0, 21
.LBB108_337:                            ; =>This Inner Loop Header: Depth=1
	ds_read_b32 v68, v67
	v_mov_b32_e32 v69, s0
	s_add_i32 s0, s0, 1
	v_add_u32_e32 v67, 4, v67
	s_cmp_lg_u32 s22, s0
	s_waitcnt lgkmcnt(0)
	v_cmp_lt_f32_e64 vcc, |v64|, |v68|
	s_nop 1
	v_cndmask_b32_e32 v64, v64, v68, vcc
	v_cndmask_b32_e32 v62, v62, v69, vcc
	s_cbranch_scc1 .LBB108_337
.LBB108_338:
	s_waitcnt lgkmcnt(0)
	v_cmp_eq_f32_e32 vcc, 0, v64
	s_and_saveexec_b64 s[0:1], vcc
	s_xor_b64 s[0:1], exec, s[0:1]
; %bb.339:
	v_cmp_ne_u32_e32 vcc, 0, v66
	s_nop 1
	v_cndmask_b32_e32 v66, 21, v66, vcc
; %bb.340:
	s_andn2_saveexec_b64 s[0:1], s[0:1]
	s_cbranch_execz .LBB108_342
; %bb.341:
	v_div_scale_f32 v67, s[2:3], v64, v64, 1.0
	v_rcp_f32_e32 v68, v67
	v_div_scale_f32 v69, vcc, 1.0, v64, 1.0
	v_fma_f32 v70, -v67, v68, 1.0
	v_fmac_f32_e32 v68, v70, v68
	v_mul_f32_e32 v70, v69, v68
	v_fma_f32 v71, -v67, v70, v69
	v_fmac_f32_e32 v70, v71, v68
	v_fma_f32 v67, -v67, v70, v69
	v_div_fmas_f32 v67, v67, v68, v70
	v_div_fixup_f32 v64, v67, v64, 1.0
.LBB108_342:
	s_or_b64 exec, exec, s[0:1]
	v_cmp_ne_u32_e32 vcc, v65, v62
	s_and_saveexec_b64 s[0:1], vcc
	s_xor_b64 s[0:1], exec, s[0:1]
	s_cbranch_execz .LBB108_348
; %bb.343:
	v_cmp_eq_u32_e32 vcc, 20, v65
	s_and_saveexec_b64 s[2:3], vcc
	s_cbranch_execz .LBB108_347
; %bb.344:
	v_cmp_ne_u32_e32 vcc, 20, v62
	s_xor_b64 s[12:13], s[20:21], -1
	s_and_b64 s[14:15], s[12:13], vcc
	s_and_saveexec_b64 s[12:13], s[14:15]
	s_cbranch_execz .LBB108_346
; %bb.345:
	v_ashrrev_i32_e32 v63, 31, v62
	v_lshl_add_u64 v[68:69], v[62:63], 2, v[4:5]
	global_load_dword v63, v[68:69], off
	global_load_dword v65, v[4:5], off offset:80
	s_waitcnt vmcnt(1)
	global_store_dword v[4:5], v63, off offset:80
	s_waitcnt vmcnt(1)
	global_store_dword v[68:69], v65, off
.LBB108_346:
	s_or_b64 exec, exec, s[12:13]
	v_mov_b32_e32 v63, v62
	v_mov_b32_e32 v65, v62
.LBB108_347:
	s_or_b64 exec, exec, s[2:3]
.LBB108_348:
	s_andn2_saveexec_b64 s[0:1], s[0:1]
	s_cbranch_execz .LBB108_350
; %bb.349:
	v_mov_b32_e32 v65, 20
	ds_write2_b32 v61, v32, v33 offset0:21 offset1:22
	ds_write2_b32 v61, v26, v27 offset0:23 offset1:24
	;; [unrolled: 1-line block ×17, first 2 shown]
.LBB108_350:
	s_or_b64 exec, exec, s[0:1]
	v_cmp_lt_i32_e32 vcc, 20, v65
	s_waitcnt lgkmcnt(0)
	s_barrier
	s_and_saveexec_b64 s[0:1], vcc
	s_cbranch_execz .LBB108_352
; %bb.351:
	ds_read2_b32 v[68:69], v61 offset0:21 offset1:22
	ds_read2_b32 v[70:71], v61 offset0:23 offset1:24
	ds_read2_b32 v[72:73], v61 offset0:25 offset1:26
	v_mul_f32_e32 v62, v64, v39
	ds_read2_b32 v[74:75], v61 offset0:27 offset1:28
	s_waitcnt lgkmcnt(3)
	v_pk_fma_f32 v[32:33], v[62:63], v[68:69], v[32:33] op_sel_hi:[0,1,1] neg_lo:[1,0,0] neg_hi:[1,0,0]
	s_waitcnt lgkmcnt(2)
	v_pk_fma_f32 v[26:27], v[62:63], v[70:71], v[26:27] op_sel_hi:[0,1,1] neg_lo:[1,0,0] neg_hi:[1,0,0]
	;; [unrolled: 2-line block ×3, first 2 shown]
	ds_read2_b32 v[68:69], v61 offset0:29 offset1:30
	ds_read2_b32 v[70:71], v61 offset0:31 offset1:32
	;; [unrolled: 1-line block ×3, first 2 shown]
	s_waitcnt lgkmcnt(3)
	v_pk_fma_f32 v[34:35], v[62:63], v[74:75], v[34:35] op_sel_hi:[0,1,1] neg_lo:[1,0,0] neg_hi:[1,0,0]
	ds_read2_b32 v[74:75], v61 offset0:35 offset1:36
	s_waitcnt lgkmcnt(3)
	v_pk_fma_f32 v[28:29], v[62:63], v[68:69], v[28:29] op_sel_hi:[0,1,1] neg_lo:[1,0,0] neg_hi:[1,0,0]
	s_waitcnt lgkmcnt(2)
	v_pk_fma_f32 v[20:21], v[62:63], v[70:71], v[20:21] op_sel_hi:[0,1,1] neg_lo:[1,0,0] neg_hi:[1,0,0]
	;; [unrolled: 2-line block ×3, first 2 shown]
	ds_read2_b32 v[68:69], v61 offset0:37 offset1:38
	ds_read2_b32 v[70:71], v61 offset0:39 offset1:40
	;; [unrolled: 1-line block ×4, first 2 shown]
	s_waitcnt lgkmcnt(4)
	v_pk_fma_f32 v[30:31], v[62:63], v[74:75], v[30:31] op_sel_hi:[0,1,1] neg_lo:[1,0,0] neg_hi:[1,0,0]
	s_waitcnt lgkmcnt(3)
	v_pk_fma_f32 v[22:23], v[62:63], v[68:69], v[22:23] op_sel_hi:[0,1,1] neg_lo:[1,0,0] neg_hi:[1,0,0]
	;; [unrolled: 2-line block ×5, first 2 shown]
	ds_read2_b32 v[68:69], v61 offset0:45 offset1:46
	ds_read2_b32 v[70:71], v61 offset0:47 offset1:48
	;; [unrolled: 1-line block ×5, first 2 shown]
	s_waitcnt lgkmcnt(4)
	v_pk_fma_f32 v[16:17], v[62:63], v[68:69], v[16:17] op_sel_hi:[0,1,1] neg_lo:[1,0,0] neg_hi:[1,0,0]
	s_waitcnt lgkmcnt(3)
	v_pk_fma_f32 v[8:9], v[62:63], v[70:71], v[8:9] op_sel_hi:[0,1,1] neg_lo:[1,0,0] neg_hi:[1,0,0]
	;; [unrolled: 2-line block ×5, first 2 shown]
	v_mov_b32_e32 v39, v62
.LBB108_352:
	s_or_b64 exec, exec, s[0:1]
	v_lshl_add_u32 v62, v65, 2, v61
	s_barrier
	ds_write_b32 v62, v32
	s_waitcnt lgkmcnt(0)
	s_barrier
	ds_read_b32 v64, v61 offset:84
	s_cmp_lt_i32 s22, 23
	v_mov_b32_e32 v62, 21
	s_cbranch_scc1 .LBB108_355
; %bb.353:
	v_add_u32_e32 v67, 0x58, v61
	v_mov_b32_e32 v62, 21
	s_mov_b32 s0, 22
.LBB108_354:                            ; =>This Inner Loop Header: Depth=1
	ds_read_b32 v68, v67
	v_mov_b32_e32 v69, s0
	s_add_i32 s0, s0, 1
	v_add_u32_e32 v67, 4, v67
	s_cmp_lg_u32 s22, s0
	s_waitcnt lgkmcnt(0)
	v_cmp_lt_f32_e64 vcc, |v64|, |v68|
	s_nop 1
	v_cndmask_b32_e32 v64, v64, v68, vcc
	v_cndmask_b32_e32 v62, v62, v69, vcc
	s_cbranch_scc1 .LBB108_354
.LBB108_355:
	s_waitcnt lgkmcnt(0)
	v_cmp_eq_f32_e32 vcc, 0, v64
	s_and_saveexec_b64 s[0:1], vcc
	s_xor_b64 s[0:1], exec, s[0:1]
; %bb.356:
	v_cmp_ne_u32_e32 vcc, 0, v66
	s_nop 1
	v_cndmask_b32_e32 v66, 22, v66, vcc
; %bb.357:
	s_andn2_saveexec_b64 s[0:1], s[0:1]
	s_cbranch_execz .LBB108_359
; %bb.358:
	v_div_scale_f32 v67, s[2:3], v64, v64, 1.0
	v_rcp_f32_e32 v68, v67
	v_div_scale_f32 v69, vcc, 1.0, v64, 1.0
	v_fma_f32 v70, -v67, v68, 1.0
	v_fmac_f32_e32 v68, v70, v68
	v_mul_f32_e32 v70, v69, v68
	v_fma_f32 v71, -v67, v70, v69
	v_fmac_f32_e32 v70, v71, v68
	v_fma_f32 v67, -v67, v70, v69
	v_div_fmas_f32 v67, v67, v68, v70
	v_div_fixup_f32 v64, v67, v64, 1.0
.LBB108_359:
	s_or_b64 exec, exec, s[0:1]
	v_cmp_ne_u32_e32 vcc, v65, v62
	s_and_saveexec_b64 s[0:1], vcc
	s_xor_b64 s[0:1], exec, s[0:1]
	s_cbranch_execz .LBB108_365
; %bb.360:
	v_cmp_eq_u32_e32 vcc, 21, v65
	s_and_saveexec_b64 s[2:3], vcc
	s_cbranch_execz .LBB108_364
; %bb.361:
	v_cmp_ne_u32_e32 vcc, 21, v62
	s_xor_b64 s[12:13], s[20:21], -1
	s_and_b64 s[14:15], s[12:13], vcc
	s_and_saveexec_b64 s[12:13], s[14:15]
	s_cbranch_execz .LBB108_363
; %bb.362:
	v_ashrrev_i32_e32 v63, 31, v62
	v_lshl_add_u64 v[68:69], v[62:63], 2, v[4:5]
	global_load_dword v63, v[68:69], off
	global_load_dword v65, v[4:5], off offset:84
	s_waitcnt vmcnt(1)
	global_store_dword v[4:5], v63, off offset:84
	s_waitcnt vmcnt(1)
	global_store_dword v[68:69], v65, off
.LBB108_363:
	s_or_b64 exec, exec, s[12:13]
	v_mov_b32_e32 v63, v62
	v_mov_b32_e32 v65, v62
.LBB108_364:
	s_or_b64 exec, exec, s[2:3]
.LBB108_365:
	s_andn2_saveexec_b64 s[0:1], s[0:1]
	s_cbranch_execz .LBB108_367
; %bb.366:
	v_pk_mov_b32 v[68:69], v[32:33], v[26:27] op_sel:[1,0]
	ds_write2_b32 v61, v68, v69 offset0:22 offset1:23
	v_pk_mov_b32 v[68:69], v[26:27], v[40:41] op_sel:[1,0]
	ds_write2_b32 v61, v68, v69 offset0:24 offset1:25
	;; [unrolled: 2-line block ×15, first 2 shown]
	v_pk_mov_b32 v[68:69], v[0:1], v[12:13] op_sel:[1,0]
	v_mov_b32_e32 v65, 21
	ds_write2_b32 v61, v68, v69 offset0:52 offset1:53
	ds_write_b32 v61, v13 offset:216
.LBB108_367:
	s_or_b64 exec, exec, s[0:1]
	v_cmp_lt_i32_e32 vcc, 21, v65
	s_waitcnt lgkmcnt(0)
	s_barrier
	s_and_saveexec_b64 s[0:1], vcc
	s_cbranch_execz .LBB108_369
; %bb.368:
	ds_read_b32 v62, v61 offset:88
	ds_read2_b32 v[68:69], v61 offset0:23 offset1:24
	ds_read2_b32 v[70:71], v61 offset0:25 offset1:26
	v_mul_f32_e32 v32, v64, v32
	ds_read2_b32 v[72:73], v61 offset0:27 offset1:28
	s_waitcnt lgkmcnt(3)
	v_fma_f32 v33, -v32, v62, v33
	s_waitcnt lgkmcnt(2)
	v_pk_fma_f32 v[26:27], v[32:33], v[68:69], v[26:27] op_sel_hi:[0,1,1] neg_lo:[1,0,0] neg_hi:[1,0,0]
	s_waitcnt lgkmcnt(1)
	v_pk_fma_f32 v[40:41], v[32:33], v[70:71], v[40:41] op_sel_hi:[0,1,1] neg_lo:[1,0,0] neg_hi:[1,0,0]
	ds_read2_b32 v[68:69], v61 offset0:29 offset1:30
	ds_read2_b32 v[70:71], v61 offset0:31 offset1:32
	;; [unrolled: 1-line block ×3, first 2 shown]
	s_waitcnt lgkmcnt(3)
	v_pk_fma_f32 v[34:35], v[32:33], v[72:73], v[34:35] op_sel_hi:[0,1,1] neg_lo:[1,0,0] neg_hi:[1,0,0]
	ds_read2_b32 v[72:73], v61 offset0:35 offset1:36
	s_waitcnt lgkmcnt(3)
	v_pk_fma_f32 v[28:29], v[32:33], v[68:69], v[28:29] op_sel_hi:[0,1,1] neg_lo:[1,0,0] neg_hi:[1,0,0]
	s_waitcnt lgkmcnt(2)
	v_pk_fma_f32 v[20:21], v[32:33], v[70:71], v[20:21] op_sel_hi:[0,1,1] neg_lo:[1,0,0] neg_hi:[1,0,0]
	;; [unrolled: 2-line block ×3, first 2 shown]
	ds_read2_b32 v[68:69], v61 offset0:37 offset1:38
	ds_read2_b32 v[70:71], v61 offset0:39 offset1:40
	;; [unrolled: 1-line block ×4, first 2 shown]
	s_waitcnt lgkmcnt(4)
	v_pk_fma_f32 v[30:31], v[32:33], v[72:73], v[30:31] op_sel_hi:[0,1,1] neg_lo:[1,0,0] neg_hi:[1,0,0]
	s_waitcnt lgkmcnt(3)
	v_pk_fma_f32 v[22:23], v[32:33], v[68:69], v[22:23] op_sel_hi:[0,1,1] neg_lo:[1,0,0] neg_hi:[1,0,0]
	;; [unrolled: 2-line block ×5, first 2 shown]
	ds_read2_b32 v[68:69], v61 offset0:45 offset1:46
	ds_read2_b32 v[70:71], v61 offset0:47 offset1:48
	;; [unrolled: 1-line block ×5, first 2 shown]
	s_waitcnt lgkmcnt(4)
	v_pk_fma_f32 v[16:17], v[32:33], v[68:69], v[16:17] op_sel_hi:[0,1,1] neg_lo:[1,0,0] neg_hi:[1,0,0]
	s_waitcnt lgkmcnt(3)
	v_pk_fma_f32 v[8:9], v[32:33], v[70:71], v[8:9] op_sel_hi:[0,1,1] neg_lo:[1,0,0] neg_hi:[1,0,0]
	;; [unrolled: 2-line block ×5, first 2 shown]
.LBB108_369:
	s_or_b64 exec, exec, s[0:1]
	v_lshl_add_u32 v62, v65, 2, v61
	s_barrier
	ds_write_b32 v62, v33
	s_waitcnt lgkmcnt(0)
	s_barrier
	ds_read_b32 v64, v61 offset:88
	s_cmp_lt_i32 s22, 24
	v_mov_b32_e32 v62, 22
	s_cbranch_scc1 .LBB108_372
; %bb.370:
	v_add_u32_e32 v67, 0x5c, v61
	v_mov_b32_e32 v62, 22
	s_mov_b32 s0, 23
.LBB108_371:                            ; =>This Inner Loop Header: Depth=1
	ds_read_b32 v68, v67
	v_mov_b32_e32 v69, s0
	s_add_i32 s0, s0, 1
	v_add_u32_e32 v67, 4, v67
	s_cmp_lg_u32 s22, s0
	s_waitcnt lgkmcnt(0)
	v_cmp_lt_f32_e64 vcc, |v64|, |v68|
	s_nop 1
	v_cndmask_b32_e32 v64, v64, v68, vcc
	v_cndmask_b32_e32 v62, v62, v69, vcc
	s_cbranch_scc1 .LBB108_371
.LBB108_372:
	s_waitcnt lgkmcnt(0)
	v_cmp_eq_f32_e32 vcc, 0, v64
	s_and_saveexec_b64 s[0:1], vcc
	s_xor_b64 s[0:1], exec, s[0:1]
; %bb.373:
	v_cmp_ne_u32_e32 vcc, 0, v66
	s_nop 1
	v_cndmask_b32_e32 v66, 23, v66, vcc
; %bb.374:
	s_andn2_saveexec_b64 s[0:1], s[0:1]
	s_cbranch_execz .LBB108_376
; %bb.375:
	v_div_scale_f32 v67, s[2:3], v64, v64, 1.0
	v_rcp_f32_e32 v68, v67
	v_div_scale_f32 v69, vcc, 1.0, v64, 1.0
	v_fma_f32 v70, -v67, v68, 1.0
	v_fmac_f32_e32 v68, v70, v68
	v_mul_f32_e32 v70, v69, v68
	v_fma_f32 v71, -v67, v70, v69
	v_fmac_f32_e32 v70, v71, v68
	v_fma_f32 v67, -v67, v70, v69
	v_div_fmas_f32 v67, v67, v68, v70
	v_div_fixup_f32 v64, v67, v64, 1.0
.LBB108_376:
	s_or_b64 exec, exec, s[0:1]
	v_cmp_ne_u32_e32 vcc, v65, v62
	s_and_saveexec_b64 s[0:1], vcc
	s_xor_b64 s[0:1], exec, s[0:1]
	s_cbranch_execz .LBB108_382
; %bb.377:
	v_cmp_eq_u32_e32 vcc, 22, v65
	s_and_saveexec_b64 s[2:3], vcc
	s_cbranch_execz .LBB108_381
; %bb.378:
	v_cmp_ne_u32_e32 vcc, 22, v62
	s_xor_b64 s[12:13], s[20:21], -1
	s_and_b64 s[14:15], s[12:13], vcc
	s_and_saveexec_b64 s[12:13], s[14:15]
	s_cbranch_execz .LBB108_380
; %bb.379:
	v_ashrrev_i32_e32 v63, 31, v62
	v_lshl_add_u64 v[68:69], v[62:63], 2, v[4:5]
	global_load_dword v63, v[68:69], off
	global_load_dword v65, v[4:5], off offset:88
	s_waitcnt vmcnt(1)
	global_store_dword v[4:5], v63, off offset:88
	s_waitcnt vmcnt(1)
	global_store_dword v[68:69], v65, off
.LBB108_380:
	s_or_b64 exec, exec, s[12:13]
	v_mov_b32_e32 v63, v62
	v_mov_b32_e32 v65, v62
.LBB108_381:
	s_or_b64 exec, exec, s[2:3]
.LBB108_382:
	s_andn2_saveexec_b64 s[0:1], s[0:1]
	s_cbranch_execz .LBB108_384
; %bb.383:
	v_mov_b32_e32 v65, 22
	ds_write2_b32 v61, v26, v27 offset0:23 offset1:24
	ds_write2_b32 v61, v40, v41 offset0:25 offset1:26
	;; [unrolled: 1-line block ×16, first 2 shown]
.LBB108_384:
	s_or_b64 exec, exec, s[0:1]
	v_cmp_lt_i32_e32 vcc, 22, v65
	s_waitcnt lgkmcnt(0)
	s_barrier
	s_and_saveexec_b64 s[0:1], vcc
	s_cbranch_execz .LBB108_386
; %bb.385:
	ds_read2_b32 v[68:69], v61 offset0:23 offset1:24
	ds_read2_b32 v[70:71], v61 offset0:25 offset1:26
	;; [unrolled: 1-line block ×3, first 2 shown]
	v_mul_f32_e32 v62, v64, v33
	ds_read2_b32 v[74:75], v61 offset0:29 offset1:30
	s_waitcnt lgkmcnt(3)
	v_pk_fma_f32 v[26:27], v[62:63], v[68:69], v[26:27] op_sel_hi:[0,1,1] neg_lo:[1,0,0] neg_hi:[1,0,0]
	s_waitcnt lgkmcnt(2)
	v_pk_fma_f32 v[40:41], v[62:63], v[70:71], v[40:41] op_sel_hi:[0,1,1] neg_lo:[1,0,0] neg_hi:[1,0,0]
	;; [unrolled: 2-line block ×3, first 2 shown]
	ds_read2_b32 v[68:69], v61 offset0:31 offset1:32
	ds_read2_b32 v[70:71], v61 offset0:33 offset1:34
	;; [unrolled: 1-line block ×3, first 2 shown]
	s_waitcnt lgkmcnt(3)
	v_pk_fma_f32 v[28:29], v[62:63], v[74:75], v[28:29] op_sel_hi:[0,1,1] neg_lo:[1,0,0] neg_hi:[1,0,0]
	ds_read2_b32 v[74:75], v61 offset0:37 offset1:38
	s_waitcnt lgkmcnt(3)
	v_pk_fma_f32 v[20:21], v[62:63], v[68:69], v[20:21] op_sel_hi:[0,1,1] neg_lo:[1,0,0] neg_hi:[1,0,0]
	s_waitcnt lgkmcnt(2)
	v_pk_fma_f32 v[36:37], v[62:63], v[70:71], v[36:37] op_sel_hi:[0,1,1] neg_lo:[1,0,0] neg_hi:[1,0,0]
	;; [unrolled: 2-line block ×3, first 2 shown]
	ds_read2_b32 v[68:69], v61 offset0:39 offset1:40
	ds_read2_b32 v[70:71], v61 offset0:41 offset1:42
	ds_read2_b32 v[72:73], v61 offset0:43 offset1:44
	s_waitcnt lgkmcnt(3)
	v_pk_fma_f32 v[22:23], v[62:63], v[74:75], v[22:23] op_sel_hi:[0,1,1] neg_lo:[1,0,0] neg_hi:[1,0,0]
	ds_read2_b32 v[74:75], v61 offset0:45 offset1:46
	s_waitcnt lgkmcnt(3)
	v_pk_fma_f32 v[14:15], v[62:63], v[68:69], v[14:15] op_sel_hi:[0,1,1] neg_lo:[1,0,0] neg_hi:[1,0,0]
	s_waitcnt lgkmcnt(2)
	v_pk_fma_f32 v[18:19], v[62:63], v[70:71], v[18:19] op_sel_hi:[0,1,1] neg_lo:[1,0,0] neg_hi:[1,0,0]
	;; [unrolled: 2-line block ×3, first 2 shown]
	ds_read2_b32 v[68:69], v61 offset0:47 offset1:48
	ds_read2_b32 v[70:71], v61 offset0:49 offset1:50
	;; [unrolled: 1-line block ×4, first 2 shown]
	s_waitcnt lgkmcnt(4)
	v_pk_fma_f32 v[16:17], v[62:63], v[74:75], v[16:17] op_sel_hi:[0,1,1] neg_lo:[1,0,0] neg_hi:[1,0,0]
	s_waitcnt lgkmcnt(3)
	v_pk_fma_f32 v[8:9], v[62:63], v[68:69], v[8:9] op_sel_hi:[0,1,1] neg_lo:[1,0,0] neg_hi:[1,0,0]
	;; [unrolled: 2-line block ×5, first 2 shown]
	v_mov_b32_e32 v33, v62
.LBB108_386:
	s_or_b64 exec, exec, s[0:1]
	v_lshl_add_u32 v62, v65, 2, v61
	s_barrier
	ds_write_b32 v62, v26
	s_waitcnt lgkmcnt(0)
	s_barrier
	ds_read_b32 v64, v61 offset:92
	s_cmp_lt_i32 s22, 25
	v_mov_b32_e32 v62, 23
	s_cbranch_scc1 .LBB108_389
; %bb.387:
	v_add_u32_e32 v67, 0x60, v61
	v_mov_b32_e32 v62, 23
	s_mov_b32 s0, 24
.LBB108_388:                            ; =>This Inner Loop Header: Depth=1
	ds_read_b32 v68, v67
	v_mov_b32_e32 v69, s0
	s_add_i32 s0, s0, 1
	v_add_u32_e32 v67, 4, v67
	s_cmp_lg_u32 s22, s0
	s_waitcnt lgkmcnt(0)
	v_cmp_lt_f32_e64 vcc, |v64|, |v68|
	s_nop 1
	v_cndmask_b32_e32 v64, v64, v68, vcc
	v_cndmask_b32_e32 v62, v62, v69, vcc
	s_cbranch_scc1 .LBB108_388
.LBB108_389:
	s_waitcnt lgkmcnt(0)
	v_cmp_eq_f32_e32 vcc, 0, v64
	s_and_saveexec_b64 s[0:1], vcc
	s_xor_b64 s[0:1], exec, s[0:1]
; %bb.390:
	v_cmp_ne_u32_e32 vcc, 0, v66
	s_nop 1
	v_cndmask_b32_e32 v66, 24, v66, vcc
; %bb.391:
	s_andn2_saveexec_b64 s[0:1], s[0:1]
	s_cbranch_execz .LBB108_393
; %bb.392:
	v_div_scale_f32 v67, s[2:3], v64, v64, 1.0
	v_rcp_f32_e32 v68, v67
	v_div_scale_f32 v69, vcc, 1.0, v64, 1.0
	v_fma_f32 v70, -v67, v68, 1.0
	v_fmac_f32_e32 v68, v70, v68
	v_mul_f32_e32 v70, v69, v68
	v_fma_f32 v71, -v67, v70, v69
	v_fmac_f32_e32 v70, v71, v68
	v_fma_f32 v67, -v67, v70, v69
	v_div_fmas_f32 v67, v67, v68, v70
	v_div_fixup_f32 v64, v67, v64, 1.0
.LBB108_393:
	s_or_b64 exec, exec, s[0:1]
	v_cmp_ne_u32_e32 vcc, v65, v62
	s_and_saveexec_b64 s[0:1], vcc
	s_xor_b64 s[0:1], exec, s[0:1]
	s_cbranch_execz .LBB108_399
; %bb.394:
	v_cmp_eq_u32_e32 vcc, 23, v65
	s_and_saveexec_b64 s[2:3], vcc
	s_cbranch_execz .LBB108_398
; %bb.395:
	v_cmp_ne_u32_e32 vcc, 23, v62
	s_xor_b64 s[12:13], s[20:21], -1
	s_and_b64 s[14:15], s[12:13], vcc
	s_and_saveexec_b64 s[12:13], s[14:15]
	s_cbranch_execz .LBB108_397
; %bb.396:
	v_ashrrev_i32_e32 v63, 31, v62
	v_lshl_add_u64 v[68:69], v[62:63], 2, v[4:5]
	global_load_dword v63, v[68:69], off
	global_load_dword v65, v[4:5], off offset:92
	s_waitcnt vmcnt(1)
	global_store_dword v[4:5], v63, off offset:92
	s_waitcnt vmcnt(1)
	global_store_dword v[68:69], v65, off
.LBB108_397:
	s_or_b64 exec, exec, s[12:13]
	v_mov_b32_e32 v63, v62
	v_mov_b32_e32 v65, v62
.LBB108_398:
	s_or_b64 exec, exec, s[2:3]
.LBB108_399:
	s_andn2_saveexec_b64 s[0:1], s[0:1]
	s_cbranch_execz .LBB108_401
; %bb.400:
	v_pk_mov_b32 v[68:69], v[26:27], v[40:41] op_sel:[1,0]
	ds_write2_b32 v61, v68, v69 offset0:24 offset1:25
	v_pk_mov_b32 v[68:69], v[40:41], v[34:35] op_sel:[1,0]
	ds_write2_b32 v61, v68, v69 offset0:26 offset1:27
	;; [unrolled: 2-line block ×14, first 2 shown]
	v_pk_mov_b32 v[68:69], v[0:1], v[12:13] op_sel:[1,0]
	v_mov_b32_e32 v65, 23
	ds_write2_b32 v61, v68, v69 offset0:52 offset1:53
	ds_write_b32 v61, v13 offset:216
.LBB108_401:
	s_or_b64 exec, exec, s[0:1]
	v_cmp_lt_i32_e32 vcc, 23, v65
	s_waitcnt lgkmcnt(0)
	s_barrier
	s_and_saveexec_b64 s[0:1], vcc
	s_cbranch_execz .LBB108_403
; %bb.402:
	ds_read_b32 v62, v61 offset:96
	ds_read2_b32 v[68:69], v61 offset0:25 offset1:26
	ds_read2_b32 v[70:71], v61 offset0:27 offset1:28
	v_mul_f32_e32 v26, v64, v26
	ds_read2_b32 v[72:73], v61 offset0:29 offset1:30
	s_waitcnt lgkmcnt(3)
	v_fma_f32 v27, -v26, v62, v27
	s_waitcnt lgkmcnt(2)
	v_pk_fma_f32 v[40:41], v[26:27], v[68:69], v[40:41] op_sel_hi:[0,1,1] neg_lo:[1,0,0] neg_hi:[1,0,0]
	s_waitcnt lgkmcnt(1)
	v_pk_fma_f32 v[34:35], v[26:27], v[70:71], v[34:35] op_sel_hi:[0,1,1] neg_lo:[1,0,0] neg_hi:[1,0,0]
	ds_read2_b32 v[68:69], v61 offset0:31 offset1:32
	ds_read2_b32 v[70:71], v61 offset0:33 offset1:34
	;; [unrolled: 1-line block ×3, first 2 shown]
	s_waitcnt lgkmcnt(3)
	v_pk_fma_f32 v[28:29], v[26:27], v[72:73], v[28:29] op_sel_hi:[0,1,1] neg_lo:[1,0,0] neg_hi:[1,0,0]
	ds_read2_b32 v[72:73], v61 offset0:37 offset1:38
	s_waitcnt lgkmcnt(3)
	v_pk_fma_f32 v[20:21], v[26:27], v[68:69], v[20:21] op_sel_hi:[0,1,1] neg_lo:[1,0,0] neg_hi:[1,0,0]
	s_waitcnt lgkmcnt(2)
	v_pk_fma_f32 v[36:37], v[26:27], v[70:71], v[36:37] op_sel_hi:[0,1,1] neg_lo:[1,0,0] neg_hi:[1,0,0]
	;; [unrolled: 2-line block ×3, first 2 shown]
	ds_read2_b32 v[68:69], v61 offset0:39 offset1:40
	ds_read2_b32 v[70:71], v61 offset0:41 offset1:42
	;; [unrolled: 1-line block ×3, first 2 shown]
	s_waitcnt lgkmcnt(3)
	v_pk_fma_f32 v[22:23], v[26:27], v[72:73], v[22:23] op_sel_hi:[0,1,1] neg_lo:[1,0,0] neg_hi:[1,0,0]
	ds_read2_b32 v[72:73], v61 offset0:45 offset1:46
	s_waitcnt lgkmcnt(3)
	v_pk_fma_f32 v[14:15], v[26:27], v[68:69], v[14:15] op_sel_hi:[0,1,1] neg_lo:[1,0,0] neg_hi:[1,0,0]
	s_waitcnt lgkmcnt(2)
	v_pk_fma_f32 v[18:19], v[26:27], v[70:71], v[18:19] op_sel_hi:[0,1,1] neg_lo:[1,0,0] neg_hi:[1,0,0]
	;; [unrolled: 2-line block ×3, first 2 shown]
	ds_read2_b32 v[68:69], v61 offset0:47 offset1:48
	ds_read2_b32 v[70:71], v61 offset0:49 offset1:50
	;; [unrolled: 1-line block ×4, first 2 shown]
	s_waitcnt lgkmcnt(4)
	v_pk_fma_f32 v[16:17], v[26:27], v[72:73], v[16:17] op_sel_hi:[0,1,1] neg_lo:[1,0,0] neg_hi:[1,0,0]
	s_waitcnt lgkmcnt(3)
	v_pk_fma_f32 v[8:9], v[26:27], v[68:69], v[8:9] op_sel_hi:[0,1,1] neg_lo:[1,0,0] neg_hi:[1,0,0]
	;; [unrolled: 2-line block ×5, first 2 shown]
.LBB108_403:
	s_or_b64 exec, exec, s[0:1]
	v_lshl_add_u32 v62, v65, 2, v61
	s_barrier
	ds_write_b32 v62, v27
	s_waitcnt lgkmcnt(0)
	s_barrier
	ds_read_b32 v64, v61 offset:96
	s_cmp_lt_i32 s22, 26
	v_mov_b32_e32 v62, 24
	s_cbranch_scc1 .LBB108_406
; %bb.404:
	v_add_u32_e32 v67, 0x64, v61
	v_mov_b32_e32 v62, 24
	s_mov_b32 s0, 25
.LBB108_405:                            ; =>This Inner Loop Header: Depth=1
	ds_read_b32 v68, v67
	v_mov_b32_e32 v69, s0
	s_add_i32 s0, s0, 1
	v_add_u32_e32 v67, 4, v67
	s_cmp_lg_u32 s22, s0
	s_waitcnt lgkmcnt(0)
	v_cmp_lt_f32_e64 vcc, |v64|, |v68|
	s_nop 1
	v_cndmask_b32_e32 v64, v64, v68, vcc
	v_cndmask_b32_e32 v62, v62, v69, vcc
	s_cbranch_scc1 .LBB108_405
.LBB108_406:
	s_waitcnt lgkmcnt(0)
	v_cmp_eq_f32_e32 vcc, 0, v64
	s_and_saveexec_b64 s[0:1], vcc
	s_xor_b64 s[0:1], exec, s[0:1]
; %bb.407:
	v_cmp_ne_u32_e32 vcc, 0, v66
	s_nop 1
	v_cndmask_b32_e32 v66, 25, v66, vcc
; %bb.408:
	s_andn2_saveexec_b64 s[0:1], s[0:1]
	s_cbranch_execz .LBB108_410
; %bb.409:
	v_div_scale_f32 v67, s[2:3], v64, v64, 1.0
	v_rcp_f32_e32 v68, v67
	v_div_scale_f32 v69, vcc, 1.0, v64, 1.0
	v_fma_f32 v70, -v67, v68, 1.0
	v_fmac_f32_e32 v68, v70, v68
	v_mul_f32_e32 v70, v69, v68
	v_fma_f32 v71, -v67, v70, v69
	v_fmac_f32_e32 v70, v71, v68
	v_fma_f32 v67, -v67, v70, v69
	v_div_fmas_f32 v67, v67, v68, v70
	v_div_fixup_f32 v64, v67, v64, 1.0
.LBB108_410:
	s_or_b64 exec, exec, s[0:1]
	v_cmp_ne_u32_e32 vcc, v65, v62
	s_and_saveexec_b64 s[0:1], vcc
	s_xor_b64 s[0:1], exec, s[0:1]
	s_cbranch_execz .LBB108_416
; %bb.411:
	v_cmp_eq_u32_e32 vcc, 24, v65
	s_and_saveexec_b64 s[2:3], vcc
	s_cbranch_execz .LBB108_415
; %bb.412:
	v_cmp_ne_u32_e32 vcc, 24, v62
	s_xor_b64 s[12:13], s[20:21], -1
	s_and_b64 s[14:15], s[12:13], vcc
	s_and_saveexec_b64 s[12:13], s[14:15]
	s_cbranch_execz .LBB108_414
; %bb.413:
	v_ashrrev_i32_e32 v63, 31, v62
	v_lshl_add_u64 v[68:69], v[62:63], 2, v[4:5]
	global_load_dword v63, v[68:69], off
	global_load_dword v65, v[4:5], off offset:96
	s_waitcnt vmcnt(1)
	global_store_dword v[4:5], v63, off offset:96
	s_waitcnt vmcnt(1)
	global_store_dword v[68:69], v65, off
.LBB108_414:
	s_or_b64 exec, exec, s[12:13]
	v_mov_b32_e32 v63, v62
	v_mov_b32_e32 v65, v62
.LBB108_415:
	s_or_b64 exec, exec, s[2:3]
.LBB108_416:
	s_andn2_saveexec_b64 s[0:1], s[0:1]
	s_cbranch_execz .LBB108_418
; %bb.417:
	v_mov_b32_e32 v65, 24
	ds_write2_b32 v61, v40, v41 offset0:25 offset1:26
	ds_write2_b32 v61, v34, v35 offset0:27 offset1:28
	;; [unrolled: 1-line block ×15, first 2 shown]
.LBB108_418:
	s_or_b64 exec, exec, s[0:1]
	v_cmp_lt_i32_e32 vcc, 24, v65
	s_waitcnt lgkmcnt(0)
	s_barrier
	s_and_saveexec_b64 s[0:1], vcc
	s_cbranch_execz .LBB108_420
; %bb.419:
	ds_read2_b32 v[68:69], v61 offset0:25 offset1:26
	ds_read2_b32 v[70:71], v61 offset0:27 offset1:28
	;; [unrolled: 1-line block ×3, first 2 shown]
	v_mul_f32_e32 v62, v64, v27
	ds_read2_b32 v[74:75], v61 offset0:31 offset1:32
	s_waitcnt lgkmcnt(3)
	v_pk_fma_f32 v[40:41], v[62:63], v[68:69], v[40:41] op_sel_hi:[0,1,1] neg_lo:[1,0,0] neg_hi:[1,0,0]
	s_waitcnt lgkmcnt(2)
	v_pk_fma_f32 v[34:35], v[62:63], v[70:71], v[34:35] op_sel_hi:[0,1,1] neg_lo:[1,0,0] neg_hi:[1,0,0]
	;; [unrolled: 2-line block ×3, first 2 shown]
	ds_read2_b32 v[68:69], v61 offset0:33 offset1:34
	ds_read2_b32 v[70:71], v61 offset0:35 offset1:36
	;; [unrolled: 1-line block ×3, first 2 shown]
	s_waitcnt lgkmcnt(3)
	v_pk_fma_f32 v[20:21], v[62:63], v[74:75], v[20:21] op_sel_hi:[0,1,1] neg_lo:[1,0,0] neg_hi:[1,0,0]
	ds_read2_b32 v[74:75], v61 offset0:39 offset1:40
	s_waitcnt lgkmcnt(3)
	v_pk_fma_f32 v[36:37], v[62:63], v[68:69], v[36:37] op_sel_hi:[0,1,1] neg_lo:[1,0,0] neg_hi:[1,0,0]
	s_waitcnt lgkmcnt(2)
	v_pk_fma_f32 v[30:31], v[62:63], v[70:71], v[30:31] op_sel_hi:[0,1,1] neg_lo:[1,0,0] neg_hi:[1,0,0]
	ds_read2_b32 v[68:69], v61 offset0:41 offset1:42
	ds_read2_b32 v[70:71], v61 offset0:43 offset1:44
	s_waitcnt lgkmcnt(3)
	v_pk_fma_f32 v[22:23], v[62:63], v[72:73], v[22:23] op_sel_hi:[0,1,1] neg_lo:[1,0,0] neg_hi:[1,0,0]
	s_waitcnt lgkmcnt(2)
	v_pk_fma_f32 v[14:15], v[62:63], v[74:75], v[14:15] op_sel_hi:[0,1,1] neg_lo:[1,0,0] neg_hi:[1,0,0]
	ds_read2_b32 v[72:73], v61 offset0:45 offset1:46
	;; [unrolled: 6-line block ×3, first 2 shown]
	ds_read2_b32 v[70:71], v61 offset0:51 offset1:52
	ds_read2_b32 v[76:77], v61 offset0:53 offset1:54
	s_waitcnt lgkmcnt(4)
	v_pk_fma_f32 v[16:17], v[62:63], v[72:73], v[16:17] op_sel_hi:[0,1,1] neg_lo:[1,0,0] neg_hi:[1,0,0]
	s_waitcnt lgkmcnt(3)
	v_pk_fma_f32 v[8:9], v[62:63], v[74:75], v[8:9] op_sel_hi:[0,1,1] neg_lo:[1,0,0] neg_hi:[1,0,0]
	;; [unrolled: 2-line block ×5, first 2 shown]
	v_mov_b32_e32 v27, v62
.LBB108_420:
	s_or_b64 exec, exec, s[0:1]
	v_lshl_add_u32 v62, v65, 2, v61
	s_barrier
	ds_write_b32 v62, v40
	s_waitcnt lgkmcnt(0)
	s_barrier
	ds_read_b32 v64, v61 offset:100
	s_cmp_lt_i32 s22, 27
	v_mov_b32_e32 v62, 25
	s_cbranch_scc1 .LBB108_423
; %bb.421:
	v_add_u32_e32 v67, 0x68, v61
	v_mov_b32_e32 v62, 25
	s_mov_b32 s0, 26
.LBB108_422:                            ; =>This Inner Loop Header: Depth=1
	ds_read_b32 v68, v67
	v_mov_b32_e32 v69, s0
	s_add_i32 s0, s0, 1
	v_add_u32_e32 v67, 4, v67
	s_cmp_lg_u32 s22, s0
	s_waitcnt lgkmcnt(0)
	v_cmp_lt_f32_e64 vcc, |v64|, |v68|
	s_nop 1
	v_cndmask_b32_e32 v64, v64, v68, vcc
	v_cndmask_b32_e32 v62, v62, v69, vcc
	s_cbranch_scc1 .LBB108_422
.LBB108_423:
	s_waitcnt lgkmcnt(0)
	v_cmp_eq_f32_e32 vcc, 0, v64
	s_and_saveexec_b64 s[0:1], vcc
	s_xor_b64 s[0:1], exec, s[0:1]
; %bb.424:
	v_cmp_ne_u32_e32 vcc, 0, v66
	s_nop 1
	v_cndmask_b32_e32 v66, 26, v66, vcc
; %bb.425:
	s_andn2_saveexec_b64 s[0:1], s[0:1]
	s_cbranch_execz .LBB108_427
; %bb.426:
	v_div_scale_f32 v67, s[2:3], v64, v64, 1.0
	v_rcp_f32_e32 v68, v67
	v_div_scale_f32 v69, vcc, 1.0, v64, 1.0
	v_fma_f32 v70, -v67, v68, 1.0
	v_fmac_f32_e32 v68, v70, v68
	v_mul_f32_e32 v70, v69, v68
	v_fma_f32 v71, -v67, v70, v69
	v_fmac_f32_e32 v70, v71, v68
	v_fma_f32 v67, -v67, v70, v69
	v_div_fmas_f32 v67, v67, v68, v70
	v_div_fixup_f32 v64, v67, v64, 1.0
.LBB108_427:
	s_or_b64 exec, exec, s[0:1]
	v_cmp_ne_u32_e32 vcc, v65, v62
	s_and_saveexec_b64 s[0:1], vcc
	s_xor_b64 s[0:1], exec, s[0:1]
	s_cbranch_execz .LBB108_433
; %bb.428:
	v_cmp_eq_u32_e32 vcc, 25, v65
	s_and_saveexec_b64 s[2:3], vcc
	s_cbranch_execz .LBB108_432
; %bb.429:
	v_cmp_ne_u32_e32 vcc, 25, v62
	s_xor_b64 s[12:13], s[20:21], -1
	s_and_b64 s[14:15], s[12:13], vcc
	s_and_saveexec_b64 s[12:13], s[14:15]
	s_cbranch_execz .LBB108_431
; %bb.430:
	v_ashrrev_i32_e32 v63, 31, v62
	v_lshl_add_u64 v[68:69], v[62:63], 2, v[4:5]
	global_load_dword v63, v[68:69], off
	global_load_dword v65, v[4:5], off offset:100
	s_waitcnt vmcnt(1)
	global_store_dword v[4:5], v63, off offset:100
	s_waitcnt vmcnt(1)
	global_store_dword v[68:69], v65, off
.LBB108_431:
	s_or_b64 exec, exec, s[12:13]
	v_mov_b32_e32 v63, v62
	v_mov_b32_e32 v65, v62
.LBB108_432:
	s_or_b64 exec, exec, s[2:3]
.LBB108_433:
	s_andn2_saveexec_b64 s[0:1], s[0:1]
	s_cbranch_execz .LBB108_435
; %bb.434:
	v_pk_mov_b32 v[68:69], v[40:41], v[34:35] op_sel:[1,0]
	ds_write2_b32 v61, v68, v69 offset0:26 offset1:27
	v_pk_mov_b32 v[68:69], v[34:35], v[28:29] op_sel:[1,0]
	ds_write2_b32 v61, v68, v69 offset0:28 offset1:29
	v_pk_mov_b32 v[68:69], v[28:29], v[20:21] op_sel:[1,0]
	ds_write2_b32 v61, v68, v69 offset0:30 offset1:31
	v_pk_mov_b32 v[68:69], v[20:21], v[36:37] op_sel:[1,0]
	ds_write2_b32 v61, v68, v69 offset0:32 offset1:33
	v_pk_mov_b32 v[68:69], v[36:37], v[30:31] op_sel:[1,0]
	ds_write2_b32 v61, v68, v69 offset0:34 offset1:35
	v_pk_mov_b32 v[68:69], v[30:31], v[22:23] op_sel:[1,0]
	ds_write2_b32 v61, v68, v69 offset0:36 offset1:37
	v_pk_mov_b32 v[68:69], v[22:23], v[14:15] op_sel:[1,0]
	ds_write2_b32 v61, v68, v69 offset0:38 offset1:39
	v_pk_mov_b32 v[68:69], v[14:15], v[18:19] op_sel:[1,0]
	ds_write2_b32 v61, v68, v69 offset0:40 offset1:41
	v_pk_mov_b32 v[68:69], v[18:19], v[24:25] op_sel:[1,0]
	ds_write2_b32 v61, v68, v69 offset0:42 offset1:43
	v_pk_mov_b32 v[68:69], v[24:25], v[16:17] op_sel:[1,0]
	ds_write2_b32 v61, v68, v69 offset0:44 offset1:45
	v_pk_mov_b32 v[68:69], v[16:17], v[8:9] op_sel:[1,0]
	ds_write2_b32 v61, v68, v69 offset0:46 offset1:47
	v_pk_mov_b32 v[68:69], v[8:9], v[10:11] op_sel:[1,0]
	ds_write2_b32 v61, v68, v69 offset0:48 offset1:49
	v_pk_mov_b32 v[68:69], v[10:11], v[0:1] op_sel:[1,0]
	ds_write2_b32 v61, v68, v69 offset0:50 offset1:51
	v_pk_mov_b32 v[68:69], v[0:1], v[12:13] op_sel:[1,0]
	v_mov_b32_e32 v65, 25
	ds_write2_b32 v61, v68, v69 offset0:52 offset1:53
	ds_write_b32 v61, v13 offset:216
.LBB108_435:
	s_or_b64 exec, exec, s[0:1]
	v_cmp_lt_i32_e32 vcc, 25, v65
	s_waitcnt lgkmcnt(0)
	s_barrier
	s_and_saveexec_b64 s[0:1], vcc
	s_cbranch_execz .LBB108_437
; %bb.436:
	ds_read_b32 v62, v61 offset:104
	ds_read2_b32 v[68:69], v61 offset0:27 offset1:28
	ds_read2_b32 v[70:71], v61 offset0:29 offset1:30
	v_mul_f32_e32 v40, v64, v40
	ds_read2_b32 v[72:73], v61 offset0:31 offset1:32
	s_waitcnt lgkmcnt(3)
	v_fma_f32 v41, -v40, v62, v41
	s_waitcnt lgkmcnt(2)
	v_pk_fma_f32 v[34:35], v[40:41], v[68:69], v[34:35] op_sel_hi:[0,1,1] neg_lo:[1,0,0] neg_hi:[1,0,0]
	s_waitcnt lgkmcnt(1)
	v_pk_fma_f32 v[28:29], v[40:41], v[70:71], v[28:29] op_sel_hi:[0,1,1] neg_lo:[1,0,0] neg_hi:[1,0,0]
	ds_read2_b32 v[68:69], v61 offset0:33 offset1:34
	ds_read2_b32 v[70:71], v61 offset0:35 offset1:36
	;; [unrolled: 1-line block ×3, first 2 shown]
	s_waitcnt lgkmcnt(3)
	v_pk_fma_f32 v[20:21], v[40:41], v[72:73], v[20:21] op_sel_hi:[0,1,1] neg_lo:[1,0,0] neg_hi:[1,0,0]
	ds_read2_b32 v[72:73], v61 offset0:39 offset1:40
	s_waitcnt lgkmcnt(3)
	v_pk_fma_f32 v[36:37], v[40:41], v[68:69], v[36:37] op_sel_hi:[0,1,1] neg_lo:[1,0,0] neg_hi:[1,0,0]
	s_waitcnt lgkmcnt(2)
	v_pk_fma_f32 v[30:31], v[40:41], v[70:71], v[30:31] op_sel_hi:[0,1,1] neg_lo:[1,0,0] neg_hi:[1,0,0]
	ds_read2_b32 v[68:69], v61 offset0:41 offset1:42
	ds_read2_b32 v[70:71], v61 offset0:43 offset1:44
	s_waitcnt lgkmcnt(3)
	v_pk_fma_f32 v[22:23], v[40:41], v[74:75], v[22:23] op_sel_hi:[0,1,1] neg_lo:[1,0,0] neg_hi:[1,0,0]
	s_waitcnt lgkmcnt(2)
	v_pk_fma_f32 v[14:15], v[40:41], v[72:73], v[14:15] op_sel_hi:[0,1,1] neg_lo:[1,0,0] neg_hi:[1,0,0]
	ds_read2_b32 v[72:73], v61 offset0:45 offset1:46
	;; [unrolled: 6-line block ×3, first 2 shown]
	ds_read2_b32 v[70:71], v61 offset0:51 offset1:52
	ds_read2_b32 v[76:77], v61 offset0:53 offset1:54
	s_waitcnt lgkmcnt(4)
	v_pk_fma_f32 v[16:17], v[40:41], v[72:73], v[16:17] op_sel_hi:[0,1,1] neg_lo:[1,0,0] neg_hi:[1,0,0]
	s_waitcnt lgkmcnt(3)
	v_pk_fma_f32 v[8:9], v[40:41], v[74:75], v[8:9] op_sel_hi:[0,1,1] neg_lo:[1,0,0] neg_hi:[1,0,0]
	;; [unrolled: 2-line block ×5, first 2 shown]
.LBB108_437:
	s_or_b64 exec, exec, s[0:1]
	v_lshl_add_u32 v62, v65, 2, v61
	s_barrier
	ds_write_b32 v62, v41
	s_waitcnt lgkmcnt(0)
	s_barrier
	ds_read_b32 v64, v61 offset:104
	s_cmp_lt_i32 s22, 28
	v_mov_b32_e32 v62, 26
	s_cbranch_scc1 .LBB108_440
; %bb.438:
	v_add_u32_e32 v67, 0x6c, v61
	v_mov_b32_e32 v62, 26
	s_mov_b32 s0, 27
.LBB108_439:                            ; =>This Inner Loop Header: Depth=1
	ds_read_b32 v68, v67
	v_mov_b32_e32 v69, s0
	s_add_i32 s0, s0, 1
	v_add_u32_e32 v67, 4, v67
	s_cmp_lg_u32 s22, s0
	s_waitcnt lgkmcnt(0)
	v_cmp_lt_f32_e64 vcc, |v64|, |v68|
	s_nop 1
	v_cndmask_b32_e32 v64, v64, v68, vcc
	v_cndmask_b32_e32 v62, v62, v69, vcc
	s_cbranch_scc1 .LBB108_439
.LBB108_440:
	s_waitcnt lgkmcnt(0)
	v_cmp_eq_f32_e32 vcc, 0, v64
	s_and_saveexec_b64 s[0:1], vcc
	s_xor_b64 s[0:1], exec, s[0:1]
; %bb.441:
	v_cmp_ne_u32_e32 vcc, 0, v66
	s_nop 1
	v_cndmask_b32_e32 v66, 27, v66, vcc
; %bb.442:
	s_andn2_saveexec_b64 s[0:1], s[0:1]
	s_cbranch_execz .LBB108_444
; %bb.443:
	v_div_scale_f32 v67, s[2:3], v64, v64, 1.0
	v_rcp_f32_e32 v68, v67
	v_div_scale_f32 v69, vcc, 1.0, v64, 1.0
	v_fma_f32 v70, -v67, v68, 1.0
	v_fmac_f32_e32 v68, v70, v68
	v_mul_f32_e32 v70, v69, v68
	v_fma_f32 v71, -v67, v70, v69
	v_fmac_f32_e32 v70, v71, v68
	v_fma_f32 v67, -v67, v70, v69
	v_div_fmas_f32 v67, v67, v68, v70
	v_div_fixup_f32 v64, v67, v64, 1.0
.LBB108_444:
	s_or_b64 exec, exec, s[0:1]
	v_cmp_ne_u32_e32 vcc, v65, v62
	s_and_saveexec_b64 s[0:1], vcc
	s_xor_b64 s[0:1], exec, s[0:1]
	s_cbranch_execz .LBB108_450
; %bb.445:
	v_cmp_eq_u32_e32 vcc, 26, v65
	s_and_saveexec_b64 s[2:3], vcc
	s_cbranch_execz .LBB108_449
; %bb.446:
	v_cmp_ne_u32_e32 vcc, 26, v62
	s_xor_b64 s[12:13], s[20:21], -1
	s_and_b64 s[14:15], s[12:13], vcc
	s_and_saveexec_b64 s[12:13], s[14:15]
	s_cbranch_execz .LBB108_448
; %bb.447:
	v_ashrrev_i32_e32 v63, 31, v62
	v_lshl_add_u64 v[68:69], v[62:63], 2, v[4:5]
	global_load_dword v63, v[68:69], off
	global_load_dword v65, v[4:5], off offset:104
	s_waitcnt vmcnt(1)
	global_store_dword v[4:5], v63, off offset:104
	s_waitcnt vmcnt(1)
	global_store_dword v[68:69], v65, off
.LBB108_448:
	s_or_b64 exec, exec, s[12:13]
	v_mov_b32_e32 v63, v62
	v_mov_b32_e32 v65, v62
.LBB108_449:
	s_or_b64 exec, exec, s[2:3]
.LBB108_450:
	s_andn2_saveexec_b64 s[0:1], s[0:1]
	s_cbranch_execz .LBB108_452
; %bb.451:
	v_mov_b32_e32 v65, 26
	ds_write2_b32 v61, v34, v35 offset0:27 offset1:28
	ds_write2_b32 v61, v28, v29 offset0:29 offset1:30
	;; [unrolled: 1-line block ×14, first 2 shown]
.LBB108_452:
	s_or_b64 exec, exec, s[0:1]
	v_cmp_lt_i32_e32 vcc, 26, v65
	s_waitcnt lgkmcnt(0)
	s_barrier
	s_and_saveexec_b64 s[0:1], vcc
	s_cbranch_execz .LBB108_454
; %bb.453:
	ds_read2_b32 v[68:69], v61 offset0:27 offset1:28
	ds_read2_b32 v[70:71], v61 offset0:29 offset1:30
	;; [unrolled: 1-line block ×4, first 2 shown]
	v_mul_f32_e32 v62, v64, v41
	s_waitcnt lgkmcnt(3)
	v_pk_fma_f32 v[34:35], v[62:63], v[68:69], v[34:35] op_sel_hi:[0,1,1] neg_lo:[1,0,0] neg_hi:[1,0,0]
	s_waitcnt lgkmcnt(2)
	v_pk_fma_f32 v[28:29], v[62:63], v[70:71], v[28:29] op_sel_hi:[0,1,1] neg_lo:[1,0,0] neg_hi:[1,0,0]
	;; [unrolled: 2-line block ×3, first 2 shown]
	ds_read2_b32 v[68:69], v61 offset0:35 offset1:36
	ds_read2_b32 v[70:71], v61 offset0:37 offset1:38
	;; [unrolled: 1-line block ×3, first 2 shown]
	s_waitcnt lgkmcnt(3)
	v_pk_fma_f32 v[36:37], v[62:63], v[74:75], v[36:37] op_sel_hi:[0,1,1] neg_lo:[1,0,0] neg_hi:[1,0,0]
	ds_read2_b32 v[74:75], v61 offset0:41 offset1:42
	s_waitcnt lgkmcnt(3)
	v_pk_fma_f32 v[30:31], v[62:63], v[68:69], v[30:31] op_sel_hi:[0,1,1] neg_lo:[1,0,0] neg_hi:[1,0,0]
	ds_read2_b32 v[68:69], v61 offset0:43 offset1:44
	s_waitcnt lgkmcnt(3)
	v_pk_fma_f32 v[22:23], v[62:63], v[70:71], v[22:23] op_sel_hi:[0,1,1] neg_lo:[1,0,0] neg_hi:[1,0,0]
	s_waitcnt lgkmcnt(2)
	v_pk_fma_f32 v[14:15], v[62:63], v[72:73], v[14:15] op_sel_hi:[0,1,1] neg_lo:[1,0,0] neg_hi:[1,0,0]
	;; [unrolled: 2-line block ×3, first 2 shown]
	ds_read2_b32 v[70:71], v61 offset0:45 offset1:46
	ds_read2_b32 v[72:73], v61 offset0:47 offset1:48
	ds_read2_b32 v[74:75], v61 offset0:49 offset1:50
	s_waitcnt lgkmcnt(3)
	v_pk_fma_f32 v[24:25], v[62:63], v[68:69], v[24:25] op_sel_hi:[0,1,1] neg_lo:[1,0,0] neg_hi:[1,0,0]
	ds_read2_b32 v[68:69], v61 offset0:51 offset1:52
	ds_read2_b32 v[76:77], v61 offset0:53 offset1:54
	s_waitcnt lgkmcnt(4)
	v_pk_fma_f32 v[16:17], v[62:63], v[70:71], v[16:17] op_sel_hi:[0,1,1] neg_lo:[1,0,0] neg_hi:[1,0,0]
	s_waitcnt lgkmcnt(3)
	v_pk_fma_f32 v[8:9], v[62:63], v[72:73], v[8:9] op_sel_hi:[0,1,1] neg_lo:[1,0,0] neg_hi:[1,0,0]
	;; [unrolled: 2-line block ×5, first 2 shown]
	v_mov_b32_e32 v41, v62
.LBB108_454:
	s_or_b64 exec, exec, s[0:1]
	v_lshl_add_u32 v62, v65, 2, v61
	s_barrier
	ds_write_b32 v62, v34
	s_waitcnt lgkmcnt(0)
	s_barrier
	ds_read_b32 v64, v61 offset:108
	s_cmp_lt_i32 s22, 29
	v_mov_b32_e32 v62, 27
	s_cbranch_scc1 .LBB108_457
; %bb.455:
	v_add_u32_e32 v67, 0x70, v61
	v_mov_b32_e32 v62, 27
	s_mov_b32 s0, 28
.LBB108_456:                            ; =>This Inner Loop Header: Depth=1
	ds_read_b32 v68, v67
	v_mov_b32_e32 v69, s0
	s_add_i32 s0, s0, 1
	v_add_u32_e32 v67, 4, v67
	s_cmp_lg_u32 s22, s0
	s_waitcnt lgkmcnt(0)
	v_cmp_lt_f32_e64 vcc, |v64|, |v68|
	s_nop 1
	v_cndmask_b32_e32 v64, v64, v68, vcc
	v_cndmask_b32_e32 v62, v62, v69, vcc
	s_cbranch_scc1 .LBB108_456
.LBB108_457:
	s_waitcnt lgkmcnt(0)
	v_cmp_eq_f32_e32 vcc, 0, v64
	s_and_saveexec_b64 s[0:1], vcc
	s_xor_b64 s[0:1], exec, s[0:1]
; %bb.458:
	v_cmp_ne_u32_e32 vcc, 0, v66
	s_nop 1
	v_cndmask_b32_e32 v66, 28, v66, vcc
; %bb.459:
	s_andn2_saveexec_b64 s[0:1], s[0:1]
	s_cbranch_execz .LBB108_461
; %bb.460:
	v_div_scale_f32 v67, s[2:3], v64, v64, 1.0
	v_rcp_f32_e32 v68, v67
	v_div_scale_f32 v69, vcc, 1.0, v64, 1.0
	v_fma_f32 v70, -v67, v68, 1.0
	v_fmac_f32_e32 v68, v70, v68
	v_mul_f32_e32 v70, v69, v68
	v_fma_f32 v71, -v67, v70, v69
	v_fmac_f32_e32 v70, v71, v68
	v_fma_f32 v67, -v67, v70, v69
	v_div_fmas_f32 v67, v67, v68, v70
	v_div_fixup_f32 v64, v67, v64, 1.0
.LBB108_461:
	s_or_b64 exec, exec, s[0:1]
	v_cmp_ne_u32_e32 vcc, v65, v62
	s_and_saveexec_b64 s[0:1], vcc
	s_xor_b64 s[0:1], exec, s[0:1]
	s_cbranch_execz .LBB108_467
; %bb.462:
	v_cmp_eq_u32_e32 vcc, 27, v65
	s_and_saveexec_b64 s[2:3], vcc
	s_cbranch_execz .LBB108_466
; %bb.463:
	v_cmp_ne_u32_e32 vcc, 27, v62
	s_xor_b64 s[12:13], s[20:21], -1
	s_and_b64 s[14:15], s[12:13], vcc
	s_and_saveexec_b64 s[12:13], s[14:15]
	s_cbranch_execz .LBB108_465
; %bb.464:
	v_ashrrev_i32_e32 v63, 31, v62
	v_lshl_add_u64 v[68:69], v[62:63], 2, v[4:5]
	global_load_dword v63, v[68:69], off
	global_load_dword v65, v[4:5], off offset:108
	s_waitcnt vmcnt(1)
	global_store_dword v[4:5], v63, off offset:108
	s_waitcnt vmcnt(1)
	global_store_dword v[68:69], v65, off
.LBB108_465:
	s_or_b64 exec, exec, s[12:13]
	v_mov_b32_e32 v63, v62
	v_mov_b32_e32 v65, v62
.LBB108_466:
	s_or_b64 exec, exec, s[2:3]
.LBB108_467:
	s_andn2_saveexec_b64 s[0:1], s[0:1]
	s_cbranch_execz .LBB108_469
; %bb.468:
	v_pk_mov_b32 v[68:69], v[34:35], v[28:29] op_sel:[1,0]
	ds_write2_b32 v61, v68, v69 offset0:28 offset1:29
	v_pk_mov_b32 v[68:69], v[28:29], v[20:21] op_sel:[1,0]
	ds_write2_b32 v61, v68, v69 offset0:30 offset1:31
	;; [unrolled: 2-line block ×12, first 2 shown]
	v_pk_mov_b32 v[68:69], v[0:1], v[12:13] op_sel:[1,0]
	v_mov_b32_e32 v65, 27
	ds_write2_b32 v61, v68, v69 offset0:52 offset1:53
	ds_write_b32 v61, v13 offset:216
.LBB108_469:
	s_or_b64 exec, exec, s[0:1]
	v_cmp_lt_i32_e32 vcc, 27, v65
	s_waitcnt lgkmcnt(0)
	s_barrier
	s_and_saveexec_b64 s[0:1], vcc
	s_cbranch_execz .LBB108_471
; %bb.470:
	ds_read_b32 v62, v61 offset:112
	ds_read2_b32 v[68:69], v61 offset0:29 offset1:30
	ds_read2_b32 v[70:71], v61 offset0:31 offset1:32
	v_mul_f32_e32 v34, v64, v34
	ds_read2_b32 v[72:73], v61 offset0:33 offset1:34
	s_waitcnt lgkmcnt(3)
	v_fma_f32 v35, -v34, v62, v35
	s_waitcnt lgkmcnt(2)
	v_pk_fma_f32 v[28:29], v[34:35], v[68:69], v[28:29] op_sel_hi:[0,1,1] neg_lo:[1,0,0] neg_hi:[1,0,0]
	s_waitcnt lgkmcnt(1)
	v_pk_fma_f32 v[20:21], v[34:35], v[70:71], v[20:21] op_sel_hi:[0,1,1] neg_lo:[1,0,0] neg_hi:[1,0,0]
	ds_read2_b32 v[68:69], v61 offset0:35 offset1:36
	ds_read2_b32 v[70:71], v61 offset0:37 offset1:38
	ds_read2_b32 v[74:75], v61 offset0:39 offset1:40
	s_waitcnt lgkmcnt(3)
	v_pk_fma_f32 v[36:37], v[34:35], v[72:73], v[36:37] op_sel_hi:[0,1,1] neg_lo:[1,0,0] neg_hi:[1,0,0]
	ds_read2_b32 v[72:73], v61 offset0:41 offset1:42
	s_waitcnt lgkmcnt(3)
	v_pk_fma_f32 v[30:31], v[34:35], v[68:69], v[30:31] op_sel_hi:[0,1,1] neg_lo:[1,0,0] neg_hi:[1,0,0]
	ds_read2_b32 v[68:69], v61 offset0:43 offset1:44
	s_waitcnt lgkmcnt(3)
	v_pk_fma_f32 v[22:23], v[34:35], v[70:71], v[22:23] op_sel_hi:[0,1,1] neg_lo:[1,0,0] neg_hi:[1,0,0]
	s_waitcnt lgkmcnt(2)
	v_pk_fma_f32 v[14:15], v[34:35], v[74:75], v[14:15] op_sel_hi:[0,1,1] neg_lo:[1,0,0] neg_hi:[1,0,0]
	;; [unrolled: 2-line block ×3, first 2 shown]
	ds_read2_b32 v[70:71], v61 offset0:45 offset1:46
	ds_read2_b32 v[72:73], v61 offset0:47 offset1:48
	;; [unrolled: 1-line block ×3, first 2 shown]
	s_waitcnt lgkmcnt(3)
	v_pk_fma_f32 v[24:25], v[34:35], v[68:69], v[24:25] op_sel_hi:[0,1,1] neg_lo:[1,0,0] neg_hi:[1,0,0]
	ds_read2_b32 v[68:69], v61 offset0:51 offset1:52
	ds_read2_b32 v[76:77], v61 offset0:53 offset1:54
	s_waitcnt lgkmcnt(4)
	v_pk_fma_f32 v[16:17], v[34:35], v[70:71], v[16:17] op_sel_hi:[0,1,1] neg_lo:[1,0,0] neg_hi:[1,0,0]
	s_waitcnt lgkmcnt(3)
	v_pk_fma_f32 v[8:9], v[34:35], v[72:73], v[8:9] op_sel_hi:[0,1,1] neg_lo:[1,0,0] neg_hi:[1,0,0]
	;; [unrolled: 2-line block ×5, first 2 shown]
.LBB108_471:
	s_or_b64 exec, exec, s[0:1]
	v_lshl_add_u32 v62, v65, 2, v61
	s_barrier
	ds_write_b32 v62, v35
	s_waitcnt lgkmcnt(0)
	s_barrier
	ds_read_b32 v64, v61 offset:112
	s_cmp_lt_i32 s22, 30
	v_mov_b32_e32 v62, 28
	s_cbranch_scc1 .LBB108_474
; %bb.472:
	v_add_u32_e32 v67, 0x74, v61
	v_mov_b32_e32 v62, 28
	s_mov_b32 s0, 29
.LBB108_473:                            ; =>This Inner Loop Header: Depth=1
	ds_read_b32 v68, v67
	v_mov_b32_e32 v69, s0
	s_add_i32 s0, s0, 1
	v_add_u32_e32 v67, 4, v67
	s_cmp_lg_u32 s22, s0
	s_waitcnt lgkmcnt(0)
	v_cmp_lt_f32_e64 vcc, |v64|, |v68|
	s_nop 1
	v_cndmask_b32_e32 v64, v64, v68, vcc
	v_cndmask_b32_e32 v62, v62, v69, vcc
	s_cbranch_scc1 .LBB108_473
.LBB108_474:
	s_waitcnt lgkmcnt(0)
	v_cmp_eq_f32_e32 vcc, 0, v64
	s_and_saveexec_b64 s[0:1], vcc
	s_xor_b64 s[0:1], exec, s[0:1]
; %bb.475:
	v_cmp_ne_u32_e32 vcc, 0, v66
	s_nop 1
	v_cndmask_b32_e32 v66, 29, v66, vcc
; %bb.476:
	s_andn2_saveexec_b64 s[0:1], s[0:1]
	s_cbranch_execz .LBB108_478
; %bb.477:
	v_div_scale_f32 v67, s[2:3], v64, v64, 1.0
	v_rcp_f32_e32 v68, v67
	v_div_scale_f32 v69, vcc, 1.0, v64, 1.0
	v_fma_f32 v70, -v67, v68, 1.0
	v_fmac_f32_e32 v68, v70, v68
	v_mul_f32_e32 v70, v69, v68
	v_fma_f32 v71, -v67, v70, v69
	v_fmac_f32_e32 v70, v71, v68
	v_fma_f32 v67, -v67, v70, v69
	v_div_fmas_f32 v67, v67, v68, v70
	v_div_fixup_f32 v64, v67, v64, 1.0
.LBB108_478:
	s_or_b64 exec, exec, s[0:1]
	v_cmp_ne_u32_e32 vcc, v65, v62
	s_and_saveexec_b64 s[0:1], vcc
	s_xor_b64 s[0:1], exec, s[0:1]
	s_cbranch_execz .LBB108_484
; %bb.479:
	v_cmp_eq_u32_e32 vcc, 28, v65
	s_and_saveexec_b64 s[2:3], vcc
	s_cbranch_execz .LBB108_483
; %bb.480:
	v_cmp_ne_u32_e32 vcc, 28, v62
	s_xor_b64 s[12:13], s[20:21], -1
	s_and_b64 s[14:15], s[12:13], vcc
	s_and_saveexec_b64 s[12:13], s[14:15]
	s_cbranch_execz .LBB108_482
; %bb.481:
	v_ashrrev_i32_e32 v63, 31, v62
	v_lshl_add_u64 v[68:69], v[62:63], 2, v[4:5]
	global_load_dword v63, v[68:69], off
	global_load_dword v65, v[4:5], off offset:112
	s_waitcnt vmcnt(1)
	global_store_dword v[4:5], v63, off offset:112
	s_waitcnt vmcnt(1)
	global_store_dword v[68:69], v65, off
.LBB108_482:
	s_or_b64 exec, exec, s[12:13]
	v_mov_b32_e32 v63, v62
	v_mov_b32_e32 v65, v62
.LBB108_483:
	s_or_b64 exec, exec, s[2:3]
.LBB108_484:
	s_andn2_saveexec_b64 s[0:1], s[0:1]
	s_cbranch_execz .LBB108_486
; %bb.485:
	v_mov_b32_e32 v65, 28
	ds_write2_b32 v61, v28, v29 offset0:29 offset1:30
	ds_write2_b32 v61, v20, v21 offset0:31 offset1:32
	;; [unrolled: 1-line block ×13, first 2 shown]
.LBB108_486:
	s_or_b64 exec, exec, s[0:1]
	v_cmp_lt_i32_e32 vcc, 28, v65
	s_waitcnt lgkmcnt(0)
	s_barrier
	s_and_saveexec_b64 s[0:1], vcc
	s_cbranch_execz .LBB108_488
; %bb.487:
	ds_read2_b32 v[68:69], v61 offset0:29 offset1:30
	ds_read2_b32 v[70:71], v61 offset0:31 offset1:32
	;; [unrolled: 1-line block ×3, first 2 shown]
	v_mul_f32_e32 v62, v64, v35
	ds_read2_b32 v[74:75], v61 offset0:35 offset1:36
	s_waitcnt lgkmcnt(3)
	v_pk_fma_f32 v[28:29], v[62:63], v[68:69], v[28:29] op_sel_hi:[0,1,1] neg_lo:[1,0,0] neg_hi:[1,0,0]
	s_waitcnt lgkmcnt(2)
	v_pk_fma_f32 v[20:21], v[62:63], v[70:71], v[20:21] op_sel_hi:[0,1,1] neg_lo:[1,0,0] neg_hi:[1,0,0]
	;; [unrolled: 2-line block ×3, first 2 shown]
	ds_read2_b32 v[68:69], v61 offset0:37 offset1:38
	ds_read2_b32 v[70:71], v61 offset0:39 offset1:40
	;; [unrolled: 1-line block ×4, first 2 shown]
	s_waitcnt lgkmcnt(4)
	v_pk_fma_f32 v[30:31], v[62:63], v[74:75], v[30:31] op_sel_hi:[0,1,1] neg_lo:[1,0,0] neg_hi:[1,0,0]
	s_waitcnt lgkmcnt(3)
	v_pk_fma_f32 v[22:23], v[62:63], v[68:69], v[22:23] op_sel_hi:[0,1,1] neg_lo:[1,0,0] neg_hi:[1,0,0]
	;; [unrolled: 2-line block ×5, first 2 shown]
	ds_read2_b32 v[68:69], v61 offset0:45 offset1:46
	ds_read2_b32 v[70:71], v61 offset0:47 offset1:48
	;; [unrolled: 1-line block ×5, first 2 shown]
	s_waitcnt lgkmcnt(4)
	v_pk_fma_f32 v[16:17], v[62:63], v[68:69], v[16:17] op_sel_hi:[0,1,1] neg_lo:[1,0,0] neg_hi:[1,0,0]
	s_waitcnt lgkmcnt(3)
	v_pk_fma_f32 v[8:9], v[62:63], v[70:71], v[8:9] op_sel_hi:[0,1,1] neg_lo:[1,0,0] neg_hi:[1,0,0]
	;; [unrolled: 2-line block ×5, first 2 shown]
	v_mov_b32_e32 v35, v62
.LBB108_488:
	s_or_b64 exec, exec, s[0:1]
	v_lshl_add_u32 v62, v65, 2, v61
	s_barrier
	ds_write_b32 v62, v28
	s_waitcnt lgkmcnt(0)
	s_barrier
	ds_read_b32 v64, v61 offset:116
	s_cmp_lt_i32 s22, 31
	v_mov_b32_e32 v62, 29
	s_cbranch_scc1 .LBB108_491
; %bb.489:
	v_add_u32_e32 v67, 0x78, v61
	v_mov_b32_e32 v62, 29
	s_mov_b32 s0, 30
.LBB108_490:                            ; =>This Inner Loop Header: Depth=1
	ds_read_b32 v68, v67
	v_mov_b32_e32 v69, s0
	s_add_i32 s0, s0, 1
	v_add_u32_e32 v67, 4, v67
	s_cmp_lg_u32 s22, s0
	s_waitcnt lgkmcnt(0)
	v_cmp_lt_f32_e64 vcc, |v64|, |v68|
	s_nop 1
	v_cndmask_b32_e32 v64, v64, v68, vcc
	v_cndmask_b32_e32 v62, v62, v69, vcc
	s_cbranch_scc1 .LBB108_490
.LBB108_491:
	s_waitcnt lgkmcnt(0)
	v_cmp_eq_f32_e32 vcc, 0, v64
	s_and_saveexec_b64 s[0:1], vcc
	s_xor_b64 s[0:1], exec, s[0:1]
; %bb.492:
	v_cmp_ne_u32_e32 vcc, 0, v66
	s_nop 1
	v_cndmask_b32_e32 v66, 30, v66, vcc
; %bb.493:
	s_andn2_saveexec_b64 s[0:1], s[0:1]
	s_cbranch_execz .LBB108_495
; %bb.494:
	v_div_scale_f32 v67, s[2:3], v64, v64, 1.0
	v_rcp_f32_e32 v68, v67
	v_div_scale_f32 v69, vcc, 1.0, v64, 1.0
	v_fma_f32 v70, -v67, v68, 1.0
	v_fmac_f32_e32 v68, v70, v68
	v_mul_f32_e32 v70, v69, v68
	v_fma_f32 v71, -v67, v70, v69
	v_fmac_f32_e32 v70, v71, v68
	v_fma_f32 v67, -v67, v70, v69
	v_div_fmas_f32 v67, v67, v68, v70
	v_div_fixup_f32 v64, v67, v64, 1.0
.LBB108_495:
	s_or_b64 exec, exec, s[0:1]
	v_cmp_ne_u32_e32 vcc, v65, v62
	s_and_saveexec_b64 s[0:1], vcc
	s_xor_b64 s[0:1], exec, s[0:1]
	s_cbranch_execz .LBB108_501
; %bb.496:
	v_cmp_eq_u32_e32 vcc, 29, v65
	s_and_saveexec_b64 s[2:3], vcc
	s_cbranch_execz .LBB108_500
; %bb.497:
	v_cmp_ne_u32_e32 vcc, 29, v62
	s_xor_b64 s[12:13], s[20:21], -1
	s_and_b64 s[14:15], s[12:13], vcc
	s_and_saveexec_b64 s[12:13], s[14:15]
	s_cbranch_execz .LBB108_499
; %bb.498:
	v_ashrrev_i32_e32 v63, 31, v62
	v_lshl_add_u64 v[68:69], v[62:63], 2, v[4:5]
	global_load_dword v63, v[68:69], off
	global_load_dword v65, v[4:5], off offset:116
	s_waitcnt vmcnt(1)
	global_store_dword v[4:5], v63, off offset:116
	s_waitcnt vmcnt(1)
	global_store_dword v[68:69], v65, off
.LBB108_499:
	s_or_b64 exec, exec, s[12:13]
	v_mov_b32_e32 v63, v62
	v_mov_b32_e32 v65, v62
.LBB108_500:
	s_or_b64 exec, exec, s[2:3]
.LBB108_501:
	s_andn2_saveexec_b64 s[0:1], s[0:1]
	s_cbranch_execz .LBB108_503
; %bb.502:
	v_pk_mov_b32 v[68:69], v[28:29], v[20:21] op_sel:[1,0]
	ds_write2_b32 v61, v68, v69 offset0:30 offset1:31
	v_pk_mov_b32 v[68:69], v[20:21], v[36:37] op_sel:[1,0]
	ds_write2_b32 v61, v68, v69 offset0:32 offset1:33
	;; [unrolled: 2-line block ×11, first 2 shown]
	v_pk_mov_b32 v[68:69], v[0:1], v[12:13] op_sel:[1,0]
	v_mov_b32_e32 v65, 29
	ds_write2_b32 v61, v68, v69 offset0:52 offset1:53
	ds_write_b32 v61, v13 offset:216
.LBB108_503:
	s_or_b64 exec, exec, s[0:1]
	v_cmp_lt_i32_e32 vcc, 29, v65
	s_waitcnt lgkmcnt(0)
	s_barrier
	s_and_saveexec_b64 s[0:1], vcc
	s_cbranch_execz .LBB108_505
; %bb.504:
	ds_read_b32 v62, v61 offset:120
	ds_read2_b32 v[68:69], v61 offset0:31 offset1:32
	ds_read2_b32 v[70:71], v61 offset0:33 offset1:34
	v_mul_f32_e32 v28, v64, v28
	ds_read2_b32 v[72:73], v61 offset0:35 offset1:36
	s_waitcnt lgkmcnt(3)
	v_fma_f32 v29, -v28, v62, v29
	s_waitcnt lgkmcnt(2)
	v_pk_fma_f32 v[20:21], v[28:29], v[68:69], v[20:21] op_sel_hi:[0,1,1] neg_lo:[1,0,0] neg_hi:[1,0,0]
	s_waitcnt lgkmcnt(1)
	v_pk_fma_f32 v[36:37], v[28:29], v[70:71], v[36:37] op_sel_hi:[0,1,1] neg_lo:[1,0,0] neg_hi:[1,0,0]
	ds_read2_b32 v[68:69], v61 offset0:37 offset1:38
	ds_read2_b32 v[70:71], v61 offset0:39 offset1:40
	;; [unrolled: 1-line block ×4, first 2 shown]
	s_waitcnt lgkmcnt(4)
	v_pk_fma_f32 v[30:31], v[28:29], v[72:73], v[30:31] op_sel_hi:[0,1,1] neg_lo:[1,0,0] neg_hi:[1,0,0]
	s_waitcnt lgkmcnt(3)
	v_pk_fma_f32 v[22:23], v[28:29], v[68:69], v[22:23] op_sel_hi:[0,1,1] neg_lo:[1,0,0] neg_hi:[1,0,0]
	;; [unrolled: 2-line block ×5, first 2 shown]
	ds_read2_b32 v[68:69], v61 offset0:45 offset1:46
	ds_read2_b32 v[70:71], v61 offset0:47 offset1:48
	;; [unrolled: 1-line block ×5, first 2 shown]
	s_waitcnt lgkmcnt(4)
	v_pk_fma_f32 v[16:17], v[28:29], v[68:69], v[16:17] op_sel_hi:[0,1,1] neg_lo:[1,0,0] neg_hi:[1,0,0]
	s_waitcnt lgkmcnt(3)
	v_pk_fma_f32 v[8:9], v[28:29], v[70:71], v[8:9] op_sel_hi:[0,1,1] neg_lo:[1,0,0] neg_hi:[1,0,0]
	;; [unrolled: 2-line block ×5, first 2 shown]
.LBB108_505:
	s_or_b64 exec, exec, s[0:1]
	v_lshl_add_u32 v62, v65, 2, v61
	s_barrier
	ds_write_b32 v62, v29
	s_waitcnt lgkmcnt(0)
	s_barrier
	ds_read_b32 v64, v61 offset:120
	s_cmp_lt_i32 s22, 32
	v_mov_b32_e32 v62, 30
	s_cbranch_scc1 .LBB108_508
; %bb.506:
	v_add_u32_e32 v67, 0x7c, v61
	v_mov_b32_e32 v62, 30
	s_mov_b32 s0, 31
.LBB108_507:                            ; =>This Inner Loop Header: Depth=1
	ds_read_b32 v68, v67
	v_mov_b32_e32 v69, s0
	s_add_i32 s0, s0, 1
	v_add_u32_e32 v67, 4, v67
	s_cmp_lg_u32 s22, s0
	s_waitcnt lgkmcnt(0)
	v_cmp_lt_f32_e64 vcc, |v64|, |v68|
	s_nop 1
	v_cndmask_b32_e32 v64, v64, v68, vcc
	v_cndmask_b32_e32 v62, v62, v69, vcc
	s_cbranch_scc1 .LBB108_507
.LBB108_508:
	s_waitcnt lgkmcnt(0)
	v_cmp_eq_f32_e32 vcc, 0, v64
	s_and_saveexec_b64 s[0:1], vcc
	s_xor_b64 s[0:1], exec, s[0:1]
; %bb.509:
	v_cmp_ne_u32_e32 vcc, 0, v66
	s_nop 1
	v_cndmask_b32_e32 v66, 31, v66, vcc
; %bb.510:
	s_andn2_saveexec_b64 s[0:1], s[0:1]
	s_cbranch_execz .LBB108_512
; %bb.511:
	v_div_scale_f32 v67, s[2:3], v64, v64, 1.0
	v_rcp_f32_e32 v68, v67
	v_div_scale_f32 v69, vcc, 1.0, v64, 1.0
	v_fma_f32 v70, -v67, v68, 1.0
	v_fmac_f32_e32 v68, v70, v68
	v_mul_f32_e32 v70, v69, v68
	v_fma_f32 v71, -v67, v70, v69
	v_fmac_f32_e32 v70, v71, v68
	v_fma_f32 v67, -v67, v70, v69
	v_div_fmas_f32 v67, v67, v68, v70
	v_div_fixup_f32 v64, v67, v64, 1.0
.LBB108_512:
	s_or_b64 exec, exec, s[0:1]
	v_cmp_ne_u32_e32 vcc, v65, v62
	s_and_saveexec_b64 s[0:1], vcc
	s_xor_b64 s[0:1], exec, s[0:1]
	s_cbranch_execz .LBB108_518
; %bb.513:
	v_cmp_eq_u32_e32 vcc, 30, v65
	s_and_saveexec_b64 s[2:3], vcc
	s_cbranch_execz .LBB108_517
; %bb.514:
	v_cmp_ne_u32_e32 vcc, 30, v62
	s_xor_b64 s[12:13], s[20:21], -1
	s_and_b64 s[14:15], s[12:13], vcc
	s_and_saveexec_b64 s[12:13], s[14:15]
	s_cbranch_execz .LBB108_516
; %bb.515:
	v_ashrrev_i32_e32 v63, 31, v62
	v_lshl_add_u64 v[68:69], v[62:63], 2, v[4:5]
	global_load_dword v63, v[68:69], off
	global_load_dword v65, v[4:5], off offset:120
	s_waitcnt vmcnt(1)
	global_store_dword v[4:5], v63, off offset:120
	s_waitcnt vmcnt(1)
	global_store_dword v[68:69], v65, off
.LBB108_516:
	s_or_b64 exec, exec, s[12:13]
	v_mov_b32_e32 v63, v62
	v_mov_b32_e32 v65, v62
.LBB108_517:
	s_or_b64 exec, exec, s[2:3]
.LBB108_518:
	s_andn2_saveexec_b64 s[0:1], s[0:1]
	s_cbranch_execz .LBB108_520
; %bb.519:
	v_mov_b32_e32 v65, 30
	ds_write2_b32 v61, v20, v21 offset0:31 offset1:32
	ds_write2_b32 v61, v36, v37 offset0:33 offset1:34
	;; [unrolled: 1-line block ×12, first 2 shown]
.LBB108_520:
	s_or_b64 exec, exec, s[0:1]
	v_cmp_lt_i32_e32 vcc, 30, v65
	s_waitcnt lgkmcnt(0)
	s_barrier
	s_and_saveexec_b64 s[0:1], vcc
	s_cbranch_execz .LBB108_522
; %bb.521:
	ds_read2_b32 v[68:69], v61 offset0:31 offset1:32
	ds_read2_b32 v[70:71], v61 offset0:33 offset1:34
	;; [unrolled: 1-line block ×3, first 2 shown]
	v_mul_f32_e32 v62, v64, v29
	ds_read2_b32 v[74:75], v61 offset0:37 offset1:38
	s_waitcnt lgkmcnt(3)
	v_pk_fma_f32 v[20:21], v[62:63], v[68:69], v[20:21] op_sel_hi:[0,1,1] neg_lo:[1,0,0] neg_hi:[1,0,0]
	s_waitcnt lgkmcnt(2)
	v_pk_fma_f32 v[36:37], v[62:63], v[70:71], v[36:37] op_sel_hi:[0,1,1] neg_lo:[1,0,0] neg_hi:[1,0,0]
	;; [unrolled: 2-line block ×3, first 2 shown]
	ds_read2_b32 v[68:69], v61 offset0:39 offset1:40
	ds_read2_b32 v[70:71], v61 offset0:41 offset1:42
	;; [unrolled: 1-line block ×3, first 2 shown]
	s_waitcnt lgkmcnt(3)
	v_pk_fma_f32 v[22:23], v[62:63], v[74:75], v[22:23] op_sel_hi:[0,1,1] neg_lo:[1,0,0] neg_hi:[1,0,0]
	ds_read2_b32 v[74:75], v61 offset0:45 offset1:46
	s_waitcnt lgkmcnt(3)
	v_pk_fma_f32 v[14:15], v[62:63], v[68:69], v[14:15] op_sel_hi:[0,1,1] neg_lo:[1,0,0] neg_hi:[1,0,0]
	s_waitcnt lgkmcnt(2)
	v_pk_fma_f32 v[18:19], v[62:63], v[70:71], v[18:19] op_sel_hi:[0,1,1] neg_lo:[1,0,0] neg_hi:[1,0,0]
	;; [unrolled: 2-line block ×3, first 2 shown]
	ds_read2_b32 v[68:69], v61 offset0:47 offset1:48
	ds_read2_b32 v[70:71], v61 offset0:49 offset1:50
	;; [unrolled: 1-line block ×4, first 2 shown]
	s_waitcnt lgkmcnt(4)
	v_pk_fma_f32 v[16:17], v[62:63], v[74:75], v[16:17] op_sel_hi:[0,1,1] neg_lo:[1,0,0] neg_hi:[1,0,0]
	s_waitcnt lgkmcnt(3)
	v_pk_fma_f32 v[8:9], v[62:63], v[68:69], v[8:9] op_sel_hi:[0,1,1] neg_lo:[1,0,0] neg_hi:[1,0,0]
	;; [unrolled: 2-line block ×5, first 2 shown]
	v_mov_b32_e32 v29, v62
.LBB108_522:
	s_or_b64 exec, exec, s[0:1]
	v_lshl_add_u32 v62, v65, 2, v61
	s_barrier
	ds_write_b32 v62, v20
	s_waitcnt lgkmcnt(0)
	s_barrier
	ds_read_b32 v64, v61 offset:124
	s_cmp_lt_i32 s22, 33
	v_mov_b32_e32 v62, 31
	s_cbranch_scc1 .LBB108_525
; %bb.523:
	v_add_u32_e32 v67, 0x80, v61
	v_mov_b32_e32 v62, 31
	s_mov_b32 s0, 32
.LBB108_524:                            ; =>This Inner Loop Header: Depth=1
	ds_read_b32 v68, v67
	v_mov_b32_e32 v69, s0
	s_add_i32 s0, s0, 1
	v_add_u32_e32 v67, 4, v67
	s_cmp_lg_u32 s22, s0
	s_waitcnt lgkmcnt(0)
	v_cmp_lt_f32_e64 vcc, |v64|, |v68|
	s_nop 1
	v_cndmask_b32_e32 v64, v64, v68, vcc
	v_cndmask_b32_e32 v62, v62, v69, vcc
	s_cbranch_scc1 .LBB108_524
.LBB108_525:
	s_waitcnt lgkmcnt(0)
	v_cmp_eq_f32_e32 vcc, 0, v64
	s_and_saveexec_b64 s[0:1], vcc
	s_xor_b64 s[0:1], exec, s[0:1]
; %bb.526:
	v_cmp_ne_u32_e32 vcc, 0, v66
	s_nop 1
	v_cndmask_b32_e32 v66, 32, v66, vcc
; %bb.527:
	s_andn2_saveexec_b64 s[0:1], s[0:1]
	s_cbranch_execz .LBB108_529
; %bb.528:
	v_div_scale_f32 v67, s[2:3], v64, v64, 1.0
	v_rcp_f32_e32 v68, v67
	v_div_scale_f32 v69, vcc, 1.0, v64, 1.0
	v_fma_f32 v70, -v67, v68, 1.0
	v_fmac_f32_e32 v68, v70, v68
	v_mul_f32_e32 v70, v69, v68
	v_fma_f32 v71, -v67, v70, v69
	v_fmac_f32_e32 v70, v71, v68
	v_fma_f32 v67, -v67, v70, v69
	v_div_fmas_f32 v67, v67, v68, v70
	v_div_fixup_f32 v64, v67, v64, 1.0
.LBB108_529:
	s_or_b64 exec, exec, s[0:1]
	v_cmp_ne_u32_e32 vcc, v65, v62
	s_and_saveexec_b64 s[0:1], vcc
	s_xor_b64 s[0:1], exec, s[0:1]
	s_cbranch_execz .LBB108_535
; %bb.530:
	v_cmp_eq_u32_e32 vcc, 31, v65
	s_and_saveexec_b64 s[2:3], vcc
	s_cbranch_execz .LBB108_534
; %bb.531:
	v_cmp_ne_u32_e32 vcc, 31, v62
	s_xor_b64 s[12:13], s[20:21], -1
	s_and_b64 s[14:15], s[12:13], vcc
	s_and_saveexec_b64 s[12:13], s[14:15]
	s_cbranch_execz .LBB108_533
; %bb.532:
	v_ashrrev_i32_e32 v63, 31, v62
	v_lshl_add_u64 v[68:69], v[62:63], 2, v[4:5]
	global_load_dword v63, v[68:69], off
	global_load_dword v65, v[4:5], off offset:124
	s_waitcnt vmcnt(1)
	global_store_dword v[4:5], v63, off offset:124
	s_waitcnt vmcnt(1)
	global_store_dword v[68:69], v65, off
.LBB108_533:
	s_or_b64 exec, exec, s[12:13]
	v_mov_b32_e32 v63, v62
	v_mov_b32_e32 v65, v62
.LBB108_534:
	s_or_b64 exec, exec, s[2:3]
.LBB108_535:
	s_andn2_saveexec_b64 s[0:1], s[0:1]
	s_cbranch_execz .LBB108_537
; %bb.536:
	v_pk_mov_b32 v[68:69], v[20:21], v[36:37] op_sel:[1,0]
	ds_write2_b32 v61, v68, v69 offset0:32 offset1:33
	v_pk_mov_b32 v[68:69], v[36:37], v[30:31] op_sel:[1,0]
	ds_write2_b32 v61, v68, v69 offset0:34 offset1:35
	;; [unrolled: 2-line block ×10, first 2 shown]
	v_pk_mov_b32 v[68:69], v[0:1], v[12:13] op_sel:[1,0]
	v_mov_b32_e32 v65, 31
	ds_write2_b32 v61, v68, v69 offset0:52 offset1:53
	ds_write_b32 v61, v13 offset:216
.LBB108_537:
	s_or_b64 exec, exec, s[0:1]
	v_cmp_lt_i32_e32 vcc, 31, v65
	s_waitcnt lgkmcnt(0)
	s_barrier
	s_and_saveexec_b64 s[0:1], vcc
	s_cbranch_execz .LBB108_539
; %bb.538:
	ds_read_b32 v62, v61 offset:128
	ds_read2_b32 v[68:69], v61 offset0:33 offset1:34
	ds_read2_b32 v[70:71], v61 offset0:35 offset1:36
	v_mul_f32_e32 v20, v64, v20
	ds_read2_b32 v[72:73], v61 offset0:37 offset1:38
	s_waitcnt lgkmcnt(3)
	v_fma_f32 v21, -v20, v62, v21
	s_waitcnt lgkmcnt(2)
	v_pk_fma_f32 v[36:37], v[20:21], v[68:69], v[36:37] op_sel_hi:[0,1,1] neg_lo:[1,0,0] neg_hi:[1,0,0]
	s_waitcnt lgkmcnt(1)
	v_pk_fma_f32 v[30:31], v[20:21], v[70:71], v[30:31] op_sel_hi:[0,1,1] neg_lo:[1,0,0] neg_hi:[1,0,0]
	ds_read2_b32 v[68:69], v61 offset0:39 offset1:40
	ds_read2_b32 v[70:71], v61 offset0:41 offset1:42
	;; [unrolled: 1-line block ×3, first 2 shown]
	s_waitcnt lgkmcnt(3)
	v_pk_fma_f32 v[22:23], v[20:21], v[72:73], v[22:23] op_sel_hi:[0,1,1] neg_lo:[1,0,0] neg_hi:[1,0,0]
	ds_read2_b32 v[72:73], v61 offset0:45 offset1:46
	s_waitcnt lgkmcnt(3)
	v_pk_fma_f32 v[14:15], v[20:21], v[68:69], v[14:15] op_sel_hi:[0,1,1] neg_lo:[1,0,0] neg_hi:[1,0,0]
	s_waitcnt lgkmcnt(2)
	v_pk_fma_f32 v[18:19], v[20:21], v[70:71], v[18:19] op_sel_hi:[0,1,1] neg_lo:[1,0,0] neg_hi:[1,0,0]
	;; [unrolled: 2-line block ×3, first 2 shown]
	ds_read2_b32 v[68:69], v61 offset0:47 offset1:48
	ds_read2_b32 v[70:71], v61 offset0:49 offset1:50
	;; [unrolled: 1-line block ×4, first 2 shown]
	s_waitcnt lgkmcnt(4)
	v_pk_fma_f32 v[16:17], v[20:21], v[72:73], v[16:17] op_sel_hi:[0,1,1] neg_lo:[1,0,0] neg_hi:[1,0,0]
	s_waitcnt lgkmcnt(3)
	v_pk_fma_f32 v[8:9], v[20:21], v[68:69], v[8:9] op_sel_hi:[0,1,1] neg_lo:[1,0,0] neg_hi:[1,0,0]
	;; [unrolled: 2-line block ×5, first 2 shown]
.LBB108_539:
	s_or_b64 exec, exec, s[0:1]
	v_lshl_add_u32 v62, v65, 2, v61
	s_barrier
	ds_write_b32 v62, v21
	s_waitcnt lgkmcnt(0)
	s_barrier
	ds_read_b32 v64, v61 offset:128
	s_cmp_lt_i32 s22, 34
	v_mov_b32_e32 v62, 32
	s_cbranch_scc1 .LBB108_542
; %bb.540:
	v_add_u32_e32 v67, 0x84, v61
	v_mov_b32_e32 v62, 32
	s_mov_b32 s0, 33
.LBB108_541:                            ; =>This Inner Loop Header: Depth=1
	ds_read_b32 v68, v67
	v_mov_b32_e32 v69, s0
	s_add_i32 s0, s0, 1
	v_add_u32_e32 v67, 4, v67
	s_cmp_lg_u32 s22, s0
	s_waitcnt lgkmcnt(0)
	v_cmp_lt_f32_e64 vcc, |v64|, |v68|
	s_nop 1
	v_cndmask_b32_e32 v64, v64, v68, vcc
	v_cndmask_b32_e32 v62, v62, v69, vcc
	s_cbranch_scc1 .LBB108_541
.LBB108_542:
	s_waitcnt lgkmcnt(0)
	v_cmp_eq_f32_e32 vcc, 0, v64
	s_and_saveexec_b64 s[0:1], vcc
	s_xor_b64 s[0:1], exec, s[0:1]
; %bb.543:
	v_cmp_ne_u32_e32 vcc, 0, v66
	s_nop 1
	v_cndmask_b32_e32 v66, 33, v66, vcc
; %bb.544:
	s_andn2_saveexec_b64 s[0:1], s[0:1]
	s_cbranch_execz .LBB108_546
; %bb.545:
	v_div_scale_f32 v67, s[2:3], v64, v64, 1.0
	v_rcp_f32_e32 v68, v67
	v_div_scale_f32 v69, vcc, 1.0, v64, 1.0
	v_fma_f32 v70, -v67, v68, 1.0
	v_fmac_f32_e32 v68, v70, v68
	v_mul_f32_e32 v70, v69, v68
	v_fma_f32 v71, -v67, v70, v69
	v_fmac_f32_e32 v70, v71, v68
	v_fma_f32 v67, -v67, v70, v69
	v_div_fmas_f32 v67, v67, v68, v70
	v_div_fixup_f32 v64, v67, v64, 1.0
.LBB108_546:
	s_or_b64 exec, exec, s[0:1]
	v_cmp_ne_u32_e32 vcc, v65, v62
	s_and_saveexec_b64 s[0:1], vcc
	s_xor_b64 s[0:1], exec, s[0:1]
	s_cbranch_execz .LBB108_552
; %bb.547:
	v_cmp_eq_u32_e32 vcc, 32, v65
	s_and_saveexec_b64 s[2:3], vcc
	s_cbranch_execz .LBB108_551
; %bb.548:
	v_cmp_ne_u32_e32 vcc, 32, v62
	s_xor_b64 s[12:13], s[20:21], -1
	s_and_b64 s[14:15], s[12:13], vcc
	s_and_saveexec_b64 s[12:13], s[14:15]
	s_cbranch_execz .LBB108_550
; %bb.549:
	v_ashrrev_i32_e32 v63, 31, v62
	v_lshl_add_u64 v[68:69], v[62:63], 2, v[4:5]
	global_load_dword v63, v[68:69], off
	global_load_dword v65, v[4:5], off offset:128
	s_waitcnt vmcnt(1)
	global_store_dword v[4:5], v63, off offset:128
	s_waitcnt vmcnt(1)
	global_store_dword v[68:69], v65, off
.LBB108_550:
	s_or_b64 exec, exec, s[12:13]
	v_mov_b32_e32 v63, v62
	v_mov_b32_e32 v65, v62
.LBB108_551:
	s_or_b64 exec, exec, s[2:3]
.LBB108_552:
	s_andn2_saveexec_b64 s[0:1], s[0:1]
	s_cbranch_execz .LBB108_554
; %bb.553:
	v_mov_b32_e32 v65, 32
	ds_write2_b32 v61, v36, v37 offset0:33 offset1:34
	ds_write2_b32 v61, v30, v31 offset0:35 offset1:36
	;; [unrolled: 1-line block ×11, first 2 shown]
.LBB108_554:
	s_or_b64 exec, exec, s[0:1]
	v_cmp_lt_i32_e32 vcc, 32, v65
	s_waitcnt lgkmcnt(0)
	s_barrier
	s_and_saveexec_b64 s[0:1], vcc
	s_cbranch_execz .LBB108_556
; %bb.555:
	ds_read2_b32 v[68:69], v61 offset0:33 offset1:34
	ds_read2_b32 v[70:71], v61 offset0:35 offset1:36
	;; [unrolled: 1-line block ×3, first 2 shown]
	v_mul_f32_e32 v62, v64, v21
	ds_read2_b32 v[74:75], v61 offset0:39 offset1:40
	s_waitcnt lgkmcnt(3)
	v_pk_fma_f32 v[36:37], v[62:63], v[68:69], v[36:37] op_sel_hi:[0,1,1] neg_lo:[1,0,0] neg_hi:[1,0,0]
	s_waitcnt lgkmcnt(2)
	v_pk_fma_f32 v[30:31], v[62:63], v[70:71], v[30:31] op_sel_hi:[0,1,1] neg_lo:[1,0,0] neg_hi:[1,0,0]
	ds_read2_b32 v[68:69], v61 offset0:41 offset1:42
	ds_read2_b32 v[70:71], v61 offset0:43 offset1:44
	s_waitcnt lgkmcnt(3)
	v_pk_fma_f32 v[22:23], v[62:63], v[72:73], v[22:23] op_sel_hi:[0,1,1] neg_lo:[1,0,0] neg_hi:[1,0,0]
	s_waitcnt lgkmcnt(2)
	v_pk_fma_f32 v[14:15], v[62:63], v[74:75], v[14:15] op_sel_hi:[0,1,1] neg_lo:[1,0,0] neg_hi:[1,0,0]
	ds_read2_b32 v[72:73], v61 offset0:45 offset1:46
	;; [unrolled: 6-line block ×3, first 2 shown]
	ds_read2_b32 v[70:71], v61 offset0:51 offset1:52
	ds_read2_b32 v[76:77], v61 offset0:53 offset1:54
	s_waitcnt lgkmcnt(4)
	v_pk_fma_f32 v[16:17], v[62:63], v[72:73], v[16:17] op_sel_hi:[0,1,1] neg_lo:[1,0,0] neg_hi:[1,0,0]
	s_waitcnt lgkmcnt(3)
	v_pk_fma_f32 v[8:9], v[62:63], v[74:75], v[8:9] op_sel_hi:[0,1,1] neg_lo:[1,0,0] neg_hi:[1,0,0]
	;; [unrolled: 2-line block ×5, first 2 shown]
	v_mov_b32_e32 v21, v62
.LBB108_556:
	s_or_b64 exec, exec, s[0:1]
	v_lshl_add_u32 v62, v65, 2, v61
	s_barrier
	ds_write_b32 v62, v36
	s_waitcnt lgkmcnt(0)
	s_barrier
	ds_read_b32 v64, v61 offset:132
	s_cmp_lt_i32 s22, 35
	v_mov_b32_e32 v62, 33
	s_cbranch_scc1 .LBB108_559
; %bb.557:
	v_add_u32_e32 v67, 0x88, v61
	v_mov_b32_e32 v62, 33
	s_mov_b32 s0, 34
.LBB108_558:                            ; =>This Inner Loop Header: Depth=1
	ds_read_b32 v68, v67
	v_mov_b32_e32 v69, s0
	s_add_i32 s0, s0, 1
	v_add_u32_e32 v67, 4, v67
	s_cmp_lg_u32 s22, s0
	s_waitcnt lgkmcnt(0)
	v_cmp_lt_f32_e64 vcc, |v64|, |v68|
	s_nop 1
	v_cndmask_b32_e32 v64, v64, v68, vcc
	v_cndmask_b32_e32 v62, v62, v69, vcc
	s_cbranch_scc1 .LBB108_558
.LBB108_559:
	s_waitcnt lgkmcnt(0)
	v_cmp_eq_f32_e32 vcc, 0, v64
	s_and_saveexec_b64 s[0:1], vcc
	s_xor_b64 s[0:1], exec, s[0:1]
; %bb.560:
	v_cmp_ne_u32_e32 vcc, 0, v66
	s_nop 1
	v_cndmask_b32_e32 v66, 34, v66, vcc
; %bb.561:
	s_andn2_saveexec_b64 s[0:1], s[0:1]
	s_cbranch_execz .LBB108_563
; %bb.562:
	v_div_scale_f32 v67, s[2:3], v64, v64, 1.0
	v_rcp_f32_e32 v68, v67
	v_div_scale_f32 v69, vcc, 1.0, v64, 1.0
	v_fma_f32 v70, -v67, v68, 1.0
	v_fmac_f32_e32 v68, v70, v68
	v_mul_f32_e32 v70, v69, v68
	v_fma_f32 v71, -v67, v70, v69
	v_fmac_f32_e32 v70, v71, v68
	v_fma_f32 v67, -v67, v70, v69
	v_div_fmas_f32 v67, v67, v68, v70
	v_div_fixup_f32 v64, v67, v64, 1.0
.LBB108_563:
	s_or_b64 exec, exec, s[0:1]
	v_cmp_ne_u32_e32 vcc, v65, v62
	s_and_saveexec_b64 s[0:1], vcc
	s_xor_b64 s[0:1], exec, s[0:1]
	s_cbranch_execz .LBB108_569
; %bb.564:
	v_cmp_eq_u32_e32 vcc, 33, v65
	s_and_saveexec_b64 s[2:3], vcc
	s_cbranch_execz .LBB108_568
; %bb.565:
	v_cmp_ne_u32_e32 vcc, 33, v62
	s_xor_b64 s[12:13], s[20:21], -1
	s_and_b64 s[14:15], s[12:13], vcc
	s_and_saveexec_b64 s[12:13], s[14:15]
	s_cbranch_execz .LBB108_567
; %bb.566:
	v_ashrrev_i32_e32 v63, 31, v62
	v_lshl_add_u64 v[68:69], v[62:63], 2, v[4:5]
	global_load_dword v63, v[68:69], off
	global_load_dword v65, v[4:5], off offset:132
	s_waitcnt vmcnt(1)
	global_store_dword v[4:5], v63, off offset:132
	s_waitcnt vmcnt(1)
	global_store_dword v[68:69], v65, off
.LBB108_567:
	s_or_b64 exec, exec, s[12:13]
	v_mov_b32_e32 v63, v62
	v_mov_b32_e32 v65, v62
.LBB108_568:
	s_or_b64 exec, exec, s[2:3]
.LBB108_569:
	s_andn2_saveexec_b64 s[0:1], s[0:1]
	s_cbranch_execz .LBB108_571
; %bb.570:
	v_pk_mov_b32 v[68:69], v[36:37], v[30:31] op_sel:[1,0]
	ds_write2_b32 v61, v68, v69 offset0:34 offset1:35
	v_pk_mov_b32 v[68:69], v[30:31], v[22:23] op_sel:[1,0]
	ds_write2_b32 v61, v68, v69 offset0:36 offset1:37
	;; [unrolled: 2-line block ×9, first 2 shown]
	v_pk_mov_b32 v[68:69], v[0:1], v[12:13] op_sel:[1,0]
	v_mov_b32_e32 v65, 33
	ds_write2_b32 v61, v68, v69 offset0:52 offset1:53
	ds_write_b32 v61, v13 offset:216
.LBB108_571:
	s_or_b64 exec, exec, s[0:1]
	v_cmp_lt_i32_e32 vcc, 33, v65
	s_waitcnt lgkmcnt(0)
	s_barrier
	s_and_saveexec_b64 s[0:1], vcc
	s_cbranch_execz .LBB108_573
; %bb.572:
	ds_read_b32 v62, v61 offset:136
	ds_read2_b32 v[68:69], v61 offset0:35 offset1:36
	ds_read2_b32 v[70:71], v61 offset0:37 offset1:38
	v_mul_f32_e32 v36, v64, v36
	ds_read2_b32 v[72:73], v61 offset0:39 offset1:40
	s_waitcnt lgkmcnt(3)
	v_fma_f32 v37, -v36, v62, v37
	s_waitcnt lgkmcnt(2)
	v_pk_fma_f32 v[30:31], v[36:37], v[68:69], v[30:31] op_sel_hi:[0,1,1] neg_lo:[1,0,0] neg_hi:[1,0,0]
	s_waitcnt lgkmcnt(1)
	v_pk_fma_f32 v[22:23], v[36:37], v[70:71], v[22:23] op_sel_hi:[0,1,1] neg_lo:[1,0,0] neg_hi:[1,0,0]
	ds_read2_b32 v[68:69], v61 offset0:41 offset1:42
	ds_read2_b32 v[70:71], v61 offset0:43 offset1:44
	s_waitcnt lgkmcnt(2)
	v_pk_fma_f32 v[14:15], v[36:37], v[72:73], v[14:15] op_sel_hi:[0,1,1] neg_lo:[1,0,0] neg_hi:[1,0,0]
	ds_read2_b32 v[72:73], v61 offset0:45 offset1:46
	ds_read2_b32 v[74:75], v61 offset0:47 offset1:48
	s_waitcnt lgkmcnt(3)
	v_pk_fma_f32 v[18:19], v[36:37], v[68:69], v[18:19] op_sel_hi:[0,1,1] neg_lo:[1,0,0] neg_hi:[1,0,0]
	s_waitcnt lgkmcnt(2)
	v_pk_fma_f32 v[24:25], v[36:37], v[70:71], v[24:25] op_sel_hi:[0,1,1] neg_lo:[1,0,0] neg_hi:[1,0,0]
	ds_read2_b32 v[68:69], v61 offset0:49 offset1:50
	ds_read2_b32 v[70:71], v61 offset0:51 offset1:52
	;; [unrolled: 1-line block ×3, first 2 shown]
	s_waitcnt lgkmcnt(4)
	v_pk_fma_f32 v[16:17], v[36:37], v[72:73], v[16:17] op_sel_hi:[0,1,1] neg_lo:[1,0,0] neg_hi:[1,0,0]
	s_waitcnt lgkmcnt(3)
	v_pk_fma_f32 v[8:9], v[36:37], v[74:75], v[8:9] op_sel_hi:[0,1,1] neg_lo:[1,0,0] neg_hi:[1,0,0]
	s_waitcnt lgkmcnt(2)
	v_pk_fma_f32 v[10:11], v[36:37], v[68:69], v[10:11] op_sel_hi:[0,1,1] neg_lo:[1,0,0] neg_hi:[1,0,0]
	s_waitcnt lgkmcnt(1)
	v_pk_fma_f32 v[0:1], v[36:37], v[70:71], v[0:1] op_sel_hi:[0,1,1] neg_lo:[1,0,0] neg_hi:[1,0,0]
	s_waitcnt lgkmcnt(0)
	v_pk_fma_f32 v[12:13], v[36:37], v[76:77], v[12:13] op_sel_hi:[0,1,1] neg_lo:[1,0,0] neg_hi:[1,0,0]
.LBB108_573:
	s_or_b64 exec, exec, s[0:1]
	v_lshl_add_u32 v62, v65, 2, v61
	s_barrier
	ds_write_b32 v62, v37
	s_waitcnt lgkmcnt(0)
	s_barrier
	ds_read_b32 v64, v61 offset:136
	s_cmp_lt_i32 s22, 36
	v_mov_b32_e32 v62, 34
	s_cbranch_scc1 .LBB108_576
; %bb.574:
	v_add_u32_e32 v67, 0x8c, v61
	v_mov_b32_e32 v62, 34
	s_mov_b32 s0, 35
.LBB108_575:                            ; =>This Inner Loop Header: Depth=1
	ds_read_b32 v68, v67
	v_mov_b32_e32 v69, s0
	s_add_i32 s0, s0, 1
	v_add_u32_e32 v67, 4, v67
	s_cmp_lg_u32 s22, s0
	s_waitcnt lgkmcnt(0)
	v_cmp_lt_f32_e64 vcc, |v64|, |v68|
	s_nop 1
	v_cndmask_b32_e32 v64, v64, v68, vcc
	v_cndmask_b32_e32 v62, v62, v69, vcc
	s_cbranch_scc1 .LBB108_575
.LBB108_576:
	s_waitcnt lgkmcnt(0)
	v_cmp_eq_f32_e32 vcc, 0, v64
	s_and_saveexec_b64 s[0:1], vcc
	s_xor_b64 s[0:1], exec, s[0:1]
; %bb.577:
	v_cmp_ne_u32_e32 vcc, 0, v66
	s_nop 1
	v_cndmask_b32_e32 v66, 35, v66, vcc
; %bb.578:
	s_andn2_saveexec_b64 s[0:1], s[0:1]
	s_cbranch_execz .LBB108_580
; %bb.579:
	v_div_scale_f32 v67, s[2:3], v64, v64, 1.0
	v_rcp_f32_e32 v68, v67
	v_div_scale_f32 v69, vcc, 1.0, v64, 1.0
	v_fma_f32 v70, -v67, v68, 1.0
	v_fmac_f32_e32 v68, v70, v68
	v_mul_f32_e32 v70, v69, v68
	v_fma_f32 v71, -v67, v70, v69
	v_fmac_f32_e32 v70, v71, v68
	v_fma_f32 v67, -v67, v70, v69
	v_div_fmas_f32 v67, v67, v68, v70
	v_div_fixup_f32 v64, v67, v64, 1.0
.LBB108_580:
	s_or_b64 exec, exec, s[0:1]
	v_cmp_ne_u32_e32 vcc, v65, v62
	s_and_saveexec_b64 s[0:1], vcc
	s_xor_b64 s[0:1], exec, s[0:1]
	s_cbranch_execz .LBB108_586
; %bb.581:
	v_cmp_eq_u32_e32 vcc, 34, v65
	s_and_saveexec_b64 s[2:3], vcc
	s_cbranch_execz .LBB108_585
; %bb.582:
	v_cmp_ne_u32_e32 vcc, 34, v62
	s_xor_b64 s[12:13], s[20:21], -1
	s_and_b64 s[14:15], s[12:13], vcc
	s_and_saveexec_b64 s[12:13], s[14:15]
	s_cbranch_execz .LBB108_584
; %bb.583:
	v_ashrrev_i32_e32 v63, 31, v62
	v_lshl_add_u64 v[68:69], v[62:63], 2, v[4:5]
	global_load_dword v63, v[68:69], off
	global_load_dword v65, v[4:5], off offset:136
	s_waitcnt vmcnt(1)
	global_store_dword v[4:5], v63, off offset:136
	s_waitcnt vmcnt(1)
	global_store_dword v[68:69], v65, off
.LBB108_584:
	s_or_b64 exec, exec, s[12:13]
	v_mov_b32_e32 v63, v62
	v_mov_b32_e32 v65, v62
.LBB108_585:
	s_or_b64 exec, exec, s[2:3]
.LBB108_586:
	s_andn2_saveexec_b64 s[0:1], s[0:1]
	s_cbranch_execz .LBB108_588
; %bb.587:
	v_mov_b32_e32 v65, 34
	ds_write2_b32 v61, v30, v31 offset0:35 offset1:36
	ds_write2_b32 v61, v22, v23 offset0:37 offset1:38
	;; [unrolled: 1-line block ×10, first 2 shown]
.LBB108_588:
	s_or_b64 exec, exec, s[0:1]
	v_cmp_lt_i32_e32 vcc, 34, v65
	s_waitcnt lgkmcnt(0)
	s_barrier
	s_and_saveexec_b64 s[0:1], vcc
	s_cbranch_execz .LBB108_590
; %bb.589:
	ds_read2_b32 v[68:69], v61 offset0:35 offset1:36
	ds_read2_b32 v[70:71], v61 offset0:37 offset1:38
	ds_read2_b32 v[72:73], v61 offset0:39 offset1:40
	v_mul_f32_e32 v62, v64, v37
	ds_read2_b32 v[74:75], v61 offset0:41 offset1:42
	s_waitcnt lgkmcnt(3)
	v_pk_fma_f32 v[30:31], v[62:63], v[68:69], v[30:31] op_sel_hi:[0,1,1] neg_lo:[1,0,0] neg_hi:[1,0,0]
	ds_read2_b32 v[68:69], v61 offset0:43 offset1:44
	s_waitcnt lgkmcnt(3)
	v_pk_fma_f32 v[22:23], v[62:63], v[70:71], v[22:23] op_sel_hi:[0,1,1] neg_lo:[1,0,0] neg_hi:[1,0,0]
	s_waitcnt lgkmcnt(2)
	v_pk_fma_f32 v[14:15], v[62:63], v[72:73], v[14:15] op_sel_hi:[0,1,1] neg_lo:[1,0,0] neg_hi:[1,0,0]
	s_waitcnt lgkmcnt(1)
	v_pk_fma_f32 v[18:19], v[62:63], v[74:75], v[18:19] op_sel_hi:[0,1,1] neg_lo:[1,0,0] neg_hi:[1,0,0]
	ds_read2_b32 v[70:71], v61 offset0:45 offset1:46
	ds_read2_b32 v[72:73], v61 offset0:47 offset1:48
	ds_read2_b32 v[74:75], v61 offset0:49 offset1:50
	s_waitcnt lgkmcnt(3)
	v_pk_fma_f32 v[24:25], v[62:63], v[68:69], v[24:25] op_sel_hi:[0,1,1] neg_lo:[1,0,0] neg_hi:[1,0,0]
	ds_read2_b32 v[68:69], v61 offset0:51 offset1:52
	ds_read2_b32 v[76:77], v61 offset0:53 offset1:54
	s_waitcnt lgkmcnt(4)
	v_pk_fma_f32 v[16:17], v[62:63], v[70:71], v[16:17] op_sel_hi:[0,1,1] neg_lo:[1,0,0] neg_hi:[1,0,0]
	s_waitcnt lgkmcnt(3)
	v_pk_fma_f32 v[8:9], v[62:63], v[72:73], v[8:9] op_sel_hi:[0,1,1] neg_lo:[1,0,0] neg_hi:[1,0,0]
	;; [unrolled: 2-line block ×5, first 2 shown]
	v_mov_b32_e32 v37, v62
.LBB108_590:
	s_or_b64 exec, exec, s[0:1]
	v_lshl_add_u32 v62, v65, 2, v61
	s_barrier
	ds_write_b32 v62, v30
	s_waitcnt lgkmcnt(0)
	s_barrier
	ds_read_b32 v64, v61 offset:140
	s_cmp_lt_i32 s22, 37
	v_mov_b32_e32 v62, 35
	s_cbranch_scc1 .LBB108_593
; %bb.591:
	v_add_u32_e32 v67, 0x90, v61
	v_mov_b32_e32 v62, 35
	s_mov_b32 s0, 36
.LBB108_592:                            ; =>This Inner Loop Header: Depth=1
	ds_read_b32 v68, v67
	v_mov_b32_e32 v69, s0
	s_add_i32 s0, s0, 1
	v_add_u32_e32 v67, 4, v67
	s_cmp_lg_u32 s22, s0
	s_waitcnt lgkmcnt(0)
	v_cmp_lt_f32_e64 vcc, |v64|, |v68|
	s_nop 1
	v_cndmask_b32_e32 v64, v64, v68, vcc
	v_cndmask_b32_e32 v62, v62, v69, vcc
	s_cbranch_scc1 .LBB108_592
.LBB108_593:
	s_waitcnt lgkmcnt(0)
	v_cmp_eq_f32_e32 vcc, 0, v64
	s_and_saveexec_b64 s[0:1], vcc
	s_xor_b64 s[0:1], exec, s[0:1]
; %bb.594:
	v_cmp_ne_u32_e32 vcc, 0, v66
	s_nop 1
	v_cndmask_b32_e32 v66, 36, v66, vcc
; %bb.595:
	s_andn2_saveexec_b64 s[0:1], s[0:1]
	s_cbranch_execz .LBB108_597
; %bb.596:
	v_div_scale_f32 v67, s[2:3], v64, v64, 1.0
	v_rcp_f32_e32 v68, v67
	v_div_scale_f32 v69, vcc, 1.0, v64, 1.0
	v_fma_f32 v70, -v67, v68, 1.0
	v_fmac_f32_e32 v68, v70, v68
	v_mul_f32_e32 v70, v69, v68
	v_fma_f32 v71, -v67, v70, v69
	v_fmac_f32_e32 v70, v71, v68
	v_fma_f32 v67, -v67, v70, v69
	v_div_fmas_f32 v67, v67, v68, v70
	v_div_fixup_f32 v64, v67, v64, 1.0
.LBB108_597:
	s_or_b64 exec, exec, s[0:1]
	v_cmp_ne_u32_e32 vcc, v65, v62
	s_and_saveexec_b64 s[0:1], vcc
	s_xor_b64 s[0:1], exec, s[0:1]
	s_cbranch_execz .LBB108_603
; %bb.598:
	v_cmp_eq_u32_e32 vcc, 35, v65
	s_and_saveexec_b64 s[2:3], vcc
	s_cbranch_execz .LBB108_602
; %bb.599:
	v_cmp_ne_u32_e32 vcc, 35, v62
	s_xor_b64 s[12:13], s[20:21], -1
	s_and_b64 s[14:15], s[12:13], vcc
	s_and_saveexec_b64 s[12:13], s[14:15]
	s_cbranch_execz .LBB108_601
; %bb.600:
	v_ashrrev_i32_e32 v63, 31, v62
	v_lshl_add_u64 v[68:69], v[62:63], 2, v[4:5]
	global_load_dword v63, v[68:69], off
	global_load_dword v65, v[4:5], off offset:140
	s_waitcnt vmcnt(1)
	global_store_dword v[4:5], v63, off offset:140
	s_waitcnt vmcnt(1)
	global_store_dword v[68:69], v65, off
.LBB108_601:
	s_or_b64 exec, exec, s[12:13]
	v_mov_b32_e32 v63, v62
	v_mov_b32_e32 v65, v62
.LBB108_602:
	s_or_b64 exec, exec, s[2:3]
.LBB108_603:
	s_andn2_saveexec_b64 s[0:1], s[0:1]
	s_cbranch_execz .LBB108_605
; %bb.604:
	v_pk_mov_b32 v[68:69], v[30:31], v[22:23] op_sel:[1,0]
	ds_write2_b32 v61, v68, v69 offset0:36 offset1:37
	v_pk_mov_b32 v[68:69], v[22:23], v[14:15] op_sel:[1,0]
	ds_write2_b32 v61, v68, v69 offset0:38 offset1:39
	;; [unrolled: 2-line block ×8, first 2 shown]
	v_pk_mov_b32 v[68:69], v[0:1], v[12:13] op_sel:[1,0]
	v_mov_b32_e32 v65, 35
	ds_write2_b32 v61, v68, v69 offset0:52 offset1:53
	ds_write_b32 v61, v13 offset:216
.LBB108_605:
	s_or_b64 exec, exec, s[0:1]
	v_cmp_lt_i32_e32 vcc, 35, v65
	s_waitcnt lgkmcnt(0)
	s_barrier
	s_and_saveexec_b64 s[0:1], vcc
	s_cbranch_execz .LBB108_607
; %bb.606:
	ds_read_b32 v62, v61 offset:144
	ds_read2_b32 v[68:69], v61 offset0:37 offset1:38
	ds_read2_b32 v[70:71], v61 offset0:39 offset1:40
	v_mul_f32_e32 v30, v64, v30
	ds_read2_b32 v[72:73], v61 offset0:41 offset1:42
	s_waitcnt lgkmcnt(3)
	v_fma_f32 v31, -v30, v62, v31
	s_waitcnt lgkmcnt(2)
	v_pk_fma_f32 v[22:23], v[30:31], v[68:69], v[22:23] op_sel_hi:[0,1,1] neg_lo:[1,0,0] neg_hi:[1,0,0]
	ds_read2_b32 v[68:69], v61 offset0:43 offset1:44
	s_waitcnt lgkmcnt(2)
	v_pk_fma_f32 v[14:15], v[30:31], v[70:71], v[14:15] op_sel_hi:[0,1,1] neg_lo:[1,0,0] neg_hi:[1,0,0]
	s_waitcnt lgkmcnt(1)
	v_pk_fma_f32 v[18:19], v[30:31], v[72:73], v[18:19] op_sel_hi:[0,1,1] neg_lo:[1,0,0] neg_hi:[1,0,0]
	ds_read2_b32 v[70:71], v61 offset0:45 offset1:46
	ds_read2_b32 v[72:73], v61 offset0:47 offset1:48
	;; [unrolled: 1-line block ×3, first 2 shown]
	s_waitcnt lgkmcnt(3)
	v_pk_fma_f32 v[24:25], v[30:31], v[68:69], v[24:25] op_sel_hi:[0,1,1] neg_lo:[1,0,0] neg_hi:[1,0,0]
	ds_read2_b32 v[68:69], v61 offset0:51 offset1:52
	ds_read2_b32 v[76:77], v61 offset0:53 offset1:54
	s_waitcnt lgkmcnt(4)
	v_pk_fma_f32 v[16:17], v[30:31], v[70:71], v[16:17] op_sel_hi:[0,1,1] neg_lo:[1,0,0] neg_hi:[1,0,0]
	s_waitcnt lgkmcnt(3)
	v_pk_fma_f32 v[8:9], v[30:31], v[72:73], v[8:9] op_sel_hi:[0,1,1] neg_lo:[1,0,0] neg_hi:[1,0,0]
	;; [unrolled: 2-line block ×5, first 2 shown]
.LBB108_607:
	s_or_b64 exec, exec, s[0:1]
	v_lshl_add_u32 v62, v65, 2, v61
	s_barrier
	ds_write_b32 v62, v31
	s_waitcnt lgkmcnt(0)
	s_barrier
	ds_read_b32 v64, v61 offset:144
	s_cmp_lt_i32 s22, 38
	v_mov_b32_e32 v62, 36
	s_cbranch_scc1 .LBB108_610
; %bb.608:
	v_add_u32_e32 v67, 0x94, v61
	v_mov_b32_e32 v62, 36
	s_mov_b32 s0, 37
.LBB108_609:                            ; =>This Inner Loop Header: Depth=1
	ds_read_b32 v68, v67
	v_mov_b32_e32 v69, s0
	s_add_i32 s0, s0, 1
	v_add_u32_e32 v67, 4, v67
	s_cmp_lg_u32 s22, s0
	s_waitcnt lgkmcnt(0)
	v_cmp_lt_f32_e64 vcc, |v64|, |v68|
	s_nop 1
	v_cndmask_b32_e32 v64, v64, v68, vcc
	v_cndmask_b32_e32 v62, v62, v69, vcc
	s_cbranch_scc1 .LBB108_609
.LBB108_610:
	s_waitcnt lgkmcnt(0)
	v_cmp_eq_f32_e32 vcc, 0, v64
	s_and_saveexec_b64 s[0:1], vcc
	s_xor_b64 s[0:1], exec, s[0:1]
; %bb.611:
	v_cmp_ne_u32_e32 vcc, 0, v66
	s_nop 1
	v_cndmask_b32_e32 v66, 37, v66, vcc
; %bb.612:
	s_andn2_saveexec_b64 s[0:1], s[0:1]
	s_cbranch_execz .LBB108_614
; %bb.613:
	v_div_scale_f32 v67, s[2:3], v64, v64, 1.0
	v_rcp_f32_e32 v68, v67
	v_div_scale_f32 v69, vcc, 1.0, v64, 1.0
	v_fma_f32 v70, -v67, v68, 1.0
	v_fmac_f32_e32 v68, v70, v68
	v_mul_f32_e32 v70, v69, v68
	v_fma_f32 v71, -v67, v70, v69
	v_fmac_f32_e32 v70, v71, v68
	v_fma_f32 v67, -v67, v70, v69
	v_div_fmas_f32 v67, v67, v68, v70
	v_div_fixup_f32 v64, v67, v64, 1.0
.LBB108_614:
	s_or_b64 exec, exec, s[0:1]
	v_cmp_ne_u32_e32 vcc, v65, v62
	s_and_saveexec_b64 s[0:1], vcc
	s_xor_b64 s[0:1], exec, s[0:1]
	s_cbranch_execz .LBB108_620
; %bb.615:
	v_cmp_eq_u32_e32 vcc, 36, v65
	s_and_saveexec_b64 s[2:3], vcc
	s_cbranch_execz .LBB108_619
; %bb.616:
	v_cmp_ne_u32_e32 vcc, 36, v62
	s_xor_b64 s[12:13], s[20:21], -1
	s_and_b64 s[14:15], s[12:13], vcc
	s_and_saveexec_b64 s[12:13], s[14:15]
	s_cbranch_execz .LBB108_618
; %bb.617:
	v_ashrrev_i32_e32 v63, 31, v62
	v_lshl_add_u64 v[68:69], v[62:63], 2, v[4:5]
	global_load_dword v63, v[68:69], off
	global_load_dword v65, v[4:5], off offset:144
	s_waitcnt vmcnt(1)
	global_store_dword v[4:5], v63, off offset:144
	s_waitcnt vmcnt(1)
	global_store_dword v[68:69], v65, off
.LBB108_618:
	s_or_b64 exec, exec, s[12:13]
	v_mov_b32_e32 v63, v62
	v_mov_b32_e32 v65, v62
.LBB108_619:
	s_or_b64 exec, exec, s[2:3]
.LBB108_620:
	s_andn2_saveexec_b64 s[0:1], s[0:1]
	s_cbranch_execz .LBB108_622
; %bb.621:
	v_mov_b32_e32 v65, 36
	ds_write2_b32 v61, v22, v23 offset0:37 offset1:38
	ds_write2_b32 v61, v14, v15 offset0:39 offset1:40
	;; [unrolled: 1-line block ×9, first 2 shown]
.LBB108_622:
	s_or_b64 exec, exec, s[0:1]
	v_cmp_lt_i32_e32 vcc, 36, v65
	s_waitcnt lgkmcnt(0)
	s_barrier
	s_and_saveexec_b64 s[0:1], vcc
	s_cbranch_execz .LBB108_624
; %bb.623:
	ds_read2_b32 v[68:69], v61 offset0:37 offset1:38
	ds_read2_b32 v[70:71], v61 offset0:39 offset1:40
	;; [unrolled: 1-line block ×4, first 2 shown]
	v_mul_f32_e32 v62, v64, v31
	s_waitcnt lgkmcnt(3)
	v_pk_fma_f32 v[22:23], v[62:63], v[68:69], v[22:23] op_sel_hi:[0,1,1] neg_lo:[1,0,0] neg_hi:[1,0,0]
	s_waitcnt lgkmcnt(2)
	v_pk_fma_f32 v[14:15], v[62:63], v[70:71], v[14:15] op_sel_hi:[0,1,1] neg_lo:[1,0,0] neg_hi:[1,0,0]
	s_waitcnt lgkmcnt(1)
	v_pk_fma_f32 v[18:19], v[62:63], v[72:73], v[18:19] op_sel_hi:[0,1,1] neg_lo:[1,0,0] neg_hi:[1,0,0]
	s_waitcnt lgkmcnt(0)
	v_pk_fma_f32 v[24:25], v[62:63], v[74:75], v[24:25] op_sel_hi:[0,1,1] neg_lo:[1,0,0] neg_hi:[1,0,0]
	ds_read2_b32 v[68:69], v61 offset0:45 offset1:46
	ds_read2_b32 v[70:71], v61 offset0:47 offset1:48
	;; [unrolled: 1-line block ×5, first 2 shown]
	s_waitcnt lgkmcnt(4)
	v_pk_fma_f32 v[16:17], v[62:63], v[68:69], v[16:17] op_sel_hi:[0,1,1] neg_lo:[1,0,0] neg_hi:[1,0,0]
	s_waitcnt lgkmcnt(3)
	v_pk_fma_f32 v[8:9], v[62:63], v[70:71], v[8:9] op_sel_hi:[0,1,1] neg_lo:[1,0,0] neg_hi:[1,0,0]
	;; [unrolled: 2-line block ×5, first 2 shown]
	v_mov_b32_e32 v31, v62
.LBB108_624:
	s_or_b64 exec, exec, s[0:1]
	v_lshl_add_u32 v62, v65, 2, v61
	s_barrier
	ds_write_b32 v62, v22
	s_waitcnt lgkmcnt(0)
	s_barrier
	ds_read_b32 v64, v61 offset:148
	s_cmp_lt_i32 s22, 39
	v_mov_b32_e32 v62, 37
	s_cbranch_scc1 .LBB108_627
; %bb.625:
	v_add_u32_e32 v67, 0x98, v61
	v_mov_b32_e32 v62, 37
	s_mov_b32 s0, 38
.LBB108_626:                            ; =>This Inner Loop Header: Depth=1
	ds_read_b32 v68, v67
	v_mov_b32_e32 v69, s0
	s_add_i32 s0, s0, 1
	v_add_u32_e32 v67, 4, v67
	s_cmp_lg_u32 s22, s0
	s_waitcnt lgkmcnt(0)
	v_cmp_lt_f32_e64 vcc, |v64|, |v68|
	s_nop 1
	v_cndmask_b32_e32 v64, v64, v68, vcc
	v_cndmask_b32_e32 v62, v62, v69, vcc
	s_cbranch_scc1 .LBB108_626
.LBB108_627:
	s_waitcnt lgkmcnt(0)
	v_cmp_eq_f32_e32 vcc, 0, v64
	s_and_saveexec_b64 s[0:1], vcc
	s_xor_b64 s[0:1], exec, s[0:1]
; %bb.628:
	v_cmp_ne_u32_e32 vcc, 0, v66
	s_nop 1
	v_cndmask_b32_e32 v66, 38, v66, vcc
; %bb.629:
	s_andn2_saveexec_b64 s[0:1], s[0:1]
	s_cbranch_execz .LBB108_631
; %bb.630:
	v_div_scale_f32 v67, s[2:3], v64, v64, 1.0
	v_rcp_f32_e32 v68, v67
	v_div_scale_f32 v69, vcc, 1.0, v64, 1.0
	v_fma_f32 v70, -v67, v68, 1.0
	v_fmac_f32_e32 v68, v70, v68
	v_mul_f32_e32 v70, v69, v68
	v_fma_f32 v71, -v67, v70, v69
	v_fmac_f32_e32 v70, v71, v68
	v_fma_f32 v67, -v67, v70, v69
	v_div_fmas_f32 v67, v67, v68, v70
	v_div_fixup_f32 v64, v67, v64, 1.0
.LBB108_631:
	s_or_b64 exec, exec, s[0:1]
	v_cmp_ne_u32_e32 vcc, v65, v62
	s_and_saveexec_b64 s[0:1], vcc
	s_xor_b64 s[0:1], exec, s[0:1]
	s_cbranch_execz .LBB108_637
; %bb.632:
	v_cmp_eq_u32_e32 vcc, 37, v65
	s_and_saveexec_b64 s[2:3], vcc
	s_cbranch_execz .LBB108_636
; %bb.633:
	v_cmp_ne_u32_e32 vcc, 37, v62
	s_xor_b64 s[12:13], s[20:21], -1
	s_and_b64 s[14:15], s[12:13], vcc
	s_and_saveexec_b64 s[12:13], s[14:15]
	s_cbranch_execz .LBB108_635
; %bb.634:
	v_ashrrev_i32_e32 v63, 31, v62
	v_lshl_add_u64 v[68:69], v[62:63], 2, v[4:5]
	global_load_dword v63, v[68:69], off
	global_load_dword v65, v[4:5], off offset:148
	s_waitcnt vmcnt(1)
	global_store_dword v[4:5], v63, off offset:148
	s_waitcnt vmcnt(1)
	global_store_dword v[68:69], v65, off
.LBB108_635:
	s_or_b64 exec, exec, s[12:13]
	v_mov_b32_e32 v63, v62
	v_mov_b32_e32 v65, v62
.LBB108_636:
	s_or_b64 exec, exec, s[2:3]
.LBB108_637:
	s_andn2_saveexec_b64 s[0:1], s[0:1]
	s_cbranch_execz .LBB108_639
; %bb.638:
	v_pk_mov_b32 v[68:69], v[22:23], v[14:15] op_sel:[1,0]
	ds_write2_b32 v61, v68, v69 offset0:38 offset1:39
	v_pk_mov_b32 v[68:69], v[14:15], v[18:19] op_sel:[1,0]
	ds_write2_b32 v61, v68, v69 offset0:40 offset1:41
	v_pk_mov_b32 v[68:69], v[18:19], v[24:25] op_sel:[1,0]
	ds_write2_b32 v61, v68, v69 offset0:42 offset1:43
	v_pk_mov_b32 v[68:69], v[24:25], v[16:17] op_sel:[1,0]
	ds_write2_b32 v61, v68, v69 offset0:44 offset1:45
	v_pk_mov_b32 v[68:69], v[16:17], v[8:9] op_sel:[1,0]
	ds_write2_b32 v61, v68, v69 offset0:46 offset1:47
	v_pk_mov_b32 v[68:69], v[8:9], v[10:11] op_sel:[1,0]
	ds_write2_b32 v61, v68, v69 offset0:48 offset1:49
	v_pk_mov_b32 v[68:69], v[10:11], v[0:1] op_sel:[1,0]
	ds_write2_b32 v61, v68, v69 offset0:50 offset1:51
	v_pk_mov_b32 v[68:69], v[0:1], v[12:13] op_sel:[1,0]
	v_mov_b32_e32 v65, 37
	ds_write2_b32 v61, v68, v69 offset0:52 offset1:53
	ds_write_b32 v61, v13 offset:216
.LBB108_639:
	s_or_b64 exec, exec, s[0:1]
	v_cmp_lt_i32_e32 vcc, 37, v65
	s_waitcnt lgkmcnt(0)
	s_barrier
	s_and_saveexec_b64 s[0:1], vcc
	s_cbranch_execz .LBB108_641
; %bb.640:
	ds_read_b32 v62, v61 offset:152
	ds_read2_b32 v[68:69], v61 offset0:39 offset1:40
	ds_read2_b32 v[70:71], v61 offset0:41 offset1:42
	;; [unrolled: 1-line block ×3, first 2 shown]
	v_mul_f32_e32 v22, v64, v22
	s_waitcnt lgkmcnt(3)
	v_fma_f32 v23, -v22, v62, v23
	s_waitcnt lgkmcnt(2)
	v_pk_fma_f32 v[14:15], v[22:23], v[68:69], v[14:15] op_sel_hi:[0,1,1] neg_lo:[1,0,0] neg_hi:[1,0,0]
	s_waitcnt lgkmcnt(1)
	v_pk_fma_f32 v[18:19], v[22:23], v[70:71], v[18:19] op_sel_hi:[0,1,1] neg_lo:[1,0,0] neg_hi:[1,0,0]
	;; [unrolled: 2-line block ×3, first 2 shown]
	ds_read2_b32 v[68:69], v61 offset0:45 offset1:46
	ds_read2_b32 v[70:71], v61 offset0:47 offset1:48
	;; [unrolled: 1-line block ×5, first 2 shown]
	s_waitcnt lgkmcnt(4)
	v_pk_fma_f32 v[16:17], v[22:23], v[68:69], v[16:17] op_sel_hi:[0,1,1] neg_lo:[1,0,0] neg_hi:[1,0,0]
	s_waitcnt lgkmcnt(3)
	v_pk_fma_f32 v[8:9], v[22:23], v[70:71], v[8:9] op_sel_hi:[0,1,1] neg_lo:[1,0,0] neg_hi:[1,0,0]
	;; [unrolled: 2-line block ×5, first 2 shown]
.LBB108_641:
	s_or_b64 exec, exec, s[0:1]
	v_lshl_add_u32 v62, v65, 2, v61
	s_barrier
	ds_write_b32 v62, v23
	s_waitcnt lgkmcnt(0)
	s_barrier
	ds_read_b32 v64, v61 offset:152
	s_cmp_lt_i32 s22, 40
	v_mov_b32_e32 v62, 38
	s_cbranch_scc1 .LBB108_644
; %bb.642:
	v_add_u32_e32 v67, 0x9c, v61
	v_mov_b32_e32 v62, 38
	s_mov_b32 s0, 39
.LBB108_643:                            ; =>This Inner Loop Header: Depth=1
	ds_read_b32 v68, v67
	v_mov_b32_e32 v69, s0
	s_add_i32 s0, s0, 1
	v_add_u32_e32 v67, 4, v67
	s_cmp_lg_u32 s22, s0
	s_waitcnt lgkmcnt(0)
	v_cmp_lt_f32_e64 vcc, |v64|, |v68|
	s_nop 1
	v_cndmask_b32_e32 v64, v64, v68, vcc
	v_cndmask_b32_e32 v62, v62, v69, vcc
	s_cbranch_scc1 .LBB108_643
.LBB108_644:
	s_waitcnt lgkmcnt(0)
	v_cmp_eq_f32_e32 vcc, 0, v64
	s_and_saveexec_b64 s[0:1], vcc
	s_xor_b64 s[0:1], exec, s[0:1]
; %bb.645:
	v_cmp_ne_u32_e32 vcc, 0, v66
	s_nop 1
	v_cndmask_b32_e32 v66, 39, v66, vcc
; %bb.646:
	s_andn2_saveexec_b64 s[0:1], s[0:1]
	s_cbranch_execz .LBB108_648
; %bb.647:
	v_div_scale_f32 v67, s[2:3], v64, v64, 1.0
	v_rcp_f32_e32 v68, v67
	v_div_scale_f32 v69, vcc, 1.0, v64, 1.0
	v_fma_f32 v70, -v67, v68, 1.0
	v_fmac_f32_e32 v68, v70, v68
	v_mul_f32_e32 v70, v69, v68
	v_fma_f32 v71, -v67, v70, v69
	v_fmac_f32_e32 v70, v71, v68
	v_fma_f32 v67, -v67, v70, v69
	v_div_fmas_f32 v67, v67, v68, v70
	v_div_fixup_f32 v64, v67, v64, 1.0
.LBB108_648:
	s_or_b64 exec, exec, s[0:1]
	v_cmp_ne_u32_e32 vcc, v65, v62
	s_and_saveexec_b64 s[0:1], vcc
	s_xor_b64 s[0:1], exec, s[0:1]
	s_cbranch_execz .LBB108_654
; %bb.649:
	v_cmp_eq_u32_e32 vcc, 38, v65
	s_and_saveexec_b64 s[2:3], vcc
	s_cbranch_execz .LBB108_653
; %bb.650:
	v_cmp_ne_u32_e32 vcc, 38, v62
	s_xor_b64 s[12:13], s[20:21], -1
	s_and_b64 s[14:15], s[12:13], vcc
	s_and_saveexec_b64 s[12:13], s[14:15]
	s_cbranch_execz .LBB108_652
; %bb.651:
	v_ashrrev_i32_e32 v63, 31, v62
	v_lshl_add_u64 v[68:69], v[62:63], 2, v[4:5]
	global_load_dword v63, v[68:69], off
	global_load_dword v65, v[4:5], off offset:152
	s_waitcnt vmcnt(1)
	global_store_dword v[4:5], v63, off offset:152
	s_waitcnt vmcnt(1)
	global_store_dword v[68:69], v65, off
.LBB108_652:
	s_or_b64 exec, exec, s[12:13]
	v_mov_b32_e32 v63, v62
	v_mov_b32_e32 v65, v62
.LBB108_653:
	s_or_b64 exec, exec, s[2:3]
.LBB108_654:
	s_andn2_saveexec_b64 s[0:1], s[0:1]
	s_cbranch_execz .LBB108_656
; %bb.655:
	v_mov_b32_e32 v65, 38
	ds_write2_b32 v61, v14, v15 offset0:39 offset1:40
	ds_write2_b32 v61, v18, v19 offset0:41 offset1:42
	;; [unrolled: 1-line block ×8, first 2 shown]
.LBB108_656:
	s_or_b64 exec, exec, s[0:1]
	v_cmp_lt_i32_e32 vcc, 38, v65
	s_waitcnt lgkmcnt(0)
	s_barrier
	s_and_saveexec_b64 s[0:1], vcc
	s_cbranch_execz .LBB108_658
; %bb.657:
	ds_read2_b32 v[68:69], v61 offset0:39 offset1:40
	ds_read2_b32 v[70:71], v61 offset0:41 offset1:42
	;; [unrolled: 1-line block ×3, first 2 shown]
	v_mul_f32_e32 v62, v64, v23
	ds_read2_b32 v[74:75], v61 offset0:45 offset1:46
	s_waitcnt lgkmcnt(3)
	v_pk_fma_f32 v[14:15], v[62:63], v[68:69], v[14:15] op_sel_hi:[0,1,1] neg_lo:[1,0,0] neg_hi:[1,0,0]
	s_waitcnt lgkmcnt(2)
	v_pk_fma_f32 v[18:19], v[62:63], v[70:71], v[18:19] op_sel_hi:[0,1,1] neg_lo:[1,0,0] neg_hi:[1,0,0]
	;; [unrolled: 2-line block ×3, first 2 shown]
	ds_read2_b32 v[68:69], v61 offset0:47 offset1:48
	ds_read2_b32 v[70:71], v61 offset0:49 offset1:50
	;; [unrolled: 1-line block ×4, first 2 shown]
	s_waitcnt lgkmcnt(4)
	v_pk_fma_f32 v[16:17], v[62:63], v[74:75], v[16:17] op_sel_hi:[0,1,1] neg_lo:[1,0,0] neg_hi:[1,0,0]
	s_waitcnt lgkmcnt(3)
	v_pk_fma_f32 v[8:9], v[62:63], v[68:69], v[8:9] op_sel_hi:[0,1,1] neg_lo:[1,0,0] neg_hi:[1,0,0]
	;; [unrolled: 2-line block ×5, first 2 shown]
	v_mov_b32_e32 v23, v62
.LBB108_658:
	s_or_b64 exec, exec, s[0:1]
	v_lshl_add_u32 v62, v65, 2, v61
	s_barrier
	ds_write_b32 v62, v14
	s_waitcnt lgkmcnt(0)
	s_barrier
	ds_read_b32 v64, v61 offset:156
	s_cmp_lt_i32 s22, 41
	v_mov_b32_e32 v62, 39
	s_cbranch_scc1 .LBB108_661
; %bb.659:
	v_add_u32_e32 v67, 0xa0, v61
	v_mov_b32_e32 v62, 39
	s_mov_b32 s0, 40
.LBB108_660:                            ; =>This Inner Loop Header: Depth=1
	ds_read_b32 v68, v67
	v_mov_b32_e32 v69, s0
	s_add_i32 s0, s0, 1
	v_add_u32_e32 v67, 4, v67
	s_cmp_lg_u32 s22, s0
	s_waitcnt lgkmcnt(0)
	v_cmp_lt_f32_e64 vcc, |v64|, |v68|
	s_nop 1
	v_cndmask_b32_e32 v64, v64, v68, vcc
	v_cndmask_b32_e32 v62, v62, v69, vcc
	s_cbranch_scc1 .LBB108_660
.LBB108_661:
	s_waitcnt lgkmcnt(0)
	v_cmp_eq_f32_e32 vcc, 0, v64
	s_and_saveexec_b64 s[0:1], vcc
	s_xor_b64 s[0:1], exec, s[0:1]
; %bb.662:
	v_cmp_ne_u32_e32 vcc, 0, v66
	s_nop 1
	v_cndmask_b32_e32 v66, 40, v66, vcc
; %bb.663:
	s_andn2_saveexec_b64 s[0:1], s[0:1]
	s_cbranch_execz .LBB108_665
; %bb.664:
	v_div_scale_f32 v67, s[2:3], v64, v64, 1.0
	v_rcp_f32_e32 v68, v67
	v_div_scale_f32 v69, vcc, 1.0, v64, 1.0
	v_fma_f32 v70, -v67, v68, 1.0
	v_fmac_f32_e32 v68, v70, v68
	v_mul_f32_e32 v70, v69, v68
	v_fma_f32 v71, -v67, v70, v69
	v_fmac_f32_e32 v70, v71, v68
	v_fma_f32 v67, -v67, v70, v69
	v_div_fmas_f32 v67, v67, v68, v70
	v_div_fixup_f32 v64, v67, v64, 1.0
.LBB108_665:
	s_or_b64 exec, exec, s[0:1]
	v_cmp_ne_u32_e32 vcc, v65, v62
	s_and_saveexec_b64 s[0:1], vcc
	s_xor_b64 s[0:1], exec, s[0:1]
	s_cbranch_execz .LBB108_671
; %bb.666:
	v_cmp_eq_u32_e32 vcc, 39, v65
	s_and_saveexec_b64 s[2:3], vcc
	s_cbranch_execz .LBB108_670
; %bb.667:
	v_cmp_ne_u32_e32 vcc, 39, v62
	s_xor_b64 s[12:13], s[20:21], -1
	s_and_b64 s[14:15], s[12:13], vcc
	s_and_saveexec_b64 s[12:13], s[14:15]
	s_cbranch_execz .LBB108_669
; %bb.668:
	v_ashrrev_i32_e32 v63, 31, v62
	v_lshl_add_u64 v[68:69], v[62:63], 2, v[4:5]
	global_load_dword v63, v[68:69], off
	global_load_dword v65, v[4:5], off offset:156
	s_waitcnt vmcnt(1)
	global_store_dword v[4:5], v63, off offset:156
	s_waitcnt vmcnt(1)
	global_store_dword v[68:69], v65, off
.LBB108_669:
	s_or_b64 exec, exec, s[12:13]
	v_mov_b32_e32 v63, v62
	v_mov_b32_e32 v65, v62
.LBB108_670:
	s_or_b64 exec, exec, s[2:3]
.LBB108_671:
	s_andn2_saveexec_b64 s[0:1], s[0:1]
	s_cbranch_execz .LBB108_673
; %bb.672:
	v_pk_mov_b32 v[68:69], v[14:15], v[18:19] op_sel:[1,0]
	ds_write2_b32 v61, v68, v69 offset0:40 offset1:41
	v_pk_mov_b32 v[68:69], v[18:19], v[24:25] op_sel:[1,0]
	ds_write2_b32 v61, v68, v69 offset0:42 offset1:43
	;; [unrolled: 2-line block ×6, first 2 shown]
	v_pk_mov_b32 v[68:69], v[0:1], v[12:13] op_sel:[1,0]
	v_mov_b32_e32 v65, 39
	ds_write2_b32 v61, v68, v69 offset0:52 offset1:53
	ds_write_b32 v61, v13 offset:216
.LBB108_673:
	s_or_b64 exec, exec, s[0:1]
	v_cmp_lt_i32_e32 vcc, 39, v65
	s_waitcnt lgkmcnt(0)
	s_barrier
	s_and_saveexec_b64 s[0:1], vcc
	s_cbranch_execz .LBB108_675
; %bb.674:
	ds_read_b32 v62, v61 offset:160
	ds_read2_b32 v[68:69], v61 offset0:41 offset1:42
	ds_read2_b32 v[70:71], v61 offset0:43 offset1:44
	v_mul_f32_e32 v14, v64, v14
	ds_read2_b32 v[72:73], v61 offset0:45 offset1:46
	s_waitcnt lgkmcnt(3)
	v_fma_f32 v15, -v14, v62, v15
	s_waitcnt lgkmcnt(2)
	v_pk_fma_f32 v[18:19], v[14:15], v[68:69], v[18:19] op_sel_hi:[0,1,1] neg_lo:[1,0,0] neg_hi:[1,0,0]
	s_waitcnt lgkmcnt(1)
	v_pk_fma_f32 v[24:25], v[14:15], v[70:71], v[24:25] op_sel_hi:[0,1,1] neg_lo:[1,0,0] neg_hi:[1,0,0]
	ds_read2_b32 v[68:69], v61 offset0:47 offset1:48
	ds_read2_b32 v[70:71], v61 offset0:49 offset1:50
	;; [unrolled: 1-line block ×4, first 2 shown]
	s_waitcnt lgkmcnt(4)
	v_pk_fma_f32 v[16:17], v[14:15], v[72:73], v[16:17] op_sel_hi:[0,1,1] neg_lo:[1,0,0] neg_hi:[1,0,0]
	s_waitcnt lgkmcnt(3)
	v_pk_fma_f32 v[8:9], v[14:15], v[68:69], v[8:9] op_sel_hi:[0,1,1] neg_lo:[1,0,0] neg_hi:[1,0,0]
	;; [unrolled: 2-line block ×5, first 2 shown]
.LBB108_675:
	s_or_b64 exec, exec, s[0:1]
	v_lshl_add_u32 v62, v65, 2, v61
	s_barrier
	ds_write_b32 v62, v15
	s_waitcnt lgkmcnt(0)
	s_barrier
	ds_read_b32 v64, v61 offset:160
	s_cmp_lt_i32 s22, 42
	v_mov_b32_e32 v62, 40
	s_cbranch_scc1 .LBB108_678
; %bb.676:
	v_add_u32_e32 v67, 0xa4, v61
	v_mov_b32_e32 v62, 40
	s_mov_b32 s0, 41
.LBB108_677:                            ; =>This Inner Loop Header: Depth=1
	ds_read_b32 v68, v67
	v_mov_b32_e32 v69, s0
	s_add_i32 s0, s0, 1
	v_add_u32_e32 v67, 4, v67
	s_cmp_lg_u32 s22, s0
	s_waitcnt lgkmcnt(0)
	v_cmp_lt_f32_e64 vcc, |v64|, |v68|
	s_nop 1
	v_cndmask_b32_e32 v64, v64, v68, vcc
	v_cndmask_b32_e32 v62, v62, v69, vcc
	s_cbranch_scc1 .LBB108_677
.LBB108_678:
	s_waitcnt lgkmcnt(0)
	v_cmp_eq_f32_e32 vcc, 0, v64
	s_and_saveexec_b64 s[0:1], vcc
	s_xor_b64 s[0:1], exec, s[0:1]
; %bb.679:
	v_cmp_ne_u32_e32 vcc, 0, v66
	s_nop 1
	v_cndmask_b32_e32 v66, 41, v66, vcc
; %bb.680:
	s_andn2_saveexec_b64 s[0:1], s[0:1]
	s_cbranch_execz .LBB108_682
; %bb.681:
	v_div_scale_f32 v67, s[2:3], v64, v64, 1.0
	v_rcp_f32_e32 v68, v67
	v_div_scale_f32 v69, vcc, 1.0, v64, 1.0
	v_fma_f32 v70, -v67, v68, 1.0
	v_fmac_f32_e32 v68, v70, v68
	v_mul_f32_e32 v70, v69, v68
	v_fma_f32 v71, -v67, v70, v69
	v_fmac_f32_e32 v70, v71, v68
	v_fma_f32 v67, -v67, v70, v69
	v_div_fmas_f32 v67, v67, v68, v70
	v_div_fixup_f32 v64, v67, v64, 1.0
.LBB108_682:
	s_or_b64 exec, exec, s[0:1]
	v_cmp_ne_u32_e32 vcc, v65, v62
	s_and_saveexec_b64 s[0:1], vcc
	s_xor_b64 s[0:1], exec, s[0:1]
	s_cbranch_execz .LBB108_688
; %bb.683:
	v_cmp_eq_u32_e32 vcc, 40, v65
	s_and_saveexec_b64 s[2:3], vcc
	s_cbranch_execz .LBB108_687
; %bb.684:
	v_cmp_ne_u32_e32 vcc, 40, v62
	s_xor_b64 s[12:13], s[20:21], -1
	s_and_b64 s[14:15], s[12:13], vcc
	s_and_saveexec_b64 s[12:13], s[14:15]
	s_cbranch_execz .LBB108_686
; %bb.685:
	v_ashrrev_i32_e32 v63, 31, v62
	v_lshl_add_u64 v[68:69], v[62:63], 2, v[4:5]
	global_load_dword v63, v[68:69], off
	global_load_dword v65, v[4:5], off offset:160
	s_waitcnt vmcnt(1)
	global_store_dword v[4:5], v63, off offset:160
	s_waitcnt vmcnt(1)
	global_store_dword v[68:69], v65, off
.LBB108_686:
	s_or_b64 exec, exec, s[12:13]
	v_mov_b32_e32 v63, v62
	v_mov_b32_e32 v65, v62
.LBB108_687:
	s_or_b64 exec, exec, s[2:3]
.LBB108_688:
	s_andn2_saveexec_b64 s[0:1], s[0:1]
	s_cbranch_execz .LBB108_690
; %bb.689:
	v_mov_b32_e32 v65, 40
	ds_write2_b32 v61, v18, v19 offset0:41 offset1:42
	ds_write2_b32 v61, v24, v25 offset0:43 offset1:44
	;; [unrolled: 1-line block ×7, first 2 shown]
.LBB108_690:
	s_or_b64 exec, exec, s[0:1]
	v_cmp_lt_i32_e32 vcc, 40, v65
	s_waitcnt lgkmcnt(0)
	s_barrier
	s_and_saveexec_b64 s[0:1], vcc
	s_cbranch_execz .LBB108_692
; %bb.691:
	ds_read2_b32 v[68:69], v61 offset0:41 offset1:42
	ds_read2_b32 v[70:71], v61 offset0:43 offset1:44
	v_mul_f32_e32 v62, v64, v15
	ds_read2_b32 v[72:73], v61 offset0:45 offset1:46
	ds_read2_b32 v[74:75], v61 offset0:47 offset1:48
	v_mov_b32_e32 v15, v62
	s_waitcnt lgkmcnt(3)
	v_pk_fma_f32 v[18:19], v[62:63], v[68:69], v[18:19] op_sel_hi:[0,1,1] neg_lo:[1,0,0] neg_hi:[1,0,0]
	s_waitcnt lgkmcnt(2)
	v_pk_fma_f32 v[24:25], v[62:63], v[70:71], v[24:25] op_sel_hi:[0,1,1] neg_lo:[1,0,0] neg_hi:[1,0,0]
	ds_read2_b32 v[68:69], v61 offset0:49 offset1:50
	ds_read2_b32 v[70:71], v61 offset0:51 offset1:52
	;; [unrolled: 1-line block ×3, first 2 shown]
	s_waitcnt lgkmcnt(4)
	v_pk_fma_f32 v[16:17], v[62:63], v[72:73], v[16:17] op_sel_hi:[0,1,1] neg_lo:[1,0,0] neg_hi:[1,0,0]
	s_waitcnt lgkmcnt(3)
	v_pk_fma_f32 v[8:9], v[62:63], v[74:75], v[8:9] op_sel_hi:[0,1,1] neg_lo:[1,0,0] neg_hi:[1,0,0]
	;; [unrolled: 2-line block ×5, first 2 shown]
.LBB108_692:
	s_or_b64 exec, exec, s[0:1]
	v_lshl_add_u32 v62, v65, 2, v61
	s_barrier
	ds_write_b32 v62, v18
	s_waitcnt lgkmcnt(0)
	s_barrier
	ds_read_b32 v64, v61 offset:164
	s_cmp_lt_i32 s22, 43
	v_mov_b32_e32 v62, 41
	s_cbranch_scc1 .LBB108_695
; %bb.693:
	v_add_u32_e32 v67, 0xa8, v61
	v_mov_b32_e32 v62, 41
	s_mov_b32 s0, 42
.LBB108_694:                            ; =>This Inner Loop Header: Depth=1
	ds_read_b32 v68, v67
	v_mov_b32_e32 v69, s0
	s_add_i32 s0, s0, 1
	v_add_u32_e32 v67, 4, v67
	s_cmp_lg_u32 s22, s0
	s_waitcnt lgkmcnt(0)
	v_cmp_lt_f32_e64 vcc, |v64|, |v68|
	s_nop 1
	v_cndmask_b32_e32 v64, v64, v68, vcc
	v_cndmask_b32_e32 v62, v62, v69, vcc
	s_cbranch_scc1 .LBB108_694
.LBB108_695:
	s_waitcnt lgkmcnt(0)
	v_cmp_eq_f32_e32 vcc, 0, v64
	s_and_saveexec_b64 s[0:1], vcc
	s_xor_b64 s[0:1], exec, s[0:1]
; %bb.696:
	v_cmp_ne_u32_e32 vcc, 0, v66
	s_nop 1
	v_cndmask_b32_e32 v66, 42, v66, vcc
; %bb.697:
	s_andn2_saveexec_b64 s[0:1], s[0:1]
	s_cbranch_execz .LBB108_699
; %bb.698:
	v_div_scale_f32 v67, s[2:3], v64, v64, 1.0
	v_rcp_f32_e32 v68, v67
	v_div_scale_f32 v69, vcc, 1.0, v64, 1.0
	v_fma_f32 v70, -v67, v68, 1.0
	v_fmac_f32_e32 v68, v70, v68
	v_mul_f32_e32 v70, v69, v68
	v_fma_f32 v71, -v67, v70, v69
	v_fmac_f32_e32 v70, v71, v68
	v_fma_f32 v67, -v67, v70, v69
	v_div_fmas_f32 v67, v67, v68, v70
	v_div_fixup_f32 v64, v67, v64, 1.0
.LBB108_699:
	s_or_b64 exec, exec, s[0:1]
	v_cmp_ne_u32_e32 vcc, v65, v62
	s_and_saveexec_b64 s[0:1], vcc
	s_xor_b64 s[0:1], exec, s[0:1]
	s_cbranch_execz .LBB108_705
; %bb.700:
	v_cmp_eq_u32_e32 vcc, 41, v65
	s_and_saveexec_b64 s[2:3], vcc
	s_cbranch_execz .LBB108_704
; %bb.701:
	v_cmp_ne_u32_e32 vcc, 41, v62
	s_xor_b64 s[12:13], s[20:21], -1
	s_and_b64 s[14:15], s[12:13], vcc
	s_and_saveexec_b64 s[12:13], s[14:15]
	s_cbranch_execz .LBB108_703
; %bb.702:
	v_ashrrev_i32_e32 v63, 31, v62
	v_lshl_add_u64 v[68:69], v[62:63], 2, v[4:5]
	global_load_dword v63, v[68:69], off
	global_load_dword v65, v[4:5], off offset:164
	s_waitcnt vmcnt(1)
	global_store_dword v[4:5], v63, off offset:164
	s_waitcnt vmcnt(1)
	global_store_dword v[68:69], v65, off
.LBB108_703:
	s_or_b64 exec, exec, s[12:13]
	v_mov_b32_e32 v63, v62
	v_mov_b32_e32 v65, v62
.LBB108_704:
	s_or_b64 exec, exec, s[2:3]
.LBB108_705:
	s_andn2_saveexec_b64 s[0:1], s[0:1]
	s_cbranch_execz .LBB108_707
; %bb.706:
	v_pk_mov_b32 v[68:69], v[18:19], v[24:25] op_sel:[1,0]
	ds_write2_b32 v61, v68, v69 offset0:42 offset1:43
	v_pk_mov_b32 v[68:69], v[24:25], v[16:17] op_sel:[1,0]
	ds_write2_b32 v61, v68, v69 offset0:44 offset1:45
	;; [unrolled: 2-line block ×5, first 2 shown]
	v_pk_mov_b32 v[68:69], v[0:1], v[12:13] op_sel:[1,0]
	v_mov_b32_e32 v65, 41
	ds_write2_b32 v61, v68, v69 offset0:52 offset1:53
	ds_write_b32 v61, v13 offset:216
.LBB108_707:
	s_or_b64 exec, exec, s[0:1]
	v_cmp_lt_i32_e32 vcc, 41, v65
	s_waitcnt lgkmcnt(0)
	s_barrier
	s_and_saveexec_b64 s[0:1], vcc
	s_cbranch_execz .LBB108_709
; %bb.708:
	ds_read_b32 v62, v61 offset:168
	ds_read2_b32 v[68:69], v61 offset0:43 offset1:44
	v_mul_f32_e32 v18, v64, v18
	ds_read2_b32 v[70:71], v61 offset0:45 offset1:46
	ds_read2_b32 v[72:73], v61 offset0:47 offset1:48
	s_waitcnt lgkmcnt(3)
	v_fma_f32 v19, -v18, v62, v19
	s_waitcnt lgkmcnt(2)
	v_pk_fma_f32 v[24:25], v[18:19], v[68:69], v[24:25] op_sel_hi:[0,1,1] neg_lo:[1,0,0] neg_hi:[1,0,0]
	ds_read2_b32 v[68:69], v61 offset0:49 offset1:50
	ds_read2_b32 v[74:75], v61 offset0:51 offset1:52
	;; [unrolled: 1-line block ×3, first 2 shown]
	s_waitcnt lgkmcnt(4)
	v_pk_fma_f32 v[16:17], v[18:19], v[70:71], v[16:17] op_sel_hi:[0,1,1] neg_lo:[1,0,0] neg_hi:[1,0,0]
	s_waitcnt lgkmcnt(3)
	v_pk_fma_f32 v[8:9], v[18:19], v[72:73], v[8:9] op_sel_hi:[0,1,1] neg_lo:[1,0,0] neg_hi:[1,0,0]
	;; [unrolled: 2-line block ×5, first 2 shown]
.LBB108_709:
	s_or_b64 exec, exec, s[0:1]
	v_lshl_add_u32 v62, v65, 2, v61
	s_barrier
	ds_write_b32 v62, v19
	s_waitcnt lgkmcnt(0)
	s_barrier
	ds_read_b32 v64, v61 offset:168
	s_cmp_lt_i32 s22, 44
	v_mov_b32_e32 v62, 42
	s_cbranch_scc1 .LBB108_712
; %bb.710:
	v_add_u32_e32 v67, 0xac, v61
	v_mov_b32_e32 v62, 42
	s_mov_b32 s0, 43
.LBB108_711:                            ; =>This Inner Loop Header: Depth=1
	ds_read_b32 v68, v67
	v_mov_b32_e32 v69, s0
	s_add_i32 s0, s0, 1
	v_add_u32_e32 v67, 4, v67
	s_cmp_lg_u32 s22, s0
	s_waitcnt lgkmcnt(0)
	v_cmp_lt_f32_e64 vcc, |v64|, |v68|
	s_nop 1
	v_cndmask_b32_e32 v64, v64, v68, vcc
	v_cndmask_b32_e32 v62, v62, v69, vcc
	s_cbranch_scc1 .LBB108_711
.LBB108_712:
	s_waitcnt lgkmcnt(0)
	v_cmp_eq_f32_e32 vcc, 0, v64
	s_and_saveexec_b64 s[0:1], vcc
	s_xor_b64 s[0:1], exec, s[0:1]
; %bb.713:
	v_cmp_ne_u32_e32 vcc, 0, v66
	s_nop 1
	v_cndmask_b32_e32 v66, 43, v66, vcc
; %bb.714:
	s_andn2_saveexec_b64 s[0:1], s[0:1]
	s_cbranch_execz .LBB108_716
; %bb.715:
	v_div_scale_f32 v67, s[2:3], v64, v64, 1.0
	v_rcp_f32_e32 v68, v67
	v_div_scale_f32 v69, vcc, 1.0, v64, 1.0
	v_fma_f32 v70, -v67, v68, 1.0
	v_fmac_f32_e32 v68, v70, v68
	v_mul_f32_e32 v70, v69, v68
	v_fma_f32 v71, -v67, v70, v69
	v_fmac_f32_e32 v70, v71, v68
	v_fma_f32 v67, -v67, v70, v69
	v_div_fmas_f32 v67, v67, v68, v70
	v_div_fixup_f32 v64, v67, v64, 1.0
.LBB108_716:
	s_or_b64 exec, exec, s[0:1]
	v_cmp_ne_u32_e32 vcc, v65, v62
	s_and_saveexec_b64 s[0:1], vcc
	s_xor_b64 s[0:1], exec, s[0:1]
	s_cbranch_execz .LBB108_722
; %bb.717:
	v_cmp_eq_u32_e32 vcc, 42, v65
	s_and_saveexec_b64 s[2:3], vcc
	s_cbranch_execz .LBB108_721
; %bb.718:
	v_cmp_ne_u32_e32 vcc, 42, v62
	s_xor_b64 s[12:13], s[20:21], -1
	s_and_b64 s[14:15], s[12:13], vcc
	s_and_saveexec_b64 s[12:13], s[14:15]
	s_cbranch_execz .LBB108_720
; %bb.719:
	v_ashrrev_i32_e32 v63, 31, v62
	v_lshl_add_u64 v[68:69], v[62:63], 2, v[4:5]
	global_load_dword v63, v[68:69], off
	global_load_dword v65, v[4:5], off offset:168
	s_waitcnt vmcnt(1)
	global_store_dword v[4:5], v63, off offset:168
	s_waitcnt vmcnt(1)
	global_store_dword v[68:69], v65, off
.LBB108_720:
	s_or_b64 exec, exec, s[12:13]
	v_mov_b32_e32 v63, v62
	v_mov_b32_e32 v65, v62
.LBB108_721:
	s_or_b64 exec, exec, s[2:3]
.LBB108_722:
	s_andn2_saveexec_b64 s[0:1], s[0:1]
	s_cbranch_execz .LBB108_724
; %bb.723:
	v_mov_b32_e32 v65, 42
	ds_write2_b32 v61, v24, v25 offset0:43 offset1:44
	ds_write2_b32 v61, v16, v17 offset0:45 offset1:46
	;; [unrolled: 1-line block ×6, first 2 shown]
.LBB108_724:
	s_or_b64 exec, exec, s[0:1]
	v_cmp_lt_i32_e32 vcc, 42, v65
	s_waitcnt lgkmcnt(0)
	s_barrier
	s_and_saveexec_b64 s[0:1], vcc
	s_cbranch_execz .LBB108_726
; %bb.725:
	ds_read2_b32 v[68:69], v61 offset0:43 offset1:44
	v_mul_f32_e32 v62, v64, v19
	ds_read2_b32 v[70:71], v61 offset0:45 offset1:46
	ds_read2_b32 v[72:73], v61 offset0:47 offset1:48
	;; [unrolled: 1-line block ×3, first 2 shown]
	v_mov_b32_e32 v19, v62
	s_waitcnt lgkmcnt(2)
	v_pk_fma_f32 v[16:17], v[62:63], v[70:71], v[16:17] op_sel_hi:[0,1,1] neg_lo:[1,0,0] neg_hi:[1,0,0]
	v_pk_fma_f32 v[24:25], v[62:63], v[68:69], v[24:25] op_sel_hi:[0,1,1] neg_lo:[1,0,0] neg_hi:[1,0,0]
	ds_read2_b32 v[68:69], v61 offset0:51 offset1:52
	ds_read2_b32 v[76:77], v61 offset0:53 offset1:54
	s_waitcnt lgkmcnt(3)
	v_pk_fma_f32 v[8:9], v[62:63], v[72:73], v[8:9] op_sel_hi:[0,1,1] neg_lo:[1,0,0] neg_hi:[1,0,0]
	s_waitcnt lgkmcnt(2)
	v_pk_fma_f32 v[10:11], v[62:63], v[74:75], v[10:11] op_sel_hi:[0,1,1] neg_lo:[1,0,0] neg_hi:[1,0,0]
	;; [unrolled: 2-line block ×4, first 2 shown]
.LBB108_726:
	s_or_b64 exec, exec, s[0:1]
	v_lshl_add_u32 v62, v65, 2, v61
	s_barrier
	ds_write_b32 v62, v24
	s_waitcnt lgkmcnt(0)
	s_barrier
	ds_read_b32 v64, v61 offset:172
	s_cmp_lt_i32 s22, 45
	v_mov_b32_e32 v62, 43
	s_cbranch_scc1 .LBB108_729
; %bb.727:
	v_add_u32_e32 v67, 0xb0, v61
	v_mov_b32_e32 v62, 43
	s_mov_b32 s0, 44
.LBB108_728:                            ; =>This Inner Loop Header: Depth=1
	ds_read_b32 v68, v67
	v_mov_b32_e32 v69, s0
	s_add_i32 s0, s0, 1
	v_add_u32_e32 v67, 4, v67
	s_cmp_lg_u32 s22, s0
	s_waitcnt lgkmcnt(0)
	v_cmp_lt_f32_e64 vcc, |v64|, |v68|
	s_nop 1
	v_cndmask_b32_e32 v64, v64, v68, vcc
	v_cndmask_b32_e32 v62, v62, v69, vcc
	s_cbranch_scc1 .LBB108_728
.LBB108_729:
	s_waitcnt lgkmcnt(0)
	v_cmp_eq_f32_e32 vcc, 0, v64
	s_and_saveexec_b64 s[0:1], vcc
	s_xor_b64 s[0:1], exec, s[0:1]
; %bb.730:
	v_cmp_ne_u32_e32 vcc, 0, v66
	s_nop 1
	v_cndmask_b32_e32 v66, 44, v66, vcc
; %bb.731:
	s_andn2_saveexec_b64 s[0:1], s[0:1]
	s_cbranch_execz .LBB108_733
; %bb.732:
	v_div_scale_f32 v67, s[2:3], v64, v64, 1.0
	v_rcp_f32_e32 v68, v67
	v_div_scale_f32 v69, vcc, 1.0, v64, 1.0
	v_fma_f32 v70, -v67, v68, 1.0
	v_fmac_f32_e32 v68, v70, v68
	v_mul_f32_e32 v70, v69, v68
	v_fma_f32 v71, -v67, v70, v69
	v_fmac_f32_e32 v70, v71, v68
	v_fma_f32 v67, -v67, v70, v69
	v_div_fmas_f32 v67, v67, v68, v70
	v_div_fixup_f32 v64, v67, v64, 1.0
.LBB108_733:
	s_or_b64 exec, exec, s[0:1]
	v_cmp_ne_u32_e32 vcc, v65, v62
	s_and_saveexec_b64 s[0:1], vcc
	s_xor_b64 s[0:1], exec, s[0:1]
	s_cbranch_execz .LBB108_739
; %bb.734:
	v_cmp_eq_u32_e32 vcc, 43, v65
	s_and_saveexec_b64 s[2:3], vcc
	s_cbranch_execz .LBB108_738
; %bb.735:
	v_cmp_ne_u32_e32 vcc, 43, v62
	s_xor_b64 s[12:13], s[20:21], -1
	s_and_b64 s[14:15], s[12:13], vcc
	s_and_saveexec_b64 s[12:13], s[14:15]
	s_cbranch_execz .LBB108_737
; %bb.736:
	v_ashrrev_i32_e32 v63, 31, v62
	v_lshl_add_u64 v[68:69], v[62:63], 2, v[4:5]
	global_load_dword v63, v[68:69], off
	global_load_dword v65, v[4:5], off offset:172
	s_waitcnt vmcnt(1)
	global_store_dword v[4:5], v63, off offset:172
	s_waitcnt vmcnt(1)
	global_store_dword v[68:69], v65, off
.LBB108_737:
	s_or_b64 exec, exec, s[12:13]
	v_mov_b32_e32 v63, v62
	v_mov_b32_e32 v65, v62
.LBB108_738:
	s_or_b64 exec, exec, s[2:3]
.LBB108_739:
	s_andn2_saveexec_b64 s[0:1], s[0:1]
	s_cbranch_execz .LBB108_741
; %bb.740:
	v_pk_mov_b32 v[68:69], v[24:25], v[16:17] op_sel:[1,0]
	ds_write2_b32 v61, v68, v69 offset0:44 offset1:45
	v_pk_mov_b32 v[68:69], v[16:17], v[8:9] op_sel:[1,0]
	ds_write2_b32 v61, v68, v69 offset0:46 offset1:47
	v_pk_mov_b32 v[68:69], v[8:9], v[10:11] op_sel:[1,0]
	ds_write2_b32 v61, v68, v69 offset0:48 offset1:49
	v_pk_mov_b32 v[68:69], v[10:11], v[0:1] op_sel:[1,0]
	ds_write2_b32 v61, v68, v69 offset0:50 offset1:51
	v_pk_mov_b32 v[68:69], v[0:1], v[12:13] op_sel:[1,0]
	v_mov_b32_e32 v65, 43
	ds_write2_b32 v61, v68, v69 offset0:52 offset1:53
	ds_write_b32 v61, v13 offset:216
.LBB108_741:
	s_or_b64 exec, exec, s[0:1]
	v_cmp_lt_i32_e32 vcc, 43, v65
	s_waitcnt lgkmcnt(0)
	s_barrier
	s_and_saveexec_b64 s[0:1], vcc
	s_cbranch_execz .LBB108_743
; %bb.742:
	ds_read_b32 v62, v61 offset:176
	ds_read2_b32 v[68:69], v61 offset0:45 offset1:46
	ds_read2_b32 v[70:71], v61 offset0:47 offset1:48
	;; [unrolled: 1-line block ×5, first 2 shown]
	v_mul_f32_e32 v24, v64, v24
	s_waitcnt lgkmcnt(5)
	v_fma_f32 v25, -v24, v62, v25
	s_waitcnt lgkmcnt(4)
	v_pk_fma_f32 v[16:17], v[24:25], v[68:69], v[16:17] op_sel_hi:[0,1,1] neg_lo:[1,0,0] neg_hi:[1,0,0]
	s_waitcnt lgkmcnt(3)
	v_pk_fma_f32 v[8:9], v[24:25], v[70:71], v[8:9] op_sel_hi:[0,1,1] neg_lo:[1,0,0] neg_hi:[1,0,0]
	;; [unrolled: 2-line block ×5, first 2 shown]
.LBB108_743:
	s_or_b64 exec, exec, s[0:1]
	v_lshl_add_u32 v62, v65, 2, v61
	s_barrier
	ds_write_b32 v62, v25
	s_waitcnt lgkmcnt(0)
	s_barrier
	ds_read_b32 v64, v61 offset:176
	s_cmp_lt_i32 s22, 46
	v_mov_b32_e32 v62, 44
	s_cbranch_scc1 .LBB108_746
; %bb.744:
	v_add_u32_e32 v67, 0xb4, v61
	v_mov_b32_e32 v62, 44
	s_mov_b32 s0, 45
.LBB108_745:                            ; =>This Inner Loop Header: Depth=1
	ds_read_b32 v68, v67
	v_mov_b32_e32 v69, s0
	s_add_i32 s0, s0, 1
	v_add_u32_e32 v67, 4, v67
	s_cmp_lg_u32 s22, s0
	s_waitcnt lgkmcnt(0)
	v_cmp_lt_f32_e64 vcc, |v64|, |v68|
	s_nop 1
	v_cndmask_b32_e32 v64, v64, v68, vcc
	v_cndmask_b32_e32 v62, v62, v69, vcc
	s_cbranch_scc1 .LBB108_745
.LBB108_746:
	s_waitcnt lgkmcnt(0)
	v_cmp_eq_f32_e32 vcc, 0, v64
	s_and_saveexec_b64 s[0:1], vcc
	s_xor_b64 s[0:1], exec, s[0:1]
; %bb.747:
	v_cmp_ne_u32_e32 vcc, 0, v66
	s_nop 1
	v_cndmask_b32_e32 v66, 45, v66, vcc
; %bb.748:
	s_andn2_saveexec_b64 s[0:1], s[0:1]
	s_cbranch_execz .LBB108_750
; %bb.749:
	v_div_scale_f32 v67, s[2:3], v64, v64, 1.0
	v_rcp_f32_e32 v68, v67
	v_div_scale_f32 v69, vcc, 1.0, v64, 1.0
	v_fma_f32 v70, -v67, v68, 1.0
	v_fmac_f32_e32 v68, v70, v68
	v_mul_f32_e32 v70, v69, v68
	v_fma_f32 v71, -v67, v70, v69
	v_fmac_f32_e32 v70, v71, v68
	v_fma_f32 v67, -v67, v70, v69
	v_div_fmas_f32 v67, v67, v68, v70
	v_div_fixup_f32 v64, v67, v64, 1.0
.LBB108_750:
	s_or_b64 exec, exec, s[0:1]
	v_cmp_ne_u32_e32 vcc, v65, v62
	s_and_saveexec_b64 s[0:1], vcc
	s_xor_b64 s[0:1], exec, s[0:1]
	s_cbranch_execz .LBB108_756
; %bb.751:
	v_cmp_eq_u32_e32 vcc, 44, v65
	s_and_saveexec_b64 s[2:3], vcc
	s_cbranch_execz .LBB108_755
; %bb.752:
	v_cmp_ne_u32_e32 vcc, 44, v62
	s_xor_b64 s[12:13], s[20:21], -1
	s_and_b64 s[14:15], s[12:13], vcc
	s_and_saveexec_b64 s[12:13], s[14:15]
	s_cbranch_execz .LBB108_754
; %bb.753:
	v_ashrrev_i32_e32 v63, 31, v62
	v_lshl_add_u64 v[68:69], v[62:63], 2, v[4:5]
	global_load_dword v63, v[68:69], off
	global_load_dword v65, v[4:5], off offset:176
	s_waitcnt vmcnt(1)
	global_store_dword v[4:5], v63, off offset:176
	s_waitcnt vmcnt(1)
	global_store_dword v[68:69], v65, off
.LBB108_754:
	s_or_b64 exec, exec, s[12:13]
	v_mov_b32_e32 v63, v62
	v_mov_b32_e32 v65, v62
.LBB108_755:
	s_or_b64 exec, exec, s[2:3]
.LBB108_756:
	s_andn2_saveexec_b64 s[0:1], s[0:1]
	s_cbranch_execz .LBB108_758
; %bb.757:
	v_mov_b32_e32 v65, 44
	ds_write2_b32 v61, v16, v17 offset0:45 offset1:46
	ds_write2_b32 v61, v8, v9 offset0:47 offset1:48
	;; [unrolled: 1-line block ×5, first 2 shown]
.LBB108_758:
	s_or_b64 exec, exec, s[0:1]
	v_cmp_lt_i32_e32 vcc, 44, v65
	s_waitcnt lgkmcnt(0)
	s_barrier
	s_and_saveexec_b64 s[0:1], vcc
	s_cbranch_execz .LBB108_760
; %bb.759:
	ds_read2_b32 v[68:69], v61 offset0:45 offset1:46
	ds_read2_b32 v[70:71], v61 offset0:47 offset1:48
	;; [unrolled: 1-line block ×5, first 2 shown]
	v_mul_f32_e32 v62, v64, v25
	s_waitcnt lgkmcnt(4)
	v_pk_fma_f32 v[16:17], v[62:63], v[68:69], v[16:17] op_sel_hi:[0,1,1] neg_lo:[1,0,0] neg_hi:[1,0,0]
	s_waitcnt lgkmcnt(3)
	v_pk_fma_f32 v[8:9], v[62:63], v[70:71], v[8:9] op_sel_hi:[0,1,1] neg_lo:[1,0,0] neg_hi:[1,0,0]
	;; [unrolled: 2-line block ×5, first 2 shown]
	v_mov_b32_e32 v25, v62
.LBB108_760:
	s_or_b64 exec, exec, s[0:1]
	v_lshl_add_u32 v62, v65, 2, v61
	s_barrier
	ds_write_b32 v62, v16
	s_waitcnt lgkmcnt(0)
	s_barrier
	ds_read_b32 v64, v61 offset:180
	s_cmp_lt_i32 s22, 47
	v_mov_b32_e32 v62, 45
	s_cbranch_scc1 .LBB108_763
; %bb.761:
	v_add_u32_e32 v67, 0xb8, v61
	v_mov_b32_e32 v62, 45
	s_mov_b32 s0, 46
.LBB108_762:                            ; =>This Inner Loop Header: Depth=1
	ds_read_b32 v68, v67
	v_mov_b32_e32 v69, s0
	s_add_i32 s0, s0, 1
	v_add_u32_e32 v67, 4, v67
	s_cmp_lg_u32 s22, s0
	s_waitcnt lgkmcnt(0)
	v_cmp_lt_f32_e64 vcc, |v64|, |v68|
	s_nop 1
	v_cndmask_b32_e32 v64, v64, v68, vcc
	v_cndmask_b32_e32 v62, v62, v69, vcc
	s_cbranch_scc1 .LBB108_762
.LBB108_763:
	s_waitcnt lgkmcnt(0)
	v_cmp_eq_f32_e32 vcc, 0, v64
	s_and_saveexec_b64 s[0:1], vcc
	s_xor_b64 s[0:1], exec, s[0:1]
; %bb.764:
	v_cmp_ne_u32_e32 vcc, 0, v66
	s_nop 1
	v_cndmask_b32_e32 v66, 46, v66, vcc
; %bb.765:
	s_andn2_saveexec_b64 s[0:1], s[0:1]
	s_cbranch_execz .LBB108_767
; %bb.766:
	v_div_scale_f32 v67, s[2:3], v64, v64, 1.0
	v_rcp_f32_e32 v68, v67
	v_div_scale_f32 v69, vcc, 1.0, v64, 1.0
	v_fma_f32 v70, -v67, v68, 1.0
	v_fmac_f32_e32 v68, v70, v68
	v_mul_f32_e32 v70, v69, v68
	v_fma_f32 v71, -v67, v70, v69
	v_fmac_f32_e32 v70, v71, v68
	v_fma_f32 v67, -v67, v70, v69
	v_div_fmas_f32 v67, v67, v68, v70
	v_div_fixup_f32 v64, v67, v64, 1.0
.LBB108_767:
	s_or_b64 exec, exec, s[0:1]
	v_cmp_ne_u32_e32 vcc, v65, v62
	s_and_saveexec_b64 s[0:1], vcc
	s_xor_b64 s[0:1], exec, s[0:1]
	s_cbranch_execz .LBB108_773
; %bb.768:
	v_cmp_eq_u32_e32 vcc, 45, v65
	s_and_saveexec_b64 s[2:3], vcc
	s_cbranch_execz .LBB108_772
; %bb.769:
	v_cmp_ne_u32_e32 vcc, 45, v62
	s_xor_b64 s[12:13], s[20:21], -1
	s_and_b64 s[14:15], s[12:13], vcc
	s_and_saveexec_b64 s[12:13], s[14:15]
	s_cbranch_execz .LBB108_771
; %bb.770:
	v_ashrrev_i32_e32 v63, 31, v62
	v_lshl_add_u64 v[68:69], v[62:63], 2, v[4:5]
	global_load_dword v63, v[68:69], off
	global_load_dword v65, v[4:5], off offset:180
	s_waitcnt vmcnt(1)
	global_store_dword v[4:5], v63, off offset:180
	s_waitcnt vmcnt(1)
	global_store_dword v[68:69], v65, off
.LBB108_771:
	s_or_b64 exec, exec, s[12:13]
	v_mov_b32_e32 v63, v62
	v_mov_b32_e32 v65, v62
.LBB108_772:
	s_or_b64 exec, exec, s[2:3]
.LBB108_773:
	s_andn2_saveexec_b64 s[0:1], s[0:1]
	s_cbranch_execz .LBB108_775
; %bb.774:
	v_pk_mov_b32 v[68:69], v[16:17], v[8:9] op_sel:[1,0]
	ds_write2_b32 v61, v68, v69 offset0:46 offset1:47
	v_pk_mov_b32 v[68:69], v[8:9], v[10:11] op_sel:[1,0]
	ds_write2_b32 v61, v68, v69 offset0:48 offset1:49
	;; [unrolled: 2-line block ×3, first 2 shown]
	v_pk_mov_b32 v[68:69], v[0:1], v[12:13] op_sel:[1,0]
	v_mov_b32_e32 v65, 45
	ds_write2_b32 v61, v68, v69 offset0:52 offset1:53
	ds_write_b32 v61, v13 offset:216
.LBB108_775:
	s_or_b64 exec, exec, s[0:1]
	v_cmp_lt_i32_e32 vcc, 45, v65
	s_waitcnt lgkmcnt(0)
	s_barrier
	s_and_saveexec_b64 s[0:1], vcc
	s_cbranch_execz .LBB108_777
; %bb.776:
	ds_read_b32 v62, v61 offset:184
	ds_read2_b32 v[68:69], v61 offset0:47 offset1:48
	ds_read2_b32 v[70:71], v61 offset0:49 offset1:50
	;; [unrolled: 1-line block ×4, first 2 shown]
	v_mul_f32_e32 v16, v64, v16
	s_waitcnt lgkmcnt(4)
	v_fma_f32 v17, -v16, v62, v17
	s_waitcnt lgkmcnt(3)
	v_pk_fma_f32 v[8:9], v[16:17], v[68:69], v[8:9] op_sel_hi:[0,1,1] neg_lo:[1,0,0] neg_hi:[1,0,0]
	s_waitcnt lgkmcnt(2)
	v_pk_fma_f32 v[10:11], v[16:17], v[70:71], v[10:11] op_sel_hi:[0,1,1] neg_lo:[1,0,0] neg_hi:[1,0,0]
	;; [unrolled: 2-line block ×4, first 2 shown]
.LBB108_777:
	s_or_b64 exec, exec, s[0:1]
	v_lshl_add_u32 v62, v65, 2, v61
	s_barrier
	ds_write_b32 v62, v17
	s_waitcnt lgkmcnt(0)
	s_barrier
	ds_read_b32 v64, v61 offset:184
	s_cmp_lt_i32 s22, 48
	v_mov_b32_e32 v62, 46
	s_cbranch_scc1 .LBB108_780
; %bb.778:
	v_add_u32_e32 v67, 0xbc, v61
	v_mov_b32_e32 v62, 46
	s_mov_b32 s0, 47
.LBB108_779:                            ; =>This Inner Loop Header: Depth=1
	ds_read_b32 v68, v67
	v_mov_b32_e32 v69, s0
	s_add_i32 s0, s0, 1
	v_add_u32_e32 v67, 4, v67
	s_cmp_lg_u32 s22, s0
	s_waitcnt lgkmcnt(0)
	v_cmp_lt_f32_e64 vcc, |v64|, |v68|
	s_nop 1
	v_cndmask_b32_e32 v64, v64, v68, vcc
	v_cndmask_b32_e32 v62, v62, v69, vcc
	s_cbranch_scc1 .LBB108_779
.LBB108_780:
	s_waitcnt lgkmcnt(0)
	v_cmp_eq_f32_e32 vcc, 0, v64
	s_and_saveexec_b64 s[0:1], vcc
	s_xor_b64 s[0:1], exec, s[0:1]
; %bb.781:
	v_cmp_ne_u32_e32 vcc, 0, v66
	s_nop 1
	v_cndmask_b32_e32 v66, 47, v66, vcc
; %bb.782:
	s_andn2_saveexec_b64 s[0:1], s[0:1]
	s_cbranch_execz .LBB108_784
; %bb.783:
	v_div_scale_f32 v67, s[2:3], v64, v64, 1.0
	v_rcp_f32_e32 v68, v67
	v_div_scale_f32 v69, vcc, 1.0, v64, 1.0
	v_fma_f32 v70, -v67, v68, 1.0
	v_fmac_f32_e32 v68, v70, v68
	v_mul_f32_e32 v70, v69, v68
	v_fma_f32 v71, -v67, v70, v69
	v_fmac_f32_e32 v70, v71, v68
	v_fma_f32 v67, -v67, v70, v69
	v_div_fmas_f32 v67, v67, v68, v70
	v_div_fixup_f32 v64, v67, v64, 1.0
.LBB108_784:
	s_or_b64 exec, exec, s[0:1]
	v_cmp_ne_u32_e32 vcc, v65, v62
	s_and_saveexec_b64 s[0:1], vcc
	s_xor_b64 s[0:1], exec, s[0:1]
	s_cbranch_execz .LBB108_790
; %bb.785:
	v_cmp_eq_u32_e32 vcc, 46, v65
	s_and_saveexec_b64 s[2:3], vcc
	s_cbranch_execz .LBB108_789
; %bb.786:
	v_cmp_ne_u32_e32 vcc, 46, v62
	s_xor_b64 s[12:13], s[20:21], -1
	s_and_b64 s[14:15], s[12:13], vcc
	s_and_saveexec_b64 s[12:13], s[14:15]
	s_cbranch_execz .LBB108_788
; %bb.787:
	v_ashrrev_i32_e32 v63, 31, v62
	v_lshl_add_u64 v[68:69], v[62:63], 2, v[4:5]
	global_load_dword v63, v[68:69], off
	global_load_dword v65, v[4:5], off offset:184
	s_waitcnt vmcnt(1)
	global_store_dword v[4:5], v63, off offset:184
	s_waitcnt vmcnt(1)
	global_store_dword v[68:69], v65, off
.LBB108_788:
	s_or_b64 exec, exec, s[12:13]
	v_mov_b32_e32 v63, v62
	v_mov_b32_e32 v65, v62
.LBB108_789:
	s_or_b64 exec, exec, s[2:3]
.LBB108_790:
	s_andn2_saveexec_b64 s[0:1], s[0:1]
	s_cbranch_execz .LBB108_792
; %bb.791:
	v_mov_b32_e32 v65, 46
	ds_write2_b32 v61, v8, v9 offset0:47 offset1:48
	ds_write2_b32 v61, v10, v11 offset0:49 offset1:50
	;; [unrolled: 1-line block ×4, first 2 shown]
.LBB108_792:
	s_or_b64 exec, exec, s[0:1]
	v_cmp_lt_i32_e32 vcc, 46, v65
	s_waitcnt lgkmcnt(0)
	s_barrier
	s_and_saveexec_b64 s[0:1], vcc
	s_cbranch_execz .LBB108_794
; %bb.793:
	ds_read2_b32 v[68:69], v61 offset0:47 offset1:48
	ds_read2_b32 v[70:71], v61 offset0:49 offset1:50
	;; [unrolled: 1-line block ×4, first 2 shown]
	v_mul_f32_e32 v62, v64, v17
	s_waitcnt lgkmcnt(3)
	v_pk_fma_f32 v[8:9], v[62:63], v[68:69], v[8:9] op_sel_hi:[0,1,1] neg_lo:[1,0,0] neg_hi:[1,0,0]
	s_waitcnt lgkmcnt(2)
	v_pk_fma_f32 v[10:11], v[62:63], v[70:71], v[10:11] op_sel_hi:[0,1,1] neg_lo:[1,0,0] neg_hi:[1,0,0]
	;; [unrolled: 2-line block ×4, first 2 shown]
	v_mov_b32_e32 v17, v62
.LBB108_794:
	s_or_b64 exec, exec, s[0:1]
	v_lshl_add_u32 v62, v65, 2, v61
	s_barrier
	ds_write_b32 v62, v8
	s_waitcnt lgkmcnt(0)
	s_barrier
	ds_read_b32 v64, v61 offset:188
	s_cmp_lt_i32 s22, 49
	v_mov_b32_e32 v62, 47
	s_cbranch_scc1 .LBB108_797
; %bb.795:
	v_add_u32_e32 v67, 0xc0, v61
	v_mov_b32_e32 v62, 47
	s_mov_b32 s0, 48
.LBB108_796:                            ; =>This Inner Loop Header: Depth=1
	ds_read_b32 v68, v67
	v_mov_b32_e32 v69, s0
	s_add_i32 s0, s0, 1
	v_add_u32_e32 v67, 4, v67
	s_cmp_lg_u32 s22, s0
	s_waitcnt lgkmcnt(0)
	v_cmp_lt_f32_e64 vcc, |v64|, |v68|
	s_nop 1
	v_cndmask_b32_e32 v64, v64, v68, vcc
	v_cndmask_b32_e32 v62, v62, v69, vcc
	s_cbranch_scc1 .LBB108_796
.LBB108_797:
	s_waitcnt lgkmcnt(0)
	v_cmp_eq_f32_e32 vcc, 0, v64
	s_and_saveexec_b64 s[0:1], vcc
	s_xor_b64 s[0:1], exec, s[0:1]
; %bb.798:
	v_cmp_ne_u32_e32 vcc, 0, v66
	s_nop 1
	v_cndmask_b32_e32 v66, 48, v66, vcc
; %bb.799:
	s_andn2_saveexec_b64 s[0:1], s[0:1]
	s_cbranch_execz .LBB108_801
; %bb.800:
	v_div_scale_f32 v67, s[2:3], v64, v64, 1.0
	v_rcp_f32_e32 v68, v67
	v_div_scale_f32 v69, vcc, 1.0, v64, 1.0
	v_fma_f32 v70, -v67, v68, 1.0
	v_fmac_f32_e32 v68, v70, v68
	v_mul_f32_e32 v70, v69, v68
	v_fma_f32 v71, -v67, v70, v69
	v_fmac_f32_e32 v70, v71, v68
	v_fma_f32 v67, -v67, v70, v69
	v_div_fmas_f32 v67, v67, v68, v70
	v_div_fixup_f32 v64, v67, v64, 1.0
.LBB108_801:
	s_or_b64 exec, exec, s[0:1]
	v_cmp_ne_u32_e32 vcc, v65, v62
	s_and_saveexec_b64 s[0:1], vcc
	s_xor_b64 s[0:1], exec, s[0:1]
	s_cbranch_execz .LBB108_807
; %bb.802:
	v_cmp_eq_u32_e32 vcc, 47, v65
	s_and_saveexec_b64 s[2:3], vcc
	s_cbranch_execz .LBB108_806
; %bb.803:
	v_cmp_ne_u32_e32 vcc, 47, v62
	s_xor_b64 s[12:13], s[20:21], -1
	s_and_b64 s[14:15], s[12:13], vcc
	s_and_saveexec_b64 s[12:13], s[14:15]
	s_cbranch_execz .LBB108_805
; %bb.804:
	v_ashrrev_i32_e32 v63, 31, v62
	v_lshl_add_u64 v[68:69], v[62:63], 2, v[4:5]
	global_load_dword v63, v[68:69], off
	global_load_dword v65, v[4:5], off offset:188
	s_waitcnt vmcnt(1)
	global_store_dword v[4:5], v63, off offset:188
	s_waitcnt vmcnt(1)
	global_store_dword v[68:69], v65, off
.LBB108_805:
	s_or_b64 exec, exec, s[12:13]
	v_mov_b32_e32 v63, v62
	v_mov_b32_e32 v65, v62
.LBB108_806:
	s_or_b64 exec, exec, s[2:3]
.LBB108_807:
	s_andn2_saveexec_b64 s[0:1], s[0:1]
	s_cbranch_execz .LBB108_809
; %bb.808:
	v_pk_mov_b32 v[68:69], v[8:9], v[10:11] op_sel:[1,0]
	ds_write2_b32 v61, v68, v69 offset0:48 offset1:49
	v_pk_mov_b32 v[68:69], v[10:11], v[0:1] op_sel:[1,0]
	ds_write2_b32 v61, v68, v69 offset0:50 offset1:51
	v_pk_mov_b32 v[68:69], v[0:1], v[12:13] op_sel:[1,0]
	v_mov_b32_e32 v65, 47
	ds_write2_b32 v61, v68, v69 offset0:52 offset1:53
	ds_write_b32 v61, v13 offset:216
.LBB108_809:
	s_or_b64 exec, exec, s[0:1]
	v_cmp_lt_i32_e32 vcc, 47, v65
	s_waitcnt lgkmcnt(0)
	s_barrier
	s_and_saveexec_b64 s[0:1], vcc
	s_cbranch_execz .LBB108_811
; %bb.810:
	ds_read_b32 v62, v61 offset:192
	ds_read2_b32 v[68:69], v61 offset0:49 offset1:50
	ds_read2_b32 v[70:71], v61 offset0:51 offset1:52
	;; [unrolled: 1-line block ×3, first 2 shown]
	v_mul_f32_e32 v8, v64, v8
	s_waitcnt lgkmcnt(3)
	v_fma_f32 v9, -v8, v62, v9
	s_waitcnt lgkmcnt(2)
	v_pk_fma_f32 v[10:11], v[8:9], v[68:69], v[10:11] op_sel_hi:[0,1,1] neg_lo:[1,0,0] neg_hi:[1,0,0]
	s_waitcnt lgkmcnt(1)
	v_pk_fma_f32 v[0:1], v[8:9], v[70:71], v[0:1] op_sel_hi:[0,1,1] neg_lo:[1,0,0] neg_hi:[1,0,0]
	s_waitcnt lgkmcnt(0)
	v_pk_fma_f32 v[12:13], v[8:9], v[72:73], v[12:13] op_sel_hi:[0,1,1] neg_lo:[1,0,0] neg_hi:[1,0,0]
.LBB108_811:
	s_or_b64 exec, exec, s[0:1]
	v_lshl_add_u32 v62, v65, 2, v61
	s_barrier
	ds_write_b32 v62, v9
	s_waitcnt lgkmcnt(0)
	s_barrier
	ds_read_b32 v64, v61 offset:192
	s_cmp_lt_i32 s22, 50
	v_mov_b32_e32 v62, 48
	s_cbranch_scc1 .LBB108_814
; %bb.812:
	v_add_u32_e32 v67, 0xc4, v61
	v_mov_b32_e32 v62, 48
	s_mov_b32 s0, 49
.LBB108_813:                            ; =>This Inner Loop Header: Depth=1
	ds_read_b32 v68, v67
	v_mov_b32_e32 v69, s0
	s_add_i32 s0, s0, 1
	v_add_u32_e32 v67, 4, v67
	s_cmp_lg_u32 s22, s0
	s_waitcnt lgkmcnt(0)
	v_cmp_lt_f32_e64 vcc, |v64|, |v68|
	s_nop 1
	v_cndmask_b32_e32 v64, v64, v68, vcc
	v_cndmask_b32_e32 v62, v62, v69, vcc
	s_cbranch_scc1 .LBB108_813
.LBB108_814:
	s_waitcnt lgkmcnt(0)
	v_cmp_eq_f32_e32 vcc, 0, v64
	s_and_saveexec_b64 s[0:1], vcc
	s_xor_b64 s[0:1], exec, s[0:1]
; %bb.815:
	v_cmp_ne_u32_e32 vcc, 0, v66
	s_nop 1
	v_cndmask_b32_e32 v66, 49, v66, vcc
; %bb.816:
	s_andn2_saveexec_b64 s[0:1], s[0:1]
	s_cbranch_execz .LBB108_818
; %bb.817:
	v_div_scale_f32 v67, s[2:3], v64, v64, 1.0
	v_rcp_f32_e32 v68, v67
	v_div_scale_f32 v69, vcc, 1.0, v64, 1.0
	v_fma_f32 v70, -v67, v68, 1.0
	v_fmac_f32_e32 v68, v70, v68
	v_mul_f32_e32 v70, v69, v68
	v_fma_f32 v71, -v67, v70, v69
	v_fmac_f32_e32 v70, v71, v68
	v_fma_f32 v67, -v67, v70, v69
	v_div_fmas_f32 v67, v67, v68, v70
	v_div_fixup_f32 v64, v67, v64, 1.0
.LBB108_818:
	s_or_b64 exec, exec, s[0:1]
	v_cmp_ne_u32_e32 vcc, v65, v62
	s_and_saveexec_b64 s[0:1], vcc
	s_xor_b64 s[0:1], exec, s[0:1]
	s_cbranch_execz .LBB108_824
; %bb.819:
	v_cmp_eq_u32_e32 vcc, 48, v65
	s_and_saveexec_b64 s[2:3], vcc
	s_cbranch_execz .LBB108_823
; %bb.820:
	v_cmp_ne_u32_e32 vcc, 48, v62
	s_xor_b64 s[12:13], s[20:21], -1
	s_and_b64 s[14:15], s[12:13], vcc
	s_and_saveexec_b64 s[12:13], s[14:15]
	s_cbranch_execz .LBB108_822
; %bb.821:
	v_ashrrev_i32_e32 v63, 31, v62
	v_lshl_add_u64 v[68:69], v[62:63], 2, v[4:5]
	global_load_dword v63, v[68:69], off
	global_load_dword v65, v[4:5], off offset:192
	s_waitcnt vmcnt(1)
	global_store_dword v[4:5], v63, off offset:192
	s_waitcnt vmcnt(1)
	global_store_dword v[68:69], v65, off
.LBB108_822:
	s_or_b64 exec, exec, s[12:13]
	v_mov_b32_e32 v63, v62
	v_mov_b32_e32 v65, v62
.LBB108_823:
	s_or_b64 exec, exec, s[2:3]
.LBB108_824:
	s_andn2_saveexec_b64 s[0:1], s[0:1]
	s_cbranch_execz .LBB108_826
; %bb.825:
	v_mov_b32_e32 v65, 48
	ds_write2_b32 v61, v10, v11 offset0:49 offset1:50
	ds_write2_b32 v61, v0, v1 offset0:51 offset1:52
	;; [unrolled: 1-line block ×3, first 2 shown]
.LBB108_826:
	s_or_b64 exec, exec, s[0:1]
	v_cmp_lt_i32_e32 vcc, 48, v65
	s_waitcnt lgkmcnt(0)
	s_barrier
	s_and_saveexec_b64 s[0:1], vcc
	s_cbranch_execz .LBB108_828
; %bb.827:
	ds_read2_b32 v[68:69], v61 offset0:49 offset1:50
	ds_read2_b32 v[70:71], v61 offset0:51 offset1:52
	;; [unrolled: 1-line block ×3, first 2 shown]
	v_mul_f32_e32 v62, v64, v9
	v_mov_b32_e32 v9, v62
	s_waitcnt lgkmcnt(2)
	v_pk_fma_f32 v[10:11], v[62:63], v[68:69], v[10:11] op_sel_hi:[0,1,1] neg_lo:[1,0,0] neg_hi:[1,0,0]
	s_waitcnt lgkmcnt(1)
	v_pk_fma_f32 v[0:1], v[62:63], v[70:71], v[0:1] op_sel_hi:[0,1,1] neg_lo:[1,0,0] neg_hi:[1,0,0]
	;; [unrolled: 2-line block ×3, first 2 shown]
.LBB108_828:
	s_or_b64 exec, exec, s[0:1]
	v_lshl_add_u32 v62, v65, 2, v61
	s_barrier
	ds_write_b32 v62, v10
	s_waitcnt lgkmcnt(0)
	s_barrier
	ds_read_b32 v64, v61 offset:196
	s_cmp_lt_i32 s22, 51
	v_mov_b32_e32 v62, 49
	s_cbranch_scc1 .LBB108_831
; %bb.829:
	v_add_u32_e32 v67, 0xc8, v61
	v_mov_b32_e32 v62, 49
	s_mov_b32 s0, 50
.LBB108_830:                            ; =>This Inner Loop Header: Depth=1
	ds_read_b32 v68, v67
	v_mov_b32_e32 v69, s0
	s_add_i32 s0, s0, 1
	v_add_u32_e32 v67, 4, v67
	s_cmp_lg_u32 s22, s0
	s_waitcnt lgkmcnt(0)
	v_cmp_lt_f32_e64 vcc, |v64|, |v68|
	s_nop 1
	v_cndmask_b32_e32 v64, v64, v68, vcc
	v_cndmask_b32_e32 v62, v62, v69, vcc
	s_cbranch_scc1 .LBB108_830
.LBB108_831:
	s_waitcnt lgkmcnt(0)
	v_cmp_eq_f32_e32 vcc, 0, v64
	s_and_saveexec_b64 s[0:1], vcc
	s_xor_b64 s[0:1], exec, s[0:1]
; %bb.832:
	v_cmp_ne_u32_e32 vcc, 0, v66
	s_nop 1
	v_cndmask_b32_e32 v66, 50, v66, vcc
; %bb.833:
	s_andn2_saveexec_b64 s[0:1], s[0:1]
	s_cbranch_execz .LBB108_835
; %bb.834:
	v_div_scale_f32 v67, s[2:3], v64, v64, 1.0
	v_rcp_f32_e32 v68, v67
	v_div_scale_f32 v69, vcc, 1.0, v64, 1.0
	v_fma_f32 v70, -v67, v68, 1.0
	v_fmac_f32_e32 v68, v70, v68
	v_mul_f32_e32 v70, v69, v68
	v_fma_f32 v71, -v67, v70, v69
	v_fmac_f32_e32 v70, v71, v68
	v_fma_f32 v67, -v67, v70, v69
	v_div_fmas_f32 v67, v67, v68, v70
	v_div_fixup_f32 v64, v67, v64, 1.0
.LBB108_835:
	s_or_b64 exec, exec, s[0:1]
	v_cmp_ne_u32_e32 vcc, v65, v62
	s_and_saveexec_b64 s[0:1], vcc
	s_xor_b64 s[0:1], exec, s[0:1]
	s_cbranch_execz .LBB108_841
; %bb.836:
	v_cmp_eq_u32_e32 vcc, 49, v65
	s_and_saveexec_b64 s[2:3], vcc
	s_cbranch_execz .LBB108_840
; %bb.837:
	v_cmp_ne_u32_e32 vcc, 49, v62
	s_xor_b64 s[12:13], s[20:21], -1
	s_and_b64 s[14:15], s[12:13], vcc
	s_and_saveexec_b64 s[12:13], s[14:15]
	s_cbranch_execz .LBB108_839
; %bb.838:
	v_ashrrev_i32_e32 v63, 31, v62
	v_lshl_add_u64 v[68:69], v[62:63], 2, v[4:5]
	global_load_dword v63, v[68:69], off
	global_load_dword v65, v[4:5], off offset:196
	s_waitcnt vmcnt(1)
	global_store_dword v[4:5], v63, off offset:196
	s_waitcnt vmcnt(1)
	global_store_dword v[68:69], v65, off
.LBB108_839:
	s_or_b64 exec, exec, s[12:13]
	v_mov_b32_e32 v63, v62
	v_mov_b32_e32 v65, v62
.LBB108_840:
	s_or_b64 exec, exec, s[2:3]
.LBB108_841:
	s_andn2_saveexec_b64 s[0:1], s[0:1]
	s_cbranch_execz .LBB108_843
; %bb.842:
	v_pk_mov_b32 v[68:69], v[10:11], v[0:1] op_sel:[1,0]
	ds_write2_b32 v61, v68, v69 offset0:50 offset1:51
	v_pk_mov_b32 v[68:69], v[0:1], v[12:13] op_sel:[1,0]
	v_mov_b32_e32 v65, 49
	ds_write2_b32 v61, v68, v69 offset0:52 offset1:53
	ds_write_b32 v61, v13 offset:216
.LBB108_843:
	s_or_b64 exec, exec, s[0:1]
	v_cmp_lt_i32_e32 vcc, 49, v65
	s_waitcnt lgkmcnt(0)
	s_barrier
	s_and_saveexec_b64 s[0:1], vcc
	s_cbranch_execz .LBB108_845
; %bb.844:
	ds_read_b32 v62, v61 offset:200
	ds_read2_b32 v[68:69], v61 offset0:51 offset1:52
	ds_read2_b32 v[70:71], v61 offset0:53 offset1:54
	v_mul_f32_e32 v10, v64, v10
	s_waitcnt lgkmcnt(2)
	v_fma_f32 v11, -v10, v62, v11
	s_waitcnt lgkmcnt(1)
	v_pk_fma_f32 v[0:1], v[10:11], v[68:69], v[0:1] op_sel_hi:[0,1,1] neg_lo:[1,0,0] neg_hi:[1,0,0]
	s_waitcnt lgkmcnt(0)
	v_pk_fma_f32 v[12:13], v[10:11], v[70:71], v[12:13] op_sel_hi:[0,1,1] neg_lo:[1,0,0] neg_hi:[1,0,0]
.LBB108_845:
	s_or_b64 exec, exec, s[0:1]
	v_lshl_add_u32 v62, v65, 2, v61
	s_barrier
	ds_write_b32 v62, v11
	s_waitcnt lgkmcnt(0)
	s_barrier
	ds_read_b32 v64, v61 offset:200
	s_cmp_lt_i32 s22, 52
	v_mov_b32_e32 v62, 50
	s_cbranch_scc1 .LBB108_848
; %bb.846:
	v_add_u32_e32 v67, 0xcc, v61
	v_mov_b32_e32 v62, 50
	s_mov_b32 s0, 51
.LBB108_847:                            ; =>This Inner Loop Header: Depth=1
	ds_read_b32 v68, v67
	v_mov_b32_e32 v69, s0
	s_add_i32 s0, s0, 1
	v_add_u32_e32 v67, 4, v67
	s_cmp_lg_u32 s22, s0
	s_waitcnt lgkmcnt(0)
	v_cmp_lt_f32_e64 vcc, |v64|, |v68|
	s_nop 1
	v_cndmask_b32_e32 v64, v64, v68, vcc
	v_cndmask_b32_e32 v62, v62, v69, vcc
	s_cbranch_scc1 .LBB108_847
.LBB108_848:
	s_waitcnt lgkmcnt(0)
	v_cmp_eq_f32_e32 vcc, 0, v64
	s_and_saveexec_b64 s[0:1], vcc
	s_xor_b64 s[0:1], exec, s[0:1]
; %bb.849:
	v_cmp_ne_u32_e32 vcc, 0, v66
	s_nop 1
	v_cndmask_b32_e32 v66, 51, v66, vcc
; %bb.850:
	s_andn2_saveexec_b64 s[0:1], s[0:1]
	s_cbranch_execz .LBB108_852
; %bb.851:
	v_div_scale_f32 v67, s[2:3], v64, v64, 1.0
	v_rcp_f32_e32 v68, v67
	v_div_scale_f32 v69, vcc, 1.0, v64, 1.0
	v_fma_f32 v70, -v67, v68, 1.0
	v_fmac_f32_e32 v68, v70, v68
	v_mul_f32_e32 v70, v69, v68
	v_fma_f32 v71, -v67, v70, v69
	v_fmac_f32_e32 v70, v71, v68
	v_fma_f32 v67, -v67, v70, v69
	v_div_fmas_f32 v67, v67, v68, v70
	v_div_fixup_f32 v64, v67, v64, 1.0
.LBB108_852:
	s_or_b64 exec, exec, s[0:1]
	v_cmp_ne_u32_e32 vcc, v65, v62
	s_and_saveexec_b64 s[0:1], vcc
	s_xor_b64 s[0:1], exec, s[0:1]
	s_cbranch_execz .LBB108_858
; %bb.853:
	v_cmp_eq_u32_e32 vcc, 50, v65
	s_and_saveexec_b64 s[2:3], vcc
	s_cbranch_execz .LBB108_857
; %bb.854:
	v_cmp_ne_u32_e32 vcc, 50, v62
	s_xor_b64 s[12:13], s[20:21], -1
	s_and_b64 s[14:15], s[12:13], vcc
	s_and_saveexec_b64 s[12:13], s[14:15]
	s_cbranch_execz .LBB108_856
; %bb.855:
	v_ashrrev_i32_e32 v63, 31, v62
	v_lshl_add_u64 v[68:69], v[62:63], 2, v[4:5]
	global_load_dword v63, v[68:69], off
	global_load_dword v65, v[4:5], off offset:200
	s_waitcnt vmcnt(1)
	global_store_dword v[4:5], v63, off offset:200
	s_waitcnt vmcnt(1)
	global_store_dword v[68:69], v65, off
.LBB108_856:
	s_or_b64 exec, exec, s[12:13]
	v_mov_b32_e32 v63, v62
	v_mov_b32_e32 v65, v62
.LBB108_857:
	s_or_b64 exec, exec, s[2:3]
.LBB108_858:
	s_andn2_saveexec_b64 s[0:1], s[0:1]
	s_cbranch_execz .LBB108_860
; %bb.859:
	v_mov_b32_e32 v65, 50
	ds_write2_b32 v61, v0, v1 offset0:51 offset1:52
	ds_write2_b32 v61, v12, v13 offset0:53 offset1:54
.LBB108_860:
	s_or_b64 exec, exec, s[0:1]
	v_cmp_lt_i32_e32 vcc, 50, v65
	s_waitcnt lgkmcnt(0)
	s_barrier
	s_and_saveexec_b64 s[0:1], vcc
	s_cbranch_execz .LBB108_862
; %bb.861:
	ds_read2_b32 v[68:69], v61 offset0:51 offset1:52
	ds_read2_b32 v[70:71], v61 offset0:53 offset1:54
	v_mul_f32_e32 v62, v64, v11
	v_mov_b32_e32 v11, v62
	s_waitcnt lgkmcnt(1)
	v_pk_fma_f32 v[0:1], v[62:63], v[68:69], v[0:1] op_sel_hi:[0,1,1] neg_lo:[1,0,0] neg_hi:[1,0,0]
	s_waitcnt lgkmcnt(0)
	v_pk_fma_f32 v[12:13], v[62:63], v[70:71], v[12:13] op_sel_hi:[0,1,1] neg_lo:[1,0,0] neg_hi:[1,0,0]
.LBB108_862:
	s_or_b64 exec, exec, s[0:1]
	v_lshl_add_u32 v62, v65, 2, v61
	s_barrier
	ds_write_b32 v62, v0
	s_waitcnt lgkmcnt(0)
	s_barrier
	ds_read_b32 v64, v61 offset:204
	s_cmp_lt_i32 s22, 53
	v_mov_b32_e32 v62, 51
	s_cbranch_scc1 .LBB108_865
; %bb.863:
	v_add_u32_e32 v67, 0xd0, v61
	v_mov_b32_e32 v62, 51
	s_mov_b32 s0, 52
.LBB108_864:                            ; =>This Inner Loop Header: Depth=1
	ds_read_b32 v68, v67
	v_mov_b32_e32 v69, s0
	s_add_i32 s0, s0, 1
	v_add_u32_e32 v67, 4, v67
	s_cmp_lg_u32 s22, s0
	s_waitcnt lgkmcnt(0)
	v_cmp_lt_f32_e64 vcc, |v64|, |v68|
	s_nop 1
	v_cndmask_b32_e32 v64, v64, v68, vcc
	v_cndmask_b32_e32 v62, v62, v69, vcc
	s_cbranch_scc1 .LBB108_864
.LBB108_865:
	s_waitcnt lgkmcnt(0)
	v_cmp_eq_f32_e32 vcc, 0, v64
	s_and_saveexec_b64 s[0:1], vcc
	s_xor_b64 s[0:1], exec, s[0:1]
; %bb.866:
	v_cmp_ne_u32_e32 vcc, 0, v66
	s_nop 1
	v_cndmask_b32_e32 v66, 52, v66, vcc
; %bb.867:
	s_andn2_saveexec_b64 s[0:1], s[0:1]
	s_cbranch_execz .LBB108_869
; %bb.868:
	v_div_scale_f32 v67, s[2:3], v64, v64, 1.0
	v_rcp_f32_e32 v68, v67
	v_div_scale_f32 v69, vcc, 1.0, v64, 1.0
	v_fma_f32 v70, -v67, v68, 1.0
	v_fmac_f32_e32 v68, v70, v68
	v_mul_f32_e32 v70, v69, v68
	v_fma_f32 v71, -v67, v70, v69
	v_fmac_f32_e32 v70, v71, v68
	v_fma_f32 v67, -v67, v70, v69
	v_div_fmas_f32 v67, v67, v68, v70
	v_div_fixup_f32 v64, v67, v64, 1.0
.LBB108_869:
	s_or_b64 exec, exec, s[0:1]
	v_cmp_ne_u32_e32 vcc, v65, v62
	s_and_saveexec_b64 s[0:1], vcc
	s_xor_b64 s[0:1], exec, s[0:1]
	s_cbranch_execz .LBB108_875
; %bb.870:
	v_cmp_eq_u32_e32 vcc, 51, v65
	s_and_saveexec_b64 s[2:3], vcc
	s_cbranch_execz .LBB108_874
; %bb.871:
	v_cmp_ne_u32_e32 vcc, 51, v62
	s_xor_b64 s[12:13], s[20:21], -1
	s_and_b64 s[14:15], s[12:13], vcc
	s_and_saveexec_b64 s[12:13], s[14:15]
	s_cbranch_execz .LBB108_873
; %bb.872:
	v_ashrrev_i32_e32 v63, 31, v62
	v_lshl_add_u64 v[68:69], v[62:63], 2, v[4:5]
	global_load_dword v63, v[68:69], off
	global_load_dword v65, v[4:5], off offset:204
	s_waitcnt vmcnt(1)
	global_store_dword v[4:5], v63, off offset:204
	s_waitcnt vmcnt(1)
	global_store_dword v[68:69], v65, off
.LBB108_873:
	s_or_b64 exec, exec, s[12:13]
	v_mov_b32_e32 v63, v62
	v_mov_b32_e32 v65, v62
.LBB108_874:
	s_or_b64 exec, exec, s[2:3]
.LBB108_875:
	s_andn2_saveexec_b64 s[0:1], s[0:1]
	s_cbranch_execz .LBB108_877
; %bb.876:
	v_pk_mov_b32 v[68:69], v[0:1], v[12:13] op_sel:[1,0]
	v_mov_b32_e32 v65, 51
	ds_write2_b32 v61, v68, v69 offset0:52 offset1:53
	ds_write_b32 v61, v13 offset:216
.LBB108_877:
	s_or_b64 exec, exec, s[0:1]
	v_cmp_lt_i32_e32 vcc, 51, v65
	s_waitcnt lgkmcnt(0)
	s_barrier
	s_and_saveexec_b64 s[0:1], vcc
	s_cbranch_execz .LBB108_879
; %bb.878:
	ds_read_b32 v62, v61 offset:208
	ds_read2_b32 v[68:69], v61 offset0:53 offset1:54
	v_mul_f32_e32 v0, v64, v0
	s_waitcnt lgkmcnt(1)
	v_fma_f32 v1, -v0, v62, v1
	s_waitcnt lgkmcnt(0)
	v_pk_fma_f32 v[12:13], v[0:1], v[68:69], v[12:13] op_sel_hi:[0,1,1] neg_lo:[1,0,0] neg_hi:[1,0,0]
.LBB108_879:
	s_or_b64 exec, exec, s[0:1]
	v_lshl_add_u32 v62, v65, 2, v61
	s_barrier
	ds_write_b32 v62, v1
	s_waitcnt lgkmcnt(0)
	s_barrier
	ds_read_b32 v64, v61 offset:208
	s_cmp_lt_i32 s22, 54
	v_mov_b32_e32 v62, 52
	s_cbranch_scc1 .LBB108_882
; %bb.880:
	v_add_u32_e32 v67, 0xd4, v61
	v_mov_b32_e32 v62, 52
	s_mov_b32 s0, 53
.LBB108_881:                            ; =>This Inner Loop Header: Depth=1
	ds_read_b32 v68, v67
	v_mov_b32_e32 v69, s0
	s_add_i32 s0, s0, 1
	v_add_u32_e32 v67, 4, v67
	s_cmp_lg_u32 s22, s0
	s_waitcnt lgkmcnt(0)
	v_cmp_lt_f32_e64 vcc, |v64|, |v68|
	s_nop 1
	v_cndmask_b32_e32 v64, v64, v68, vcc
	v_cndmask_b32_e32 v62, v62, v69, vcc
	s_cbranch_scc1 .LBB108_881
.LBB108_882:
	s_waitcnt lgkmcnt(0)
	v_cmp_eq_f32_e32 vcc, 0, v64
	s_and_saveexec_b64 s[0:1], vcc
	s_xor_b64 s[0:1], exec, s[0:1]
; %bb.883:
	v_cmp_ne_u32_e32 vcc, 0, v66
	s_nop 1
	v_cndmask_b32_e32 v66, 53, v66, vcc
; %bb.884:
	s_andn2_saveexec_b64 s[0:1], s[0:1]
	s_cbranch_execz .LBB108_886
; %bb.885:
	v_div_scale_f32 v67, s[2:3], v64, v64, 1.0
	v_rcp_f32_e32 v68, v67
	v_div_scale_f32 v69, vcc, 1.0, v64, 1.0
	v_fma_f32 v70, -v67, v68, 1.0
	v_fmac_f32_e32 v68, v70, v68
	v_mul_f32_e32 v70, v69, v68
	v_fma_f32 v71, -v67, v70, v69
	v_fmac_f32_e32 v70, v71, v68
	v_fma_f32 v67, -v67, v70, v69
	v_div_fmas_f32 v67, v67, v68, v70
	v_div_fixup_f32 v64, v67, v64, 1.0
.LBB108_886:
	s_or_b64 exec, exec, s[0:1]
	v_cmp_ne_u32_e32 vcc, v65, v62
	s_and_saveexec_b64 s[0:1], vcc
	s_xor_b64 s[0:1], exec, s[0:1]
	s_cbranch_execz .LBB108_892
; %bb.887:
	v_cmp_eq_u32_e32 vcc, 52, v65
	s_and_saveexec_b64 s[2:3], vcc
	s_cbranch_execz .LBB108_891
; %bb.888:
	v_cmp_ne_u32_e32 vcc, 52, v62
	s_xor_b64 s[12:13], s[20:21], -1
	s_and_b64 s[14:15], s[12:13], vcc
	s_and_saveexec_b64 s[12:13], s[14:15]
	s_cbranch_execz .LBB108_890
; %bb.889:
	v_ashrrev_i32_e32 v63, 31, v62
	v_lshl_add_u64 v[68:69], v[62:63], 2, v[4:5]
	global_load_dword v63, v[68:69], off
	global_load_dword v65, v[4:5], off offset:208
	s_waitcnt vmcnt(1)
	global_store_dword v[4:5], v63, off offset:208
	s_waitcnt vmcnt(1)
	global_store_dword v[68:69], v65, off
.LBB108_890:
	s_or_b64 exec, exec, s[12:13]
	v_mov_b32_e32 v63, v62
	v_mov_b32_e32 v65, v62
.LBB108_891:
	s_or_b64 exec, exec, s[2:3]
.LBB108_892:
	s_andn2_saveexec_b64 s[0:1], s[0:1]
; %bb.893:
	v_mov_b32_e32 v65, 52
	ds_write2_b32 v61, v12, v13 offset0:53 offset1:54
; %bb.894:
	s_or_b64 exec, exec, s[0:1]
	v_cmp_lt_i32_e32 vcc, 52, v65
	s_waitcnt lgkmcnt(0)
	s_barrier
	s_and_saveexec_b64 s[0:1], vcc
	s_cbranch_execz .LBB108_896
; %bb.895:
	ds_read2_b32 v[68:69], v61 offset0:53 offset1:54
	v_mul_f32_e32 v62, v64, v1
	v_mov_b32_e32 v1, v62
	s_waitcnt lgkmcnt(0)
	v_pk_fma_f32 v[12:13], v[62:63], v[68:69], v[12:13] op_sel_hi:[0,1,1] neg_lo:[1,0,0] neg_hi:[1,0,0]
.LBB108_896:
	s_or_b64 exec, exec, s[0:1]
	v_lshl_add_u32 v62, v65, 2, v61
	s_barrier
	ds_write_b32 v62, v12
	s_waitcnt lgkmcnt(0)
	s_barrier
	ds_read_b32 v64, v61 offset:212
	s_cmp_lt_i32 s22, 55
	v_mov_b32_e32 v62, 53
	s_cbranch_scc1 .LBB108_899
; %bb.897:
	v_add_u32_e32 v67, 0xd8, v61
	v_mov_b32_e32 v62, 53
	s_mov_b32 s0, 54
.LBB108_898:                            ; =>This Inner Loop Header: Depth=1
	ds_read_b32 v68, v67
	v_mov_b32_e32 v69, s0
	s_add_i32 s0, s0, 1
	v_add_u32_e32 v67, 4, v67
	s_cmp_lg_u32 s22, s0
	s_waitcnt lgkmcnt(0)
	v_cmp_lt_f32_e64 vcc, |v64|, |v68|
	s_nop 1
	v_cndmask_b32_e32 v64, v64, v68, vcc
	v_cndmask_b32_e32 v62, v62, v69, vcc
	s_cbranch_scc1 .LBB108_898
.LBB108_899:
	s_waitcnt lgkmcnt(0)
	v_cmp_eq_f32_e32 vcc, 0, v64
	s_and_saveexec_b64 s[0:1], vcc
	s_xor_b64 s[0:1], exec, s[0:1]
; %bb.900:
	v_cmp_ne_u32_e32 vcc, 0, v66
	s_nop 1
	v_cndmask_b32_e32 v66, 54, v66, vcc
; %bb.901:
	s_andn2_saveexec_b64 s[0:1], s[0:1]
	s_cbranch_execz .LBB108_903
; %bb.902:
	v_div_scale_f32 v67, s[2:3], v64, v64, 1.0
	v_rcp_f32_e32 v68, v67
	v_div_scale_f32 v69, vcc, 1.0, v64, 1.0
	v_fma_f32 v70, -v67, v68, 1.0
	v_fmac_f32_e32 v68, v70, v68
	v_mul_f32_e32 v70, v69, v68
	v_fma_f32 v71, -v67, v70, v69
	v_fmac_f32_e32 v70, v71, v68
	v_fma_f32 v67, -v67, v70, v69
	v_div_fmas_f32 v67, v67, v68, v70
	v_div_fixup_f32 v64, v67, v64, 1.0
.LBB108_903:
	s_or_b64 exec, exec, s[0:1]
	v_cmp_ne_u32_e32 vcc, v65, v62
	s_and_saveexec_b64 s[0:1], vcc
	s_xor_b64 s[0:1], exec, s[0:1]
	s_cbranch_execz .LBB108_909
; %bb.904:
	v_cmp_eq_u32_e32 vcc, 53, v65
	s_and_saveexec_b64 s[2:3], vcc
	s_cbranch_execz .LBB108_908
; %bb.905:
	v_cmp_ne_u32_e32 vcc, 53, v62
	s_xor_b64 s[12:13], s[20:21], -1
	s_and_b64 s[14:15], s[12:13], vcc
	s_and_saveexec_b64 s[12:13], s[14:15]
	s_cbranch_execz .LBB108_907
; %bb.906:
	v_ashrrev_i32_e32 v63, 31, v62
	v_lshl_add_u64 v[68:69], v[62:63], 2, v[4:5]
	global_load_dword v63, v[68:69], off
	global_load_dword v65, v[4:5], off offset:212
	s_waitcnt vmcnt(1)
	global_store_dword v[4:5], v63, off offset:212
	s_waitcnt vmcnt(1)
	global_store_dword v[68:69], v65, off
.LBB108_907:
	s_or_b64 exec, exec, s[12:13]
	v_mov_b32_e32 v63, v62
	v_mov_b32_e32 v65, v62
.LBB108_908:
	s_or_b64 exec, exec, s[2:3]
.LBB108_909:
	s_andn2_saveexec_b64 s[0:1], s[0:1]
; %bb.910:
	v_mov_b32_e32 v65, 53
	ds_write_b32 v61, v13 offset:216
; %bb.911:
	s_or_b64 exec, exec, s[0:1]
	v_cmp_lt_i32_e32 vcc, 53, v65
	s_waitcnt lgkmcnt(0)
	s_barrier
	s_and_saveexec_b64 s[0:1], vcc
	s_cbranch_execz .LBB108_913
; %bb.912:
	ds_read_b32 v62, v61 offset:216
	v_mul_f32_e32 v12, v64, v12
	s_waitcnt lgkmcnt(0)
	v_fma_f32 v13, -v12, v62, v13
.LBB108_913:
	s_or_b64 exec, exec, s[0:1]
	v_lshl_add_u32 v62, v65, 2, v61
	s_barrier
	ds_write_b32 v62, v13
	s_waitcnt lgkmcnt(0)
	s_barrier
	ds_read_b32 v67, v61 offset:216
	s_cmp_lt_i32 s22, 56
	v_mov_b32_e32 v62, 54
	s_cbranch_scc1 .LBB108_916
; %bb.914:
	v_add_u32_e32 v61, 0xdc, v61
	v_mov_b32_e32 v62, 54
	s_mov_b32 s0, 55
.LBB108_915:                            ; =>This Inner Loop Header: Depth=1
	ds_read_b32 v64, v61
	v_mov_b32_e32 v68, s0
	s_add_i32 s0, s0, 1
	v_add_u32_e32 v61, 4, v61
	s_cmp_lg_u32 s22, s0
	s_waitcnt lgkmcnt(0)
	v_cmp_lt_f32_e64 vcc, |v67|, |v64|
	s_nop 1
	v_cndmask_b32_e32 v67, v67, v64, vcc
	v_cndmask_b32_e32 v62, v62, v68, vcc
	s_cbranch_scc1 .LBB108_915
.LBB108_916:
	s_waitcnt lgkmcnt(0)
	v_cmp_eq_f32_e32 vcc, 0, v67
	s_and_saveexec_b64 s[0:1], vcc
	s_xor_b64 s[0:1], exec, s[0:1]
; %bb.917:
	v_cmp_ne_u32_e32 vcc, 0, v66
	s_nop 1
	v_cndmask_b32_e32 v66, 55, v66, vcc
; %bb.918:
	s_andn2_saveexec_b64 s[0:1], s[0:1]
	s_cbranch_execz .LBB108_920
; %bb.919:
	v_div_scale_f32 v61, s[2:3], v67, v67, 1.0
	v_rcp_f32_e32 v64, v61
	v_div_scale_f32 v68, vcc, 1.0, v67, 1.0
	v_fma_f32 v69, -v61, v64, 1.0
	v_fmac_f32_e32 v64, v69, v64
	v_mul_f32_e32 v69, v68, v64
	v_fma_f32 v70, -v61, v69, v68
	v_fmac_f32_e32 v69, v70, v64
	v_fma_f32 v61, -v61, v69, v68
	v_div_fmas_f32 v61, v61, v64, v69
	v_div_fixup_f32 v67, v61, v67, 1.0
.LBB108_920:
	s_or_b64 exec, exec, s[0:1]
	v_cmp_ne_u32_e32 vcc, v65, v62
	v_mov_b32_e32 v64, 54
	s_and_saveexec_b64 s[0:1], vcc
	s_cbranch_execz .LBB108_926
; %bb.921:
	v_cmp_eq_u32_e32 vcc, 54, v65
	s_and_saveexec_b64 s[2:3], vcc
	s_cbranch_execz .LBB108_925
; %bb.922:
	v_cmp_ne_u32_e32 vcc, 54, v62
	s_xor_b64 s[12:13], s[20:21], -1
	s_and_b64 s[14:15], s[12:13], vcc
	s_and_saveexec_b64 s[12:13], s[14:15]
	s_cbranch_execz .LBB108_924
; %bb.923:
	v_ashrrev_i32_e32 v63, 31, v62
	v_lshl_add_u64 v[64:65], v[62:63], 2, v[4:5]
	global_load_dword v61, v[64:65], off
	global_load_dword v63, v[4:5], off offset:216
	s_waitcnt vmcnt(1)
	global_store_dword v[4:5], v61, off offset:216
	s_waitcnt vmcnt(1)
	global_store_dword v[64:65], v63, off
.LBB108_924:
	s_or_b64 exec, exec, s[12:13]
	v_mov_b32_e32 v63, v62
	v_mov_b32_e32 v65, v62
.LBB108_925:
	s_or_b64 exec, exec, s[2:3]
	v_mov_b32_e32 v64, v65
.LBB108_926:
	s_or_b64 exec, exec, s[0:1]
	v_cmp_gt_i32_e32 vcc, 55, v64
	v_ashrrev_i32_e32 v65, 31, v64
	s_barrier
	s_barrier
	s_and_saveexec_b64 s[0:1], vcc
	s_cbranch_execz .LBB108_928
; %bb.927:
	v_mul_lo_u32 v61, s11, v2
	v_mul_lo_u32 v62, s10, v3
	v_mad_u64_u32 v[68:69], s[2:3], s10, v2, 0
	v_mov_b32_e32 v4, s6
	v_mov_b32_e32 v5, s7
	v_add3_u32 v69, v69, v62, v61
	v_lshl_add_u64 v[4:5], v[68:69], 2, v[4:5]
	v_lshl_add_u64 v[4:5], s[8:9], 2, v[4:5]
	;; [unrolled: 1-line block ×3, first 2 shown]
	v_add3_u32 v61, v63, s19, 1
	global_store_dword v[4:5], v61, off
.LBB108_928:
	s_or_b64 exec, exec, s[0:1]
	v_cmp_eq_u32_e32 vcc, 0, v64
	s_and_saveexec_b64 s[2:3], vcc
	s_cbranch_execz .LBB108_931
; %bb.929:
	v_mov_b32_e32 v4, s4
	v_mov_b32_e32 v5, s5
	v_lshl_add_u64 v[2:3], v[2:3], 2, v[4:5]
	global_load_dword v4, v[2:3], off
	v_cmp_ne_u32_e64 s[0:1], 0, v66
	s_waitcnt vmcnt(0)
	v_cmp_eq_u32_e32 vcc, 0, v4
	s_and_b64 s[0:1], vcc, s[0:1]
	s_and_b64 exec, exec, s[0:1]
	s_cbranch_execz .LBB108_931
; %bb.930:
	v_add_u32_e32 v4, s19, v66
	global_store_dword v[2:3], v4, off
.LBB108_931:
	s_or_b64 exec, exec, s[2:3]
	v_mul_f32_e32 v2, v67, v13
	v_cmp_lt_i32_e32 vcc, 54, v64
	s_nop 1
	v_cndmask_b32_e32 v13, v13, v2, vcc
	v_lshl_add_u64 v[2:3], v[64:65], 2, v[6:7]
	global_store_dword v[2:3], v60, off
	v_lshl_add_u64 v[2:3], s[16:17], 2, v[2:3]
	global_store_dword v[2:3], v46, off
	v_add_u32_e32 v2, s18, v64
	v_ashrrev_i32_e32 v3, 31, v2
	v_lshl_add_u64 v[4:5], v[2:3], 2, v[6:7]
	v_add_u32_e32 v2, s16, v2
	v_ashrrev_i32_e32 v3, 31, v2
	global_store_dword v[4:5], v47, off
	v_lshl_add_u64 v[4:5], v[2:3], 2, v[6:7]
	v_add_u32_e32 v2, s16, v2
	v_ashrrev_i32_e32 v3, 31, v2
	global_store_dword v[4:5], v44, off
	v_lshl_add_u64 v[4:5], v[2:3], 2, v[6:7]
	v_add_u32_e32 v2, s16, v2
	v_ashrrev_i32_e32 v3, 31, v2
	global_store_dword v[4:5], v45, off
	v_lshl_add_u64 v[4:5], v[2:3], 2, v[6:7]
	v_add_u32_e32 v2, s16, v2
	v_ashrrev_i32_e32 v3, 31, v2
	global_store_dword v[4:5], v58, off
	v_lshl_add_u64 v[4:5], v[2:3], 2, v[6:7]
	v_add_u32_e32 v2, s16, v2
	v_ashrrev_i32_e32 v3, 31, v2
	global_store_dword v[4:5], v59, off
	v_lshl_add_u64 v[4:5], v[2:3], 2, v[6:7]
	v_add_u32_e32 v2, s16, v2
	v_ashrrev_i32_e32 v3, 31, v2
	global_store_dword v[4:5], v56, off
	v_lshl_add_u64 v[4:5], v[2:3], 2, v[6:7]
	v_add_u32_e32 v2, s16, v2
	v_ashrrev_i32_e32 v3, 31, v2
	global_store_dword v[4:5], v57, off
	v_lshl_add_u64 v[4:5], v[2:3], 2, v[6:7]
	v_add_u32_e32 v2, s16, v2
	v_ashrrev_i32_e32 v3, 31, v2
	global_store_dword v[4:5], v54, off
	v_lshl_add_u64 v[4:5], v[2:3], 2, v[6:7]
	v_add_u32_e32 v2, s16, v2
	v_ashrrev_i32_e32 v3, 31, v2
	global_store_dword v[4:5], v55, off
	v_lshl_add_u64 v[4:5], v[2:3], 2, v[6:7]
	v_add_u32_e32 v2, s16, v2
	v_ashrrev_i32_e32 v3, 31, v2
	global_store_dword v[4:5], v52, off
	v_lshl_add_u64 v[4:5], v[2:3], 2, v[6:7]
	v_add_u32_e32 v2, s16, v2
	v_ashrrev_i32_e32 v3, 31, v2
	global_store_dword v[4:5], v53, off
	v_lshl_add_u64 v[4:5], v[2:3], 2, v[6:7]
	v_add_u32_e32 v2, s16, v2
	v_ashrrev_i32_e32 v3, 31, v2
	global_store_dword v[4:5], v50, off
	v_lshl_add_u64 v[4:5], v[2:3], 2, v[6:7]
	v_add_u32_e32 v2, s16, v2
	v_ashrrev_i32_e32 v3, 31, v2
	global_store_dword v[4:5], v51, off
	v_lshl_add_u64 v[4:5], v[2:3], 2, v[6:7]
	v_add_u32_e32 v2, s16, v2
	v_ashrrev_i32_e32 v3, 31, v2
	global_store_dword v[4:5], v48, off
	v_lshl_add_u64 v[4:5], v[2:3], 2, v[6:7]
	v_add_u32_e32 v2, s16, v2
	v_ashrrev_i32_e32 v3, 31, v2
	global_store_dword v[4:5], v49, off
	v_lshl_add_u64 v[4:5], v[2:3], 2, v[6:7]
	v_add_u32_e32 v2, s16, v2
	v_ashrrev_i32_e32 v3, 31, v2
	global_store_dword v[4:5], v42, off
	v_lshl_add_u64 v[4:5], v[2:3], 2, v[6:7]
	v_add_u32_e32 v2, s16, v2
	v_ashrrev_i32_e32 v3, 31, v2
	global_store_dword v[4:5], v43, off
	v_lshl_add_u64 v[4:5], v[2:3], 2, v[6:7]
	v_add_u32_e32 v2, s16, v2
	v_ashrrev_i32_e32 v3, 31, v2
	global_store_dword v[4:5], v38, off
	v_lshl_add_u64 v[4:5], v[2:3], 2, v[6:7]
	v_add_u32_e32 v2, s16, v2
	v_ashrrev_i32_e32 v3, 31, v2
	global_store_dword v[4:5], v39, off
	v_lshl_add_u64 v[4:5], v[2:3], 2, v[6:7]
	v_add_u32_e32 v2, s16, v2
	v_ashrrev_i32_e32 v3, 31, v2
	global_store_dword v[4:5], v32, off
	v_lshl_add_u64 v[4:5], v[2:3], 2, v[6:7]
	v_add_u32_e32 v2, s16, v2
	v_ashrrev_i32_e32 v3, 31, v2
	global_store_dword v[4:5], v33, off
	v_lshl_add_u64 v[4:5], v[2:3], 2, v[6:7]
	v_add_u32_e32 v2, s16, v2
	v_ashrrev_i32_e32 v3, 31, v2
	global_store_dword v[4:5], v26, off
	v_lshl_add_u64 v[4:5], v[2:3], 2, v[6:7]
	v_add_u32_e32 v2, s16, v2
	v_ashrrev_i32_e32 v3, 31, v2
	global_store_dword v[4:5], v27, off
	v_lshl_add_u64 v[4:5], v[2:3], 2, v[6:7]
	v_add_u32_e32 v2, s16, v2
	v_ashrrev_i32_e32 v3, 31, v2
	global_store_dword v[4:5], v40, off
	v_lshl_add_u64 v[4:5], v[2:3], 2, v[6:7]
	v_add_u32_e32 v2, s16, v2
	v_ashrrev_i32_e32 v3, 31, v2
	global_store_dword v[4:5], v41, off
	v_lshl_add_u64 v[4:5], v[2:3], 2, v[6:7]
	v_add_u32_e32 v2, s16, v2
	v_ashrrev_i32_e32 v3, 31, v2
	global_store_dword v[4:5], v34, off
	v_lshl_add_u64 v[4:5], v[2:3], 2, v[6:7]
	v_add_u32_e32 v2, s16, v2
	v_ashrrev_i32_e32 v3, 31, v2
	global_store_dword v[4:5], v35, off
	v_lshl_add_u64 v[4:5], v[2:3], 2, v[6:7]
	v_add_u32_e32 v2, s16, v2
	v_ashrrev_i32_e32 v3, 31, v2
	global_store_dword v[4:5], v28, off
	v_lshl_add_u64 v[4:5], v[2:3], 2, v[6:7]
	v_add_u32_e32 v2, s16, v2
	v_ashrrev_i32_e32 v3, 31, v2
	global_store_dword v[4:5], v29, off
	v_lshl_add_u64 v[4:5], v[2:3], 2, v[6:7]
	v_add_u32_e32 v2, s16, v2
	v_ashrrev_i32_e32 v3, 31, v2
	global_store_dword v[4:5], v20, off
	v_lshl_add_u64 v[4:5], v[2:3], 2, v[6:7]
	v_add_u32_e32 v2, s16, v2
	v_ashrrev_i32_e32 v3, 31, v2
	global_store_dword v[4:5], v21, off
	v_lshl_add_u64 v[4:5], v[2:3], 2, v[6:7]
	v_add_u32_e32 v2, s16, v2
	v_ashrrev_i32_e32 v3, 31, v2
	global_store_dword v[4:5], v36, off
	v_lshl_add_u64 v[4:5], v[2:3], 2, v[6:7]
	v_add_u32_e32 v2, s16, v2
	v_ashrrev_i32_e32 v3, 31, v2
	global_store_dword v[4:5], v37, off
	v_lshl_add_u64 v[4:5], v[2:3], 2, v[6:7]
	v_add_u32_e32 v2, s16, v2
	v_ashrrev_i32_e32 v3, 31, v2
	global_store_dword v[4:5], v30, off
	v_lshl_add_u64 v[4:5], v[2:3], 2, v[6:7]
	v_add_u32_e32 v2, s16, v2
	v_ashrrev_i32_e32 v3, 31, v2
	global_store_dword v[4:5], v31, off
	v_lshl_add_u64 v[4:5], v[2:3], 2, v[6:7]
	v_add_u32_e32 v2, s16, v2
	v_ashrrev_i32_e32 v3, 31, v2
	global_store_dword v[4:5], v22, off
	v_lshl_add_u64 v[4:5], v[2:3], 2, v[6:7]
	v_add_u32_e32 v2, s16, v2
	v_ashrrev_i32_e32 v3, 31, v2
	global_store_dword v[4:5], v23, off
	v_lshl_add_u64 v[4:5], v[2:3], 2, v[6:7]
	v_add_u32_e32 v2, s16, v2
	v_ashrrev_i32_e32 v3, 31, v2
	global_store_dword v[4:5], v14, off
	v_lshl_add_u64 v[4:5], v[2:3], 2, v[6:7]
	v_add_u32_e32 v2, s16, v2
	v_ashrrev_i32_e32 v3, 31, v2
	global_store_dword v[4:5], v15, off
	v_lshl_add_u64 v[4:5], v[2:3], 2, v[6:7]
	v_add_u32_e32 v2, s16, v2
	v_ashrrev_i32_e32 v3, 31, v2
	global_store_dword v[4:5], v18, off
	v_lshl_add_u64 v[4:5], v[2:3], 2, v[6:7]
	v_add_u32_e32 v2, s16, v2
	v_ashrrev_i32_e32 v3, 31, v2
	global_store_dword v[4:5], v19, off
	v_lshl_add_u64 v[4:5], v[2:3], 2, v[6:7]
	v_add_u32_e32 v2, s16, v2
	v_ashrrev_i32_e32 v3, 31, v2
	global_store_dword v[4:5], v24, off
	v_lshl_add_u64 v[4:5], v[2:3], 2, v[6:7]
	v_add_u32_e32 v2, s16, v2
	v_ashrrev_i32_e32 v3, 31, v2
	global_store_dword v[4:5], v25, off
	v_lshl_add_u64 v[4:5], v[2:3], 2, v[6:7]
	v_add_u32_e32 v2, s16, v2
	v_ashrrev_i32_e32 v3, 31, v2
	global_store_dword v[4:5], v16, off
	v_lshl_add_u64 v[4:5], v[2:3], 2, v[6:7]
	v_add_u32_e32 v2, s16, v2
	v_ashrrev_i32_e32 v3, 31, v2
	global_store_dword v[4:5], v17, off
	v_lshl_add_u64 v[4:5], v[2:3], 2, v[6:7]
	v_add_u32_e32 v2, s16, v2
	v_ashrrev_i32_e32 v3, 31, v2
	global_store_dword v[4:5], v8, off
	v_lshl_add_u64 v[4:5], v[2:3], 2, v[6:7]
	v_add_u32_e32 v2, s16, v2
	v_ashrrev_i32_e32 v3, 31, v2
	global_store_dword v[4:5], v9, off
	v_lshl_add_u64 v[4:5], v[2:3], 2, v[6:7]
	v_add_u32_e32 v2, s16, v2
	v_ashrrev_i32_e32 v3, 31, v2
	global_store_dword v[4:5], v10, off
	v_lshl_add_u64 v[4:5], v[2:3], 2, v[6:7]
	v_add_u32_e32 v2, s16, v2
	v_ashrrev_i32_e32 v3, 31, v2
	global_store_dword v[4:5], v11, off
	v_lshl_add_u64 v[4:5], v[2:3], 2, v[6:7]
	v_add_u32_e32 v2, s16, v2
	v_ashrrev_i32_e32 v3, 31, v2
	global_store_dword v[4:5], v0, off
	v_lshl_add_u64 v[4:5], v[2:3], 2, v[6:7]
	v_add_u32_e32 v0, s16, v2
	global_store_dword v[4:5], v1, off
	v_ashrrev_i32_e32 v1, 31, v0
	v_lshl_add_u64 v[2:3], v[0:1], 2, v[6:7]
	v_add_u32_e32 v0, s16, v0
	v_ashrrev_i32_e32 v1, 31, v0
	v_lshl_add_u64 v[0:1], v[0:1], 2, v[6:7]
	global_store_dword v[2:3], v12, off
	global_store_dword v[0:1], v13, off
.LBB108_932:
	s_endpgm
	.section	.rodata,"a",@progbits
	.p2align	6, 0x0
	.amdhsa_kernel _ZN9rocsolver6v33100L18getf2_small_kernelILi55EfiiPfEEvT1_T3_lS3_lPS3_llPT2_S3_S3_S5_l
		.amdhsa_group_segment_fixed_size 0
		.amdhsa_private_segment_fixed_size 0
		.amdhsa_kernarg_size 352
		.amdhsa_user_sgpr_count 2
		.amdhsa_user_sgpr_dispatch_ptr 0
		.amdhsa_user_sgpr_queue_ptr 0
		.amdhsa_user_sgpr_kernarg_segment_ptr 1
		.amdhsa_user_sgpr_dispatch_id 0
		.amdhsa_user_sgpr_kernarg_preload_length 0
		.amdhsa_user_sgpr_kernarg_preload_offset 0
		.amdhsa_user_sgpr_private_segment_size 0
		.amdhsa_uses_dynamic_stack 0
		.amdhsa_enable_private_segment 0
		.amdhsa_system_sgpr_workgroup_id_x 1
		.amdhsa_system_sgpr_workgroup_id_y 1
		.amdhsa_system_sgpr_workgroup_id_z 0
		.amdhsa_system_sgpr_workgroup_info 0
		.amdhsa_system_vgpr_workitem_id 1
		.amdhsa_next_free_vgpr 86
		.amdhsa_next_free_sgpr 26
		.amdhsa_accum_offset 88
		.amdhsa_reserve_vcc 1
		.amdhsa_float_round_mode_32 0
		.amdhsa_float_round_mode_16_64 0
		.amdhsa_float_denorm_mode_32 3
		.amdhsa_float_denorm_mode_16_64 3
		.amdhsa_dx10_clamp 1
		.amdhsa_ieee_mode 1
		.amdhsa_fp16_overflow 0
		.amdhsa_tg_split 0
		.amdhsa_exception_fp_ieee_invalid_op 0
		.amdhsa_exception_fp_denorm_src 0
		.amdhsa_exception_fp_ieee_div_zero 0
		.amdhsa_exception_fp_ieee_overflow 0
		.amdhsa_exception_fp_ieee_underflow 0
		.amdhsa_exception_fp_ieee_inexact 0
		.amdhsa_exception_int_div_zero 0
	.end_amdhsa_kernel
	.section	.text._ZN9rocsolver6v33100L18getf2_small_kernelILi55EfiiPfEEvT1_T3_lS3_lPS3_llPT2_S3_S3_S5_l,"axG",@progbits,_ZN9rocsolver6v33100L18getf2_small_kernelILi55EfiiPfEEvT1_T3_lS3_lPS3_llPT2_S3_S3_S5_l,comdat
.Lfunc_end108:
	.size	_ZN9rocsolver6v33100L18getf2_small_kernelILi55EfiiPfEEvT1_T3_lS3_lPS3_llPT2_S3_S3_S5_l, .Lfunc_end108-_ZN9rocsolver6v33100L18getf2_small_kernelILi55EfiiPfEEvT1_T3_lS3_lPS3_llPT2_S3_S3_S5_l
                                        ; -- End function
	.set _ZN9rocsolver6v33100L18getf2_small_kernelILi55EfiiPfEEvT1_T3_lS3_lPS3_llPT2_S3_S3_S5_l.num_vgpr, 86
	.set _ZN9rocsolver6v33100L18getf2_small_kernelILi55EfiiPfEEvT1_T3_lS3_lPS3_llPT2_S3_S3_S5_l.num_agpr, 0
	.set _ZN9rocsolver6v33100L18getf2_small_kernelILi55EfiiPfEEvT1_T3_lS3_lPS3_llPT2_S3_S3_S5_l.numbered_sgpr, 26
	.set _ZN9rocsolver6v33100L18getf2_small_kernelILi55EfiiPfEEvT1_T3_lS3_lPS3_llPT2_S3_S3_S5_l.num_named_barrier, 0
	.set _ZN9rocsolver6v33100L18getf2_small_kernelILi55EfiiPfEEvT1_T3_lS3_lPS3_llPT2_S3_S3_S5_l.private_seg_size, 0
	.set _ZN9rocsolver6v33100L18getf2_small_kernelILi55EfiiPfEEvT1_T3_lS3_lPS3_llPT2_S3_S3_S5_l.uses_vcc, 1
	.set _ZN9rocsolver6v33100L18getf2_small_kernelILi55EfiiPfEEvT1_T3_lS3_lPS3_llPT2_S3_S3_S5_l.uses_flat_scratch, 0
	.set _ZN9rocsolver6v33100L18getf2_small_kernelILi55EfiiPfEEvT1_T3_lS3_lPS3_llPT2_S3_S3_S5_l.has_dyn_sized_stack, 0
	.set _ZN9rocsolver6v33100L18getf2_small_kernelILi55EfiiPfEEvT1_T3_lS3_lPS3_llPT2_S3_S3_S5_l.has_recursion, 0
	.set _ZN9rocsolver6v33100L18getf2_small_kernelILi55EfiiPfEEvT1_T3_lS3_lPS3_llPT2_S3_S3_S5_l.has_indirect_call, 0
	.section	.AMDGPU.csdata,"",@progbits
; Kernel info:
; codeLenInByte = 48488
; TotalNumSgprs: 32
; NumVgprs: 86
; NumAgprs: 0
; TotalNumVgprs: 86
; ScratchSize: 0
; MemoryBound: 0
; FloatMode: 240
; IeeeMode: 1
; LDSByteSize: 0 bytes/workgroup (compile time only)
; SGPRBlocks: 3
; VGPRBlocks: 10
; NumSGPRsForWavesPerEU: 32
; NumVGPRsForWavesPerEU: 86
; AccumOffset: 88
; Occupancy: 5
; WaveLimiterHint : 0
; COMPUTE_PGM_RSRC2:SCRATCH_EN: 0
; COMPUTE_PGM_RSRC2:USER_SGPR: 2
; COMPUTE_PGM_RSRC2:TRAP_HANDLER: 0
; COMPUTE_PGM_RSRC2:TGID_X_EN: 1
; COMPUTE_PGM_RSRC2:TGID_Y_EN: 1
; COMPUTE_PGM_RSRC2:TGID_Z_EN: 0
; COMPUTE_PGM_RSRC2:TIDIG_COMP_CNT: 1
; COMPUTE_PGM_RSRC3_GFX90A:ACCUM_OFFSET: 21
; COMPUTE_PGM_RSRC3_GFX90A:TG_SPLIT: 0
	.section	.text._ZN9rocsolver6v33100L23getf2_npvt_small_kernelILi55EfiiPfEEvT1_T3_lS3_lPT2_S3_S3_,"axG",@progbits,_ZN9rocsolver6v33100L23getf2_npvt_small_kernelILi55EfiiPfEEvT1_T3_lS3_lPT2_S3_S3_,comdat
	.globl	_ZN9rocsolver6v33100L23getf2_npvt_small_kernelILi55EfiiPfEEvT1_T3_lS3_lPT2_S3_S3_ ; -- Begin function _ZN9rocsolver6v33100L23getf2_npvt_small_kernelILi55EfiiPfEEvT1_T3_lS3_lPT2_S3_S3_
	.p2align	8
	.type	_ZN9rocsolver6v33100L23getf2_npvt_small_kernelILi55EfiiPfEEvT1_T3_lS3_lPT2_S3_S3_,@function
_ZN9rocsolver6v33100L23getf2_npvt_small_kernelILi55EfiiPfEEvT1_T3_lS3_lPT2_S3_S3_: ; @_ZN9rocsolver6v33100L23getf2_npvt_small_kernelILi55EfiiPfEEvT1_T3_lS3_lPT2_S3_S3_
; %bb.0:
	s_load_dword s2, s[0:1], 0x44
	s_load_dwordx2 s[8:9], s[0:1], 0x30
	v_bfe_u32 v168, v0, 10, 10
	s_waitcnt lgkmcnt(0)
	s_lshr_b32 s10, s2, 16
	s_mul_i32 s3, s3, s10
	v_add_u32_e32 v34, s3, v168
	v_cmp_gt_i32_e32 vcc, s8, v34
	s_and_saveexec_b64 s[2:3], vcc
	s_cbranch_execz .LBB109_305
; %bb.1:
	s_load_dwordx4 s[12:15], s[0:1], 0x8
	s_load_dword s2, s[0:1], 0x18
	s_load_dwordx4 s[4:7], s[0:1], 0x20
	v_and_b32_e32 v25, 0x3ff, v0
	v_ashrrev_i32_e32 v35, 31, v34
	s_waitcnt lgkmcnt(0)
	v_mov_b32_e32 v2, s12
	v_mov_b32_e32 v3, s13
	v_mad_u64_u32 v[0:1], s[0:1], s4, v34, 0
	s_add_i32 s0, s2, s2
	s_nop 0
	v_add_u32_e32 v6, s0, v25
	v_add_u32_e32 v8, s2, v6
	;; [unrolled: 1-line block ×49, first 2 shown]
	v_mul_lo_u32 v4, s5, v34
	v_mul_lo_u32 v5, s4, v35
	v_add_u32_e32 v156, s2, v154
	v_add3_u32 v1, v1, v5, v4
	v_add_u32_e32 v158, s2, v156
	v_lshl_add_u64 v[0:1], v[0:1], 2, v[2:3]
	v_add_u32_e32 v162, s2, v158
	v_lshl_add_u64 v[160:161], s[14:15], 2, v[0:1]
	v_lshlrev_b32_e32 v0, 2, v25
	v_mov_b32_e32 v1, 0
	v_ashrrev_i32_e32 v7, 31, v6
	v_ashrrev_i32_e32 v9, 31, v8
	v_ashrrev_i32_e32 v11, 31, v10
	v_ashrrev_i32_e32 v13, 31, v12
	v_ashrrev_i32_e32 v15, 31, v14
	v_ashrrev_i32_e32 v27, 31, v26
	v_ashrrev_i32_e32 v29, 31, v28
	v_ashrrev_i32_e32 v31, 31, v30
	v_ashrrev_i32_e32 v33, 31, v32
	v_ashrrev_i32_e32 v37, 31, v36
	v_ashrrev_i32_e32 v39, 31, v38
	v_ashrrev_i32_e32 v41, 31, v40
	v_ashrrev_i32_e32 v43, 31, v42
	v_ashrrev_i32_e32 v53, 31, v52
	v_ashrrev_i32_e32 v55, 31, v54
	v_ashrrev_i32_e32 v57, 31, v56
	v_ashrrev_i32_e32 v59, 31, v58
	v_ashrrev_i32_e32 v61, 31, v60
	v_ashrrev_i32_e32 v63, 31, v62
	v_ashrrev_i32_e32 v65, 31, v64
	v_ashrrev_i32_e32 v67, 31, v66
	v_ashrrev_i32_e32 v77, 31, v76
	v_ashrrev_i32_e32 v79, 31, v78
	v_ashrrev_i32_e32 v81, 31, v80
	v_ashrrev_i32_e32 v83, 31, v82
	v_ashrrev_i32_e32 v85, 31, v84
	v_ashrrev_i32_e32 v87, 31, v86
	v_ashrrev_i32_e32 v89, 31, v88
	v_ashrrev_i32_e32 v91, 31, v90
	v_ashrrev_i32_e32 v101, 31, v100
	v_ashrrev_i32_e32 v103, 31, v102
	v_ashrrev_i32_e32 v105, 31, v104
	v_ashrrev_i32_e32 v107, 31, v106
	v_ashrrev_i32_e32 v109, 31, v108
	v_ashrrev_i32_e32 v111, 31, v110
	v_ashrrev_i32_e32 v113, 31, v112
	v_ashrrev_i32_e32 v115, 31, v114
	v_ashrrev_i32_e32 v125, 31, v124
	v_ashrrev_i32_e32 v127, 31, v126
	v_ashrrev_i32_e32 v129, 31, v128
	v_ashrrev_i32_e32 v131, 31, v130
	v_ashrrev_i32_e32 v133, 31, v132
	v_ashrrev_i32_e32 v135, 31, v134
	v_ashrrev_i32_e32 v137, 31, v136
	v_ashrrev_i32_e32 v139, 31, v138
	v_ashrrev_i32_e32 v149, 31, v148
	v_ashrrev_i32_e32 v151, 31, v150
	v_ashrrev_i32_e32 v153, 31, v152
	v_ashrrev_i32_e32 v155, 31, v154
	v_ashrrev_i32_e32 v157, 31, v156
	v_ashrrev_i32_e32 v159, 31, v158
	v_ashrrev_i32_e32 v163, 31, v162
	s_ashr_i32 s3, s2, 31
	v_lshl_add_u64 v[0:1], v[160:161], 0, v[0:1]
	v_lshl_add_u64 v[4:5], v[6:7], 2, v[160:161]
	;; [unrolled: 1-line block ×53, first 2 shown]
	v_add_u32_e32 v162, s2, v162
	v_lshl_add_u64 v[2:3], s[2:3], 2, v[0:1]
	global_load_dword v24, v[0:1], off
	global_load_dword v18, v[2:3], off
	;; [unrolled: 1-line block ×48, first 2 shown]
	v_ashrrev_i32_e32 v163, 31, v162
	v_lshl_add_u64 v[160:161], v[162:163], 2, v[160:161]
	global_load_dword v145, v[148:149], off
	global_load_dword v162, v[150:151], off
	;; [unrolled: 1-line block ×7, first 2 shown]
	s_mulk_i32 s10, 0xdc
	v_cmp_eq_u32_e64 s[0:1], 0, v25
	v_cmp_ne_u32_e64 s[2:3], 0, v25
	s_movk_i32 s11, 0xdc
	s_add_i32 s8, s10, 0
	s_and_saveexec_b64 s[4:5], s[2:3]
	s_xor_b64 s[4:5], exec, s[4:5]
	s_or_saveexec_b64 s[4:5], s[4:5]
	v_mad_u32_u24 v169, v168, s11, 0
	v_lshl_add_u32 v168, v168, 2, s8
	s_xor_b64 exec, exec, s[4:5]
	s_cbranch_execz .LBB109_5
; %bb.2:
	s_waitcnt vmcnt(54)
	ds_write_b32 v168, v24
	s_waitcnt vmcnt(52)
	ds_write2_b32 v169, v18, v19 offset0:1 offset1:2
	s_waitcnt vmcnt(50)
	ds_write2_b32 v169, v20, v21 offset0:3 offset1:4
	;; [unrolled: 2-line block ×27, first 2 shown]
	ds_read_b32 v170, v168
	s_waitcnt lgkmcnt(0)
	v_cmp_neq_f32_e32 vcc, 0, v170
	s_and_saveexec_b64 s[10:11], vcc
	s_cbranch_execz .LBB109_4
; %bb.3:
	v_div_scale_f32 v171, s[12:13], v170, v170, 1.0
	v_rcp_f32_e32 v172, v171
	v_div_scale_f32 v173, vcc, 1.0, v170, 1.0
	v_fma_f32 v174, -v171, v172, 1.0
	v_fmac_f32_e32 v172, v174, v172
	v_mul_f32_e32 v174, v173, v172
	v_fma_f32 v175, -v171, v174, v173
	v_fmac_f32_e32 v174, v175, v172
	v_fma_f32 v171, -v171, v174, v173
	v_div_fmas_f32 v171, v171, v172, v174
	v_div_fixup_f32 v170, v171, v170, 1.0
	ds_write_b32 v168, v170
.LBB109_4:
	s_or_b64 exec, exec, s[10:11]
.LBB109_5:
	s_or_b64 exec, exec, s[4:5]
	s_waitcnt lgkmcnt(0)
	s_barrier
	ds_read_b32 v170, v168
	s_and_saveexec_b64 s[4:5], s[2:3]
	s_cbranch_execz .LBB109_7
; %bb.6:
	ds_read2_b32 v[172:173], v169 offset0:1 offset1:2
	ds_read2_b32 v[174:175], v169 offset0:3 offset1:4
	;; [unrolled: 1-line block ×3, first 2 shown]
	s_waitcnt vmcnt(54) lgkmcnt(3)
	v_mul_f32_e32 v24, v170, v24
	ds_read2_b32 v[178:179], v169 offset0:7 offset1:8
	s_waitcnt vmcnt(52) lgkmcnt(3)
	v_pk_fma_f32 v[18:19], v[24:25], v[172:173], v[18:19] op_sel_hi:[0,1,1] neg_lo:[1,0,0] neg_hi:[1,0,0]
	s_waitcnt vmcnt(50) lgkmcnt(2)
	v_pk_fma_f32 v[20:21], v[24:25], v[174:175], v[20:21] op_sel_hi:[0,1,1] neg_lo:[1,0,0] neg_hi:[1,0,0]
	s_waitcnt vmcnt(48) lgkmcnt(1)
	v_pk_fma_f32 v[22:23], v[24:25], v[176:177], v[22:23] op_sel_hi:[0,1,1] neg_lo:[1,0,0] neg_hi:[1,0,0]
	ds_read2_b32 v[172:173], v169 offset0:9 offset1:10
	ds_read2_b32 v[174:175], v169 offset0:11 offset1:12
	ds_read2_b32 v[176:177], v169 offset0:13 offset1:14
	s_waitcnt vmcnt(46) lgkmcnt(3)
	v_pk_fma_f32 v[16:17], v[24:25], v[178:179], v[16:17] op_sel_hi:[0,1,1] neg_lo:[1,0,0] neg_hi:[1,0,0]
	ds_read2_b32 v[178:179], v169 offset0:15 offset1:16
	s_waitcnt vmcnt(44) lgkmcnt(3)
	v_pk_fma_f32 v[46:47], v[24:25], v[172:173], v[46:47] op_sel_hi:[0,1,1] neg_lo:[1,0,0] neg_hi:[1,0,0]
	s_waitcnt vmcnt(42) lgkmcnt(2)
	v_pk_fma_f32 v[50:51], v[24:25], v[174:175], v[50:51] op_sel_hi:[0,1,1] neg_lo:[1,0,0] neg_hi:[1,0,0]
	s_waitcnt vmcnt(40) lgkmcnt(1)
	v_pk_fma_f32 v[44:45], v[24:25], v[176:177], v[44:45] op_sel_hi:[0,1,1] neg_lo:[1,0,0] neg_hi:[1,0,0]
	ds_read2_b32 v[172:173], v169 offset0:17 offset1:18
	ds_read2_b32 v[174:175], v169 offset0:19 offset1:20
	ds_read2_b32 v[176:177], v169 offset0:21 offset1:22
	s_waitcnt vmcnt(38) lgkmcnt(3)
	v_pk_fma_f32 v[48:49], v[24:25], v[178:179], v[48:49] op_sel_hi:[0,1,1] neg_lo:[1,0,0] neg_hi:[1,0,0]
	;; [unrolled: 12-line block ×4, first 2 shown]
	ds_read2_b32 v[178:179], v169 offset0:39 offset1:40
	s_waitcnt vmcnt(20) lgkmcnt(3)
	v_pk_fma_f32 v[118:119], v[24:25], v[172:173], v[118:119] op_sel_hi:[0,1,1] neg_lo:[1,0,0] neg_hi:[1,0,0]
	s_waitcnt vmcnt(18) lgkmcnt(2)
	v_pk_fma_f32 v[122:123], v[24:25], v[174:175], v[122:123] op_sel_hi:[0,1,1] neg_lo:[1,0,0] neg_hi:[1,0,0]
	ds_read2_b32 v[172:173], v169 offset0:41 offset1:42
	ds_read2_b32 v[174:175], v169 offset0:43 offset1:44
	s_waitcnt vmcnt(16) lgkmcnt(3)
	v_pk_fma_f32 v[116:117], v[24:25], v[176:177], v[116:117] op_sel_hi:[0,1,1] neg_lo:[1,0,0] neg_hi:[1,0,0]
	s_waitcnt vmcnt(14) lgkmcnt(2)
	v_pk_fma_f32 v[120:121], v[24:25], v[178:179], v[120:121] op_sel_hi:[0,1,1] neg_lo:[1,0,0] neg_hi:[1,0,0]
	ds_read2_b32 v[176:177], v169 offset0:45 offset1:46
	;; [unrolled: 6-line block ×3, first 2 shown]
	ds_read2_b32 v[174:175], v169 offset0:51 offset1:52
	ds_read2_b32 v[180:181], v169 offset0:53 offset1:54
	s_waitcnt vmcnt(8) lgkmcnt(4)
	v_pk_fma_f32 v[142:143], v[24:25], v[176:177], v[142:143] op_sel_hi:[0,1,1] neg_lo:[1,0,0] neg_hi:[1,0,0]
	s_waitcnt vmcnt(6) lgkmcnt(3)
	v_pk_fma_f32 v[144:145], v[24:25], v[178:179], v[144:145] op_sel_hi:[0,1,1] neg_lo:[1,0,0] neg_hi:[1,0,0]
	;; [unrolled: 2-line block ×5, first 2 shown]
.LBB109_7:
	s_or_b64 exec, exec, s[4:5]
	v_cmp_eq_u32_e32 vcc, 1, v25
	s_waitcnt lgkmcnt(0)
	s_barrier
	s_and_saveexec_b64 s[2:3], vcc
	s_cbranch_execz .LBB109_10
; %bb.8:
	s_waitcnt vmcnt(50)
	v_pk_mov_b32 v[172:173], v[18:19], v[20:21] op_sel:[1,0]
	ds_write_b32 v168, v18
	ds_write2_b32 v169, v172, v173 offset0:2 offset1:3
	s_waitcnt vmcnt(48)
	v_pk_mov_b32 v[172:173], v[20:21], v[22:23] op_sel:[1,0]
	ds_write2_b32 v169, v172, v173 offset0:4 offset1:5
	s_waitcnt vmcnt(46)
	v_pk_mov_b32 v[172:173], v[22:23], v[16:17] op_sel:[1,0]
	;; [unrolled: 3-line block ×25, first 2 shown]
	ds_write2_b32 v169, v172, v173 offset0:52 offset1:53
	ds_write_b32 v169, v167 offset:216
	ds_read_b32 v171, v168
	s_waitcnt lgkmcnt(0)
	v_cmp_neq_f32_e32 vcc, 0, v171
	s_and_b64 exec, exec, vcc
	s_cbranch_execz .LBB109_10
; %bb.9:
	v_div_scale_f32 v172, s[4:5], v171, v171, 1.0
	v_rcp_f32_e32 v173, v172
	v_div_scale_f32 v174, vcc, 1.0, v171, 1.0
	v_fma_f32 v175, -v172, v173, 1.0
	v_fmac_f32_e32 v173, v175, v173
	v_mul_f32_e32 v175, v174, v173
	v_fma_f32 v176, -v172, v175, v174
	v_fmac_f32_e32 v175, v176, v173
	v_fma_f32 v172, -v172, v175, v174
	v_div_fmas_f32 v172, v172, v173, v175
	v_div_fixup_f32 v171, v172, v171, 1.0
	ds_write_b32 v168, v171
.LBB109_10:
	s_or_b64 exec, exec, s[2:3]
	s_waitcnt lgkmcnt(0)
	s_barrier
	ds_read_b32 v171, v168
	v_cmp_lt_u32_e32 vcc, 1, v25
	s_and_saveexec_b64 s[2:3], vcc
	s_cbranch_execz .LBB109_12
; %bb.11:
	ds_read_b32 v178, v169 offset:8
	ds_read2_b32 v[172:173], v169 offset0:3 offset1:4
	ds_read2_b32 v[174:175], v169 offset0:5 offset1:6
	s_waitcnt vmcnt(53) lgkmcnt(3)
	v_mul_f32_e32 v18, v171, v18
	ds_read2_b32 v[176:177], v169 offset0:7 offset1:8
	s_waitcnt vmcnt(52) lgkmcnt(3)
	v_fma_f32 v19, -v18, v178, v19
	s_waitcnt vmcnt(50) lgkmcnt(2)
	v_pk_fma_f32 v[20:21], v[18:19], v[172:173], v[20:21] op_sel_hi:[0,1,1] neg_lo:[1,0,0] neg_hi:[1,0,0]
	s_waitcnt vmcnt(48) lgkmcnt(1)
	v_pk_fma_f32 v[22:23], v[18:19], v[174:175], v[22:23] op_sel_hi:[0,1,1] neg_lo:[1,0,0] neg_hi:[1,0,0]
	ds_read2_b32 v[172:173], v169 offset0:9 offset1:10
	ds_read2_b32 v[174:175], v169 offset0:11 offset1:12
	ds_read2_b32 v[178:179], v169 offset0:13 offset1:14
	s_waitcnt vmcnt(46) lgkmcnt(3)
	v_pk_fma_f32 v[16:17], v[18:19], v[176:177], v[16:17] op_sel_hi:[0,1,1] neg_lo:[1,0,0] neg_hi:[1,0,0]
	ds_read2_b32 v[176:177], v169 offset0:15 offset1:16
	s_waitcnt vmcnt(44) lgkmcnt(3)
	v_pk_fma_f32 v[46:47], v[18:19], v[172:173], v[46:47] op_sel_hi:[0,1,1] neg_lo:[1,0,0] neg_hi:[1,0,0]
	s_waitcnt vmcnt(42) lgkmcnt(2)
	v_pk_fma_f32 v[50:51], v[18:19], v[174:175], v[50:51] op_sel_hi:[0,1,1] neg_lo:[1,0,0] neg_hi:[1,0,0]
	s_waitcnt vmcnt(40) lgkmcnt(1)
	v_pk_fma_f32 v[44:45], v[18:19], v[178:179], v[44:45] op_sel_hi:[0,1,1] neg_lo:[1,0,0] neg_hi:[1,0,0]
	ds_read2_b32 v[172:173], v169 offset0:17 offset1:18
	ds_read2_b32 v[174:175], v169 offset0:19 offset1:20
	ds_read2_b32 v[178:179], v169 offset0:21 offset1:22
	s_waitcnt vmcnt(38) lgkmcnt(3)
	v_pk_fma_f32 v[48:49], v[18:19], v[176:177], v[48:49] op_sel_hi:[0,1,1] neg_lo:[1,0,0] neg_hi:[1,0,0]
	ds_read2_b32 v[176:177], v169 offset0:23 offset1:24
	s_waitcnt vmcnt(36) lgkmcnt(3)
	v_pk_fma_f32 v[74:75], v[18:19], v[172:173], v[74:75] op_sel_hi:[0,1,1] neg_lo:[1,0,0] neg_hi:[1,0,0]
	;; [unrolled: 12-line block ×4, first 2 shown]
	s_waitcnt vmcnt(18) lgkmcnt(2)
	v_pk_fma_f32 v[122:123], v[18:19], v[174:175], v[122:123] op_sel_hi:[0,1,1] neg_lo:[1,0,0] neg_hi:[1,0,0]
	ds_read2_b32 v[172:173], v169 offset0:41 offset1:42
	ds_read2_b32 v[174:175], v169 offset0:43 offset1:44
	s_waitcnt vmcnt(16) lgkmcnt(3)
	v_pk_fma_f32 v[116:117], v[18:19], v[178:179], v[116:117] op_sel_hi:[0,1,1] neg_lo:[1,0,0] neg_hi:[1,0,0]
	s_waitcnt vmcnt(14) lgkmcnt(2)
	v_pk_fma_f32 v[120:121], v[18:19], v[176:177], v[120:121] op_sel_hi:[0,1,1] neg_lo:[1,0,0] neg_hi:[1,0,0]
	ds_read2_b32 v[176:177], v169 offset0:45 offset1:46
	ds_read2_b32 v[178:179], v169 offset0:47 offset1:48
	s_waitcnt vmcnt(12) lgkmcnt(3)
	v_pk_fma_f32 v[146:147], v[18:19], v[172:173], v[146:147] op_sel_hi:[0,1,1] neg_lo:[1,0,0] neg_hi:[1,0,0]
	s_waitcnt vmcnt(10) lgkmcnt(2)
	v_pk_fma_f32 v[140:141], v[18:19], v[174:175], v[140:141] op_sel_hi:[0,1,1] neg_lo:[1,0,0] neg_hi:[1,0,0]
	ds_read2_b32 v[172:173], v169 offset0:49 offset1:50
	ds_read2_b32 v[174:175], v169 offset0:51 offset1:52
	;; [unrolled: 1-line block ×3, first 2 shown]
	s_waitcnt vmcnt(8) lgkmcnt(4)
	v_pk_fma_f32 v[142:143], v[18:19], v[176:177], v[142:143] op_sel_hi:[0,1,1] neg_lo:[1,0,0] neg_hi:[1,0,0]
	s_waitcnt vmcnt(6) lgkmcnt(3)
	v_pk_fma_f32 v[144:145], v[18:19], v[178:179], v[144:145] op_sel_hi:[0,1,1] neg_lo:[1,0,0] neg_hi:[1,0,0]
	;; [unrolled: 2-line block ×5, first 2 shown]
.LBB109_12:
	s_or_b64 exec, exec, s[2:3]
	v_cmp_eq_u32_e32 vcc, 2, v25
	s_waitcnt lgkmcnt(0)
	s_barrier
	s_and_saveexec_b64 s[2:3], vcc
	s_cbranch_execz .LBB109_15
; %bb.13:
	s_waitcnt vmcnt(52)
	ds_write_b32 v168, v19
	s_waitcnt vmcnt(50)
	ds_write2_b32 v169, v20, v21 offset0:3 offset1:4
	s_waitcnt vmcnt(48)
	ds_write2_b32 v169, v22, v23 offset0:5 offset1:6
	;; [unrolled: 2-line block ×26, first 2 shown]
	ds_read_b32 v172, v168
	s_waitcnt lgkmcnt(0)
	v_cmp_neq_f32_e32 vcc, 0, v172
	s_and_b64 exec, exec, vcc
	s_cbranch_execz .LBB109_15
; %bb.14:
	v_div_scale_f32 v173, s[4:5], v172, v172, 1.0
	v_rcp_f32_e32 v174, v173
	v_div_scale_f32 v175, vcc, 1.0, v172, 1.0
	v_fma_f32 v176, -v173, v174, 1.0
	v_fmac_f32_e32 v174, v176, v174
	v_mul_f32_e32 v176, v175, v174
	v_fma_f32 v177, -v173, v176, v175
	v_fmac_f32_e32 v176, v177, v174
	v_fma_f32 v173, -v173, v176, v175
	v_div_fmas_f32 v173, v173, v174, v176
	v_div_fixup_f32 v172, v173, v172, 1.0
	ds_write_b32 v168, v172
.LBB109_15:
	s_or_b64 exec, exec, s[2:3]
	s_waitcnt lgkmcnt(0)
	s_barrier
	ds_read_b32 v172, v168
	v_cmp_lt_u32_e32 vcc, 2, v25
	s_and_saveexec_b64 s[2:3], vcc
	s_cbranch_execz .LBB109_17
; %bb.16:
	ds_read2_b32 v[174:175], v169 offset0:3 offset1:4
	ds_read2_b32 v[176:177], v169 offset0:5 offset1:6
	;; [unrolled: 1-line block ×4, first 2 shown]
	s_waitcnt vmcnt(52) lgkmcnt(4)
	v_mul_f32_e32 v180, v172, v19
	s_waitcnt vmcnt(50) lgkmcnt(3)
	v_pk_fma_f32 v[20:21], v[180:181], v[174:175], v[20:21] op_sel_hi:[0,1,1] neg_lo:[1,0,0] neg_hi:[1,0,0]
	s_waitcnt vmcnt(48) lgkmcnt(2)
	v_pk_fma_f32 v[22:23], v[180:181], v[176:177], v[22:23] op_sel_hi:[0,1,1] neg_lo:[1,0,0] neg_hi:[1,0,0]
	s_waitcnt vmcnt(46) lgkmcnt(1)
	v_pk_fma_f32 v[16:17], v[180:181], v[178:179], v[16:17] op_sel_hi:[0,1,1] neg_lo:[1,0,0] neg_hi:[1,0,0]
	ds_read2_b32 v[174:175], v169 offset0:11 offset1:12
	ds_read2_b32 v[176:177], v169 offset0:13 offset1:14
	ds_read2_b32 v[178:179], v169 offset0:15 offset1:16
	s_waitcnt vmcnt(44) lgkmcnt(3)
	v_pk_fma_f32 v[46:47], v[180:181], v[182:183], v[46:47] op_sel_hi:[0,1,1] neg_lo:[1,0,0] neg_hi:[1,0,0]
	ds_read2_b32 v[182:183], v169 offset0:17 offset1:18
	s_waitcnt vmcnt(42) lgkmcnt(3)
	v_pk_fma_f32 v[50:51], v[180:181], v[174:175], v[50:51] op_sel_hi:[0,1,1] neg_lo:[1,0,0] neg_hi:[1,0,0]
	s_waitcnt vmcnt(40) lgkmcnt(2)
	v_pk_fma_f32 v[44:45], v[180:181], v[176:177], v[44:45] op_sel_hi:[0,1,1] neg_lo:[1,0,0] neg_hi:[1,0,0]
	s_waitcnt vmcnt(38) lgkmcnt(1)
	v_pk_fma_f32 v[48:49], v[180:181], v[178:179], v[48:49] op_sel_hi:[0,1,1] neg_lo:[1,0,0] neg_hi:[1,0,0]
	ds_read2_b32 v[174:175], v169 offset0:19 offset1:20
	ds_read2_b32 v[176:177], v169 offset0:21 offset1:22
	ds_read2_b32 v[178:179], v169 offset0:23 offset1:24
	s_waitcnt vmcnt(36) lgkmcnt(3)
	v_pk_fma_f32 v[74:75], v[180:181], v[182:183], v[74:75] op_sel_hi:[0,1,1] neg_lo:[1,0,0] neg_hi:[1,0,0]
	ds_read2_b32 v[182:183], v169 offset0:25 offset1:26
	;; [unrolled: 12-line block ×4, first 2 shown]
	s_waitcnt vmcnt(18) lgkmcnt(3)
	v_pk_fma_f32 v[122:123], v[180:181], v[174:175], v[122:123] op_sel_hi:[0,1,1] neg_lo:[1,0,0] neg_hi:[1,0,0]
	ds_read2_b32 v[174:175], v169 offset0:43 offset1:44
	s_waitcnt vmcnt(16) lgkmcnt(3)
	v_pk_fma_f32 v[116:117], v[180:181], v[176:177], v[116:117] op_sel_hi:[0,1,1] neg_lo:[1,0,0] neg_hi:[1,0,0]
	s_waitcnt vmcnt(14) lgkmcnt(2)
	v_pk_fma_f32 v[120:121], v[180:181], v[178:179], v[120:121] op_sel_hi:[0,1,1] neg_lo:[1,0,0] neg_hi:[1,0,0]
	;; [unrolled: 2-line block ×3, first 2 shown]
	ds_read2_b32 v[176:177], v169 offset0:45 offset1:46
	ds_read2_b32 v[178:179], v169 offset0:47 offset1:48
	;; [unrolled: 1-line block ×3, first 2 shown]
	s_waitcnt vmcnt(10) lgkmcnt(3)
	v_pk_fma_f32 v[140:141], v[180:181], v[174:175], v[140:141] op_sel_hi:[0,1,1] neg_lo:[1,0,0] neg_hi:[1,0,0]
	ds_read2_b32 v[174:175], v169 offset0:51 offset1:52
	ds_read2_b32 v[184:185], v169 offset0:53 offset1:54
	s_waitcnt vmcnt(8) lgkmcnt(4)
	v_pk_fma_f32 v[142:143], v[180:181], v[176:177], v[142:143] op_sel_hi:[0,1,1] neg_lo:[1,0,0] neg_hi:[1,0,0]
	s_waitcnt vmcnt(6) lgkmcnt(3)
	v_pk_fma_f32 v[144:145], v[180:181], v[178:179], v[144:145] op_sel_hi:[0,1,1] neg_lo:[1,0,0] neg_hi:[1,0,0]
	;; [unrolled: 2-line block ×5, first 2 shown]
	v_mov_b32_e32 v19, v180
.LBB109_17:
	s_or_b64 exec, exec, s[2:3]
	v_cmp_eq_u32_e32 vcc, 3, v25
	s_waitcnt lgkmcnt(0)
	s_barrier
	s_and_saveexec_b64 s[2:3], vcc
	s_cbranch_execz .LBB109_20
; %bb.18:
	s_waitcnt vmcnt(48)
	v_pk_mov_b32 v[174:175], v[20:21], v[22:23] op_sel:[1,0]
	ds_write_b32 v168, v20
	ds_write2_b32 v169, v174, v175 offset0:4 offset1:5
	s_waitcnt vmcnt(46)
	v_pk_mov_b32 v[174:175], v[22:23], v[16:17] op_sel:[1,0]
	ds_write2_b32 v169, v174, v175 offset0:6 offset1:7
	s_waitcnt vmcnt(44)
	v_pk_mov_b32 v[174:175], v[16:17], v[46:47] op_sel:[1,0]
	ds_write2_b32 v169, v174, v175 offset0:8 offset1:9
	s_waitcnt vmcnt(42)
	v_pk_mov_b32 v[174:175], v[46:47], v[50:51] op_sel:[1,0]
	ds_write2_b32 v169, v174, v175 offset0:10 offset1:11
	s_waitcnt vmcnt(40)
	v_pk_mov_b32 v[174:175], v[50:51], v[44:45] op_sel:[1,0]
	ds_write2_b32 v169, v174, v175 offset0:12 offset1:13
	s_waitcnt vmcnt(38)
	v_pk_mov_b32 v[174:175], v[44:45], v[48:49] op_sel:[1,0]
	ds_write2_b32 v169, v174, v175 offset0:14 offset1:15
	s_waitcnt vmcnt(36)
	v_pk_mov_b32 v[174:175], v[48:49], v[74:75] op_sel:[1,0]
	ds_write2_b32 v169, v174, v175 offset0:16 offset1:17
	s_waitcnt vmcnt(34)
	v_pk_mov_b32 v[174:175], v[74:75], v[68:69] op_sel:[1,0]
	ds_write2_b32 v169, v174, v175 offset0:18 offset1:19
	s_waitcnt vmcnt(32)
	v_pk_mov_b32 v[174:175], v[68:69], v[70:71] op_sel:[1,0]
	ds_write2_b32 v169, v174, v175 offset0:20 offset1:21
	s_waitcnt vmcnt(30)
	v_pk_mov_b32 v[174:175], v[70:71], v[72:73] op_sel:[1,0]
	ds_write2_b32 v169, v174, v175 offset0:22 offset1:23
	s_waitcnt vmcnt(28)
	v_pk_mov_b32 v[174:175], v[72:73], v[94:95] op_sel:[1,0]
	ds_write2_b32 v169, v174, v175 offset0:24 offset1:25
	s_waitcnt vmcnt(26)
	v_pk_mov_b32 v[174:175], v[94:95], v[96:97] op_sel:[1,0]
	ds_write2_b32 v169, v174, v175 offset0:26 offset1:27
	s_waitcnt vmcnt(24)
	v_pk_mov_b32 v[174:175], v[96:97], v[98:99] op_sel:[1,0]
	ds_write2_b32 v169, v174, v175 offset0:28 offset1:29
	s_waitcnt vmcnt(22)
	v_pk_mov_b32 v[174:175], v[98:99], v[92:93] op_sel:[1,0]
	ds_write2_b32 v169, v174, v175 offset0:30 offset1:31
	s_waitcnt vmcnt(20)
	v_pk_mov_b32 v[174:175], v[92:93], v[118:119] op_sel:[1,0]
	ds_write2_b32 v169, v174, v175 offset0:32 offset1:33
	s_waitcnt vmcnt(18)
	v_pk_mov_b32 v[174:175], v[118:119], v[122:123] op_sel:[1,0]
	ds_write2_b32 v169, v174, v175 offset0:34 offset1:35
	s_waitcnt vmcnt(16)
	v_pk_mov_b32 v[174:175], v[122:123], v[116:117] op_sel:[1,0]
	ds_write2_b32 v169, v174, v175 offset0:36 offset1:37
	s_waitcnt vmcnt(14)
	v_pk_mov_b32 v[174:175], v[116:117], v[120:121] op_sel:[1,0]
	ds_write2_b32 v169, v174, v175 offset0:38 offset1:39
	s_waitcnt vmcnt(12)
	v_pk_mov_b32 v[174:175], v[120:121], v[146:147] op_sel:[1,0]
	ds_write2_b32 v169, v174, v175 offset0:40 offset1:41
	s_waitcnt vmcnt(10)
	v_pk_mov_b32 v[174:175], v[146:147], v[140:141] op_sel:[1,0]
	ds_write2_b32 v169, v174, v175 offset0:42 offset1:43
	s_waitcnt vmcnt(8)
	v_pk_mov_b32 v[174:175], v[140:141], v[142:143] op_sel:[1,0]
	ds_write2_b32 v169, v174, v175 offset0:44 offset1:45
	s_waitcnt vmcnt(6)
	v_pk_mov_b32 v[174:175], v[142:143], v[144:145] op_sel:[1,0]
	ds_write2_b32 v169, v174, v175 offset0:46 offset1:47
	s_waitcnt vmcnt(4)
	v_pk_mov_b32 v[174:175], v[144:145], v[162:163] op_sel:[1,0]
	ds_write2_b32 v169, v174, v175 offset0:48 offset1:49
	s_waitcnt vmcnt(2)
	v_pk_mov_b32 v[174:175], v[162:163], v[164:165] op_sel:[1,0]
	ds_write2_b32 v169, v174, v175 offset0:50 offset1:51
	s_waitcnt vmcnt(0)
	v_pk_mov_b32 v[174:175], v[164:165], v[166:167] op_sel:[1,0]
	ds_write2_b32 v169, v174, v175 offset0:52 offset1:53
	ds_write_b32 v169, v167 offset:216
	ds_read_b32 v173, v168
	s_waitcnt lgkmcnt(0)
	v_cmp_neq_f32_e32 vcc, 0, v173
	s_and_b64 exec, exec, vcc
	s_cbranch_execz .LBB109_20
; %bb.19:
	v_div_scale_f32 v174, s[4:5], v173, v173, 1.0
	v_rcp_f32_e32 v175, v174
	v_div_scale_f32 v176, vcc, 1.0, v173, 1.0
	v_fma_f32 v177, -v174, v175, 1.0
	v_fmac_f32_e32 v175, v177, v175
	v_mul_f32_e32 v177, v176, v175
	v_fma_f32 v178, -v174, v177, v176
	v_fmac_f32_e32 v177, v178, v175
	v_fma_f32 v174, -v174, v177, v176
	v_div_fmas_f32 v174, v174, v175, v177
	v_div_fixup_f32 v173, v174, v173, 1.0
	ds_write_b32 v168, v173
.LBB109_20:
	s_or_b64 exec, exec, s[2:3]
	s_waitcnt lgkmcnt(0)
	s_barrier
	ds_read_b32 v173, v168
	v_cmp_lt_u32_e32 vcc, 3, v25
	s_and_saveexec_b64 s[2:3], vcc
	s_cbranch_execz .LBB109_22
; %bb.21:
	ds_read_b32 v180, v169 offset:16
	ds_read2_b32 v[174:175], v169 offset0:5 offset1:6
	ds_read2_b32 v[176:177], v169 offset0:7 offset1:8
	s_waitcnt vmcnt(51) lgkmcnt(3)
	v_mul_f32_e32 v20, v173, v20
	ds_read2_b32 v[178:179], v169 offset0:9 offset1:10
	s_waitcnt vmcnt(50) lgkmcnt(3)
	v_fma_f32 v21, -v20, v180, v21
	s_waitcnt vmcnt(48) lgkmcnt(2)
	v_pk_fma_f32 v[22:23], v[20:21], v[174:175], v[22:23] op_sel_hi:[0,1,1] neg_lo:[1,0,0] neg_hi:[1,0,0]
	s_waitcnt vmcnt(46) lgkmcnt(1)
	v_pk_fma_f32 v[16:17], v[20:21], v[176:177], v[16:17] op_sel_hi:[0,1,1] neg_lo:[1,0,0] neg_hi:[1,0,0]
	ds_read2_b32 v[174:175], v169 offset0:11 offset1:12
	ds_read2_b32 v[176:177], v169 offset0:13 offset1:14
	ds_read2_b32 v[180:181], v169 offset0:15 offset1:16
	s_waitcnt vmcnt(44) lgkmcnt(3)
	v_pk_fma_f32 v[46:47], v[20:21], v[178:179], v[46:47] op_sel_hi:[0,1,1] neg_lo:[1,0,0] neg_hi:[1,0,0]
	ds_read2_b32 v[178:179], v169 offset0:17 offset1:18
	s_waitcnt vmcnt(42) lgkmcnt(3)
	v_pk_fma_f32 v[50:51], v[20:21], v[174:175], v[50:51] op_sel_hi:[0,1,1] neg_lo:[1,0,0] neg_hi:[1,0,0]
	s_waitcnt vmcnt(40) lgkmcnt(2)
	v_pk_fma_f32 v[44:45], v[20:21], v[176:177], v[44:45] op_sel_hi:[0,1,1] neg_lo:[1,0,0] neg_hi:[1,0,0]
	s_waitcnt vmcnt(38) lgkmcnt(1)
	v_pk_fma_f32 v[48:49], v[20:21], v[180:181], v[48:49] op_sel_hi:[0,1,1] neg_lo:[1,0,0] neg_hi:[1,0,0]
	ds_read2_b32 v[174:175], v169 offset0:19 offset1:20
	ds_read2_b32 v[176:177], v169 offset0:21 offset1:22
	ds_read2_b32 v[180:181], v169 offset0:23 offset1:24
	s_waitcnt vmcnt(36) lgkmcnt(3)
	v_pk_fma_f32 v[74:75], v[20:21], v[178:179], v[74:75] op_sel_hi:[0,1,1] neg_lo:[1,0,0] neg_hi:[1,0,0]
	ds_read2_b32 v[178:179], v169 offset0:25 offset1:26
	s_waitcnt vmcnt(34) lgkmcnt(3)
	v_pk_fma_f32 v[68:69], v[20:21], v[174:175], v[68:69] op_sel_hi:[0,1,1] neg_lo:[1,0,0] neg_hi:[1,0,0]
	;; [unrolled: 12-line block ×4, first 2 shown]
	ds_read2_b32 v[174:175], v169 offset0:43 offset1:44
	s_waitcnt vmcnt(16) lgkmcnt(3)
	v_pk_fma_f32 v[116:117], v[20:21], v[176:177], v[116:117] op_sel_hi:[0,1,1] neg_lo:[1,0,0] neg_hi:[1,0,0]
	s_waitcnt vmcnt(14) lgkmcnt(2)
	v_pk_fma_f32 v[120:121], v[20:21], v[180:181], v[120:121] op_sel_hi:[0,1,1] neg_lo:[1,0,0] neg_hi:[1,0,0]
	;; [unrolled: 2-line block ×3, first 2 shown]
	ds_read2_b32 v[176:177], v169 offset0:45 offset1:46
	ds_read2_b32 v[178:179], v169 offset0:47 offset1:48
	;; [unrolled: 1-line block ×3, first 2 shown]
	s_waitcnt vmcnt(10) lgkmcnt(3)
	v_pk_fma_f32 v[140:141], v[20:21], v[174:175], v[140:141] op_sel_hi:[0,1,1] neg_lo:[1,0,0] neg_hi:[1,0,0]
	ds_read2_b32 v[174:175], v169 offset0:51 offset1:52
	ds_read2_b32 v[182:183], v169 offset0:53 offset1:54
	s_waitcnt vmcnt(8) lgkmcnt(4)
	v_pk_fma_f32 v[142:143], v[20:21], v[176:177], v[142:143] op_sel_hi:[0,1,1] neg_lo:[1,0,0] neg_hi:[1,0,0]
	s_waitcnt vmcnt(6) lgkmcnt(3)
	v_pk_fma_f32 v[144:145], v[20:21], v[178:179], v[144:145] op_sel_hi:[0,1,1] neg_lo:[1,0,0] neg_hi:[1,0,0]
	;; [unrolled: 2-line block ×5, first 2 shown]
.LBB109_22:
	s_or_b64 exec, exec, s[2:3]
	v_cmp_ne_u32_e32 vcc, 4, v25
	s_waitcnt lgkmcnt(0)
	s_barrier
	s_and_saveexec_b64 s[2:3], vcc
	s_xor_b64 s[2:3], exec, s[2:3]
	s_andn2_saveexec_b64 s[2:3], s[2:3]
	s_cbranch_execz .LBB109_26
; %bb.23:
	s_waitcnt vmcnt(50)
	ds_write_b32 v168, v21
	s_waitcnt vmcnt(48)
	ds_write2_b32 v169, v22, v23 offset0:5 offset1:6
	s_waitcnt vmcnt(46)
	ds_write2_b32 v169, v16, v17 offset0:7 offset1:8
	;; [unrolled: 2-line block ×25, first 2 shown]
	ds_read_b32 v174, v168
	s_waitcnt lgkmcnt(0)
	v_cmp_neq_f32_e32 vcc, 0, v174
	s_and_saveexec_b64 s[4:5], vcc
	s_cbranch_execz .LBB109_25
; %bb.24:
	v_div_scale_f32 v175, s[10:11], v174, v174, 1.0
	v_rcp_f32_e32 v176, v175
	v_div_scale_f32 v177, vcc, 1.0, v174, 1.0
	v_fma_f32 v178, -v175, v176, 1.0
	v_fmac_f32_e32 v176, v178, v176
	v_mul_f32_e32 v178, v177, v176
	v_fma_f32 v179, -v175, v178, v177
	v_fmac_f32_e32 v178, v179, v176
	v_fma_f32 v175, -v175, v178, v177
	v_div_fmas_f32 v175, v175, v176, v178
	v_div_fixup_f32 v174, v175, v174, 1.0
	ds_write_b32 v168, v174
.LBB109_25:
	s_or_b64 exec, exec, s[4:5]
.LBB109_26:
	s_or_b64 exec, exec, s[2:3]
	s_waitcnt lgkmcnt(0)
	s_barrier
	ds_read_b32 v174, v168
	v_cmp_lt_u32_e32 vcc, 4, v25
	s_and_saveexec_b64 s[2:3], vcc
	s_cbranch_execz .LBB109_28
; %bb.27:
	ds_read2_b32 v[176:177], v169 offset0:5 offset1:6
	ds_read2_b32 v[178:179], v169 offset0:7 offset1:8
	;; [unrolled: 1-line block ×3, first 2 shown]
	s_waitcnt vmcnt(50) lgkmcnt(3)
	v_mul_f32_e32 v182, v174, v21
	ds_read2_b32 v[184:185], v169 offset0:11 offset1:12
	s_waitcnt vmcnt(48) lgkmcnt(3)
	v_pk_fma_f32 v[22:23], v[182:183], v[176:177], v[22:23] op_sel_hi:[0,1,1] neg_lo:[1,0,0] neg_hi:[1,0,0]
	s_waitcnt vmcnt(46) lgkmcnt(2)
	v_pk_fma_f32 v[16:17], v[182:183], v[178:179], v[16:17] op_sel_hi:[0,1,1] neg_lo:[1,0,0] neg_hi:[1,0,0]
	s_waitcnt vmcnt(44) lgkmcnt(1)
	v_pk_fma_f32 v[46:47], v[182:183], v[180:181], v[46:47] op_sel_hi:[0,1,1] neg_lo:[1,0,0] neg_hi:[1,0,0]
	ds_read2_b32 v[176:177], v169 offset0:13 offset1:14
	ds_read2_b32 v[178:179], v169 offset0:15 offset1:16
	ds_read2_b32 v[180:181], v169 offset0:17 offset1:18
	s_waitcnt vmcnt(42) lgkmcnt(3)
	v_pk_fma_f32 v[50:51], v[182:183], v[184:185], v[50:51] op_sel_hi:[0,1,1] neg_lo:[1,0,0] neg_hi:[1,0,0]
	ds_read2_b32 v[184:185], v169 offset0:19 offset1:20
	s_waitcnt vmcnt(40) lgkmcnt(3)
	v_pk_fma_f32 v[44:45], v[182:183], v[176:177], v[44:45] op_sel_hi:[0,1,1] neg_lo:[1,0,0] neg_hi:[1,0,0]
	s_waitcnt vmcnt(38) lgkmcnt(2)
	v_pk_fma_f32 v[48:49], v[182:183], v[178:179], v[48:49] op_sel_hi:[0,1,1] neg_lo:[1,0,0] neg_hi:[1,0,0]
	s_waitcnt vmcnt(36) lgkmcnt(1)
	v_pk_fma_f32 v[74:75], v[182:183], v[180:181], v[74:75] op_sel_hi:[0,1,1] neg_lo:[1,0,0] neg_hi:[1,0,0]
	ds_read2_b32 v[176:177], v169 offset0:21 offset1:22
	ds_read2_b32 v[178:179], v169 offset0:23 offset1:24
	ds_read2_b32 v[180:181], v169 offset0:25 offset1:26
	s_waitcnt vmcnt(34) lgkmcnt(3)
	v_pk_fma_f32 v[68:69], v[182:183], v[184:185], v[68:69] op_sel_hi:[0,1,1] neg_lo:[1,0,0] neg_hi:[1,0,0]
	;; [unrolled: 12-line block ×3, first 2 shown]
	ds_read2_b32 v[184:185], v169 offset0:35 offset1:36
	s_waitcnt vmcnt(24) lgkmcnt(3)
	v_pk_fma_f32 v[98:99], v[182:183], v[176:177], v[98:99] op_sel_hi:[0,1,1] neg_lo:[1,0,0] neg_hi:[1,0,0]
	s_waitcnt vmcnt(22) lgkmcnt(2)
	v_pk_fma_f32 v[92:93], v[182:183], v[178:179], v[92:93] op_sel_hi:[0,1,1] neg_lo:[1,0,0] neg_hi:[1,0,0]
	;; [unrolled: 2-line block ×3, first 2 shown]
	ds_read2_b32 v[176:177], v169 offset0:37 offset1:38
	ds_read2_b32 v[178:179], v169 offset0:39 offset1:40
	;; [unrolled: 1-line block ×4, first 2 shown]
	s_waitcnt vmcnt(18) lgkmcnt(4)
	v_pk_fma_f32 v[122:123], v[182:183], v[184:185], v[122:123] op_sel_hi:[0,1,1] neg_lo:[1,0,0] neg_hi:[1,0,0]
	s_waitcnt vmcnt(16) lgkmcnt(3)
	v_pk_fma_f32 v[116:117], v[182:183], v[176:177], v[116:117] op_sel_hi:[0,1,1] neg_lo:[1,0,0] neg_hi:[1,0,0]
	;; [unrolled: 2-line block ×5, first 2 shown]
	ds_read2_b32 v[176:177], v169 offset0:45 offset1:46
	ds_read2_b32 v[178:179], v169 offset0:47 offset1:48
	;; [unrolled: 1-line block ×5, first 2 shown]
	s_waitcnt vmcnt(8) lgkmcnt(4)
	v_pk_fma_f32 v[142:143], v[182:183], v[176:177], v[142:143] op_sel_hi:[0,1,1] neg_lo:[1,0,0] neg_hi:[1,0,0]
	s_waitcnt vmcnt(6) lgkmcnt(3)
	v_pk_fma_f32 v[144:145], v[182:183], v[178:179], v[144:145] op_sel_hi:[0,1,1] neg_lo:[1,0,0] neg_hi:[1,0,0]
	;; [unrolled: 2-line block ×5, first 2 shown]
	v_mov_b32_e32 v21, v182
.LBB109_28:
	s_or_b64 exec, exec, s[2:3]
	v_cmp_eq_u32_e32 vcc, 5, v25
	s_waitcnt lgkmcnt(0)
	s_barrier
	s_and_saveexec_b64 s[2:3], vcc
	s_cbranch_execz .LBB109_31
; %bb.29:
	s_waitcnt vmcnt(46)
	v_pk_mov_b32 v[176:177], v[22:23], v[16:17] op_sel:[1,0]
	ds_write_b32 v168, v22
	ds_write2_b32 v169, v176, v177 offset0:6 offset1:7
	s_waitcnt vmcnt(44)
	v_pk_mov_b32 v[176:177], v[16:17], v[46:47] op_sel:[1,0]
	ds_write2_b32 v169, v176, v177 offset0:8 offset1:9
	s_waitcnt vmcnt(42)
	v_pk_mov_b32 v[176:177], v[46:47], v[50:51] op_sel:[1,0]
	;; [unrolled: 3-line block ×23, first 2 shown]
	ds_write2_b32 v169, v176, v177 offset0:52 offset1:53
	ds_write_b32 v169, v167 offset:216
	ds_read_b32 v175, v168
	s_waitcnt lgkmcnt(0)
	v_cmp_neq_f32_e32 vcc, 0, v175
	s_and_b64 exec, exec, vcc
	s_cbranch_execz .LBB109_31
; %bb.30:
	v_div_scale_f32 v176, s[4:5], v175, v175, 1.0
	v_rcp_f32_e32 v177, v176
	v_div_scale_f32 v178, vcc, 1.0, v175, 1.0
	v_fma_f32 v179, -v176, v177, 1.0
	v_fmac_f32_e32 v177, v179, v177
	v_mul_f32_e32 v179, v178, v177
	v_fma_f32 v180, -v176, v179, v178
	v_fmac_f32_e32 v179, v180, v177
	v_fma_f32 v176, -v176, v179, v178
	v_div_fmas_f32 v176, v176, v177, v179
	v_div_fixup_f32 v175, v176, v175, 1.0
	ds_write_b32 v168, v175
.LBB109_31:
	s_or_b64 exec, exec, s[2:3]
	s_waitcnt lgkmcnt(0)
	s_barrier
	ds_read_b32 v175, v168
	v_cmp_lt_u32_e32 vcc, 5, v25
	s_and_saveexec_b64 s[2:3], vcc
	s_cbranch_execz .LBB109_33
; %bb.32:
	ds_read_b32 v182, v169 offset:24
	ds_read2_b32 v[176:177], v169 offset0:7 offset1:8
	ds_read2_b32 v[178:179], v169 offset0:9 offset1:10
	s_waitcnt vmcnt(49) lgkmcnt(3)
	v_mul_f32_e32 v22, v175, v22
	ds_read2_b32 v[180:181], v169 offset0:11 offset1:12
	s_waitcnt vmcnt(48) lgkmcnt(3)
	v_fma_f32 v23, -v22, v182, v23
	s_waitcnt vmcnt(46) lgkmcnt(2)
	v_pk_fma_f32 v[16:17], v[22:23], v[176:177], v[16:17] op_sel_hi:[0,1,1] neg_lo:[1,0,0] neg_hi:[1,0,0]
	s_waitcnt vmcnt(44) lgkmcnt(1)
	v_pk_fma_f32 v[46:47], v[22:23], v[178:179], v[46:47] op_sel_hi:[0,1,1] neg_lo:[1,0,0] neg_hi:[1,0,0]
	ds_read2_b32 v[176:177], v169 offset0:13 offset1:14
	ds_read2_b32 v[178:179], v169 offset0:15 offset1:16
	ds_read2_b32 v[182:183], v169 offset0:17 offset1:18
	s_waitcnt vmcnt(42) lgkmcnt(3)
	v_pk_fma_f32 v[50:51], v[22:23], v[180:181], v[50:51] op_sel_hi:[0,1,1] neg_lo:[1,0,0] neg_hi:[1,0,0]
	ds_read2_b32 v[180:181], v169 offset0:19 offset1:20
	s_waitcnt vmcnt(40) lgkmcnt(3)
	v_pk_fma_f32 v[44:45], v[22:23], v[176:177], v[44:45] op_sel_hi:[0,1,1] neg_lo:[1,0,0] neg_hi:[1,0,0]
	s_waitcnt vmcnt(38) lgkmcnt(2)
	v_pk_fma_f32 v[48:49], v[22:23], v[178:179], v[48:49] op_sel_hi:[0,1,1] neg_lo:[1,0,0] neg_hi:[1,0,0]
	s_waitcnt vmcnt(36) lgkmcnt(1)
	v_pk_fma_f32 v[74:75], v[22:23], v[182:183], v[74:75] op_sel_hi:[0,1,1] neg_lo:[1,0,0] neg_hi:[1,0,0]
	ds_read2_b32 v[176:177], v169 offset0:21 offset1:22
	ds_read2_b32 v[178:179], v169 offset0:23 offset1:24
	ds_read2_b32 v[182:183], v169 offset0:25 offset1:26
	s_waitcnt vmcnt(34) lgkmcnt(3)
	v_pk_fma_f32 v[68:69], v[22:23], v[180:181], v[68:69] op_sel_hi:[0,1,1] neg_lo:[1,0,0] neg_hi:[1,0,0]
	ds_read2_b32 v[180:181], v169 offset0:27 offset1:28
	s_waitcnt vmcnt(32) lgkmcnt(3)
	v_pk_fma_f32 v[70:71], v[22:23], v[176:177], v[70:71] op_sel_hi:[0,1,1] neg_lo:[1,0,0] neg_hi:[1,0,0]
	;; [unrolled: 12-line block ×3, first 2 shown]
	s_waitcnt vmcnt(22) lgkmcnt(2)
	v_pk_fma_f32 v[92:93], v[22:23], v[178:179], v[92:93] op_sel_hi:[0,1,1] neg_lo:[1,0,0] neg_hi:[1,0,0]
	s_waitcnt vmcnt(20) lgkmcnt(1)
	v_pk_fma_f32 v[118:119], v[22:23], v[182:183], v[118:119] op_sel_hi:[0,1,1] neg_lo:[1,0,0] neg_hi:[1,0,0]
	ds_read2_b32 v[176:177], v169 offset0:37 offset1:38
	ds_read2_b32 v[178:179], v169 offset0:39 offset1:40
	;; [unrolled: 1-line block ×4, first 2 shown]
	s_waitcnt vmcnt(18) lgkmcnt(4)
	v_pk_fma_f32 v[122:123], v[22:23], v[180:181], v[122:123] op_sel_hi:[0,1,1] neg_lo:[1,0,0] neg_hi:[1,0,0]
	s_waitcnt vmcnt(16) lgkmcnt(3)
	v_pk_fma_f32 v[116:117], v[22:23], v[176:177], v[116:117] op_sel_hi:[0,1,1] neg_lo:[1,0,0] neg_hi:[1,0,0]
	;; [unrolled: 2-line block ×5, first 2 shown]
	ds_read2_b32 v[176:177], v169 offset0:45 offset1:46
	ds_read2_b32 v[178:179], v169 offset0:47 offset1:48
	;; [unrolled: 1-line block ×5, first 2 shown]
	s_waitcnt vmcnt(8) lgkmcnt(4)
	v_pk_fma_f32 v[142:143], v[22:23], v[176:177], v[142:143] op_sel_hi:[0,1,1] neg_lo:[1,0,0] neg_hi:[1,0,0]
	s_waitcnt vmcnt(6) lgkmcnt(3)
	v_pk_fma_f32 v[144:145], v[22:23], v[178:179], v[144:145] op_sel_hi:[0,1,1] neg_lo:[1,0,0] neg_hi:[1,0,0]
	;; [unrolled: 2-line block ×5, first 2 shown]
.LBB109_33:
	s_or_b64 exec, exec, s[2:3]
	v_cmp_ne_u32_e32 vcc, 6, v25
	s_waitcnt lgkmcnt(0)
	s_barrier
	s_and_saveexec_b64 s[2:3], vcc
	s_xor_b64 s[2:3], exec, s[2:3]
	s_andn2_saveexec_b64 s[2:3], s[2:3]
	s_cbranch_execz .LBB109_37
; %bb.34:
	s_waitcnt vmcnt(48)
	ds_write_b32 v168, v23
	s_waitcnt vmcnt(46)
	ds_write2_b32 v169, v16, v17 offset0:7 offset1:8
	s_waitcnt vmcnt(44)
	ds_write2_b32 v169, v46, v47 offset0:9 offset1:10
	;; [unrolled: 2-line block ×24, first 2 shown]
	ds_read_b32 v176, v168
	s_waitcnt lgkmcnt(0)
	v_cmp_neq_f32_e32 vcc, 0, v176
	s_and_saveexec_b64 s[4:5], vcc
	s_cbranch_execz .LBB109_36
; %bb.35:
	v_div_scale_f32 v177, s[10:11], v176, v176, 1.0
	v_rcp_f32_e32 v178, v177
	v_div_scale_f32 v179, vcc, 1.0, v176, 1.0
	v_fma_f32 v180, -v177, v178, 1.0
	v_fmac_f32_e32 v178, v180, v178
	v_mul_f32_e32 v180, v179, v178
	v_fma_f32 v181, -v177, v180, v179
	v_fmac_f32_e32 v180, v181, v178
	v_fma_f32 v177, -v177, v180, v179
	v_div_fmas_f32 v177, v177, v178, v180
	v_div_fixup_f32 v176, v177, v176, 1.0
	ds_write_b32 v168, v176
.LBB109_36:
	s_or_b64 exec, exec, s[4:5]
.LBB109_37:
	s_or_b64 exec, exec, s[2:3]
	s_waitcnt lgkmcnt(0)
	s_barrier
	ds_read_b32 v176, v168
	v_cmp_lt_u32_e32 vcc, 6, v25
	s_and_saveexec_b64 s[2:3], vcc
	s_cbranch_execz .LBB109_39
; %bb.38:
	ds_read2_b32 v[178:179], v169 offset0:7 offset1:8
	ds_read2_b32 v[180:181], v169 offset0:9 offset1:10
	;; [unrolled: 1-line block ×3, first 2 shown]
	s_waitcnt vmcnt(48) lgkmcnt(3)
	v_mul_f32_e32 v184, v176, v23
	ds_read2_b32 v[186:187], v169 offset0:13 offset1:14
	s_waitcnt vmcnt(46) lgkmcnt(3)
	v_pk_fma_f32 v[16:17], v[184:185], v[178:179], v[16:17] op_sel_hi:[0,1,1] neg_lo:[1,0,0] neg_hi:[1,0,0]
	s_waitcnt vmcnt(44) lgkmcnt(2)
	v_pk_fma_f32 v[46:47], v[184:185], v[180:181], v[46:47] op_sel_hi:[0,1,1] neg_lo:[1,0,0] neg_hi:[1,0,0]
	s_waitcnt vmcnt(42) lgkmcnt(1)
	v_pk_fma_f32 v[50:51], v[184:185], v[182:183], v[50:51] op_sel_hi:[0,1,1] neg_lo:[1,0,0] neg_hi:[1,0,0]
	ds_read2_b32 v[178:179], v169 offset0:15 offset1:16
	ds_read2_b32 v[180:181], v169 offset0:17 offset1:18
	ds_read2_b32 v[182:183], v169 offset0:19 offset1:20
	s_waitcnt vmcnt(40) lgkmcnt(3)
	v_pk_fma_f32 v[44:45], v[184:185], v[186:187], v[44:45] op_sel_hi:[0,1,1] neg_lo:[1,0,0] neg_hi:[1,0,0]
	ds_read2_b32 v[186:187], v169 offset0:21 offset1:22
	s_waitcnt vmcnt(38) lgkmcnt(3)
	v_pk_fma_f32 v[48:49], v[184:185], v[178:179], v[48:49] op_sel_hi:[0,1,1] neg_lo:[1,0,0] neg_hi:[1,0,0]
	s_waitcnt vmcnt(36) lgkmcnt(2)
	v_pk_fma_f32 v[74:75], v[184:185], v[180:181], v[74:75] op_sel_hi:[0,1,1] neg_lo:[1,0,0] neg_hi:[1,0,0]
	s_waitcnt vmcnt(34) lgkmcnt(1)
	v_pk_fma_f32 v[68:69], v[184:185], v[182:183], v[68:69] op_sel_hi:[0,1,1] neg_lo:[1,0,0] neg_hi:[1,0,0]
	ds_read2_b32 v[178:179], v169 offset0:23 offset1:24
	ds_read2_b32 v[180:181], v169 offset0:25 offset1:26
	ds_read2_b32 v[182:183], v169 offset0:27 offset1:28
	s_waitcnt vmcnt(32) lgkmcnt(3)
	v_pk_fma_f32 v[70:71], v[184:185], v[186:187], v[70:71] op_sel_hi:[0,1,1] neg_lo:[1,0,0] neg_hi:[1,0,0]
	ds_read2_b32 v[186:187], v169 offset0:29 offset1:30
	s_waitcnt vmcnt(30) lgkmcnt(3)
	v_pk_fma_f32 v[72:73], v[184:185], v[178:179], v[72:73] op_sel_hi:[0,1,1] neg_lo:[1,0,0] neg_hi:[1,0,0]
	s_waitcnt vmcnt(28) lgkmcnt(2)
	v_pk_fma_f32 v[94:95], v[184:185], v[180:181], v[94:95] op_sel_hi:[0,1,1] neg_lo:[1,0,0] neg_hi:[1,0,0]
	s_waitcnt vmcnt(26) lgkmcnt(1)
	v_pk_fma_f32 v[96:97], v[184:185], v[182:183], v[96:97] op_sel_hi:[0,1,1] neg_lo:[1,0,0] neg_hi:[1,0,0]
	ds_read2_b32 v[178:179], v169 offset0:31 offset1:32
	ds_read2_b32 v[180:181], v169 offset0:33 offset1:34
	ds_read2_b32 v[182:183], v169 offset0:35 offset1:36
	s_waitcnt vmcnt(24) lgkmcnt(3)
	v_pk_fma_f32 v[98:99], v[184:185], v[186:187], v[98:99] op_sel_hi:[0,1,1] neg_lo:[1,0,0] neg_hi:[1,0,0]
	ds_read2_b32 v[186:187], v169 offset0:37 offset1:38
	s_waitcnt vmcnt(22) lgkmcnt(3)
	v_pk_fma_f32 v[92:93], v[184:185], v[178:179], v[92:93] op_sel_hi:[0,1,1] neg_lo:[1,0,0] neg_hi:[1,0,0]
	s_waitcnt vmcnt(20) lgkmcnt(2)
	v_pk_fma_f32 v[118:119], v[184:185], v[180:181], v[118:119] op_sel_hi:[0,1,1] neg_lo:[1,0,0] neg_hi:[1,0,0]
	s_waitcnt vmcnt(18) lgkmcnt(1)
	v_pk_fma_f32 v[122:123], v[184:185], v[182:183], v[122:123] op_sel_hi:[0,1,1] neg_lo:[1,0,0] neg_hi:[1,0,0]
	ds_read2_b32 v[178:179], v169 offset0:39 offset1:40
	ds_read2_b32 v[180:181], v169 offset0:41 offset1:42
	ds_read2_b32 v[182:183], v169 offset0:43 offset1:44
	s_waitcnt vmcnt(16) lgkmcnt(3)
	v_pk_fma_f32 v[116:117], v[184:185], v[186:187], v[116:117] op_sel_hi:[0,1,1] neg_lo:[1,0,0] neg_hi:[1,0,0]
	ds_read2_b32 v[186:187], v169 offset0:45 offset1:46
	s_waitcnt vmcnt(14) lgkmcnt(3)
	v_pk_fma_f32 v[120:121], v[184:185], v[178:179], v[120:121] op_sel_hi:[0,1,1] neg_lo:[1,0,0] neg_hi:[1,0,0]
	s_waitcnt vmcnt(12) lgkmcnt(2)
	v_pk_fma_f32 v[146:147], v[184:185], v[180:181], v[146:147] op_sel_hi:[0,1,1] neg_lo:[1,0,0] neg_hi:[1,0,0]
	;; [unrolled: 2-line block ×3, first 2 shown]
	ds_read2_b32 v[178:179], v169 offset0:47 offset1:48
	ds_read2_b32 v[180:181], v169 offset0:49 offset1:50
	;; [unrolled: 1-line block ×4, first 2 shown]
	s_waitcnt vmcnt(8) lgkmcnt(4)
	v_pk_fma_f32 v[142:143], v[184:185], v[186:187], v[142:143] op_sel_hi:[0,1,1] neg_lo:[1,0,0] neg_hi:[1,0,0]
	s_waitcnt vmcnt(6) lgkmcnt(3)
	v_pk_fma_f32 v[144:145], v[184:185], v[178:179], v[144:145] op_sel_hi:[0,1,1] neg_lo:[1,0,0] neg_hi:[1,0,0]
	;; [unrolled: 2-line block ×5, first 2 shown]
	v_mov_b32_e32 v23, v184
.LBB109_39:
	s_or_b64 exec, exec, s[2:3]
	v_cmp_eq_u32_e32 vcc, 7, v25
	s_waitcnt lgkmcnt(0)
	s_barrier
	s_and_saveexec_b64 s[2:3], vcc
	s_cbranch_execz .LBB109_42
; %bb.40:
	s_waitcnt vmcnt(44)
	v_pk_mov_b32 v[178:179], v[16:17], v[46:47] op_sel:[1,0]
	ds_write_b32 v168, v16
	ds_write2_b32 v169, v178, v179 offset0:8 offset1:9
	s_waitcnt vmcnt(42)
	v_pk_mov_b32 v[178:179], v[46:47], v[50:51] op_sel:[1,0]
	ds_write2_b32 v169, v178, v179 offset0:10 offset1:11
	s_waitcnt vmcnt(40)
	v_pk_mov_b32 v[178:179], v[50:51], v[44:45] op_sel:[1,0]
	;; [unrolled: 3-line block ×22, first 2 shown]
	ds_write2_b32 v169, v178, v179 offset0:52 offset1:53
	ds_write_b32 v169, v167 offset:216
	ds_read_b32 v177, v168
	s_waitcnt lgkmcnt(0)
	v_cmp_neq_f32_e32 vcc, 0, v177
	s_and_b64 exec, exec, vcc
	s_cbranch_execz .LBB109_42
; %bb.41:
	v_div_scale_f32 v178, s[4:5], v177, v177, 1.0
	v_rcp_f32_e32 v179, v178
	v_div_scale_f32 v180, vcc, 1.0, v177, 1.0
	v_fma_f32 v181, -v178, v179, 1.0
	v_fmac_f32_e32 v179, v181, v179
	v_mul_f32_e32 v181, v180, v179
	v_fma_f32 v182, -v178, v181, v180
	v_fmac_f32_e32 v181, v182, v179
	v_fma_f32 v178, -v178, v181, v180
	v_div_fmas_f32 v178, v178, v179, v181
	v_div_fixup_f32 v177, v178, v177, 1.0
	ds_write_b32 v168, v177
.LBB109_42:
	s_or_b64 exec, exec, s[2:3]
	s_waitcnt lgkmcnt(0)
	s_barrier
	ds_read_b32 v177, v168
	v_cmp_lt_u32_e32 vcc, 7, v25
	s_and_saveexec_b64 s[2:3], vcc
	s_cbranch_execz .LBB109_44
; %bb.43:
	ds_read_b32 v184, v169 offset:32
	ds_read2_b32 v[178:179], v169 offset0:9 offset1:10
	ds_read2_b32 v[180:181], v169 offset0:11 offset1:12
	s_waitcnt vmcnt(47) lgkmcnt(3)
	v_mul_f32_e32 v16, v177, v16
	ds_read2_b32 v[182:183], v169 offset0:13 offset1:14
	s_waitcnt vmcnt(46) lgkmcnt(3)
	v_fma_f32 v17, -v16, v184, v17
	s_waitcnt vmcnt(44) lgkmcnt(2)
	v_pk_fma_f32 v[46:47], v[16:17], v[178:179], v[46:47] op_sel_hi:[0,1,1] neg_lo:[1,0,0] neg_hi:[1,0,0]
	s_waitcnt vmcnt(42) lgkmcnt(1)
	v_pk_fma_f32 v[50:51], v[16:17], v[180:181], v[50:51] op_sel_hi:[0,1,1] neg_lo:[1,0,0] neg_hi:[1,0,0]
	ds_read2_b32 v[178:179], v169 offset0:15 offset1:16
	ds_read2_b32 v[180:181], v169 offset0:17 offset1:18
	ds_read2_b32 v[184:185], v169 offset0:19 offset1:20
	s_waitcnt vmcnt(40) lgkmcnt(3)
	v_pk_fma_f32 v[44:45], v[16:17], v[182:183], v[44:45] op_sel_hi:[0,1,1] neg_lo:[1,0,0] neg_hi:[1,0,0]
	ds_read2_b32 v[182:183], v169 offset0:21 offset1:22
	s_waitcnt vmcnt(38) lgkmcnt(3)
	v_pk_fma_f32 v[48:49], v[16:17], v[178:179], v[48:49] op_sel_hi:[0,1,1] neg_lo:[1,0,0] neg_hi:[1,0,0]
	s_waitcnt vmcnt(36) lgkmcnt(2)
	v_pk_fma_f32 v[74:75], v[16:17], v[180:181], v[74:75] op_sel_hi:[0,1,1] neg_lo:[1,0,0] neg_hi:[1,0,0]
	s_waitcnt vmcnt(34) lgkmcnt(1)
	v_pk_fma_f32 v[68:69], v[16:17], v[184:185], v[68:69] op_sel_hi:[0,1,1] neg_lo:[1,0,0] neg_hi:[1,0,0]
	ds_read2_b32 v[178:179], v169 offset0:23 offset1:24
	ds_read2_b32 v[180:181], v169 offset0:25 offset1:26
	ds_read2_b32 v[184:185], v169 offset0:27 offset1:28
	s_waitcnt vmcnt(32) lgkmcnt(3)
	v_pk_fma_f32 v[70:71], v[16:17], v[182:183], v[70:71] op_sel_hi:[0,1,1] neg_lo:[1,0,0] neg_hi:[1,0,0]
	ds_read2_b32 v[182:183], v169 offset0:29 offset1:30
	s_waitcnt vmcnt(30) lgkmcnt(3)
	v_pk_fma_f32 v[72:73], v[16:17], v[178:179], v[72:73] op_sel_hi:[0,1,1] neg_lo:[1,0,0] neg_hi:[1,0,0]
	;; [unrolled: 12-line block ×4, first 2 shown]
	s_waitcnt vmcnt(12) lgkmcnt(2)
	v_pk_fma_f32 v[146:147], v[16:17], v[180:181], v[146:147] op_sel_hi:[0,1,1] neg_lo:[1,0,0] neg_hi:[1,0,0]
	s_waitcnt vmcnt(10) lgkmcnt(1)
	v_pk_fma_f32 v[140:141], v[16:17], v[184:185], v[140:141] op_sel_hi:[0,1,1] neg_lo:[1,0,0] neg_hi:[1,0,0]
	ds_read2_b32 v[178:179], v169 offset0:47 offset1:48
	ds_read2_b32 v[180:181], v169 offset0:49 offset1:50
	;; [unrolled: 1-line block ×4, first 2 shown]
	s_waitcnt vmcnt(8) lgkmcnt(4)
	v_pk_fma_f32 v[142:143], v[16:17], v[182:183], v[142:143] op_sel_hi:[0,1,1] neg_lo:[1,0,0] neg_hi:[1,0,0]
	s_waitcnt vmcnt(6) lgkmcnt(3)
	v_pk_fma_f32 v[144:145], v[16:17], v[178:179], v[144:145] op_sel_hi:[0,1,1] neg_lo:[1,0,0] neg_hi:[1,0,0]
	;; [unrolled: 2-line block ×5, first 2 shown]
.LBB109_44:
	s_or_b64 exec, exec, s[2:3]
	v_cmp_ne_u32_e32 vcc, 8, v25
	s_waitcnt lgkmcnt(0)
	s_barrier
	s_and_saveexec_b64 s[2:3], vcc
	s_xor_b64 s[2:3], exec, s[2:3]
	s_andn2_saveexec_b64 s[2:3], s[2:3]
	s_cbranch_execz .LBB109_48
; %bb.45:
	s_waitcnt vmcnt(46)
	ds_write_b32 v168, v17
	s_waitcnt vmcnt(44)
	ds_write2_b32 v169, v46, v47 offset0:9 offset1:10
	s_waitcnt vmcnt(42)
	ds_write2_b32 v169, v50, v51 offset0:11 offset1:12
	;; [unrolled: 2-line block ×23, first 2 shown]
	ds_read_b32 v178, v168
	s_waitcnt lgkmcnt(0)
	v_cmp_neq_f32_e32 vcc, 0, v178
	s_and_saveexec_b64 s[4:5], vcc
	s_cbranch_execz .LBB109_47
; %bb.46:
	v_div_scale_f32 v179, s[10:11], v178, v178, 1.0
	v_rcp_f32_e32 v180, v179
	v_div_scale_f32 v181, vcc, 1.0, v178, 1.0
	v_fma_f32 v182, -v179, v180, 1.0
	v_fmac_f32_e32 v180, v182, v180
	v_mul_f32_e32 v182, v181, v180
	v_fma_f32 v183, -v179, v182, v181
	v_fmac_f32_e32 v182, v183, v180
	v_fma_f32 v179, -v179, v182, v181
	v_div_fmas_f32 v179, v179, v180, v182
	v_div_fixup_f32 v178, v179, v178, 1.0
	ds_write_b32 v168, v178
.LBB109_47:
	s_or_b64 exec, exec, s[4:5]
.LBB109_48:
	s_or_b64 exec, exec, s[2:3]
	s_waitcnt lgkmcnt(0)
	s_barrier
	ds_read_b32 v178, v168
	v_cmp_lt_u32_e32 vcc, 8, v25
	s_and_saveexec_b64 s[2:3], vcc
	s_cbranch_execz .LBB109_50
; %bb.49:
	ds_read2_b32 v[180:181], v169 offset0:9 offset1:10
	ds_read2_b32 v[182:183], v169 offset0:11 offset1:12
	;; [unrolled: 1-line block ×3, first 2 shown]
	s_waitcnt vmcnt(46) lgkmcnt(3)
	v_mul_f32_e32 v186, v178, v17
	ds_read2_b32 v[188:189], v169 offset0:15 offset1:16
	s_waitcnt vmcnt(44) lgkmcnt(3)
	v_pk_fma_f32 v[46:47], v[186:187], v[180:181], v[46:47] op_sel_hi:[0,1,1] neg_lo:[1,0,0] neg_hi:[1,0,0]
	s_waitcnt vmcnt(42) lgkmcnt(2)
	v_pk_fma_f32 v[50:51], v[186:187], v[182:183], v[50:51] op_sel_hi:[0,1,1] neg_lo:[1,0,0] neg_hi:[1,0,0]
	s_waitcnt vmcnt(40) lgkmcnt(1)
	v_pk_fma_f32 v[44:45], v[186:187], v[184:185], v[44:45] op_sel_hi:[0,1,1] neg_lo:[1,0,0] neg_hi:[1,0,0]
	ds_read2_b32 v[180:181], v169 offset0:17 offset1:18
	ds_read2_b32 v[182:183], v169 offset0:19 offset1:20
	ds_read2_b32 v[184:185], v169 offset0:21 offset1:22
	s_waitcnt vmcnt(38) lgkmcnt(3)
	v_pk_fma_f32 v[48:49], v[186:187], v[188:189], v[48:49] op_sel_hi:[0,1,1] neg_lo:[1,0,0] neg_hi:[1,0,0]
	ds_read2_b32 v[188:189], v169 offset0:23 offset1:24
	s_waitcnt vmcnt(36) lgkmcnt(3)
	v_pk_fma_f32 v[74:75], v[186:187], v[180:181], v[74:75] op_sel_hi:[0,1,1] neg_lo:[1,0,0] neg_hi:[1,0,0]
	s_waitcnt vmcnt(34) lgkmcnt(2)
	v_pk_fma_f32 v[68:69], v[186:187], v[182:183], v[68:69] op_sel_hi:[0,1,1] neg_lo:[1,0,0] neg_hi:[1,0,0]
	s_waitcnt vmcnt(32) lgkmcnt(1)
	v_pk_fma_f32 v[70:71], v[186:187], v[184:185], v[70:71] op_sel_hi:[0,1,1] neg_lo:[1,0,0] neg_hi:[1,0,0]
	ds_read2_b32 v[180:181], v169 offset0:25 offset1:26
	ds_read2_b32 v[182:183], v169 offset0:27 offset1:28
	ds_read2_b32 v[184:185], v169 offset0:29 offset1:30
	s_waitcnt vmcnt(30) lgkmcnt(3)
	v_pk_fma_f32 v[72:73], v[186:187], v[188:189], v[72:73] op_sel_hi:[0,1,1] neg_lo:[1,0,0] neg_hi:[1,0,0]
	;; [unrolled: 12-line block ×3, first 2 shown]
	ds_read2_b32 v[188:189], v169 offset0:39 offset1:40
	s_waitcnt vmcnt(20) lgkmcnt(3)
	v_pk_fma_f32 v[118:119], v[186:187], v[180:181], v[118:119] op_sel_hi:[0,1,1] neg_lo:[1,0,0] neg_hi:[1,0,0]
	s_waitcnt vmcnt(18) lgkmcnt(2)
	v_pk_fma_f32 v[122:123], v[186:187], v[182:183], v[122:123] op_sel_hi:[0,1,1] neg_lo:[1,0,0] neg_hi:[1,0,0]
	ds_read2_b32 v[180:181], v169 offset0:41 offset1:42
	ds_read2_b32 v[182:183], v169 offset0:43 offset1:44
	s_waitcnt vmcnt(16) lgkmcnt(3)
	v_pk_fma_f32 v[116:117], v[186:187], v[184:185], v[116:117] op_sel_hi:[0,1,1] neg_lo:[1,0,0] neg_hi:[1,0,0]
	s_waitcnt vmcnt(14) lgkmcnt(2)
	v_pk_fma_f32 v[120:121], v[186:187], v[188:189], v[120:121] op_sel_hi:[0,1,1] neg_lo:[1,0,0] neg_hi:[1,0,0]
	ds_read2_b32 v[184:185], v169 offset0:45 offset1:46
	;; [unrolled: 6-line block ×3, first 2 shown]
	ds_read2_b32 v[182:183], v169 offset0:51 offset1:52
	ds_read2_b32 v[190:191], v169 offset0:53 offset1:54
	s_waitcnt vmcnt(8) lgkmcnt(4)
	v_pk_fma_f32 v[142:143], v[186:187], v[184:185], v[142:143] op_sel_hi:[0,1,1] neg_lo:[1,0,0] neg_hi:[1,0,0]
	s_waitcnt vmcnt(6) lgkmcnt(3)
	v_pk_fma_f32 v[144:145], v[186:187], v[188:189], v[144:145] op_sel_hi:[0,1,1] neg_lo:[1,0,0] neg_hi:[1,0,0]
	;; [unrolled: 2-line block ×5, first 2 shown]
	v_mov_b32_e32 v17, v186
.LBB109_50:
	s_or_b64 exec, exec, s[2:3]
	v_cmp_eq_u32_e32 vcc, 9, v25
	s_waitcnt lgkmcnt(0)
	s_barrier
	s_and_saveexec_b64 s[2:3], vcc
	s_cbranch_execz .LBB109_53
; %bb.51:
	s_waitcnt vmcnt(42)
	v_pk_mov_b32 v[180:181], v[46:47], v[50:51] op_sel:[1,0]
	ds_write_b32 v168, v46
	ds_write2_b32 v169, v180, v181 offset0:10 offset1:11
	s_waitcnt vmcnt(40)
	v_pk_mov_b32 v[180:181], v[50:51], v[44:45] op_sel:[1,0]
	ds_write2_b32 v169, v180, v181 offset0:12 offset1:13
	s_waitcnt vmcnt(38)
	v_pk_mov_b32 v[180:181], v[44:45], v[48:49] op_sel:[1,0]
	;; [unrolled: 3-line block ×21, first 2 shown]
	ds_write2_b32 v169, v180, v181 offset0:52 offset1:53
	ds_write_b32 v169, v167 offset:216
	ds_read_b32 v179, v168
	s_waitcnt lgkmcnt(0)
	v_cmp_neq_f32_e32 vcc, 0, v179
	s_and_b64 exec, exec, vcc
	s_cbranch_execz .LBB109_53
; %bb.52:
	v_div_scale_f32 v180, s[4:5], v179, v179, 1.0
	v_rcp_f32_e32 v181, v180
	v_div_scale_f32 v182, vcc, 1.0, v179, 1.0
	v_fma_f32 v183, -v180, v181, 1.0
	v_fmac_f32_e32 v181, v183, v181
	v_mul_f32_e32 v183, v182, v181
	v_fma_f32 v184, -v180, v183, v182
	v_fmac_f32_e32 v183, v184, v181
	v_fma_f32 v180, -v180, v183, v182
	v_div_fmas_f32 v180, v180, v181, v183
	v_div_fixup_f32 v179, v180, v179, 1.0
	ds_write_b32 v168, v179
.LBB109_53:
	s_or_b64 exec, exec, s[2:3]
	s_waitcnt lgkmcnt(0)
	s_barrier
	ds_read_b32 v179, v168
	v_cmp_lt_u32_e32 vcc, 9, v25
	s_and_saveexec_b64 s[2:3], vcc
	s_cbranch_execz .LBB109_55
; %bb.54:
	ds_read_b32 v186, v169 offset:40
	ds_read2_b32 v[180:181], v169 offset0:11 offset1:12
	ds_read2_b32 v[182:183], v169 offset0:13 offset1:14
	s_waitcnt vmcnt(45) lgkmcnt(3)
	v_mul_f32_e32 v46, v179, v46
	ds_read2_b32 v[184:185], v169 offset0:15 offset1:16
	s_waitcnt vmcnt(44) lgkmcnt(3)
	v_fma_f32 v47, -v46, v186, v47
	s_waitcnt vmcnt(42) lgkmcnt(2)
	v_pk_fma_f32 v[50:51], v[46:47], v[180:181], v[50:51] op_sel_hi:[0,1,1] neg_lo:[1,0,0] neg_hi:[1,0,0]
	s_waitcnt vmcnt(40) lgkmcnt(1)
	v_pk_fma_f32 v[44:45], v[46:47], v[182:183], v[44:45] op_sel_hi:[0,1,1] neg_lo:[1,0,0] neg_hi:[1,0,0]
	ds_read2_b32 v[180:181], v169 offset0:17 offset1:18
	ds_read2_b32 v[182:183], v169 offset0:19 offset1:20
	ds_read2_b32 v[186:187], v169 offset0:21 offset1:22
	s_waitcnt vmcnt(38) lgkmcnt(3)
	v_pk_fma_f32 v[48:49], v[46:47], v[184:185], v[48:49] op_sel_hi:[0,1,1] neg_lo:[1,0,0] neg_hi:[1,0,0]
	ds_read2_b32 v[184:185], v169 offset0:23 offset1:24
	s_waitcnt vmcnt(36) lgkmcnt(3)
	v_pk_fma_f32 v[74:75], v[46:47], v[180:181], v[74:75] op_sel_hi:[0,1,1] neg_lo:[1,0,0] neg_hi:[1,0,0]
	s_waitcnt vmcnt(34) lgkmcnt(2)
	v_pk_fma_f32 v[68:69], v[46:47], v[182:183], v[68:69] op_sel_hi:[0,1,1] neg_lo:[1,0,0] neg_hi:[1,0,0]
	s_waitcnt vmcnt(32) lgkmcnt(1)
	v_pk_fma_f32 v[70:71], v[46:47], v[186:187], v[70:71] op_sel_hi:[0,1,1] neg_lo:[1,0,0] neg_hi:[1,0,0]
	ds_read2_b32 v[180:181], v169 offset0:25 offset1:26
	ds_read2_b32 v[182:183], v169 offset0:27 offset1:28
	ds_read2_b32 v[186:187], v169 offset0:29 offset1:30
	s_waitcnt vmcnt(30) lgkmcnt(3)
	v_pk_fma_f32 v[72:73], v[46:47], v[184:185], v[72:73] op_sel_hi:[0,1,1] neg_lo:[1,0,0] neg_hi:[1,0,0]
	ds_read2_b32 v[184:185], v169 offset0:31 offset1:32
	s_waitcnt vmcnt(28) lgkmcnt(3)
	v_pk_fma_f32 v[94:95], v[46:47], v[180:181], v[94:95] op_sel_hi:[0,1,1] neg_lo:[1,0,0] neg_hi:[1,0,0]
	;; [unrolled: 12-line block ×3, first 2 shown]
	s_waitcnt vmcnt(18) lgkmcnt(2)
	v_pk_fma_f32 v[122:123], v[46:47], v[182:183], v[122:123] op_sel_hi:[0,1,1] neg_lo:[1,0,0] neg_hi:[1,0,0]
	ds_read2_b32 v[180:181], v169 offset0:41 offset1:42
	ds_read2_b32 v[182:183], v169 offset0:43 offset1:44
	s_waitcnt vmcnt(16) lgkmcnt(3)
	v_pk_fma_f32 v[116:117], v[46:47], v[186:187], v[116:117] op_sel_hi:[0,1,1] neg_lo:[1,0,0] neg_hi:[1,0,0]
	s_waitcnt vmcnt(14) lgkmcnt(2)
	v_pk_fma_f32 v[120:121], v[46:47], v[184:185], v[120:121] op_sel_hi:[0,1,1] neg_lo:[1,0,0] neg_hi:[1,0,0]
	ds_read2_b32 v[184:185], v169 offset0:45 offset1:46
	ds_read2_b32 v[186:187], v169 offset0:47 offset1:48
	s_waitcnt vmcnt(12) lgkmcnt(3)
	v_pk_fma_f32 v[146:147], v[46:47], v[180:181], v[146:147] op_sel_hi:[0,1,1] neg_lo:[1,0,0] neg_hi:[1,0,0]
	s_waitcnt vmcnt(10) lgkmcnt(2)
	v_pk_fma_f32 v[140:141], v[46:47], v[182:183], v[140:141] op_sel_hi:[0,1,1] neg_lo:[1,0,0] neg_hi:[1,0,0]
	ds_read2_b32 v[180:181], v169 offset0:49 offset1:50
	ds_read2_b32 v[182:183], v169 offset0:51 offset1:52
	;; [unrolled: 1-line block ×3, first 2 shown]
	s_waitcnt vmcnt(8) lgkmcnt(4)
	v_pk_fma_f32 v[142:143], v[46:47], v[184:185], v[142:143] op_sel_hi:[0,1,1] neg_lo:[1,0,0] neg_hi:[1,0,0]
	s_waitcnt vmcnt(6) lgkmcnt(3)
	v_pk_fma_f32 v[144:145], v[46:47], v[186:187], v[144:145] op_sel_hi:[0,1,1] neg_lo:[1,0,0] neg_hi:[1,0,0]
	;; [unrolled: 2-line block ×5, first 2 shown]
.LBB109_55:
	s_or_b64 exec, exec, s[2:3]
	v_cmp_ne_u32_e32 vcc, 10, v25
	s_waitcnt lgkmcnt(0)
	s_barrier
	s_and_saveexec_b64 s[2:3], vcc
	s_xor_b64 s[2:3], exec, s[2:3]
	s_andn2_saveexec_b64 s[2:3], s[2:3]
	s_cbranch_execz .LBB109_59
; %bb.56:
	s_waitcnt vmcnt(44)
	ds_write_b32 v168, v47
	s_waitcnt vmcnt(42)
	ds_write2_b32 v169, v50, v51 offset0:11 offset1:12
	s_waitcnt vmcnt(40)
	ds_write2_b32 v169, v44, v45 offset0:13 offset1:14
	;; [unrolled: 2-line block ×22, first 2 shown]
	ds_read_b32 v180, v168
	s_waitcnt lgkmcnt(0)
	v_cmp_neq_f32_e32 vcc, 0, v180
	s_and_saveexec_b64 s[4:5], vcc
	s_cbranch_execz .LBB109_58
; %bb.57:
	v_div_scale_f32 v181, s[10:11], v180, v180, 1.0
	v_rcp_f32_e32 v182, v181
	v_div_scale_f32 v183, vcc, 1.0, v180, 1.0
	v_fma_f32 v184, -v181, v182, 1.0
	v_fmac_f32_e32 v182, v184, v182
	v_mul_f32_e32 v184, v183, v182
	v_fma_f32 v185, -v181, v184, v183
	v_fmac_f32_e32 v184, v185, v182
	v_fma_f32 v181, -v181, v184, v183
	v_div_fmas_f32 v181, v181, v182, v184
	v_div_fixup_f32 v180, v181, v180, 1.0
	ds_write_b32 v168, v180
.LBB109_58:
	s_or_b64 exec, exec, s[4:5]
.LBB109_59:
	s_or_b64 exec, exec, s[2:3]
	s_waitcnt lgkmcnt(0)
	s_barrier
	ds_read_b32 v180, v168
	v_cmp_lt_u32_e32 vcc, 10, v25
	s_and_saveexec_b64 s[2:3], vcc
	s_cbranch_execz .LBB109_61
; %bb.60:
	ds_read2_b32 v[182:183], v169 offset0:11 offset1:12
	ds_read2_b32 v[184:185], v169 offset0:13 offset1:14
	;; [unrolled: 1-line block ×4, first 2 shown]
	s_waitcnt vmcnt(44) lgkmcnt(4)
	v_mul_f32_e32 v188, v180, v47
	s_waitcnt vmcnt(42) lgkmcnt(3)
	v_pk_fma_f32 v[50:51], v[188:189], v[182:183], v[50:51] op_sel_hi:[0,1,1] neg_lo:[1,0,0] neg_hi:[1,0,0]
	s_waitcnt vmcnt(40) lgkmcnt(2)
	v_pk_fma_f32 v[44:45], v[188:189], v[184:185], v[44:45] op_sel_hi:[0,1,1] neg_lo:[1,0,0] neg_hi:[1,0,0]
	s_waitcnt vmcnt(38) lgkmcnt(1)
	v_pk_fma_f32 v[48:49], v[188:189], v[186:187], v[48:49] op_sel_hi:[0,1,1] neg_lo:[1,0,0] neg_hi:[1,0,0]
	ds_read2_b32 v[182:183], v169 offset0:19 offset1:20
	ds_read2_b32 v[184:185], v169 offset0:21 offset1:22
	ds_read2_b32 v[186:187], v169 offset0:23 offset1:24
	s_waitcnt vmcnt(36) lgkmcnt(3)
	v_pk_fma_f32 v[74:75], v[188:189], v[190:191], v[74:75] op_sel_hi:[0,1,1] neg_lo:[1,0,0] neg_hi:[1,0,0]
	ds_read2_b32 v[190:191], v169 offset0:25 offset1:26
	s_waitcnt vmcnt(34) lgkmcnt(3)
	v_pk_fma_f32 v[68:69], v[188:189], v[182:183], v[68:69] op_sel_hi:[0,1,1] neg_lo:[1,0,0] neg_hi:[1,0,0]
	s_waitcnt vmcnt(32) lgkmcnt(2)
	v_pk_fma_f32 v[70:71], v[188:189], v[184:185], v[70:71] op_sel_hi:[0,1,1] neg_lo:[1,0,0] neg_hi:[1,0,0]
	s_waitcnt vmcnt(30) lgkmcnt(1)
	v_pk_fma_f32 v[72:73], v[188:189], v[186:187], v[72:73] op_sel_hi:[0,1,1] neg_lo:[1,0,0] neg_hi:[1,0,0]
	ds_read2_b32 v[182:183], v169 offset0:27 offset1:28
	ds_read2_b32 v[184:185], v169 offset0:29 offset1:30
	ds_read2_b32 v[186:187], v169 offset0:31 offset1:32
	s_waitcnt vmcnt(28) lgkmcnt(3)
	v_pk_fma_f32 v[94:95], v[188:189], v[190:191], v[94:95] op_sel_hi:[0,1,1] neg_lo:[1,0,0] neg_hi:[1,0,0]
	ds_read2_b32 v[190:191], v169 offset0:33 offset1:34
	;; [unrolled: 12-line block ×3, first 2 shown]
	s_waitcnt vmcnt(18) lgkmcnt(3)
	v_pk_fma_f32 v[122:123], v[188:189], v[182:183], v[122:123] op_sel_hi:[0,1,1] neg_lo:[1,0,0] neg_hi:[1,0,0]
	ds_read2_b32 v[182:183], v169 offset0:43 offset1:44
	s_waitcnt vmcnt(16) lgkmcnt(3)
	v_pk_fma_f32 v[116:117], v[188:189], v[184:185], v[116:117] op_sel_hi:[0,1,1] neg_lo:[1,0,0] neg_hi:[1,0,0]
	s_waitcnt vmcnt(14) lgkmcnt(2)
	v_pk_fma_f32 v[120:121], v[188:189], v[186:187], v[120:121] op_sel_hi:[0,1,1] neg_lo:[1,0,0] neg_hi:[1,0,0]
	;; [unrolled: 2-line block ×3, first 2 shown]
	ds_read2_b32 v[184:185], v169 offset0:45 offset1:46
	ds_read2_b32 v[186:187], v169 offset0:47 offset1:48
	;; [unrolled: 1-line block ×3, first 2 shown]
	s_waitcnt vmcnt(10) lgkmcnt(3)
	v_pk_fma_f32 v[140:141], v[188:189], v[182:183], v[140:141] op_sel_hi:[0,1,1] neg_lo:[1,0,0] neg_hi:[1,0,0]
	ds_read2_b32 v[182:183], v169 offset0:51 offset1:52
	ds_read2_b32 v[192:193], v169 offset0:53 offset1:54
	s_waitcnt vmcnt(8) lgkmcnt(4)
	v_pk_fma_f32 v[142:143], v[188:189], v[184:185], v[142:143] op_sel_hi:[0,1,1] neg_lo:[1,0,0] neg_hi:[1,0,0]
	s_waitcnt vmcnt(6) lgkmcnt(3)
	v_pk_fma_f32 v[144:145], v[188:189], v[186:187], v[144:145] op_sel_hi:[0,1,1] neg_lo:[1,0,0] neg_hi:[1,0,0]
	;; [unrolled: 2-line block ×5, first 2 shown]
	v_mov_b32_e32 v47, v188
.LBB109_61:
	s_or_b64 exec, exec, s[2:3]
	v_cmp_eq_u32_e32 vcc, 11, v25
	s_waitcnt lgkmcnt(0)
	s_barrier
	s_and_saveexec_b64 s[2:3], vcc
	s_cbranch_execz .LBB109_64
; %bb.62:
	s_waitcnt vmcnt(40)
	v_pk_mov_b32 v[182:183], v[50:51], v[44:45] op_sel:[1,0]
	ds_write_b32 v168, v50
	ds_write2_b32 v169, v182, v183 offset0:12 offset1:13
	s_waitcnt vmcnt(38)
	v_pk_mov_b32 v[182:183], v[44:45], v[48:49] op_sel:[1,0]
	ds_write2_b32 v169, v182, v183 offset0:14 offset1:15
	s_waitcnt vmcnt(36)
	v_pk_mov_b32 v[182:183], v[48:49], v[74:75] op_sel:[1,0]
	;; [unrolled: 3-line block ×20, first 2 shown]
	ds_write2_b32 v169, v182, v183 offset0:52 offset1:53
	ds_write_b32 v169, v167 offset:216
	ds_read_b32 v181, v168
	s_waitcnt lgkmcnt(0)
	v_cmp_neq_f32_e32 vcc, 0, v181
	s_and_b64 exec, exec, vcc
	s_cbranch_execz .LBB109_64
; %bb.63:
	v_div_scale_f32 v182, s[4:5], v181, v181, 1.0
	v_rcp_f32_e32 v183, v182
	v_div_scale_f32 v184, vcc, 1.0, v181, 1.0
	v_fma_f32 v185, -v182, v183, 1.0
	v_fmac_f32_e32 v183, v185, v183
	v_mul_f32_e32 v185, v184, v183
	v_fma_f32 v186, -v182, v185, v184
	v_fmac_f32_e32 v185, v186, v183
	v_fma_f32 v182, -v182, v185, v184
	v_div_fmas_f32 v182, v182, v183, v185
	v_div_fixup_f32 v181, v182, v181, 1.0
	ds_write_b32 v168, v181
.LBB109_64:
	s_or_b64 exec, exec, s[2:3]
	s_waitcnt lgkmcnt(0)
	s_barrier
	ds_read_b32 v181, v168
	v_cmp_lt_u32_e32 vcc, 11, v25
	s_and_saveexec_b64 s[2:3], vcc
	s_cbranch_execz .LBB109_66
; %bb.65:
	ds_read_b32 v188, v169 offset:48
	ds_read2_b32 v[182:183], v169 offset0:13 offset1:14
	ds_read2_b32 v[184:185], v169 offset0:15 offset1:16
	s_waitcnt vmcnt(43) lgkmcnt(3)
	v_mul_f32_e32 v50, v181, v50
	ds_read2_b32 v[186:187], v169 offset0:17 offset1:18
	s_waitcnt vmcnt(42) lgkmcnt(3)
	v_fma_f32 v51, -v50, v188, v51
	s_waitcnt vmcnt(40) lgkmcnt(2)
	v_pk_fma_f32 v[44:45], v[50:51], v[182:183], v[44:45] op_sel_hi:[0,1,1] neg_lo:[1,0,0] neg_hi:[1,0,0]
	s_waitcnt vmcnt(38) lgkmcnt(1)
	v_pk_fma_f32 v[48:49], v[50:51], v[184:185], v[48:49] op_sel_hi:[0,1,1] neg_lo:[1,0,0] neg_hi:[1,0,0]
	ds_read2_b32 v[182:183], v169 offset0:19 offset1:20
	ds_read2_b32 v[184:185], v169 offset0:21 offset1:22
	ds_read2_b32 v[188:189], v169 offset0:23 offset1:24
	s_waitcnt vmcnt(36) lgkmcnt(3)
	v_pk_fma_f32 v[74:75], v[50:51], v[186:187], v[74:75] op_sel_hi:[0,1,1] neg_lo:[1,0,0] neg_hi:[1,0,0]
	ds_read2_b32 v[186:187], v169 offset0:25 offset1:26
	s_waitcnt vmcnt(34) lgkmcnt(3)
	v_pk_fma_f32 v[68:69], v[50:51], v[182:183], v[68:69] op_sel_hi:[0,1,1] neg_lo:[1,0,0] neg_hi:[1,0,0]
	s_waitcnt vmcnt(32) lgkmcnt(2)
	v_pk_fma_f32 v[70:71], v[50:51], v[184:185], v[70:71] op_sel_hi:[0,1,1] neg_lo:[1,0,0] neg_hi:[1,0,0]
	s_waitcnt vmcnt(30) lgkmcnt(1)
	v_pk_fma_f32 v[72:73], v[50:51], v[188:189], v[72:73] op_sel_hi:[0,1,1] neg_lo:[1,0,0] neg_hi:[1,0,0]
	ds_read2_b32 v[182:183], v169 offset0:27 offset1:28
	ds_read2_b32 v[184:185], v169 offset0:29 offset1:30
	ds_read2_b32 v[188:189], v169 offset0:31 offset1:32
	s_waitcnt vmcnt(28) lgkmcnt(3)
	v_pk_fma_f32 v[94:95], v[50:51], v[186:187], v[94:95] op_sel_hi:[0,1,1] neg_lo:[1,0,0] neg_hi:[1,0,0]
	ds_read2_b32 v[186:187], v169 offset0:33 offset1:34
	s_waitcnt vmcnt(26) lgkmcnt(3)
	v_pk_fma_f32 v[96:97], v[50:51], v[182:183], v[96:97] op_sel_hi:[0,1,1] neg_lo:[1,0,0] neg_hi:[1,0,0]
	;; [unrolled: 12-line block ×3, first 2 shown]
	ds_read2_b32 v[182:183], v169 offset0:43 offset1:44
	s_waitcnt vmcnt(16) lgkmcnt(3)
	v_pk_fma_f32 v[116:117], v[50:51], v[184:185], v[116:117] op_sel_hi:[0,1,1] neg_lo:[1,0,0] neg_hi:[1,0,0]
	s_waitcnt vmcnt(14) lgkmcnt(2)
	v_pk_fma_f32 v[120:121], v[50:51], v[188:189], v[120:121] op_sel_hi:[0,1,1] neg_lo:[1,0,0] neg_hi:[1,0,0]
	;; [unrolled: 2-line block ×3, first 2 shown]
	ds_read2_b32 v[184:185], v169 offset0:45 offset1:46
	ds_read2_b32 v[186:187], v169 offset0:47 offset1:48
	ds_read2_b32 v[188:189], v169 offset0:49 offset1:50
	s_waitcnt vmcnt(10) lgkmcnt(3)
	v_pk_fma_f32 v[140:141], v[50:51], v[182:183], v[140:141] op_sel_hi:[0,1,1] neg_lo:[1,0,0] neg_hi:[1,0,0]
	ds_read2_b32 v[182:183], v169 offset0:51 offset1:52
	ds_read2_b32 v[190:191], v169 offset0:53 offset1:54
	s_waitcnt vmcnt(8) lgkmcnt(4)
	v_pk_fma_f32 v[142:143], v[50:51], v[184:185], v[142:143] op_sel_hi:[0,1,1] neg_lo:[1,0,0] neg_hi:[1,0,0]
	s_waitcnt vmcnt(6) lgkmcnt(3)
	v_pk_fma_f32 v[144:145], v[50:51], v[186:187], v[144:145] op_sel_hi:[0,1,1] neg_lo:[1,0,0] neg_hi:[1,0,0]
	;; [unrolled: 2-line block ×5, first 2 shown]
.LBB109_66:
	s_or_b64 exec, exec, s[2:3]
	v_cmp_ne_u32_e32 vcc, 12, v25
	s_waitcnt lgkmcnt(0)
	s_barrier
	s_and_saveexec_b64 s[2:3], vcc
	s_xor_b64 s[2:3], exec, s[2:3]
	s_andn2_saveexec_b64 s[2:3], s[2:3]
	s_cbranch_execz .LBB109_70
; %bb.67:
	s_waitcnt vmcnt(42)
	ds_write_b32 v168, v51
	s_waitcnt vmcnt(40)
	ds_write2_b32 v169, v44, v45 offset0:13 offset1:14
	s_waitcnt vmcnt(38)
	ds_write2_b32 v169, v48, v49 offset0:15 offset1:16
	;; [unrolled: 2-line block ×21, first 2 shown]
	ds_read_b32 v182, v168
	s_waitcnt lgkmcnt(0)
	v_cmp_neq_f32_e32 vcc, 0, v182
	s_and_saveexec_b64 s[4:5], vcc
	s_cbranch_execz .LBB109_69
; %bb.68:
	v_div_scale_f32 v183, s[10:11], v182, v182, 1.0
	v_rcp_f32_e32 v184, v183
	v_div_scale_f32 v185, vcc, 1.0, v182, 1.0
	v_fma_f32 v186, -v183, v184, 1.0
	v_fmac_f32_e32 v184, v186, v184
	v_mul_f32_e32 v186, v185, v184
	v_fma_f32 v187, -v183, v186, v185
	v_fmac_f32_e32 v186, v187, v184
	v_fma_f32 v183, -v183, v186, v185
	v_div_fmas_f32 v183, v183, v184, v186
	v_div_fixup_f32 v182, v183, v182, 1.0
	ds_write_b32 v168, v182
.LBB109_69:
	s_or_b64 exec, exec, s[4:5]
.LBB109_70:
	s_or_b64 exec, exec, s[2:3]
	s_waitcnt lgkmcnt(0)
	s_barrier
	ds_read_b32 v182, v168
	v_cmp_lt_u32_e32 vcc, 12, v25
	s_and_saveexec_b64 s[2:3], vcc
	s_cbranch_execz .LBB109_72
; %bb.71:
	ds_read2_b32 v[184:185], v169 offset0:13 offset1:14
	ds_read2_b32 v[186:187], v169 offset0:15 offset1:16
	;; [unrolled: 1-line block ×3, first 2 shown]
	s_waitcnt vmcnt(42) lgkmcnt(3)
	v_mul_f32_e32 v190, v182, v51
	ds_read2_b32 v[192:193], v169 offset0:19 offset1:20
	s_waitcnt vmcnt(40) lgkmcnt(3)
	v_pk_fma_f32 v[44:45], v[190:191], v[184:185], v[44:45] op_sel_hi:[0,1,1] neg_lo:[1,0,0] neg_hi:[1,0,0]
	s_waitcnt vmcnt(38) lgkmcnt(2)
	v_pk_fma_f32 v[48:49], v[190:191], v[186:187], v[48:49] op_sel_hi:[0,1,1] neg_lo:[1,0,0] neg_hi:[1,0,0]
	;; [unrolled: 2-line block ×3, first 2 shown]
	ds_read2_b32 v[184:185], v169 offset0:21 offset1:22
	ds_read2_b32 v[186:187], v169 offset0:23 offset1:24
	;; [unrolled: 1-line block ×3, first 2 shown]
	s_waitcnt vmcnt(34) lgkmcnt(3)
	v_pk_fma_f32 v[68:69], v[190:191], v[192:193], v[68:69] op_sel_hi:[0,1,1] neg_lo:[1,0,0] neg_hi:[1,0,0]
	ds_read2_b32 v[192:193], v169 offset0:27 offset1:28
	s_waitcnt vmcnt(32) lgkmcnt(3)
	v_pk_fma_f32 v[70:71], v[190:191], v[184:185], v[70:71] op_sel_hi:[0,1,1] neg_lo:[1,0,0] neg_hi:[1,0,0]
	s_waitcnt vmcnt(30) lgkmcnt(2)
	v_pk_fma_f32 v[72:73], v[190:191], v[186:187], v[72:73] op_sel_hi:[0,1,1] neg_lo:[1,0,0] neg_hi:[1,0,0]
	;; [unrolled: 2-line block ×3, first 2 shown]
	ds_read2_b32 v[184:185], v169 offset0:29 offset1:30
	ds_read2_b32 v[186:187], v169 offset0:31 offset1:32
	;; [unrolled: 1-line block ×3, first 2 shown]
	s_waitcnt vmcnt(26) lgkmcnt(3)
	v_pk_fma_f32 v[96:97], v[190:191], v[192:193], v[96:97] op_sel_hi:[0,1,1] neg_lo:[1,0,0] neg_hi:[1,0,0]
	ds_read2_b32 v[192:193], v169 offset0:35 offset1:36
	s_waitcnt vmcnt(24) lgkmcnt(3)
	v_pk_fma_f32 v[98:99], v[190:191], v[184:185], v[98:99] op_sel_hi:[0,1,1] neg_lo:[1,0,0] neg_hi:[1,0,0]
	s_waitcnt vmcnt(22) lgkmcnt(2)
	v_pk_fma_f32 v[92:93], v[190:191], v[186:187], v[92:93] op_sel_hi:[0,1,1] neg_lo:[1,0,0] neg_hi:[1,0,0]
	;; [unrolled: 2-line block ×3, first 2 shown]
	ds_read2_b32 v[184:185], v169 offset0:37 offset1:38
	ds_read2_b32 v[186:187], v169 offset0:39 offset1:40
	;; [unrolled: 1-line block ×4, first 2 shown]
	s_waitcnt vmcnt(18) lgkmcnt(4)
	v_pk_fma_f32 v[122:123], v[190:191], v[192:193], v[122:123] op_sel_hi:[0,1,1] neg_lo:[1,0,0] neg_hi:[1,0,0]
	s_waitcnt vmcnt(16) lgkmcnt(3)
	v_pk_fma_f32 v[116:117], v[190:191], v[184:185], v[116:117] op_sel_hi:[0,1,1] neg_lo:[1,0,0] neg_hi:[1,0,0]
	;; [unrolled: 2-line block ×5, first 2 shown]
	ds_read2_b32 v[184:185], v169 offset0:45 offset1:46
	ds_read2_b32 v[186:187], v169 offset0:47 offset1:48
	;; [unrolled: 1-line block ×5, first 2 shown]
	s_waitcnt vmcnt(8) lgkmcnt(4)
	v_pk_fma_f32 v[142:143], v[190:191], v[184:185], v[142:143] op_sel_hi:[0,1,1] neg_lo:[1,0,0] neg_hi:[1,0,0]
	s_waitcnt vmcnt(6) lgkmcnt(3)
	v_pk_fma_f32 v[144:145], v[190:191], v[186:187], v[144:145] op_sel_hi:[0,1,1] neg_lo:[1,0,0] neg_hi:[1,0,0]
	;; [unrolled: 2-line block ×5, first 2 shown]
	v_mov_b32_e32 v51, v190
.LBB109_72:
	s_or_b64 exec, exec, s[2:3]
	v_cmp_eq_u32_e32 vcc, 13, v25
	s_waitcnt lgkmcnt(0)
	s_barrier
	s_and_saveexec_b64 s[2:3], vcc
	s_cbranch_execz .LBB109_75
; %bb.73:
	s_waitcnt vmcnt(38)
	v_pk_mov_b32 v[184:185], v[44:45], v[48:49] op_sel:[1,0]
	ds_write_b32 v168, v44
	ds_write2_b32 v169, v184, v185 offset0:14 offset1:15
	s_waitcnt vmcnt(36)
	v_pk_mov_b32 v[184:185], v[48:49], v[74:75] op_sel:[1,0]
	ds_write2_b32 v169, v184, v185 offset0:16 offset1:17
	s_waitcnt vmcnt(34)
	v_pk_mov_b32 v[184:185], v[74:75], v[68:69] op_sel:[1,0]
	;; [unrolled: 3-line block ×19, first 2 shown]
	ds_write2_b32 v169, v184, v185 offset0:52 offset1:53
	ds_write_b32 v169, v167 offset:216
	ds_read_b32 v183, v168
	s_waitcnt lgkmcnt(0)
	v_cmp_neq_f32_e32 vcc, 0, v183
	s_and_b64 exec, exec, vcc
	s_cbranch_execz .LBB109_75
; %bb.74:
	v_div_scale_f32 v184, s[4:5], v183, v183, 1.0
	v_rcp_f32_e32 v185, v184
	v_div_scale_f32 v186, vcc, 1.0, v183, 1.0
	v_fma_f32 v187, -v184, v185, 1.0
	v_fmac_f32_e32 v185, v187, v185
	v_mul_f32_e32 v187, v186, v185
	v_fma_f32 v188, -v184, v187, v186
	v_fmac_f32_e32 v187, v188, v185
	v_fma_f32 v184, -v184, v187, v186
	v_div_fmas_f32 v184, v184, v185, v187
	v_div_fixup_f32 v183, v184, v183, 1.0
	ds_write_b32 v168, v183
.LBB109_75:
	s_or_b64 exec, exec, s[2:3]
	s_waitcnt lgkmcnt(0)
	s_barrier
	ds_read_b32 v183, v168
	v_cmp_lt_u32_e32 vcc, 13, v25
	s_and_saveexec_b64 s[2:3], vcc
	s_cbranch_execz .LBB109_77
; %bb.76:
	ds_read_b32 v190, v169 offset:56
	ds_read2_b32 v[184:185], v169 offset0:15 offset1:16
	ds_read2_b32 v[186:187], v169 offset0:17 offset1:18
	s_waitcnt vmcnt(41) lgkmcnt(3)
	v_mul_f32_e32 v44, v183, v44
	ds_read2_b32 v[188:189], v169 offset0:19 offset1:20
	s_waitcnt vmcnt(40) lgkmcnt(3)
	v_fma_f32 v45, -v44, v190, v45
	s_waitcnt vmcnt(38) lgkmcnt(2)
	v_pk_fma_f32 v[48:49], v[44:45], v[184:185], v[48:49] op_sel_hi:[0,1,1] neg_lo:[1,0,0] neg_hi:[1,0,0]
	s_waitcnt vmcnt(36) lgkmcnt(1)
	v_pk_fma_f32 v[74:75], v[44:45], v[186:187], v[74:75] op_sel_hi:[0,1,1] neg_lo:[1,0,0] neg_hi:[1,0,0]
	ds_read2_b32 v[184:185], v169 offset0:21 offset1:22
	ds_read2_b32 v[186:187], v169 offset0:23 offset1:24
	;; [unrolled: 1-line block ×3, first 2 shown]
	s_waitcnt vmcnt(34) lgkmcnt(3)
	v_pk_fma_f32 v[68:69], v[44:45], v[188:189], v[68:69] op_sel_hi:[0,1,1] neg_lo:[1,0,0] neg_hi:[1,0,0]
	ds_read2_b32 v[188:189], v169 offset0:27 offset1:28
	s_waitcnt vmcnt(32) lgkmcnt(3)
	v_pk_fma_f32 v[70:71], v[44:45], v[184:185], v[70:71] op_sel_hi:[0,1,1] neg_lo:[1,0,0] neg_hi:[1,0,0]
	s_waitcnt vmcnt(30) lgkmcnt(2)
	v_pk_fma_f32 v[72:73], v[44:45], v[186:187], v[72:73] op_sel_hi:[0,1,1] neg_lo:[1,0,0] neg_hi:[1,0,0]
	;; [unrolled: 2-line block ×3, first 2 shown]
	ds_read2_b32 v[184:185], v169 offset0:29 offset1:30
	ds_read2_b32 v[186:187], v169 offset0:31 offset1:32
	;; [unrolled: 1-line block ×3, first 2 shown]
	s_waitcnt vmcnt(26) lgkmcnt(3)
	v_pk_fma_f32 v[96:97], v[44:45], v[188:189], v[96:97] op_sel_hi:[0,1,1] neg_lo:[1,0,0] neg_hi:[1,0,0]
	ds_read2_b32 v[188:189], v169 offset0:35 offset1:36
	s_waitcnt vmcnt(24) lgkmcnt(3)
	v_pk_fma_f32 v[98:99], v[44:45], v[184:185], v[98:99] op_sel_hi:[0,1,1] neg_lo:[1,0,0] neg_hi:[1,0,0]
	s_waitcnt vmcnt(22) lgkmcnt(2)
	v_pk_fma_f32 v[92:93], v[44:45], v[186:187], v[92:93] op_sel_hi:[0,1,1] neg_lo:[1,0,0] neg_hi:[1,0,0]
	;; [unrolled: 2-line block ×3, first 2 shown]
	ds_read2_b32 v[184:185], v169 offset0:37 offset1:38
	ds_read2_b32 v[186:187], v169 offset0:39 offset1:40
	;; [unrolled: 1-line block ×4, first 2 shown]
	s_waitcnt vmcnt(18) lgkmcnt(4)
	v_pk_fma_f32 v[122:123], v[44:45], v[188:189], v[122:123] op_sel_hi:[0,1,1] neg_lo:[1,0,0] neg_hi:[1,0,0]
	s_waitcnt vmcnt(16) lgkmcnt(3)
	v_pk_fma_f32 v[116:117], v[44:45], v[184:185], v[116:117] op_sel_hi:[0,1,1] neg_lo:[1,0,0] neg_hi:[1,0,0]
	;; [unrolled: 2-line block ×5, first 2 shown]
	ds_read2_b32 v[184:185], v169 offset0:45 offset1:46
	ds_read2_b32 v[186:187], v169 offset0:47 offset1:48
	;; [unrolled: 1-line block ×5, first 2 shown]
	s_waitcnt vmcnt(8) lgkmcnt(4)
	v_pk_fma_f32 v[142:143], v[44:45], v[184:185], v[142:143] op_sel_hi:[0,1,1] neg_lo:[1,0,0] neg_hi:[1,0,0]
	s_waitcnt vmcnt(6) lgkmcnt(3)
	v_pk_fma_f32 v[144:145], v[44:45], v[186:187], v[144:145] op_sel_hi:[0,1,1] neg_lo:[1,0,0] neg_hi:[1,0,0]
	;; [unrolled: 2-line block ×5, first 2 shown]
.LBB109_77:
	s_or_b64 exec, exec, s[2:3]
	v_cmp_ne_u32_e32 vcc, 14, v25
	s_waitcnt lgkmcnt(0)
	s_barrier
	s_and_saveexec_b64 s[2:3], vcc
	s_xor_b64 s[2:3], exec, s[2:3]
	s_andn2_saveexec_b64 s[2:3], s[2:3]
	s_cbranch_execz .LBB109_81
; %bb.78:
	s_waitcnt vmcnt(40)
	ds_write_b32 v168, v45
	s_waitcnt vmcnt(38)
	ds_write2_b32 v169, v48, v49 offset0:15 offset1:16
	s_waitcnt vmcnt(36)
	ds_write2_b32 v169, v74, v75 offset0:17 offset1:18
	;; [unrolled: 2-line block ×20, first 2 shown]
	ds_read_b32 v184, v168
	s_waitcnt lgkmcnt(0)
	v_cmp_neq_f32_e32 vcc, 0, v184
	s_and_saveexec_b64 s[4:5], vcc
	s_cbranch_execz .LBB109_80
; %bb.79:
	v_div_scale_f32 v185, s[10:11], v184, v184, 1.0
	v_rcp_f32_e32 v186, v185
	v_div_scale_f32 v187, vcc, 1.0, v184, 1.0
	v_fma_f32 v188, -v185, v186, 1.0
	v_fmac_f32_e32 v186, v188, v186
	v_mul_f32_e32 v188, v187, v186
	v_fma_f32 v189, -v185, v188, v187
	v_fmac_f32_e32 v188, v189, v186
	v_fma_f32 v185, -v185, v188, v187
	v_div_fmas_f32 v185, v185, v186, v188
	v_div_fixup_f32 v184, v185, v184, 1.0
	ds_write_b32 v168, v184
.LBB109_80:
	s_or_b64 exec, exec, s[4:5]
.LBB109_81:
	s_or_b64 exec, exec, s[2:3]
	s_waitcnt lgkmcnt(0)
	s_barrier
	ds_read_b32 v184, v168
	v_cmp_lt_u32_e32 vcc, 14, v25
	s_and_saveexec_b64 s[2:3], vcc
	s_cbranch_execz .LBB109_83
; %bb.82:
	ds_read2_b32 v[186:187], v169 offset0:15 offset1:16
	ds_read2_b32 v[188:189], v169 offset0:17 offset1:18
	;; [unrolled: 1-line block ×3, first 2 shown]
	s_waitcnt vmcnt(40) lgkmcnt(3)
	v_mul_f32_e32 v192, v184, v45
	ds_read2_b32 v[194:195], v169 offset0:21 offset1:22
	s_waitcnt vmcnt(38) lgkmcnt(3)
	v_pk_fma_f32 v[48:49], v[192:193], v[186:187], v[48:49] op_sel_hi:[0,1,1] neg_lo:[1,0,0] neg_hi:[1,0,0]
	s_waitcnt vmcnt(36) lgkmcnt(2)
	v_pk_fma_f32 v[74:75], v[192:193], v[188:189], v[74:75] op_sel_hi:[0,1,1] neg_lo:[1,0,0] neg_hi:[1,0,0]
	s_waitcnt vmcnt(34) lgkmcnt(1)
	v_pk_fma_f32 v[68:69], v[192:193], v[190:191], v[68:69] op_sel_hi:[0,1,1] neg_lo:[1,0,0] neg_hi:[1,0,0]
	ds_read2_b32 v[186:187], v169 offset0:23 offset1:24
	ds_read2_b32 v[188:189], v169 offset0:25 offset1:26
	ds_read2_b32 v[190:191], v169 offset0:27 offset1:28
	s_waitcnt vmcnt(32) lgkmcnt(3)
	v_pk_fma_f32 v[70:71], v[192:193], v[194:195], v[70:71] op_sel_hi:[0,1,1] neg_lo:[1,0,0] neg_hi:[1,0,0]
	ds_read2_b32 v[194:195], v169 offset0:29 offset1:30
	s_waitcnt vmcnt(30) lgkmcnt(3)
	v_pk_fma_f32 v[72:73], v[192:193], v[186:187], v[72:73] op_sel_hi:[0,1,1] neg_lo:[1,0,0] neg_hi:[1,0,0]
	s_waitcnt vmcnt(28) lgkmcnt(2)
	v_pk_fma_f32 v[94:95], v[192:193], v[188:189], v[94:95] op_sel_hi:[0,1,1] neg_lo:[1,0,0] neg_hi:[1,0,0]
	s_waitcnt vmcnt(26) lgkmcnt(1)
	v_pk_fma_f32 v[96:97], v[192:193], v[190:191], v[96:97] op_sel_hi:[0,1,1] neg_lo:[1,0,0] neg_hi:[1,0,0]
	ds_read2_b32 v[186:187], v169 offset0:31 offset1:32
	ds_read2_b32 v[188:189], v169 offset0:33 offset1:34
	ds_read2_b32 v[190:191], v169 offset0:35 offset1:36
	s_waitcnt vmcnt(24) lgkmcnt(3)
	v_pk_fma_f32 v[98:99], v[192:193], v[194:195], v[98:99] op_sel_hi:[0,1,1] neg_lo:[1,0,0] neg_hi:[1,0,0]
	ds_read2_b32 v[194:195], v169 offset0:37 offset1:38
	s_waitcnt vmcnt(22) lgkmcnt(3)
	v_pk_fma_f32 v[92:93], v[192:193], v[186:187], v[92:93] op_sel_hi:[0,1,1] neg_lo:[1,0,0] neg_hi:[1,0,0]
	s_waitcnt vmcnt(20) lgkmcnt(2)
	v_pk_fma_f32 v[118:119], v[192:193], v[188:189], v[118:119] op_sel_hi:[0,1,1] neg_lo:[1,0,0] neg_hi:[1,0,0]
	s_waitcnt vmcnt(18) lgkmcnt(1)
	v_pk_fma_f32 v[122:123], v[192:193], v[190:191], v[122:123] op_sel_hi:[0,1,1] neg_lo:[1,0,0] neg_hi:[1,0,0]
	ds_read2_b32 v[186:187], v169 offset0:39 offset1:40
	ds_read2_b32 v[188:189], v169 offset0:41 offset1:42
	ds_read2_b32 v[190:191], v169 offset0:43 offset1:44
	s_waitcnt vmcnt(16) lgkmcnt(3)
	v_pk_fma_f32 v[116:117], v[192:193], v[194:195], v[116:117] op_sel_hi:[0,1,1] neg_lo:[1,0,0] neg_hi:[1,0,0]
	ds_read2_b32 v[194:195], v169 offset0:45 offset1:46
	s_waitcnt vmcnt(14) lgkmcnt(3)
	v_pk_fma_f32 v[120:121], v[192:193], v[186:187], v[120:121] op_sel_hi:[0,1,1] neg_lo:[1,0,0] neg_hi:[1,0,0]
	s_waitcnt vmcnt(12) lgkmcnt(2)
	v_pk_fma_f32 v[146:147], v[192:193], v[188:189], v[146:147] op_sel_hi:[0,1,1] neg_lo:[1,0,0] neg_hi:[1,0,0]
	;; [unrolled: 2-line block ×3, first 2 shown]
	ds_read2_b32 v[186:187], v169 offset0:47 offset1:48
	ds_read2_b32 v[188:189], v169 offset0:49 offset1:50
	;; [unrolled: 1-line block ×4, first 2 shown]
	s_waitcnt vmcnt(8) lgkmcnt(4)
	v_pk_fma_f32 v[142:143], v[192:193], v[194:195], v[142:143] op_sel_hi:[0,1,1] neg_lo:[1,0,0] neg_hi:[1,0,0]
	s_waitcnt vmcnt(6) lgkmcnt(3)
	v_pk_fma_f32 v[144:145], v[192:193], v[186:187], v[144:145] op_sel_hi:[0,1,1] neg_lo:[1,0,0] neg_hi:[1,0,0]
	;; [unrolled: 2-line block ×5, first 2 shown]
	v_mov_b32_e32 v45, v192
.LBB109_83:
	s_or_b64 exec, exec, s[2:3]
	v_cmp_eq_u32_e32 vcc, 15, v25
	s_waitcnt lgkmcnt(0)
	s_barrier
	s_and_saveexec_b64 s[2:3], vcc
	s_cbranch_execz .LBB109_86
; %bb.84:
	s_waitcnt vmcnt(36)
	v_pk_mov_b32 v[186:187], v[48:49], v[74:75] op_sel:[1,0]
	ds_write_b32 v168, v48
	ds_write2_b32 v169, v186, v187 offset0:16 offset1:17
	s_waitcnt vmcnt(34)
	v_pk_mov_b32 v[186:187], v[74:75], v[68:69] op_sel:[1,0]
	ds_write2_b32 v169, v186, v187 offset0:18 offset1:19
	s_waitcnt vmcnt(32)
	v_pk_mov_b32 v[186:187], v[68:69], v[70:71] op_sel:[1,0]
	;; [unrolled: 3-line block ×18, first 2 shown]
	ds_write2_b32 v169, v186, v187 offset0:52 offset1:53
	ds_write_b32 v169, v167 offset:216
	ds_read_b32 v185, v168
	s_waitcnt lgkmcnt(0)
	v_cmp_neq_f32_e32 vcc, 0, v185
	s_and_b64 exec, exec, vcc
	s_cbranch_execz .LBB109_86
; %bb.85:
	v_div_scale_f32 v186, s[4:5], v185, v185, 1.0
	v_rcp_f32_e32 v187, v186
	v_div_scale_f32 v188, vcc, 1.0, v185, 1.0
	v_fma_f32 v189, -v186, v187, 1.0
	v_fmac_f32_e32 v187, v189, v187
	v_mul_f32_e32 v189, v188, v187
	v_fma_f32 v190, -v186, v189, v188
	v_fmac_f32_e32 v189, v190, v187
	v_fma_f32 v186, -v186, v189, v188
	v_div_fmas_f32 v186, v186, v187, v189
	v_div_fixup_f32 v185, v186, v185, 1.0
	ds_write_b32 v168, v185
.LBB109_86:
	s_or_b64 exec, exec, s[2:3]
	s_waitcnt lgkmcnt(0)
	s_barrier
	ds_read_b32 v185, v168
	v_cmp_lt_u32_e32 vcc, 15, v25
	s_and_saveexec_b64 s[2:3], vcc
	s_cbranch_execz .LBB109_88
; %bb.87:
	ds_read_b32 v192, v169 offset:64
	ds_read2_b32 v[186:187], v169 offset0:17 offset1:18
	ds_read2_b32 v[188:189], v169 offset0:19 offset1:20
	s_waitcnt vmcnt(39) lgkmcnt(3)
	v_mul_f32_e32 v48, v185, v48
	ds_read2_b32 v[190:191], v169 offset0:21 offset1:22
	s_waitcnt vmcnt(38) lgkmcnt(3)
	v_fma_f32 v49, -v48, v192, v49
	s_waitcnt vmcnt(36) lgkmcnt(2)
	v_pk_fma_f32 v[74:75], v[48:49], v[186:187], v[74:75] op_sel_hi:[0,1,1] neg_lo:[1,0,0] neg_hi:[1,0,0]
	s_waitcnt vmcnt(34) lgkmcnt(1)
	v_pk_fma_f32 v[68:69], v[48:49], v[188:189], v[68:69] op_sel_hi:[0,1,1] neg_lo:[1,0,0] neg_hi:[1,0,0]
	ds_read2_b32 v[186:187], v169 offset0:23 offset1:24
	ds_read2_b32 v[188:189], v169 offset0:25 offset1:26
	ds_read2_b32 v[192:193], v169 offset0:27 offset1:28
	s_waitcnt vmcnt(32) lgkmcnt(3)
	v_pk_fma_f32 v[70:71], v[48:49], v[190:191], v[70:71] op_sel_hi:[0,1,1] neg_lo:[1,0,0] neg_hi:[1,0,0]
	ds_read2_b32 v[190:191], v169 offset0:29 offset1:30
	s_waitcnt vmcnt(30) lgkmcnt(3)
	v_pk_fma_f32 v[72:73], v[48:49], v[186:187], v[72:73] op_sel_hi:[0,1,1] neg_lo:[1,0,0] neg_hi:[1,0,0]
	s_waitcnt vmcnt(28) lgkmcnt(2)
	v_pk_fma_f32 v[94:95], v[48:49], v[188:189], v[94:95] op_sel_hi:[0,1,1] neg_lo:[1,0,0] neg_hi:[1,0,0]
	s_waitcnt vmcnt(26) lgkmcnt(1)
	v_pk_fma_f32 v[96:97], v[48:49], v[192:193], v[96:97] op_sel_hi:[0,1,1] neg_lo:[1,0,0] neg_hi:[1,0,0]
	ds_read2_b32 v[186:187], v169 offset0:31 offset1:32
	ds_read2_b32 v[188:189], v169 offset0:33 offset1:34
	ds_read2_b32 v[192:193], v169 offset0:35 offset1:36
	s_waitcnt vmcnt(24) lgkmcnt(3)
	v_pk_fma_f32 v[98:99], v[48:49], v[190:191], v[98:99] op_sel_hi:[0,1,1] neg_lo:[1,0,0] neg_hi:[1,0,0]
	ds_read2_b32 v[190:191], v169 offset0:37 offset1:38
	s_waitcnt vmcnt(22) lgkmcnt(3)
	v_pk_fma_f32 v[92:93], v[48:49], v[186:187], v[92:93] op_sel_hi:[0,1,1] neg_lo:[1,0,0] neg_hi:[1,0,0]
	;; [unrolled: 12-line block ×3, first 2 shown]
	s_waitcnt vmcnt(12) lgkmcnt(2)
	v_pk_fma_f32 v[146:147], v[48:49], v[188:189], v[146:147] op_sel_hi:[0,1,1] neg_lo:[1,0,0] neg_hi:[1,0,0]
	s_waitcnt vmcnt(10) lgkmcnt(1)
	v_pk_fma_f32 v[140:141], v[48:49], v[192:193], v[140:141] op_sel_hi:[0,1,1] neg_lo:[1,0,0] neg_hi:[1,0,0]
	ds_read2_b32 v[186:187], v169 offset0:47 offset1:48
	ds_read2_b32 v[188:189], v169 offset0:49 offset1:50
	;; [unrolled: 1-line block ×4, first 2 shown]
	s_waitcnt vmcnt(8) lgkmcnt(4)
	v_pk_fma_f32 v[142:143], v[48:49], v[190:191], v[142:143] op_sel_hi:[0,1,1] neg_lo:[1,0,0] neg_hi:[1,0,0]
	s_waitcnt vmcnt(6) lgkmcnt(3)
	v_pk_fma_f32 v[144:145], v[48:49], v[186:187], v[144:145] op_sel_hi:[0,1,1] neg_lo:[1,0,0] neg_hi:[1,0,0]
	;; [unrolled: 2-line block ×5, first 2 shown]
.LBB109_88:
	s_or_b64 exec, exec, s[2:3]
	v_cmp_ne_u32_e32 vcc, 16, v25
	s_waitcnt lgkmcnt(0)
	s_barrier
	s_and_saveexec_b64 s[2:3], vcc
	s_xor_b64 s[2:3], exec, s[2:3]
	s_andn2_saveexec_b64 s[2:3], s[2:3]
	s_cbranch_execz .LBB109_92
; %bb.89:
	s_waitcnt vmcnt(38)
	ds_write_b32 v168, v49
	s_waitcnt vmcnt(36)
	ds_write2_b32 v169, v74, v75 offset0:17 offset1:18
	s_waitcnt vmcnt(34)
	ds_write2_b32 v169, v68, v69 offset0:19 offset1:20
	;; [unrolled: 2-line block ×19, first 2 shown]
	ds_read_b32 v186, v168
	s_waitcnt lgkmcnt(0)
	v_cmp_neq_f32_e32 vcc, 0, v186
	s_and_saveexec_b64 s[4:5], vcc
	s_cbranch_execz .LBB109_91
; %bb.90:
	v_div_scale_f32 v187, s[10:11], v186, v186, 1.0
	v_rcp_f32_e32 v188, v187
	v_div_scale_f32 v189, vcc, 1.0, v186, 1.0
	v_fma_f32 v190, -v187, v188, 1.0
	v_fmac_f32_e32 v188, v190, v188
	v_mul_f32_e32 v190, v189, v188
	v_fma_f32 v191, -v187, v190, v189
	v_fmac_f32_e32 v190, v191, v188
	v_fma_f32 v187, -v187, v190, v189
	v_div_fmas_f32 v187, v187, v188, v190
	v_div_fixup_f32 v186, v187, v186, 1.0
	ds_write_b32 v168, v186
.LBB109_91:
	s_or_b64 exec, exec, s[4:5]
.LBB109_92:
	s_or_b64 exec, exec, s[2:3]
	s_waitcnt lgkmcnt(0)
	s_barrier
	ds_read_b32 v186, v168
	v_cmp_lt_u32_e32 vcc, 16, v25
	s_and_saveexec_b64 s[2:3], vcc
	s_cbranch_execz .LBB109_94
; %bb.93:
	ds_read2_b32 v[188:189], v169 offset0:17 offset1:18
	ds_read2_b32 v[190:191], v169 offset0:19 offset1:20
	;; [unrolled: 1-line block ×3, first 2 shown]
	s_waitcnt vmcnt(38) lgkmcnt(3)
	v_mul_f32_e32 v194, v186, v49
	ds_read2_b32 v[196:197], v169 offset0:23 offset1:24
	s_waitcnt vmcnt(36) lgkmcnt(3)
	v_pk_fma_f32 v[74:75], v[194:195], v[188:189], v[74:75] op_sel_hi:[0,1,1] neg_lo:[1,0,0] neg_hi:[1,0,0]
	s_waitcnt vmcnt(34) lgkmcnt(2)
	v_pk_fma_f32 v[68:69], v[194:195], v[190:191], v[68:69] op_sel_hi:[0,1,1] neg_lo:[1,0,0] neg_hi:[1,0,0]
	s_waitcnt vmcnt(32) lgkmcnt(1)
	v_pk_fma_f32 v[70:71], v[194:195], v[192:193], v[70:71] op_sel_hi:[0,1,1] neg_lo:[1,0,0] neg_hi:[1,0,0]
	ds_read2_b32 v[188:189], v169 offset0:25 offset1:26
	ds_read2_b32 v[190:191], v169 offset0:27 offset1:28
	;; [unrolled: 1-line block ×3, first 2 shown]
	s_waitcnt vmcnt(30) lgkmcnt(3)
	v_pk_fma_f32 v[72:73], v[194:195], v[196:197], v[72:73] op_sel_hi:[0,1,1] neg_lo:[1,0,0] neg_hi:[1,0,0]
	ds_read2_b32 v[196:197], v169 offset0:31 offset1:32
	s_waitcnt vmcnt(28) lgkmcnt(3)
	v_pk_fma_f32 v[94:95], v[194:195], v[188:189], v[94:95] op_sel_hi:[0,1,1] neg_lo:[1,0,0] neg_hi:[1,0,0]
	s_waitcnt vmcnt(26) lgkmcnt(2)
	v_pk_fma_f32 v[96:97], v[194:195], v[190:191], v[96:97] op_sel_hi:[0,1,1] neg_lo:[1,0,0] neg_hi:[1,0,0]
	;; [unrolled: 2-line block ×3, first 2 shown]
	ds_read2_b32 v[188:189], v169 offset0:33 offset1:34
	ds_read2_b32 v[190:191], v169 offset0:35 offset1:36
	;; [unrolled: 1-line block ×3, first 2 shown]
	s_waitcnt vmcnt(22) lgkmcnt(3)
	v_pk_fma_f32 v[92:93], v[194:195], v[196:197], v[92:93] op_sel_hi:[0,1,1] neg_lo:[1,0,0] neg_hi:[1,0,0]
	ds_read2_b32 v[196:197], v169 offset0:39 offset1:40
	s_waitcnt vmcnt(20) lgkmcnt(3)
	v_pk_fma_f32 v[118:119], v[194:195], v[188:189], v[118:119] op_sel_hi:[0,1,1] neg_lo:[1,0,0] neg_hi:[1,0,0]
	s_waitcnt vmcnt(18) lgkmcnt(2)
	v_pk_fma_f32 v[122:123], v[194:195], v[190:191], v[122:123] op_sel_hi:[0,1,1] neg_lo:[1,0,0] neg_hi:[1,0,0]
	ds_read2_b32 v[188:189], v169 offset0:41 offset1:42
	ds_read2_b32 v[190:191], v169 offset0:43 offset1:44
	s_waitcnt vmcnt(16) lgkmcnt(3)
	v_pk_fma_f32 v[116:117], v[194:195], v[192:193], v[116:117] op_sel_hi:[0,1,1] neg_lo:[1,0,0] neg_hi:[1,0,0]
	s_waitcnt vmcnt(14) lgkmcnt(2)
	v_pk_fma_f32 v[120:121], v[194:195], v[196:197], v[120:121] op_sel_hi:[0,1,1] neg_lo:[1,0,0] neg_hi:[1,0,0]
	ds_read2_b32 v[192:193], v169 offset0:45 offset1:46
	;; [unrolled: 6-line block ×3, first 2 shown]
	ds_read2_b32 v[190:191], v169 offset0:51 offset1:52
	ds_read2_b32 v[198:199], v169 offset0:53 offset1:54
	s_waitcnt vmcnt(8) lgkmcnt(4)
	v_pk_fma_f32 v[142:143], v[194:195], v[192:193], v[142:143] op_sel_hi:[0,1,1] neg_lo:[1,0,0] neg_hi:[1,0,0]
	s_waitcnt vmcnt(6) lgkmcnt(3)
	v_pk_fma_f32 v[144:145], v[194:195], v[196:197], v[144:145] op_sel_hi:[0,1,1] neg_lo:[1,0,0] neg_hi:[1,0,0]
	;; [unrolled: 2-line block ×5, first 2 shown]
	v_mov_b32_e32 v49, v194
.LBB109_94:
	s_or_b64 exec, exec, s[2:3]
	v_cmp_eq_u32_e32 vcc, 17, v25
	s_waitcnt lgkmcnt(0)
	s_barrier
	s_and_saveexec_b64 s[2:3], vcc
	s_cbranch_execz .LBB109_97
; %bb.95:
	s_waitcnt vmcnt(34)
	v_pk_mov_b32 v[188:189], v[74:75], v[68:69] op_sel:[1,0]
	ds_write_b32 v168, v74
	ds_write2_b32 v169, v188, v189 offset0:18 offset1:19
	s_waitcnt vmcnt(32)
	v_pk_mov_b32 v[188:189], v[68:69], v[70:71] op_sel:[1,0]
	ds_write2_b32 v169, v188, v189 offset0:20 offset1:21
	s_waitcnt vmcnt(30)
	v_pk_mov_b32 v[188:189], v[70:71], v[72:73] op_sel:[1,0]
	;; [unrolled: 3-line block ×17, first 2 shown]
	ds_write2_b32 v169, v188, v189 offset0:52 offset1:53
	ds_write_b32 v169, v167 offset:216
	ds_read_b32 v187, v168
	s_waitcnt lgkmcnt(0)
	v_cmp_neq_f32_e32 vcc, 0, v187
	s_and_b64 exec, exec, vcc
	s_cbranch_execz .LBB109_97
; %bb.96:
	v_div_scale_f32 v188, s[4:5], v187, v187, 1.0
	v_rcp_f32_e32 v189, v188
	v_div_scale_f32 v190, vcc, 1.0, v187, 1.0
	v_fma_f32 v191, -v188, v189, 1.0
	v_fmac_f32_e32 v189, v191, v189
	v_mul_f32_e32 v191, v190, v189
	v_fma_f32 v192, -v188, v191, v190
	v_fmac_f32_e32 v191, v192, v189
	v_fma_f32 v188, -v188, v191, v190
	v_div_fmas_f32 v188, v188, v189, v191
	v_div_fixup_f32 v187, v188, v187, 1.0
	ds_write_b32 v168, v187
.LBB109_97:
	s_or_b64 exec, exec, s[2:3]
	s_waitcnt lgkmcnt(0)
	s_barrier
	ds_read_b32 v187, v168
	v_cmp_lt_u32_e32 vcc, 17, v25
	s_and_saveexec_b64 s[2:3], vcc
	s_cbranch_execz .LBB109_99
; %bb.98:
	ds_read_b32 v194, v169 offset:72
	ds_read2_b32 v[188:189], v169 offset0:19 offset1:20
	ds_read2_b32 v[190:191], v169 offset0:21 offset1:22
	s_waitcnt vmcnt(37) lgkmcnt(3)
	v_mul_f32_e32 v74, v187, v74
	ds_read2_b32 v[192:193], v169 offset0:23 offset1:24
	s_waitcnt vmcnt(36) lgkmcnt(3)
	v_fma_f32 v75, -v74, v194, v75
	s_waitcnt vmcnt(34) lgkmcnt(2)
	v_pk_fma_f32 v[68:69], v[74:75], v[188:189], v[68:69] op_sel_hi:[0,1,1] neg_lo:[1,0,0] neg_hi:[1,0,0]
	s_waitcnt vmcnt(32) lgkmcnt(1)
	v_pk_fma_f32 v[70:71], v[74:75], v[190:191], v[70:71] op_sel_hi:[0,1,1] neg_lo:[1,0,0] neg_hi:[1,0,0]
	ds_read2_b32 v[188:189], v169 offset0:25 offset1:26
	ds_read2_b32 v[190:191], v169 offset0:27 offset1:28
	;; [unrolled: 1-line block ×3, first 2 shown]
	s_waitcnt vmcnt(30) lgkmcnt(3)
	v_pk_fma_f32 v[72:73], v[74:75], v[192:193], v[72:73] op_sel_hi:[0,1,1] neg_lo:[1,0,0] neg_hi:[1,0,0]
	ds_read2_b32 v[192:193], v169 offset0:31 offset1:32
	s_waitcnt vmcnt(28) lgkmcnt(3)
	v_pk_fma_f32 v[94:95], v[74:75], v[188:189], v[94:95] op_sel_hi:[0,1,1] neg_lo:[1,0,0] neg_hi:[1,0,0]
	s_waitcnt vmcnt(26) lgkmcnt(2)
	v_pk_fma_f32 v[96:97], v[74:75], v[190:191], v[96:97] op_sel_hi:[0,1,1] neg_lo:[1,0,0] neg_hi:[1,0,0]
	;; [unrolled: 2-line block ×3, first 2 shown]
	ds_read2_b32 v[188:189], v169 offset0:33 offset1:34
	ds_read2_b32 v[190:191], v169 offset0:35 offset1:36
	;; [unrolled: 1-line block ×3, first 2 shown]
	s_waitcnt vmcnt(22) lgkmcnt(3)
	v_pk_fma_f32 v[92:93], v[74:75], v[192:193], v[92:93] op_sel_hi:[0,1,1] neg_lo:[1,0,0] neg_hi:[1,0,0]
	ds_read2_b32 v[192:193], v169 offset0:39 offset1:40
	s_waitcnt vmcnt(20) lgkmcnt(3)
	v_pk_fma_f32 v[118:119], v[74:75], v[188:189], v[118:119] op_sel_hi:[0,1,1] neg_lo:[1,0,0] neg_hi:[1,0,0]
	s_waitcnt vmcnt(18) lgkmcnt(2)
	v_pk_fma_f32 v[122:123], v[74:75], v[190:191], v[122:123] op_sel_hi:[0,1,1] neg_lo:[1,0,0] neg_hi:[1,0,0]
	ds_read2_b32 v[188:189], v169 offset0:41 offset1:42
	ds_read2_b32 v[190:191], v169 offset0:43 offset1:44
	s_waitcnt vmcnt(16) lgkmcnt(3)
	v_pk_fma_f32 v[116:117], v[74:75], v[194:195], v[116:117] op_sel_hi:[0,1,1] neg_lo:[1,0,0] neg_hi:[1,0,0]
	s_waitcnt vmcnt(14) lgkmcnt(2)
	v_pk_fma_f32 v[120:121], v[74:75], v[192:193], v[120:121] op_sel_hi:[0,1,1] neg_lo:[1,0,0] neg_hi:[1,0,0]
	ds_read2_b32 v[192:193], v169 offset0:45 offset1:46
	;; [unrolled: 6-line block ×3, first 2 shown]
	ds_read2_b32 v[190:191], v169 offset0:51 offset1:52
	ds_read2_b32 v[196:197], v169 offset0:53 offset1:54
	s_waitcnt vmcnt(8) lgkmcnt(4)
	v_pk_fma_f32 v[142:143], v[74:75], v[192:193], v[142:143] op_sel_hi:[0,1,1] neg_lo:[1,0,0] neg_hi:[1,0,0]
	s_waitcnt vmcnt(6) lgkmcnt(3)
	v_pk_fma_f32 v[144:145], v[74:75], v[194:195], v[144:145] op_sel_hi:[0,1,1] neg_lo:[1,0,0] neg_hi:[1,0,0]
	;; [unrolled: 2-line block ×5, first 2 shown]
.LBB109_99:
	s_or_b64 exec, exec, s[2:3]
	v_cmp_ne_u32_e32 vcc, 18, v25
	s_waitcnt lgkmcnt(0)
	s_barrier
	s_and_saveexec_b64 s[2:3], vcc
	s_xor_b64 s[2:3], exec, s[2:3]
	s_andn2_saveexec_b64 s[2:3], s[2:3]
	s_cbranch_execz .LBB109_103
; %bb.100:
	s_waitcnt vmcnt(36)
	ds_write_b32 v168, v75
	s_waitcnt vmcnt(34)
	ds_write2_b32 v169, v68, v69 offset0:19 offset1:20
	s_waitcnt vmcnt(32)
	ds_write2_b32 v169, v70, v71 offset0:21 offset1:22
	;; [unrolled: 2-line block ×18, first 2 shown]
	ds_read_b32 v188, v168
	s_waitcnt lgkmcnt(0)
	v_cmp_neq_f32_e32 vcc, 0, v188
	s_and_saveexec_b64 s[4:5], vcc
	s_cbranch_execz .LBB109_102
; %bb.101:
	v_div_scale_f32 v189, s[10:11], v188, v188, 1.0
	v_rcp_f32_e32 v190, v189
	v_div_scale_f32 v191, vcc, 1.0, v188, 1.0
	v_fma_f32 v192, -v189, v190, 1.0
	v_fmac_f32_e32 v190, v192, v190
	v_mul_f32_e32 v192, v191, v190
	v_fma_f32 v193, -v189, v192, v191
	v_fmac_f32_e32 v192, v193, v190
	v_fma_f32 v189, -v189, v192, v191
	v_div_fmas_f32 v189, v189, v190, v192
	v_div_fixup_f32 v188, v189, v188, 1.0
	ds_write_b32 v168, v188
.LBB109_102:
	s_or_b64 exec, exec, s[4:5]
.LBB109_103:
	s_or_b64 exec, exec, s[2:3]
	s_waitcnt lgkmcnt(0)
	s_barrier
	ds_read_b32 v188, v168
	v_cmp_lt_u32_e32 vcc, 18, v25
	s_and_saveexec_b64 s[2:3], vcc
	s_cbranch_execz .LBB109_105
; %bb.104:
	ds_read2_b32 v[190:191], v169 offset0:19 offset1:20
	ds_read2_b32 v[192:193], v169 offset0:21 offset1:22
	;; [unrolled: 1-line block ×4, first 2 shown]
	s_waitcnt vmcnt(36) lgkmcnt(4)
	v_mul_f32_e32 v196, v188, v75
	s_waitcnt vmcnt(34) lgkmcnt(3)
	v_pk_fma_f32 v[68:69], v[196:197], v[190:191], v[68:69] op_sel_hi:[0,1,1] neg_lo:[1,0,0] neg_hi:[1,0,0]
	s_waitcnt vmcnt(32) lgkmcnt(2)
	v_pk_fma_f32 v[70:71], v[196:197], v[192:193], v[70:71] op_sel_hi:[0,1,1] neg_lo:[1,0,0] neg_hi:[1,0,0]
	;; [unrolled: 2-line block ×3, first 2 shown]
	ds_read2_b32 v[190:191], v169 offset0:27 offset1:28
	ds_read2_b32 v[192:193], v169 offset0:29 offset1:30
	;; [unrolled: 1-line block ×3, first 2 shown]
	s_waitcnt vmcnt(28) lgkmcnt(3)
	v_pk_fma_f32 v[94:95], v[196:197], v[198:199], v[94:95] op_sel_hi:[0,1,1] neg_lo:[1,0,0] neg_hi:[1,0,0]
	ds_read2_b32 v[198:199], v169 offset0:33 offset1:34
	s_waitcnt vmcnt(26) lgkmcnt(3)
	v_pk_fma_f32 v[96:97], v[196:197], v[190:191], v[96:97] op_sel_hi:[0,1,1] neg_lo:[1,0,0] neg_hi:[1,0,0]
	s_waitcnt vmcnt(24) lgkmcnt(2)
	v_pk_fma_f32 v[98:99], v[196:197], v[192:193], v[98:99] op_sel_hi:[0,1,1] neg_lo:[1,0,0] neg_hi:[1,0,0]
	;; [unrolled: 2-line block ×3, first 2 shown]
	ds_read2_b32 v[190:191], v169 offset0:35 offset1:36
	ds_read2_b32 v[192:193], v169 offset0:37 offset1:38
	;; [unrolled: 1-line block ×3, first 2 shown]
	s_waitcnt vmcnt(20) lgkmcnt(3)
	v_pk_fma_f32 v[118:119], v[196:197], v[198:199], v[118:119] op_sel_hi:[0,1,1] neg_lo:[1,0,0] neg_hi:[1,0,0]
	ds_read2_b32 v[198:199], v169 offset0:41 offset1:42
	s_waitcnt vmcnt(18) lgkmcnt(3)
	v_pk_fma_f32 v[122:123], v[196:197], v[190:191], v[122:123] op_sel_hi:[0,1,1] neg_lo:[1,0,0] neg_hi:[1,0,0]
	ds_read2_b32 v[190:191], v169 offset0:43 offset1:44
	s_waitcnt vmcnt(16) lgkmcnt(3)
	v_pk_fma_f32 v[116:117], v[196:197], v[192:193], v[116:117] op_sel_hi:[0,1,1] neg_lo:[1,0,0] neg_hi:[1,0,0]
	s_waitcnt vmcnt(14) lgkmcnt(2)
	v_pk_fma_f32 v[120:121], v[196:197], v[194:195], v[120:121] op_sel_hi:[0,1,1] neg_lo:[1,0,0] neg_hi:[1,0,0]
	;; [unrolled: 2-line block ×3, first 2 shown]
	ds_read2_b32 v[192:193], v169 offset0:45 offset1:46
	ds_read2_b32 v[194:195], v169 offset0:47 offset1:48
	;; [unrolled: 1-line block ×3, first 2 shown]
	s_waitcnt vmcnt(10) lgkmcnt(3)
	v_pk_fma_f32 v[140:141], v[196:197], v[190:191], v[140:141] op_sel_hi:[0,1,1] neg_lo:[1,0,0] neg_hi:[1,0,0]
	ds_read2_b32 v[190:191], v169 offset0:51 offset1:52
	ds_read2_b32 v[200:201], v169 offset0:53 offset1:54
	s_waitcnt vmcnt(8) lgkmcnt(4)
	v_pk_fma_f32 v[142:143], v[196:197], v[192:193], v[142:143] op_sel_hi:[0,1,1] neg_lo:[1,0,0] neg_hi:[1,0,0]
	s_waitcnt vmcnt(6) lgkmcnt(3)
	v_pk_fma_f32 v[144:145], v[196:197], v[194:195], v[144:145] op_sel_hi:[0,1,1] neg_lo:[1,0,0] neg_hi:[1,0,0]
	;; [unrolled: 2-line block ×5, first 2 shown]
	v_mov_b32_e32 v75, v196
.LBB109_105:
	s_or_b64 exec, exec, s[2:3]
	v_cmp_eq_u32_e32 vcc, 19, v25
	s_waitcnt lgkmcnt(0)
	s_barrier
	s_and_saveexec_b64 s[2:3], vcc
	s_cbranch_execz .LBB109_108
; %bb.106:
	s_waitcnt vmcnt(32)
	v_pk_mov_b32 v[190:191], v[68:69], v[70:71] op_sel:[1,0]
	ds_write_b32 v168, v68
	ds_write2_b32 v169, v190, v191 offset0:20 offset1:21
	s_waitcnt vmcnt(30)
	v_pk_mov_b32 v[190:191], v[70:71], v[72:73] op_sel:[1,0]
	ds_write2_b32 v169, v190, v191 offset0:22 offset1:23
	s_waitcnt vmcnt(28)
	v_pk_mov_b32 v[190:191], v[72:73], v[94:95] op_sel:[1,0]
	;; [unrolled: 3-line block ×16, first 2 shown]
	ds_write2_b32 v169, v190, v191 offset0:52 offset1:53
	ds_write_b32 v169, v167 offset:216
	ds_read_b32 v189, v168
	s_waitcnt lgkmcnt(0)
	v_cmp_neq_f32_e32 vcc, 0, v189
	s_and_b64 exec, exec, vcc
	s_cbranch_execz .LBB109_108
; %bb.107:
	v_div_scale_f32 v190, s[4:5], v189, v189, 1.0
	v_rcp_f32_e32 v191, v190
	v_div_scale_f32 v192, vcc, 1.0, v189, 1.0
	v_fma_f32 v193, -v190, v191, 1.0
	v_fmac_f32_e32 v191, v193, v191
	v_mul_f32_e32 v193, v192, v191
	v_fma_f32 v194, -v190, v193, v192
	v_fmac_f32_e32 v193, v194, v191
	v_fma_f32 v190, -v190, v193, v192
	v_div_fmas_f32 v190, v190, v191, v193
	v_div_fixup_f32 v189, v190, v189, 1.0
	ds_write_b32 v168, v189
.LBB109_108:
	s_or_b64 exec, exec, s[2:3]
	s_waitcnt lgkmcnt(0)
	s_barrier
	ds_read_b32 v189, v168
	v_cmp_lt_u32_e32 vcc, 19, v25
	s_and_saveexec_b64 s[2:3], vcc
	s_cbranch_execz .LBB109_110
; %bb.109:
	ds_read_b32 v196, v169 offset:80
	ds_read2_b32 v[190:191], v169 offset0:21 offset1:22
	ds_read2_b32 v[192:193], v169 offset0:23 offset1:24
	s_waitcnt vmcnt(35) lgkmcnt(3)
	v_mul_f32_e32 v68, v189, v68
	ds_read2_b32 v[194:195], v169 offset0:25 offset1:26
	s_waitcnt vmcnt(34) lgkmcnt(3)
	v_fma_f32 v69, -v68, v196, v69
	s_waitcnt vmcnt(32) lgkmcnt(2)
	v_pk_fma_f32 v[70:71], v[68:69], v[190:191], v[70:71] op_sel_hi:[0,1,1] neg_lo:[1,0,0] neg_hi:[1,0,0]
	s_waitcnt vmcnt(30) lgkmcnt(1)
	v_pk_fma_f32 v[72:73], v[68:69], v[192:193], v[72:73] op_sel_hi:[0,1,1] neg_lo:[1,0,0] neg_hi:[1,0,0]
	ds_read2_b32 v[190:191], v169 offset0:27 offset1:28
	ds_read2_b32 v[192:193], v169 offset0:29 offset1:30
	;; [unrolled: 1-line block ×3, first 2 shown]
	s_waitcnt vmcnt(28) lgkmcnt(3)
	v_pk_fma_f32 v[94:95], v[68:69], v[194:195], v[94:95] op_sel_hi:[0,1,1] neg_lo:[1,0,0] neg_hi:[1,0,0]
	ds_read2_b32 v[194:195], v169 offset0:33 offset1:34
	s_waitcnt vmcnt(26) lgkmcnt(3)
	v_pk_fma_f32 v[96:97], v[68:69], v[190:191], v[96:97] op_sel_hi:[0,1,1] neg_lo:[1,0,0] neg_hi:[1,0,0]
	s_waitcnt vmcnt(24) lgkmcnt(2)
	v_pk_fma_f32 v[98:99], v[68:69], v[192:193], v[98:99] op_sel_hi:[0,1,1] neg_lo:[1,0,0] neg_hi:[1,0,0]
	;; [unrolled: 2-line block ×3, first 2 shown]
	ds_read2_b32 v[190:191], v169 offset0:35 offset1:36
	ds_read2_b32 v[192:193], v169 offset0:37 offset1:38
	;; [unrolled: 1-line block ×3, first 2 shown]
	s_waitcnt vmcnt(20) lgkmcnt(3)
	v_pk_fma_f32 v[118:119], v[68:69], v[194:195], v[118:119] op_sel_hi:[0,1,1] neg_lo:[1,0,0] neg_hi:[1,0,0]
	ds_read2_b32 v[194:195], v169 offset0:41 offset1:42
	s_waitcnt vmcnt(18) lgkmcnt(3)
	v_pk_fma_f32 v[122:123], v[68:69], v[190:191], v[122:123] op_sel_hi:[0,1,1] neg_lo:[1,0,0] neg_hi:[1,0,0]
	ds_read2_b32 v[190:191], v169 offset0:43 offset1:44
	s_waitcnt vmcnt(16) lgkmcnt(3)
	v_pk_fma_f32 v[116:117], v[68:69], v[192:193], v[116:117] op_sel_hi:[0,1,1] neg_lo:[1,0,0] neg_hi:[1,0,0]
	s_waitcnt vmcnt(14) lgkmcnt(2)
	v_pk_fma_f32 v[120:121], v[68:69], v[196:197], v[120:121] op_sel_hi:[0,1,1] neg_lo:[1,0,0] neg_hi:[1,0,0]
	;; [unrolled: 2-line block ×3, first 2 shown]
	ds_read2_b32 v[192:193], v169 offset0:45 offset1:46
	ds_read2_b32 v[194:195], v169 offset0:47 offset1:48
	;; [unrolled: 1-line block ×3, first 2 shown]
	s_waitcnt vmcnt(10) lgkmcnt(3)
	v_pk_fma_f32 v[140:141], v[68:69], v[190:191], v[140:141] op_sel_hi:[0,1,1] neg_lo:[1,0,0] neg_hi:[1,0,0]
	ds_read2_b32 v[190:191], v169 offset0:51 offset1:52
	ds_read2_b32 v[198:199], v169 offset0:53 offset1:54
	s_waitcnt vmcnt(8) lgkmcnt(4)
	v_pk_fma_f32 v[142:143], v[68:69], v[192:193], v[142:143] op_sel_hi:[0,1,1] neg_lo:[1,0,0] neg_hi:[1,0,0]
	s_waitcnt vmcnt(6) lgkmcnt(3)
	v_pk_fma_f32 v[144:145], v[68:69], v[194:195], v[144:145] op_sel_hi:[0,1,1] neg_lo:[1,0,0] neg_hi:[1,0,0]
	;; [unrolled: 2-line block ×5, first 2 shown]
.LBB109_110:
	s_or_b64 exec, exec, s[2:3]
	v_cmp_ne_u32_e32 vcc, 20, v25
	s_waitcnt lgkmcnt(0)
	s_barrier
	s_and_saveexec_b64 s[2:3], vcc
	s_xor_b64 s[2:3], exec, s[2:3]
	s_andn2_saveexec_b64 s[2:3], s[2:3]
	s_cbranch_execz .LBB109_114
; %bb.111:
	s_waitcnt vmcnt(34)
	ds_write_b32 v168, v69
	s_waitcnt vmcnt(32)
	ds_write2_b32 v169, v70, v71 offset0:21 offset1:22
	s_waitcnt vmcnt(30)
	ds_write2_b32 v169, v72, v73 offset0:23 offset1:24
	;; [unrolled: 2-line block ×17, first 2 shown]
	ds_read_b32 v190, v168
	s_waitcnt lgkmcnt(0)
	v_cmp_neq_f32_e32 vcc, 0, v190
	s_and_saveexec_b64 s[4:5], vcc
	s_cbranch_execz .LBB109_113
; %bb.112:
	v_div_scale_f32 v191, s[10:11], v190, v190, 1.0
	v_rcp_f32_e32 v192, v191
	v_div_scale_f32 v193, vcc, 1.0, v190, 1.0
	v_fma_f32 v194, -v191, v192, 1.0
	v_fmac_f32_e32 v192, v194, v192
	v_mul_f32_e32 v194, v193, v192
	v_fma_f32 v195, -v191, v194, v193
	v_fmac_f32_e32 v194, v195, v192
	v_fma_f32 v191, -v191, v194, v193
	v_div_fmas_f32 v191, v191, v192, v194
	v_div_fixup_f32 v190, v191, v190, 1.0
	ds_write_b32 v168, v190
.LBB109_113:
	s_or_b64 exec, exec, s[4:5]
.LBB109_114:
	s_or_b64 exec, exec, s[2:3]
	s_waitcnt lgkmcnt(0)
	s_barrier
	ds_read_b32 v190, v168
	v_cmp_lt_u32_e32 vcc, 20, v25
	s_and_saveexec_b64 s[2:3], vcc
	s_cbranch_execz .LBB109_116
; %bb.115:
	ds_read2_b32 v[192:193], v169 offset0:21 offset1:22
	ds_read2_b32 v[194:195], v169 offset0:23 offset1:24
	;; [unrolled: 1-line block ×3, first 2 shown]
	s_waitcnt vmcnt(34) lgkmcnt(3)
	v_mul_f32_e32 v198, v190, v69
	ds_read2_b32 v[200:201], v169 offset0:27 offset1:28
	s_waitcnt vmcnt(32) lgkmcnt(3)
	v_pk_fma_f32 v[70:71], v[198:199], v[192:193], v[70:71] op_sel_hi:[0,1,1] neg_lo:[1,0,0] neg_hi:[1,0,0]
	s_waitcnt vmcnt(30) lgkmcnt(2)
	v_pk_fma_f32 v[72:73], v[198:199], v[194:195], v[72:73] op_sel_hi:[0,1,1] neg_lo:[1,0,0] neg_hi:[1,0,0]
	;; [unrolled: 2-line block ×3, first 2 shown]
	ds_read2_b32 v[192:193], v169 offset0:29 offset1:30
	ds_read2_b32 v[194:195], v169 offset0:31 offset1:32
	;; [unrolled: 1-line block ×3, first 2 shown]
	s_waitcnt vmcnt(26) lgkmcnt(3)
	v_pk_fma_f32 v[96:97], v[198:199], v[200:201], v[96:97] op_sel_hi:[0,1,1] neg_lo:[1,0,0] neg_hi:[1,0,0]
	ds_read2_b32 v[200:201], v169 offset0:35 offset1:36
	s_waitcnt vmcnt(24) lgkmcnt(3)
	v_pk_fma_f32 v[98:99], v[198:199], v[192:193], v[98:99] op_sel_hi:[0,1,1] neg_lo:[1,0,0] neg_hi:[1,0,0]
	s_waitcnt vmcnt(22) lgkmcnt(2)
	v_pk_fma_f32 v[92:93], v[198:199], v[194:195], v[92:93] op_sel_hi:[0,1,1] neg_lo:[1,0,0] neg_hi:[1,0,0]
	;; [unrolled: 2-line block ×3, first 2 shown]
	ds_read2_b32 v[192:193], v169 offset0:37 offset1:38
	ds_read2_b32 v[194:195], v169 offset0:39 offset1:40
	;; [unrolled: 1-line block ×4, first 2 shown]
	s_waitcnt vmcnt(18) lgkmcnt(4)
	v_pk_fma_f32 v[122:123], v[198:199], v[200:201], v[122:123] op_sel_hi:[0,1,1] neg_lo:[1,0,0] neg_hi:[1,0,0]
	s_waitcnt vmcnt(16) lgkmcnt(3)
	v_pk_fma_f32 v[116:117], v[198:199], v[192:193], v[116:117] op_sel_hi:[0,1,1] neg_lo:[1,0,0] neg_hi:[1,0,0]
	;; [unrolled: 2-line block ×5, first 2 shown]
	ds_read2_b32 v[192:193], v169 offset0:45 offset1:46
	ds_read2_b32 v[194:195], v169 offset0:47 offset1:48
	;; [unrolled: 1-line block ×5, first 2 shown]
	s_waitcnt vmcnt(8) lgkmcnt(4)
	v_pk_fma_f32 v[142:143], v[198:199], v[192:193], v[142:143] op_sel_hi:[0,1,1] neg_lo:[1,0,0] neg_hi:[1,0,0]
	s_waitcnt vmcnt(6) lgkmcnt(3)
	v_pk_fma_f32 v[144:145], v[198:199], v[194:195], v[144:145] op_sel_hi:[0,1,1] neg_lo:[1,0,0] neg_hi:[1,0,0]
	;; [unrolled: 2-line block ×5, first 2 shown]
	v_mov_b32_e32 v69, v198
.LBB109_116:
	s_or_b64 exec, exec, s[2:3]
	v_cmp_eq_u32_e32 vcc, 21, v25
	s_waitcnt lgkmcnt(0)
	s_barrier
	s_and_saveexec_b64 s[2:3], vcc
	s_cbranch_execz .LBB109_119
; %bb.117:
	s_waitcnt vmcnt(30)
	v_pk_mov_b32 v[192:193], v[70:71], v[72:73] op_sel:[1,0]
	ds_write_b32 v168, v70
	ds_write2_b32 v169, v192, v193 offset0:22 offset1:23
	s_waitcnt vmcnt(28)
	v_pk_mov_b32 v[192:193], v[72:73], v[94:95] op_sel:[1,0]
	ds_write2_b32 v169, v192, v193 offset0:24 offset1:25
	s_waitcnt vmcnt(26)
	v_pk_mov_b32 v[192:193], v[94:95], v[96:97] op_sel:[1,0]
	;; [unrolled: 3-line block ×15, first 2 shown]
	ds_write2_b32 v169, v192, v193 offset0:52 offset1:53
	ds_write_b32 v169, v167 offset:216
	ds_read_b32 v191, v168
	s_waitcnt lgkmcnt(0)
	v_cmp_neq_f32_e32 vcc, 0, v191
	s_and_b64 exec, exec, vcc
	s_cbranch_execz .LBB109_119
; %bb.118:
	v_div_scale_f32 v192, s[4:5], v191, v191, 1.0
	v_rcp_f32_e32 v193, v192
	v_div_scale_f32 v194, vcc, 1.0, v191, 1.0
	v_fma_f32 v195, -v192, v193, 1.0
	v_fmac_f32_e32 v193, v195, v193
	v_mul_f32_e32 v195, v194, v193
	v_fma_f32 v196, -v192, v195, v194
	v_fmac_f32_e32 v195, v196, v193
	v_fma_f32 v192, -v192, v195, v194
	v_div_fmas_f32 v192, v192, v193, v195
	v_div_fixup_f32 v191, v192, v191, 1.0
	ds_write_b32 v168, v191
.LBB109_119:
	s_or_b64 exec, exec, s[2:3]
	s_waitcnt lgkmcnt(0)
	s_barrier
	ds_read_b32 v191, v168
	v_cmp_lt_u32_e32 vcc, 21, v25
	s_and_saveexec_b64 s[2:3], vcc
	s_cbranch_execz .LBB109_121
; %bb.120:
	ds_read_b32 v198, v169 offset:88
	ds_read2_b32 v[192:193], v169 offset0:23 offset1:24
	ds_read2_b32 v[194:195], v169 offset0:25 offset1:26
	s_waitcnt vmcnt(33) lgkmcnt(3)
	v_mul_f32_e32 v70, v191, v70
	ds_read2_b32 v[196:197], v169 offset0:27 offset1:28
	s_waitcnt vmcnt(32) lgkmcnt(3)
	v_fma_f32 v71, -v70, v198, v71
	s_waitcnt vmcnt(30) lgkmcnt(2)
	v_pk_fma_f32 v[72:73], v[70:71], v[192:193], v[72:73] op_sel_hi:[0,1,1] neg_lo:[1,0,0] neg_hi:[1,0,0]
	s_waitcnt vmcnt(28) lgkmcnt(1)
	v_pk_fma_f32 v[94:95], v[70:71], v[194:195], v[94:95] op_sel_hi:[0,1,1] neg_lo:[1,0,0] neg_hi:[1,0,0]
	ds_read2_b32 v[192:193], v169 offset0:29 offset1:30
	ds_read2_b32 v[194:195], v169 offset0:31 offset1:32
	ds_read2_b32 v[198:199], v169 offset0:33 offset1:34
	s_waitcnt vmcnt(26) lgkmcnt(3)
	v_pk_fma_f32 v[96:97], v[70:71], v[196:197], v[96:97] op_sel_hi:[0,1,1] neg_lo:[1,0,0] neg_hi:[1,0,0]
	ds_read2_b32 v[196:197], v169 offset0:35 offset1:36
	s_waitcnt vmcnt(24) lgkmcnt(3)
	v_pk_fma_f32 v[98:99], v[70:71], v[192:193], v[98:99] op_sel_hi:[0,1,1] neg_lo:[1,0,0] neg_hi:[1,0,0]
	s_waitcnt vmcnt(22) lgkmcnt(2)
	v_pk_fma_f32 v[92:93], v[70:71], v[194:195], v[92:93] op_sel_hi:[0,1,1] neg_lo:[1,0,0] neg_hi:[1,0,0]
	;; [unrolled: 2-line block ×3, first 2 shown]
	ds_read2_b32 v[192:193], v169 offset0:37 offset1:38
	ds_read2_b32 v[194:195], v169 offset0:39 offset1:40
	ds_read2_b32 v[198:199], v169 offset0:41 offset1:42
	ds_read2_b32 v[200:201], v169 offset0:43 offset1:44
	s_waitcnt vmcnt(18) lgkmcnt(4)
	v_pk_fma_f32 v[122:123], v[70:71], v[196:197], v[122:123] op_sel_hi:[0,1,1] neg_lo:[1,0,0] neg_hi:[1,0,0]
	s_waitcnt vmcnt(16) lgkmcnt(3)
	v_pk_fma_f32 v[116:117], v[70:71], v[192:193], v[116:117] op_sel_hi:[0,1,1] neg_lo:[1,0,0] neg_hi:[1,0,0]
	;; [unrolled: 2-line block ×5, first 2 shown]
	ds_read2_b32 v[192:193], v169 offset0:45 offset1:46
	ds_read2_b32 v[194:195], v169 offset0:47 offset1:48
	;; [unrolled: 1-line block ×5, first 2 shown]
	s_waitcnt vmcnt(8) lgkmcnt(4)
	v_pk_fma_f32 v[142:143], v[70:71], v[192:193], v[142:143] op_sel_hi:[0,1,1] neg_lo:[1,0,0] neg_hi:[1,0,0]
	s_waitcnt vmcnt(6) lgkmcnt(3)
	v_pk_fma_f32 v[144:145], v[70:71], v[194:195], v[144:145] op_sel_hi:[0,1,1] neg_lo:[1,0,0] neg_hi:[1,0,0]
	;; [unrolled: 2-line block ×5, first 2 shown]
.LBB109_121:
	s_or_b64 exec, exec, s[2:3]
	v_cmp_ne_u32_e32 vcc, 22, v25
	s_waitcnt lgkmcnt(0)
	s_barrier
	s_and_saveexec_b64 s[2:3], vcc
	s_xor_b64 s[2:3], exec, s[2:3]
	s_andn2_saveexec_b64 s[2:3], s[2:3]
	s_cbranch_execz .LBB109_125
; %bb.122:
	s_waitcnt vmcnt(32)
	ds_write_b32 v168, v71
	s_waitcnt vmcnt(30)
	ds_write2_b32 v169, v72, v73 offset0:23 offset1:24
	s_waitcnt vmcnt(28)
	ds_write2_b32 v169, v94, v95 offset0:25 offset1:26
	;; [unrolled: 2-line block ×16, first 2 shown]
	ds_read_b32 v192, v168
	s_waitcnt lgkmcnt(0)
	v_cmp_neq_f32_e32 vcc, 0, v192
	s_and_saveexec_b64 s[4:5], vcc
	s_cbranch_execz .LBB109_124
; %bb.123:
	v_div_scale_f32 v193, s[10:11], v192, v192, 1.0
	v_rcp_f32_e32 v194, v193
	v_div_scale_f32 v195, vcc, 1.0, v192, 1.0
	v_fma_f32 v196, -v193, v194, 1.0
	v_fmac_f32_e32 v194, v196, v194
	v_mul_f32_e32 v196, v195, v194
	v_fma_f32 v197, -v193, v196, v195
	v_fmac_f32_e32 v196, v197, v194
	v_fma_f32 v193, -v193, v196, v195
	v_div_fmas_f32 v193, v193, v194, v196
	v_div_fixup_f32 v192, v193, v192, 1.0
	ds_write_b32 v168, v192
.LBB109_124:
	s_or_b64 exec, exec, s[4:5]
.LBB109_125:
	s_or_b64 exec, exec, s[2:3]
	s_waitcnt lgkmcnt(0)
	s_barrier
	ds_read_b32 v192, v168
	v_cmp_lt_u32_e32 vcc, 22, v25
	s_and_saveexec_b64 s[2:3], vcc
	s_cbranch_execz .LBB109_127
; %bb.126:
	ds_read2_b32 v[194:195], v169 offset0:23 offset1:24
	ds_read2_b32 v[196:197], v169 offset0:25 offset1:26
	;; [unrolled: 1-line block ×3, first 2 shown]
	s_waitcnt vmcnt(32) lgkmcnt(3)
	v_mul_f32_e32 v200, v192, v71
	ds_read2_b32 v[202:203], v169 offset0:29 offset1:30
	s_waitcnt vmcnt(30) lgkmcnt(3)
	v_pk_fma_f32 v[72:73], v[200:201], v[194:195], v[72:73] op_sel_hi:[0,1,1] neg_lo:[1,0,0] neg_hi:[1,0,0]
	s_waitcnt vmcnt(28) lgkmcnt(2)
	v_pk_fma_f32 v[94:95], v[200:201], v[196:197], v[94:95] op_sel_hi:[0,1,1] neg_lo:[1,0,0] neg_hi:[1,0,0]
	;; [unrolled: 2-line block ×3, first 2 shown]
	ds_read2_b32 v[194:195], v169 offset0:31 offset1:32
	ds_read2_b32 v[196:197], v169 offset0:33 offset1:34
	;; [unrolled: 1-line block ×3, first 2 shown]
	s_waitcnt vmcnt(24) lgkmcnt(3)
	v_pk_fma_f32 v[98:99], v[200:201], v[202:203], v[98:99] op_sel_hi:[0,1,1] neg_lo:[1,0,0] neg_hi:[1,0,0]
	ds_read2_b32 v[202:203], v169 offset0:37 offset1:38
	s_waitcnt vmcnt(22) lgkmcnt(3)
	v_pk_fma_f32 v[92:93], v[200:201], v[194:195], v[92:93] op_sel_hi:[0,1,1] neg_lo:[1,0,0] neg_hi:[1,0,0]
	s_waitcnt vmcnt(20) lgkmcnt(2)
	v_pk_fma_f32 v[118:119], v[200:201], v[196:197], v[118:119] op_sel_hi:[0,1,1] neg_lo:[1,0,0] neg_hi:[1,0,0]
	;; [unrolled: 2-line block ×3, first 2 shown]
	ds_read2_b32 v[194:195], v169 offset0:39 offset1:40
	ds_read2_b32 v[196:197], v169 offset0:41 offset1:42
	;; [unrolled: 1-line block ×3, first 2 shown]
	s_waitcnt vmcnt(16) lgkmcnt(3)
	v_pk_fma_f32 v[116:117], v[200:201], v[202:203], v[116:117] op_sel_hi:[0,1,1] neg_lo:[1,0,0] neg_hi:[1,0,0]
	ds_read2_b32 v[202:203], v169 offset0:45 offset1:46
	s_waitcnt vmcnt(14) lgkmcnt(3)
	v_pk_fma_f32 v[120:121], v[200:201], v[194:195], v[120:121] op_sel_hi:[0,1,1] neg_lo:[1,0,0] neg_hi:[1,0,0]
	s_waitcnt vmcnt(12) lgkmcnt(2)
	v_pk_fma_f32 v[146:147], v[200:201], v[196:197], v[146:147] op_sel_hi:[0,1,1] neg_lo:[1,0,0] neg_hi:[1,0,0]
	;; [unrolled: 2-line block ×3, first 2 shown]
	ds_read2_b32 v[194:195], v169 offset0:47 offset1:48
	ds_read2_b32 v[196:197], v169 offset0:49 offset1:50
	;; [unrolled: 1-line block ×4, first 2 shown]
	s_waitcnt vmcnt(8) lgkmcnt(4)
	v_pk_fma_f32 v[142:143], v[200:201], v[202:203], v[142:143] op_sel_hi:[0,1,1] neg_lo:[1,0,0] neg_hi:[1,0,0]
	s_waitcnt vmcnt(6) lgkmcnt(3)
	v_pk_fma_f32 v[144:145], v[200:201], v[194:195], v[144:145] op_sel_hi:[0,1,1] neg_lo:[1,0,0] neg_hi:[1,0,0]
	;; [unrolled: 2-line block ×5, first 2 shown]
	v_mov_b32_e32 v71, v200
.LBB109_127:
	s_or_b64 exec, exec, s[2:3]
	v_cmp_eq_u32_e32 vcc, 23, v25
	s_waitcnt lgkmcnt(0)
	s_barrier
	s_and_saveexec_b64 s[2:3], vcc
	s_cbranch_execz .LBB109_130
; %bb.128:
	s_waitcnt vmcnt(28)
	v_pk_mov_b32 v[194:195], v[72:73], v[94:95] op_sel:[1,0]
	ds_write_b32 v168, v72
	ds_write2_b32 v169, v194, v195 offset0:24 offset1:25
	s_waitcnt vmcnt(26)
	v_pk_mov_b32 v[194:195], v[94:95], v[96:97] op_sel:[1,0]
	ds_write2_b32 v169, v194, v195 offset0:26 offset1:27
	s_waitcnt vmcnt(24)
	v_pk_mov_b32 v[194:195], v[96:97], v[98:99] op_sel:[1,0]
	;; [unrolled: 3-line block ×14, first 2 shown]
	ds_write2_b32 v169, v194, v195 offset0:52 offset1:53
	ds_write_b32 v169, v167 offset:216
	ds_read_b32 v193, v168
	s_waitcnt lgkmcnt(0)
	v_cmp_neq_f32_e32 vcc, 0, v193
	s_and_b64 exec, exec, vcc
	s_cbranch_execz .LBB109_130
; %bb.129:
	v_div_scale_f32 v194, s[4:5], v193, v193, 1.0
	v_rcp_f32_e32 v195, v194
	v_div_scale_f32 v196, vcc, 1.0, v193, 1.0
	v_fma_f32 v197, -v194, v195, 1.0
	v_fmac_f32_e32 v195, v197, v195
	v_mul_f32_e32 v197, v196, v195
	v_fma_f32 v198, -v194, v197, v196
	v_fmac_f32_e32 v197, v198, v195
	v_fma_f32 v194, -v194, v197, v196
	v_div_fmas_f32 v194, v194, v195, v197
	v_div_fixup_f32 v193, v194, v193, 1.0
	ds_write_b32 v168, v193
.LBB109_130:
	s_or_b64 exec, exec, s[2:3]
	s_waitcnt lgkmcnt(0)
	s_barrier
	ds_read_b32 v193, v168
	v_cmp_lt_u32_e32 vcc, 23, v25
	s_and_saveexec_b64 s[2:3], vcc
	s_cbranch_execz .LBB109_132
; %bb.131:
	ds_read_b32 v200, v169 offset:96
	ds_read2_b32 v[194:195], v169 offset0:25 offset1:26
	ds_read2_b32 v[196:197], v169 offset0:27 offset1:28
	s_waitcnt vmcnt(31) lgkmcnt(3)
	v_mul_f32_e32 v72, v193, v72
	ds_read2_b32 v[198:199], v169 offset0:29 offset1:30
	s_waitcnt vmcnt(30) lgkmcnt(3)
	v_fma_f32 v73, -v72, v200, v73
	s_waitcnt vmcnt(28) lgkmcnt(2)
	v_pk_fma_f32 v[94:95], v[72:73], v[194:195], v[94:95] op_sel_hi:[0,1,1] neg_lo:[1,0,0] neg_hi:[1,0,0]
	s_waitcnt vmcnt(26) lgkmcnt(1)
	v_pk_fma_f32 v[96:97], v[72:73], v[196:197], v[96:97] op_sel_hi:[0,1,1] neg_lo:[1,0,0] neg_hi:[1,0,0]
	ds_read2_b32 v[194:195], v169 offset0:31 offset1:32
	ds_read2_b32 v[196:197], v169 offset0:33 offset1:34
	;; [unrolled: 1-line block ×3, first 2 shown]
	s_waitcnt vmcnt(24) lgkmcnt(3)
	v_pk_fma_f32 v[98:99], v[72:73], v[198:199], v[98:99] op_sel_hi:[0,1,1] neg_lo:[1,0,0] neg_hi:[1,0,0]
	ds_read2_b32 v[198:199], v169 offset0:37 offset1:38
	s_waitcnt vmcnt(22) lgkmcnt(3)
	v_pk_fma_f32 v[92:93], v[72:73], v[194:195], v[92:93] op_sel_hi:[0,1,1] neg_lo:[1,0,0] neg_hi:[1,0,0]
	s_waitcnt vmcnt(20) lgkmcnt(2)
	v_pk_fma_f32 v[118:119], v[72:73], v[196:197], v[118:119] op_sel_hi:[0,1,1] neg_lo:[1,0,0] neg_hi:[1,0,0]
	;; [unrolled: 2-line block ×3, first 2 shown]
	ds_read2_b32 v[194:195], v169 offset0:39 offset1:40
	ds_read2_b32 v[196:197], v169 offset0:41 offset1:42
	;; [unrolled: 1-line block ×3, first 2 shown]
	s_waitcnt vmcnt(16) lgkmcnt(3)
	v_pk_fma_f32 v[116:117], v[72:73], v[198:199], v[116:117] op_sel_hi:[0,1,1] neg_lo:[1,0,0] neg_hi:[1,0,0]
	ds_read2_b32 v[198:199], v169 offset0:45 offset1:46
	s_waitcnt vmcnt(14) lgkmcnt(3)
	v_pk_fma_f32 v[120:121], v[72:73], v[194:195], v[120:121] op_sel_hi:[0,1,1] neg_lo:[1,0,0] neg_hi:[1,0,0]
	s_waitcnt vmcnt(12) lgkmcnt(2)
	v_pk_fma_f32 v[146:147], v[72:73], v[196:197], v[146:147] op_sel_hi:[0,1,1] neg_lo:[1,0,0] neg_hi:[1,0,0]
	s_waitcnt vmcnt(10) lgkmcnt(1)
	v_pk_fma_f32 v[140:141], v[72:73], v[200:201], v[140:141] op_sel_hi:[0,1,1] neg_lo:[1,0,0] neg_hi:[1,0,0]
	ds_read2_b32 v[194:195], v169 offset0:47 offset1:48
	ds_read2_b32 v[196:197], v169 offset0:49 offset1:50
	ds_read2_b32 v[200:201], v169 offset0:51 offset1:52
	ds_read2_b32 v[202:203], v169 offset0:53 offset1:54
	s_waitcnt vmcnt(8) lgkmcnt(4)
	v_pk_fma_f32 v[142:143], v[72:73], v[198:199], v[142:143] op_sel_hi:[0,1,1] neg_lo:[1,0,0] neg_hi:[1,0,0]
	s_waitcnt vmcnt(6) lgkmcnt(3)
	v_pk_fma_f32 v[144:145], v[72:73], v[194:195], v[144:145] op_sel_hi:[0,1,1] neg_lo:[1,0,0] neg_hi:[1,0,0]
	;; [unrolled: 2-line block ×5, first 2 shown]
.LBB109_132:
	s_or_b64 exec, exec, s[2:3]
	v_cmp_ne_u32_e32 vcc, 24, v25
	s_waitcnt lgkmcnt(0)
	s_barrier
	s_and_saveexec_b64 s[2:3], vcc
	s_xor_b64 s[2:3], exec, s[2:3]
	s_andn2_saveexec_b64 s[2:3], s[2:3]
	s_cbranch_execz .LBB109_136
; %bb.133:
	s_waitcnt vmcnt(30)
	ds_write_b32 v168, v73
	s_waitcnt vmcnt(28)
	ds_write2_b32 v169, v94, v95 offset0:25 offset1:26
	s_waitcnt vmcnt(26)
	ds_write2_b32 v169, v96, v97 offset0:27 offset1:28
	;; [unrolled: 2-line block ×15, first 2 shown]
	ds_read_b32 v194, v168
	s_waitcnt lgkmcnt(0)
	v_cmp_neq_f32_e32 vcc, 0, v194
	s_and_saveexec_b64 s[4:5], vcc
	s_cbranch_execz .LBB109_135
; %bb.134:
	v_div_scale_f32 v195, s[10:11], v194, v194, 1.0
	v_rcp_f32_e32 v196, v195
	v_div_scale_f32 v197, vcc, 1.0, v194, 1.0
	v_fma_f32 v198, -v195, v196, 1.0
	v_fmac_f32_e32 v196, v198, v196
	v_mul_f32_e32 v198, v197, v196
	v_fma_f32 v199, -v195, v198, v197
	v_fmac_f32_e32 v198, v199, v196
	v_fma_f32 v195, -v195, v198, v197
	v_div_fmas_f32 v195, v195, v196, v198
	v_div_fixup_f32 v194, v195, v194, 1.0
	ds_write_b32 v168, v194
.LBB109_135:
	s_or_b64 exec, exec, s[4:5]
.LBB109_136:
	s_or_b64 exec, exec, s[2:3]
	s_waitcnt lgkmcnt(0)
	s_barrier
	ds_read_b32 v194, v168
	v_cmp_lt_u32_e32 vcc, 24, v25
	s_and_saveexec_b64 s[2:3], vcc
	s_cbranch_execz .LBB109_138
; %bb.137:
	ds_read2_b32 v[196:197], v169 offset0:25 offset1:26
	ds_read2_b32 v[198:199], v169 offset0:27 offset1:28
	;; [unrolled: 1-line block ×3, first 2 shown]
	s_waitcnt vmcnt(30) lgkmcnt(3)
	v_mul_f32_e32 v202, v194, v73
	ds_read2_b32 v[204:205], v169 offset0:31 offset1:32
	s_waitcnt vmcnt(28) lgkmcnt(3)
	v_pk_fma_f32 v[94:95], v[202:203], v[196:197], v[94:95] op_sel_hi:[0,1,1] neg_lo:[1,0,0] neg_hi:[1,0,0]
	s_waitcnt vmcnt(26) lgkmcnt(2)
	v_pk_fma_f32 v[96:97], v[202:203], v[198:199], v[96:97] op_sel_hi:[0,1,1] neg_lo:[1,0,0] neg_hi:[1,0,0]
	;; [unrolled: 2-line block ×3, first 2 shown]
	ds_read2_b32 v[196:197], v169 offset0:33 offset1:34
	ds_read2_b32 v[198:199], v169 offset0:35 offset1:36
	;; [unrolled: 1-line block ×3, first 2 shown]
	s_waitcnt vmcnt(22) lgkmcnt(3)
	v_pk_fma_f32 v[92:93], v[202:203], v[204:205], v[92:93] op_sel_hi:[0,1,1] neg_lo:[1,0,0] neg_hi:[1,0,0]
	ds_read2_b32 v[204:205], v169 offset0:39 offset1:40
	s_waitcnt vmcnt(20) lgkmcnt(3)
	v_pk_fma_f32 v[118:119], v[202:203], v[196:197], v[118:119] op_sel_hi:[0,1,1] neg_lo:[1,0,0] neg_hi:[1,0,0]
	s_waitcnt vmcnt(18) lgkmcnt(2)
	v_pk_fma_f32 v[122:123], v[202:203], v[198:199], v[122:123] op_sel_hi:[0,1,1] neg_lo:[1,0,0] neg_hi:[1,0,0]
	ds_read2_b32 v[196:197], v169 offset0:41 offset1:42
	ds_read2_b32 v[198:199], v169 offset0:43 offset1:44
	s_waitcnt vmcnt(16) lgkmcnt(3)
	v_pk_fma_f32 v[116:117], v[202:203], v[200:201], v[116:117] op_sel_hi:[0,1,1] neg_lo:[1,0,0] neg_hi:[1,0,0]
	s_waitcnt vmcnt(14) lgkmcnt(2)
	v_pk_fma_f32 v[120:121], v[202:203], v[204:205], v[120:121] op_sel_hi:[0,1,1] neg_lo:[1,0,0] neg_hi:[1,0,0]
	ds_read2_b32 v[200:201], v169 offset0:45 offset1:46
	;; [unrolled: 6-line block ×3, first 2 shown]
	ds_read2_b32 v[198:199], v169 offset0:51 offset1:52
	ds_read2_b32 v[206:207], v169 offset0:53 offset1:54
	s_waitcnt vmcnt(8) lgkmcnt(4)
	v_pk_fma_f32 v[142:143], v[202:203], v[200:201], v[142:143] op_sel_hi:[0,1,1] neg_lo:[1,0,0] neg_hi:[1,0,0]
	s_waitcnt vmcnt(6) lgkmcnt(3)
	v_pk_fma_f32 v[144:145], v[202:203], v[204:205], v[144:145] op_sel_hi:[0,1,1] neg_lo:[1,0,0] neg_hi:[1,0,0]
	;; [unrolled: 2-line block ×5, first 2 shown]
	v_mov_b32_e32 v73, v202
.LBB109_138:
	s_or_b64 exec, exec, s[2:3]
	v_cmp_eq_u32_e32 vcc, 25, v25
	s_waitcnt lgkmcnt(0)
	s_barrier
	s_and_saveexec_b64 s[2:3], vcc
	s_cbranch_execz .LBB109_141
; %bb.139:
	s_waitcnt vmcnt(26)
	v_pk_mov_b32 v[196:197], v[94:95], v[96:97] op_sel:[1,0]
	ds_write_b32 v168, v94
	ds_write2_b32 v169, v196, v197 offset0:26 offset1:27
	s_waitcnt vmcnt(24)
	v_pk_mov_b32 v[196:197], v[96:97], v[98:99] op_sel:[1,0]
	ds_write2_b32 v169, v196, v197 offset0:28 offset1:29
	s_waitcnt vmcnt(22)
	v_pk_mov_b32 v[196:197], v[98:99], v[92:93] op_sel:[1,0]
	;; [unrolled: 3-line block ×13, first 2 shown]
	ds_write2_b32 v169, v196, v197 offset0:52 offset1:53
	ds_write_b32 v169, v167 offset:216
	ds_read_b32 v195, v168
	s_waitcnt lgkmcnt(0)
	v_cmp_neq_f32_e32 vcc, 0, v195
	s_and_b64 exec, exec, vcc
	s_cbranch_execz .LBB109_141
; %bb.140:
	v_div_scale_f32 v196, s[4:5], v195, v195, 1.0
	v_rcp_f32_e32 v197, v196
	v_div_scale_f32 v198, vcc, 1.0, v195, 1.0
	v_fma_f32 v199, -v196, v197, 1.0
	v_fmac_f32_e32 v197, v199, v197
	v_mul_f32_e32 v199, v198, v197
	v_fma_f32 v200, -v196, v199, v198
	v_fmac_f32_e32 v199, v200, v197
	v_fma_f32 v196, -v196, v199, v198
	v_div_fmas_f32 v196, v196, v197, v199
	v_div_fixup_f32 v195, v196, v195, 1.0
	ds_write_b32 v168, v195
.LBB109_141:
	s_or_b64 exec, exec, s[2:3]
	s_waitcnt lgkmcnt(0)
	s_barrier
	ds_read_b32 v195, v168
	v_cmp_lt_u32_e32 vcc, 25, v25
	s_and_saveexec_b64 s[2:3], vcc
	s_cbranch_execz .LBB109_143
; %bb.142:
	ds_read_b32 v202, v169 offset:104
	ds_read2_b32 v[196:197], v169 offset0:27 offset1:28
	ds_read2_b32 v[198:199], v169 offset0:29 offset1:30
	s_waitcnt vmcnt(29) lgkmcnt(3)
	v_mul_f32_e32 v94, v195, v94
	ds_read2_b32 v[200:201], v169 offset0:31 offset1:32
	s_waitcnt vmcnt(28) lgkmcnt(3)
	v_fma_f32 v95, -v94, v202, v95
	s_waitcnt vmcnt(26) lgkmcnt(2)
	v_pk_fma_f32 v[96:97], v[94:95], v[196:197], v[96:97] op_sel_hi:[0,1,1] neg_lo:[1,0,0] neg_hi:[1,0,0]
	s_waitcnt vmcnt(24) lgkmcnt(1)
	v_pk_fma_f32 v[98:99], v[94:95], v[198:199], v[98:99] op_sel_hi:[0,1,1] neg_lo:[1,0,0] neg_hi:[1,0,0]
	ds_read2_b32 v[196:197], v169 offset0:33 offset1:34
	ds_read2_b32 v[198:199], v169 offset0:35 offset1:36
	;; [unrolled: 1-line block ×3, first 2 shown]
	s_waitcnt vmcnt(22) lgkmcnt(3)
	v_pk_fma_f32 v[92:93], v[94:95], v[200:201], v[92:93] op_sel_hi:[0,1,1] neg_lo:[1,0,0] neg_hi:[1,0,0]
	ds_read2_b32 v[200:201], v169 offset0:39 offset1:40
	s_waitcnt vmcnt(20) lgkmcnt(3)
	v_pk_fma_f32 v[118:119], v[94:95], v[196:197], v[118:119] op_sel_hi:[0,1,1] neg_lo:[1,0,0] neg_hi:[1,0,0]
	s_waitcnt vmcnt(18) lgkmcnt(2)
	v_pk_fma_f32 v[122:123], v[94:95], v[198:199], v[122:123] op_sel_hi:[0,1,1] neg_lo:[1,0,0] neg_hi:[1,0,0]
	ds_read2_b32 v[196:197], v169 offset0:41 offset1:42
	ds_read2_b32 v[198:199], v169 offset0:43 offset1:44
	s_waitcnt vmcnt(16) lgkmcnt(3)
	v_pk_fma_f32 v[116:117], v[94:95], v[202:203], v[116:117] op_sel_hi:[0,1,1] neg_lo:[1,0,0] neg_hi:[1,0,0]
	s_waitcnt vmcnt(14) lgkmcnt(2)
	v_pk_fma_f32 v[120:121], v[94:95], v[200:201], v[120:121] op_sel_hi:[0,1,1] neg_lo:[1,0,0] neg_hi:[1,0,0]
	ds_read2_b32 v[200:201], v169 offset0:45 offset1:46
	;; [unrolled: 6-line block ×3, first 2 shown]
	ds_read2_b32 v[198:199], v169 offset0:51 offset1:52
	ds_read2_b32 v[204:205], v169 offset0:53 offset1:54
	s_waitcnt vmcnt(8) lgkmcnt(4)
	v_pk_fma_f32 v[142:143], v[94:95], v[200:201], v[142:143] op_sel_hi:[0,1,1] neg_lo:[1,0,0] neg_hi:[1,0,0]
	s_waitcnt vmcnt(6) lgkmcnt(3)
	v_pk_fma_f32 v[144:145], v[94:95], v[202:203], v[144:145] op_sel_hi:[0,1,1] neg_lo:[1,0,0] neg_hi:[1,0,0]
	;; [unrolled: 2-line block ×5, first 2 shown]
.LBB109_143:
	s_or_b64 exec, exec, s[2:3]
	v_cmp_ne_u32_e32 vcc, 26, v25
	s_waitcnt lgkmcnt(0)
	s_barrier
	s_and_saveexec_b64 s[2:3], vcc
	s_xor_b64 s[2:3], exec, s[2:3]
	s_andn2_saveexec_b64 s[2:3], s[2:3]
	s_cbranch_execz .LBB109_147
; %bb.144:
	s_waitcnt vmcnt(28)
	ds_write_b32 v168, v95
	s_waitcnt vmcnt(26)
	ds_write2_b32 v169, v96, v97 offset0:27 offset1:28
	s_waitcnt vmcnt(24)
	ds_write2_b32 v169, v98, v99 offset0:29 offset1:30
	s_waitcnt vmcnt(22)
	ds_write2_b32 v169, v92, v93 offset0:31 offset1:32
	s_waitcnt vmcnt(20)
	ds_write2_b32 v169, v118, v119 offset0:33 offset1:34
	s_waitcnt vmcnt(18)
	ds_write2_b32 v169, v122, v123 offset0:35 offset1:36
	s_waitcnt vmcnt(16)
	ds_write2_b32 v169, v116, v117 offset0:37 offset1:38
	s_waitcnt vmcnt(14)
	ds_write2_b32 v169, v120, v121 offset0:39 offset1:40
	s_waitcnt vmcnt(12)
	ds_write2_b32 v169, v146, v147 offset0:41 offset1:42
	s_waitcnt vmcnt(10)
	ds_write2_b32 v169, v140, v141 offset0:43 offset1:44
	s_waitcnt vmcnt(8)
	ds_write2_b32 v169, v142, v143 offset0:45 offset1:46
	s_waitcnt vmcnt(6)
	ds_write2_b32 v169, v144, v145 offset0:47 offset1:48
	s_waitcnt vmcnt(4)
	ds_write2_b32 v169, v162, v163 offset0:49 offset1:50
	s_waitcnt vmcnt(2)
	ds_write2_b32 v169, v164, v165 offset0:51 offset1:52
	s_waitcnt vmcnt(0)
	ds_write2_b32 v169, v166, v167 offset0:53 offset1:54
	ds_read_b32 v196, v168
	s_waitcnt lgkmcnt(0)
	v_cmp_neq_f32_e32 vcc, 0, v196
	s_and_saveexec_b64 s[4:5], vcc
	s_cbranch_execz .LBB109_146
; %bb.145:
	v_div_scale_f32 v197, s[10:11], v196, v196, 1.0
	v_rcp_f32_e32 v198, v197
	v_div_scale_f32 v199, vcc, 1.0, v196, 1.0
	v_fma_f32 v200, -v197, v198, 1.0
	v_fmac_f32_e32 v198, v200, v198
	v_mul_f32_e32 v200, v199, v198
	v_fma_f32 v201, -v197, v200, v199
	v_fmac_f32_e32 v200, v201, v198
	v_fma_f32 v197, -v197, v200, v199
	v_div_fmas_f32 v197, v197, v198, v200
	v_div_fixup_f32 v196, v197, v196, 1.0
	ds_write_b32 v168, v196
.LBB109_146:
	s_or_b64 exec, exec, s[4:5]
.LBB109_147:
	s_or_b64 exec, exec, s[2:3]
	s_waitcnt lgkmcnt(0)
	s_barrier
	ds_read_b32 v196, v168
	v_cmp_lt_u32_e32 vcc, 26, v25
	s_and_saveexec_b64 s[2:3], vcc
	s_cbranch_execz .LBB109_149
; %bb.148:
	ds_read2_b32 v[198:199], v169 offset0:27 offset1:28
	ds_read2_b32 v[200:201], v169 offset0:29 offset1:30
	;; [unrolled: 1-line block ×4, first 2 shown]
	s_waitcnt vmcnt(28) lgkmcnt(4)
	v_mul_f32_e32 v204, v196, v95
	s_waitcnt vmcnt(26) lgkmcnt(3)
	v_pk_fma_f32 v[96:97], v[204:205], v[198:199], v[96:97] op_sel_hi:[0,1,1] neg_lo:[1,0,0] neg_hi:[1,0,0]
	s_waitcnt vmcnt(24) lgkmcnt(2)
	v_pk_fma_f32 v[98:99], v[204:205], v[200:201], v[98:99] op_sel_hi:[0,1,1] neg_lo:[1,0,0] neg_hi:[1,0,0]
	;; [unrolled: 2-line block ×3, first 2 shown]
	ds_read2_b32 v[198:199], v169 offset0:35 offset1:36
	ds_read2_b32 v[200:201], v169 offset0:37 offset1:38
	ds_read2_b32 v[202:203], v169 offset0:39 offset1:40
	s_waitcnt vmcnt(20) lgkmcnt(3)
	v_pk_fma_f32 v[118:119], v[204:205], v[206:207], v[118:119] op_sel_hi:[0,1,1] neg_lo:[1,0,0] neg_hi:[1,0,0]
	ds_read2_b32 v[206:207], v169 offset0:41 offset1:42
	s_waitcnt vmcnt(18) lgkmcnt(3)
	v_pk_fma_f32 v[122:123], v[204:205], v[198:199], v[122:123] op_sel_hi:[0,1,1] neg_lo:[1,0,0] neg_hi:[1,0,0]
	ds_read2_b32 v[198:199], v169 offset0:43 offset1:44
	s_waitcnt vmcnt(16) lgkmcnt(3)
	v_pk_fma_f32 v[116:117], v[204:205], v[200:201], v[116:117] op_sel_hi:[0,1,1] neg_lo:[1,0,0] neg_hi:[1,0,0]
	s_waitcnt vmcnt(14) lgkmcnt(2)
	v_pk_fma_f32 v[120:121], v[204:205], v[202:203], v[120:121] op_sel_hi:[0,1,1] neg_lo:[1,0,0] neg_hi:[1,0,0]
	;; [unrolled: 2-line block ×3, first 2 shown]
	ds_read2_b32 v[200:201], v169 offset0:45 offset1:46
	ds_read2_b32 v[202:203], v169 offset0:47 offset1:48
	;; [unrolled: 1-line block ×3, first 2 shown]
	s_waitcnt vmcnt(10) lgkmcnt(3)
	v_pk_fma_f32 v[140:141], v[204:205], v[198:199], v[140:141] op_sel_hi:[0,1,1] neg_lo:[1,0,0] neg_hi:[1,0,0]
	ds_read2_b32 v[198:199], v169 offset0:51 offset1:52
	ds_read2_b32 v[208:209], v169 offset0:53 offset1:54
	s_waitcnt vmcnt(8) lgkmcnt(4)
	v_pk_fma_f32 v[142:143], v[204:205], v[200:201], v[142:143] op_sel_hi:[0,1,1] neg_lo:[1,0,0] neg_hi:[1,0,0]
	s_waitcnt vmcnt(6) lgkmcnt(3)
	v_pk_fma_f32 v[144:145], v[204:205], v[202:203], v[144:145] op_sel_hi:[0,1,1] neg_lo:[1,0,0] neg_hi:[1,0,0]
	;; [unrolled: 2-line block ×5, first 2 shown]
	v_mov_b32_e32 v95, v204
.LBB109_149:
	s_or_b64 exec, exec, s[2:3]
	v_cmp_eq_u32_e32 vcc, 27, v25
	s_waitcnt lgkmcnt(0)
	s_barrier
	s_and_saveexec_b64 s[2:3], vcc
	s_cbranch_execz .LBB109_152
; %bb.150:
	s_waitcnt vmcnt(24)
	v_pk_mov_b32 v[198:199], v[96:97], v[98:99] op_sel:[1,0]
	ds_write_b32 v168, v96
	ds_write2_b32 v169, v198, v199 offset0:28 offset1:29
	s_waitcnt vmcnt(22)
	v_pk_mov_b32 v[198:199], v[98:99], v[92:93] op_sel:[1,0]
	ds_write2_b32 v169, v198, v199 offset0:30 offset1:31
	s_waitcnt vmcnt(20)
	v_pk_mov_b32 v[198:199], v[92:93], v[118:119] op_sel:[1,0]
	;; [unrolled: 3-line block ×12, first 2 shown]
	ds_write2_b32 v169, v198, v199 offset0:52 offset1:53
	ds_write_b32 v169, v167 offset:216
	ds_read_b32 v197, v168
	s_waitcnt lgkmcnt(0)
	v_cmp_neq_f32_e32 vcc, 0, v197
	s_and_b64 exec, exec, vcc
	s_cbranch_execz .LBB109_152
; %bb.151:
	v_div_scale_f32 v198, s[4:5], v197, v197, 1.0
	v_rcp_f32_e32 v199, v198
	v_div_scale_f32 v200, vcc, 1.0, v197, 1.0
	v_fma_f32 v201, -v198, v199, 1.0
	v_fmac_f32_e32 v199, v201, v199
	v_mul_f32_e32 v201, v200, v199
	v_fma_f32 v202, -v198, v201, v200
	v_fmac_f32_e32 v201, v202, v199
	v_fma_f32 v198, -v198, v201, v200
	v_div_fmas_f32 v198, v198, v199, v201
	v_div_fixup_f32 v197, v198, v197, 1.0
	ds_write_b32 v168, v197
.LBB109_152:
	s_or_b64 exec, exec, s[2:3]
	s_waitcnt lgkmcnt(0)
	s_barrier
	ds_read_b32 v197, v168
	v_cmp_lt_u32_e32 vcc, 27, v25
	s_and_saveexec_b64 s[2:3], vcc
	s_cbranch_execz .LBB109_154
; %bb.153:
	ds_read_b32 v204, v169 offset:112
	ds_read2_b32 v[198:199], v169 offset0:29 offset1:30
	ds_read2_b32 v[200:201], v169 offset0:31 offset1:32
	s_waitcnt vmcnt(27) lgkmcnt(3)
	v_mul_f32_e32 v96, v197, v96
	ds_read2_b32 v[202:203], v169 offset0:33 offset1:34
	s_waitcnt vmcnt(26) lgkmcnt(3)
	v_fma_f32 v97, -v96, v204, v97
	s_waitcnt vmcnt(24) lgkmcnt(2)
	v_pk_fma_f32 v[98:99], v[96:97], v[198:199], v[98:99] op_sel_hi:[0,1,1] neg_lo:[1,0,0] neg_hi:[1,0,0]
	s_waitcnt vmcnt(22) lgkmcnt(1)
	v_pk_fma_f32 v[92:93], v[96:97], v[200:201], v[92:93] op_sel_hi:[0,1,1] neg_lo:[1,0,0] neg_hi:[1,0,0]
	ds_read2_b32 v[198:199], v169 offset0:35 offset1:36
	ds_read2_b32 v[200:201], v169 offset0:37 offset1:38
	;; [unrolled: 1-line block ×3, first 2 shown]
	s_waitcnt vmcnt(20) lgkmcnt(3)
	v_pk_fma_f32 v[118:119], v[96:97], v[202:203], v[118:119] op_sel_hi:[0,1,1] neg_lo:[1,0,0] neg_hi:[1,0,0]
	ds_read2_b32 v[202:203], v169 offset0:41 offset1:42
	s_waitcnt vmcnt(18) lgkmcnt(3)
	v_pk_fma_f32 v[122:123], v[96:97], v[198:199], v[122:123] op_sel_hi:[0,1,1] neg_lo:[1,0,0] neg_hi:[1,0,0]
	ds_read2_b32 v[198:199], v169 offset0:43 offset1:44
	s_waitcnt vmcnt(16) lgkmcnt(3)
	v_pk_fma_f32 v[116:117], v[96:97], v[200:201], v[116:117] op_sel_hi:[0,1,1] neg_lo:[1,0,0] neg_hi:[1,0,0]
	s_waitcnt vmcnt(14) lgkmcnt(2)
	v_pk_fma_f32 v[120:121], v[96:97], v[204:205], v[120:121] op_sel_hi:[0,1,1] neg_lo:[1,0,0] neg_hi:[1,0,0]
	;; [unrolled: 2-line block ×3, first 2 shown]
	ds_read2_b32 v[200:201], v169 offset0:45 offset1:46
	ds_read2_b32 v[202:203], v169 offset0:47 offset1:48
	;; [unrolled: 1-line block ×3, first 2 shown]
	s_waitcnt vmcnt(10) lgkmcnt(3)
	v_pk_fma_f32 v[140:141], v[96:97], v[198:199], v[140:141] op_sel_hi:[0,1,1] neg_lo:[1,0,0] neg_hi:[1,0,0]
	ds_read2_b32 v[198:199], v169 offset0:51 offset1:52
	ds_read2_b32 v[206:207], v169 offset0:53 offset1:54
	s_waitcnt vmcnt(8) lgkmcnt(4)
	v_pk_fma_f32 v[142:143], v[96:97], v[200:201], v[142:143] op_sel_hi:[0,1,1] neg_lo:[1,0,0] neg_hi:[1,0,0]
	s_waitcnt vmcnt(6) lgkmcnt(3)
	v_pk_fma_f32 v[144:145], v[96:97], v[202:203], v[144:145] op_sel_hi:[0,1,1] neg_lo:[1,0,0] neg_hi:[1,0,0]
	;; [unrolled: 2-line block ×5, first 2 shown]
.LBB109_154:
	s_or_b64 exec, exec, s[2:3]
	v_cmp_ne_u32_e32 vcc, 28, v25
	s_waitcnt lgkmcnt(0)
	s_barrier
	s_and_saveexec_b64 s[2:3], vcc
	s_xor_b64 s[2:3], exec, s[2:3]
	s_andn2_saveexec_b64 s[2:3], s[2:3]
	s_cbranch_execz .LBB109_158
; %bb.155:
	s_waitcnt vmcnt(26)
	ds_write_b32 v168, v97
	s_waitcnt vmcnt(24)
	ds_write2_b32 v169, v98, v99 offset0:29 offset1:30
	s_waitcnt vmcnt(22)
	ds_write2_b32 v169, v92, v93 offset0:31 offset1:32
	;; [unrolled: 2-line block ×13, first 2 shown]
	ds_read_b32 v198, v168
	s_waitcnt lgkmcnt(0)
	v_cmp_neq_f32_e32 vcc, 0, v198
	s_and_saveexec_b64 s[4:5], vcc
	s_cbranch_execz .LBB109_157
; %bb.156:
	v_div_scale_f32 v199, s[10:11], v198, v198, 1.0
	v_rcp_f32_e32 v200, v199
	v_div_scale_f32 v201, vcc, 1.0, v198, 1.0
	v_fma_f32 v202, -v199, v200, 1.0
	v_fmac_f32_e32 v200, v202, v200
	v_mul_f32_e32 v202, v201, v200
	v_fma_f32 v203, -v199, v202, v201
	v_fmac_f32_e32 v202, v203, v200
	v_fma_f32 v199, -v199, v202, v201
	v_div_fmas_f32 v199, v199, v200, v202
	v_div_fixup_f32 v198, v199, v198, 1.0
	ds_write_b32 v168, v198
.LBB109_157:
	s_or_b64 exec, exec, s[4:5]
.LBB109_158:
	s_or_b64 exec, exec, s[2:3]
	s_waitcnt lgkmcnt(0)
	s_barrier
	ds_read_b32 v198, v168
	v_cmp_lt_u32_e32 vcc, 28, v25
	s_and_saveexec_b64 s[2:3], vcc
	s_cbranch_execz .LBB109_160
; %bb.159:
	ds_read2_b32 v[200:201], v169 offset0:29 offset1:30
	ds_read2_b32 v[202:203], v169 offset0:31 offset1:32
	;; [unrolled: 1-line block ×3, first 2 shown]
	s_waitcnt vmcnt(26) lgkmcnt(3)
	v_mul_f32_e32 v206, v198, v97
	ds_read2_b32 v[208:209], v169 offset0:35 offset1:36
	s_waitcnt vmcnt(24) lgkmcnt(3)
	v_pk_fma_f32 v[98:99], v[206:207], v[200:201], v[98:99] op_sel_hi:[0,1,1] neg_lo:[1,0,0] neg_hi:[1,0,0]
	s_waitcnt vmcnt(22) lgkmcnt(2)
	v_pk_fma_f32 v[92:93], v[206:207], v[202:203], v[92:93] op_sel_hi:[0,1,1] neg_lo:[1,0,0] neg_hi:[1,0,0]
	;; [unrolled: 2-line block ×3, first 2 shown]
	ds_read2_b32 v[200:201], v169 offset0:37 offset1:38
	ds_read2_b32 v[202:203], v169 offset0:39 offset1:40
	;; [unrolled: 1-line block ×4, first 2 shown]
	s_waitcnt vmcnt(18) lgkmcnt(4)
	v_pk_fma_f32 v[122:123], v[206:207], v[208:209], v[122:123] op_sel_hi:[0,1,1] neg_lo:[1,0,0] neg_hi:[1,0,0]
	s_waitcnt vmcnt(16) lgkmcnt(3)
	v_pk_fma_f32 v[116:117], v[206:207], v[200:201], v[116:117] op_sel_hi:[0,1,1] neg_lo:[1,0,0] neg_hi:[1,0,0]
	;; [unrolled: 2-line block ×5, first 2 shown]
	ds_read2_b32 v[200:201], v169 offset0:45 offset1:46
	ds_read2_b32 v[202:203], v169 offset0:47 offset1:48
	;; [unrolled: 1-line block ×5, first 2 shown]
	s_waitcnt vmcnt(8) lgkmcnt(4)
	v_pk_fma_f32 v[142:143], v[206:207], v[200:201], v[142:143] op_sel_hi:[0,1,1] neg_lo:[1,0,0] neg_hi:[1,0,0]
	s_waitcnt vmcnt(6) lgkmcnt(3)
	v_pk_fma_f32 v[144:145], v[206:207], v[202:203], v[144:145] op_sel_hi:[0,1,1] neg_lo:[1,0,0] neg_hi:[1,0,0]
	;; [unrolled: 2-line block ×5, first 2 shown]
	v_mov_b32_e32 v97, v206
.LBB109_160:
	s_or_b64 exec, exec, s[2:3]
	v_cmp_eq_u32_e32 vcc, 29, v25
	s_waitcnt lgkmcnt(0)
	s_barrier
	s_and_saveexec_b64 s[2:3], vcc
	s_cbranch_execz .LBB109_163
; %bb.161:
	s_waitcnt vmcnt(22)
	v_pk_mov_b32 v[200:201], v[98:99], v[92:93] op_sel:[1,0]
	ds_write_b32 v168, v98
	ds_write2_b32 v169, v200, v201 offset0:30 offset1:31
	s_waitcnt vmcnt(20)
	v_pk_mov_b32 v[200:201], v[92:93], v[118:119] op_sel:[1,0]
	ds_write2_b32 v169, v200, v201 offset0:32 offset1:33
	s_waitcnt vmcnt(18)
	v_pk_mov_b32 v[200:201], v[118:119], v[122:123] op_sel:[1,0]
	;; [unrolled: 3-line block ×11, first 2 shown]
	ds_write2_b32 v169, v200, v201 offset0:52 offset1:53
	ds_write_b32 v169, v167 offset:216
	ds_read_b32 v199, v168
	s_waitcnt lgkmcnt(0)
	v_cmp_neq_f32_e32 vcc, 0, v199
	s_and_b64 exec, exec, vcc
	s_cbranch_execz .LBB109_163
; %bb.162:
	v_div_scale_f32 v200, s[4:5], v199, v199, 1.0
	v_rcp_f32_e32 v201, v200
	v_div_scale_f32 v202, vcc, 1.0, v199, 1.0
	v_fma_f32 v203, -v200, v201, 1.0
	v_fmac_f32_e32 v201, v203, v201
	v_mul_f32_e32 v203, v202, v201
	v_fma_f32 v204, -v200, v203, v202
	v_fmac_f32_e32 v203, v204, v201
	v_fma_f32 v200, -v200, v203, v202
	v_div_fmas_f32 v200, v200, v201, v203
	v_div_fixup_f32 v199, v200, v199, 1.0
	ds_write_b32 v168, v199
.LBB109_163:
	s_or_b64 exec, exec, s[2:3]
	s_waitcnt lgkmcnt(0)
	s_barrier
	ds_read_b32 v199, v168
	v_cmp_lt_u32_e32 vcc, 29, v25
	s_and_saveexec_b64 s[2:3], vcc
	s_cbranch_execz .LBB109_165
; %bb.164:
	ds_read_b32 v206, v169 offset:120
	ds_read2_b32 v[200:201], v169 offset0:31 offset1:32
	ds_read2_b32 v[202:203], v169 offset0:33 offset1:34
	s_waitcnt vmcnt(25) lgkmcnt(3)
	v_mul_f32_e32 v98, v199, v98
	ds_read2_b32 v[204:205], v169 offset0:35 offset1:36
	s_waitcnt vmcnt(24) lgkmcnt(3)
	v_fma_f32 v99, -v98, v206, v99
	s_waitcnt vmcnt(22) lgkmcnt(2)
	v_pk_fma_f32 v[92:93], v[98:99], v[200:201], v[92:93] op_sel_hi:[0,1,1] neg_lo:[1,0,0] neg_hi:[1,0,0]
	s_waitcnt vmcnt(20) lgkmcnt(1)
	v_pk_fma_f32 v[118:119], v[98:99], v[202:203], v[118:119] op_sel_hi:[0,1,1] neg_lo:[1,0,0] neg_hi:[1,0,0]
	ds_read2_b32 v[200:201], v169 offset0:37 offset1:38
	ds_read2_b32 v[202:203], v169 offset0:39 offset1:40
	;; [unrolled: 1-line block ×4, first 2 shown]
	s_waitcnt vmcnt(18) lgkmcnt(4)
	v_pk_fma_f32 v[122:123], v[98:99], v[204:205], v[122:123] op_sel_hi:[0,1,1] neg_lo:[1,0,0] neg_hi:[1,0,0]
	s_waitcnt vmcnt(16) lgkmcnt(3)
	v_pk_fma_f32 v[116:117], v[98:99], v[200:201], v[116:117] op_sel_hi:[0,1,1] neg_lo:[1,0,0] neg_hi:[1,0,0]
	;; [unrolled: 2-line block ×5, first 2 shown]
	ds_read2_b32 v[200:201], v169 offset0:45 offset1:46
	ds_read2_b32 v[202:203], v169 offset0:47 offset1:48
	;; [unrolled: 1-line block ×5, first 2 shown]
	s_waitcnt vmcnt(8) lgkmcnt(4)
	v_pk_fma_f32 v[142:143], v[98:99], v[200:201], v[142:143] op_sel_hi:[0,1,1] neg_lo:[1,0,0] neg_hi:[1,0,0]
	s_waitcnt vmcnt(6) lgkmcnt(3)
	v_pk_fma_f32 v[144:145], v[98:99], v[202:203], v[144:145] op_sel_hi:[0,1,1] neg_lo:[1,0,0] neg_hi:[1,0,0]
	;; [unrolled: 2-line block ×5, first 2 shown]
.LBB109_165:
	s_or_b64 exec, exec, s[2:3]
	v_cmp_ne_u32_e32 vcc, 30, v25
	s_waitcnt lgkmcnt(0)
	s_barrier
	s_and_saveexec_b64 s[2:3], vcc
	s_xor_b64 s[2:3], exec, s[2:3]
	s_andn2_saveexec_b64 s[2:3], s[2:3]
	s_cbranch_execz .LBB109_169
; %bb.166:
	s_waitcnt vmcnt(24)
	ds_write_b32 v168, v99
	s_waitcnt vmcnt(22)
	ds_write2_b32 v169, v92, v93 offset0:31 offset1:32
	s_waitcnt vmcnt(20)
	ds_write2_b32 v169, v118, v119 offset0:33 offset1:34
	s_waitcnt vmcnt(18)
	ds_write2_b32 v169, v122, v123 offset0:35 offset1:36
	s_waitcnt vmcnt(16)
	ds_write2_b32 v169, v116, v117 offset0:37 offset1:38
	s_waitcnt vmcnt(14)
	ds_write2_b32 v169, v120, v121 offset0:39 offset1:40
	s_waitcnt vmcnt(12)
	ds_write2_b32 v169, v146, v147 offset0:41 offset1:42
	s_waitcnt vmcnt(10)
	ds_write2_b32 v169, v140, v141 offset0:43 offset1:44
	s_waitcnt vmcnt(8)
	ds_write2_b32 v169, v142, v143 offset0:45 offset1:46
	s_waitcnt vmcnt(6)
	ds_write2_b32 v169, v144, v145 offset0:47 offset1:48
	s_waitcnt vmcnt(4)
	ds_write2_b32 v169, v162, v163 offset0:49 offset1:50
	s_waitcnt vmcnt(2)
	ds_write2_b32 v169, v164, v165 offset0:51 offset1:52
	s_waitcnt vmcnt(0)
	ds_write2_b32 v169, v166, v167 offset0:53 offset1:54
	ds_read_b32 v200, v168
	s_waitcnt lgkmcnt(0)
	v_cmp_neq_f32_e32 vcc, 0, v200
	s_and_saveexec_b64 s[4:5], vcc
	s_cbranch_execz .LBB109_168
; %bb.167:
	v_div_scale_f32 v201, s[10:11], v200, v200, 1.0
	v_rcp_f32_e32 v202, v201
	v_div_scale_f32 v203, vcc, 1.0, v200, 1.0
	v_fma_f32 v204, -v201, v202, 1.0
	v_fmac_f32_e32 v202, v204, v202
	v_mul_f32_e32 v204, v203, v202
	v_fma_f32 v205, -v201, v204, v203
	v_fmac_f32_e32 v204, v205, v202
	v_fma_f32 v201, -v201, v204, v203
	v_div_fmas_f32 v201, v201, v202, v204
	v_div_fixup_f32 v200, v201, v200, 1.0
	ds_write_b32 v168, v200
.LBB109_168:
	s_or_b64 exec, exec, s[4:5]
.LBB109_169:
	s_or_b64 exec, exec, s[2:3]
	s_waitcnt lgkmcnt(0)
	s_barrier
	ds_read_b32 v200, v168
	v_cmp_lt_u32_e32 vcc, 30, v25
	s_and_saveexec_b64 s[2:3], vcc
	s_cbranch_execz .LBB109_171
; %bb.170:
	ds_read2_b32 v[202:203], v169 offset0:31 offset1:32
	ds_read2_b32 v[204:205], v169 offset0:33 offset1:34
	;; [unrolled: 1-line block ×3, first 2 shown]
	s_waitcnt vmcnt(24) lgkmcnt(3)
	v_mul_f32_e32 v208, v200, v99
	ds_read2_b32 v[210:211], v169 offset0:37 offset1:38
	s_waitcnt vmcnt(22) lgkmcnt(3)
	v_pk_fma_f32 v[92:93], v[208:209], v[202:203], v[92:93] op_sel_hi:[0,1,1] neg_lo:[1,0,0] neg_hi:[1,0,0]
	s_waitcnt vmcnt(20) lgkmcnt(2)
	v_pk_fma_f32 v[118:119], v[208:209], v[204:205], v[118:119] op_sel_hi:[0,1,1] neg_lo:[1,0,0] neg_hi:[1,0,0]
	;; [unrolled: 2-line block ×3, first 2 shown]
	ds_read2_b32 v[202:203], v169 offset0:39 offset1:40
	ds_read2_b32 v[204:205], v169 offset0:41 offset1:42
	;; [unrolled: 1-line block ×3, first 2 shown]
	s_waitcnt vmcnt(16) lgkmcnt(3)
	v_pk_fma_f32 v[116:117], v[208:209], v[210:211], v[116:117] op_sel_hi:[0,1,1] neg_lo:[1,0,0] neg_hi:[1,0,0]
	ds_read2_b32 v[210:211], v169 offset0:45 offset1:46
	s_waitcnt vmcnt(14) lgkmcnt(3)
	v_pk_fma_f32 v[120:121], v[208:209], v[202:203], v[120:121] op_sel_hi:[0,1,1] neg_lo:[1,0,0] neg_hi:[1,0,0]
	s_waitcnt vmcnt(12) lgkmcnt(2)
	v_pk_fma_f32 v[146:147], v[208:209], v[204:205], v[146:147] op_sel_hi:[0,1,1] neg_lo:[1,0,0] neg_hi:[1,0,0]
	;; [unrolled: 2-line block ×3, first 2 shown]
	ds_read2_b32 v[202:203], v169 offset0:47 offset1:48
	ds_read2_b32 v[204:205], v169 offset0:49 offset1:50
	;; [unrolled: 1-line block ×4, first 2 shown]
	s_waitcnt vmcnt(8) lgkmcnt(4)
	v_pk_fma_f32 v[142:143], v[208:209], v[210:211], v[142:143] op_sel_hi:[0,1,1] neg_lo:[1,0,0] neg_hi:[1,0,0]
	s_waitcnt vmcnt(6) lgkmcnt(3)
	v_pk_fma_f32 v[144:145], v[208:209], v[202:203], v[144:145] op_sel_hi:[0,1,1] neg_lo:[1,0,0] neg_hi:[1,0,0]
	;; [unrolled: 2-line block ×5, first 2 shown]
	v_mov_b32_e32 v99, v208
.LBB109_171:
	s_or_b64 exec, exec, s[2:3]
	v_cmp_eq_u32_e32 vcc, 31, v25
	s_waitcnt lgkmcnt(0)
	s_barrier
	s_and_saveexec_b64 s[2:3], vcc
	s_cbranch_execz .LBB109_174
; %bb.172:
	s_waitcnt vmcnt(20)
	v_pk_mov_b32 v[202:203], v[92:93], v[118:119] op_sel:[1,0]
	ds_write_b32 v168, v92
	ds_write2_b32 v169, v202, v203 offset0:32 offset1:33
	s_waitcnt vmcnt(18)
	v_pk_mov_b32 v[202:203], v[118:119], v[122:123] op_sel:[1,0]
	ds_write2_b32 v169, v202, v203 offset0:34 offset1:35
	s_waitcnt vmcnt(16)
	v_pk_mov_b32 v[202:203], v[122:123], v[116:117] op_sel:[1,0]
	;; [unrolled: 3-line block ×10, first 2 shown]
	ds_write2_b32 v169, v202, v203 offset0:52 offset1:53
	ds_write_b32 v169, v167 offset:216
	ds_read_b32 v201, v168
	s_waitcnt lgkmcnt(0)
	v_cmp_neq_f32_e32 vcc, 0, v201
	s_and_b64 exec, exec, vcc
	s_cbranch_execz .LBB109_174
; %bb.173:
	v_div_scale_f32 v202, s[4:5], v201, v201, 1.0
	v_rcp_f32_e32 v203, v202
	v_div_scale_f32 v204, vcc, 1.0, v201, 1.0
	v_fma_f32 v205, -v202, v203, 1.0
	v_fmac_f32_e32 v203, v205, v203
	v_mul_f32_e32 v205, v204, v203
	v_fma_f32 v206, -v202, v205, v204
	v_fmac_f32_e32 v205, v206, v203
	v_fma_f32 v202, -v202, v205, v204
	v_div_fmas_f32 v202, v202, v203, v205
	v_div_fixup_f32 v201, v202, v201, 1.0
	ds_write_b32 v168, v201
.LBB109_174:
	s_or_b64 exec, exec, s[2:3]
	s_waitcnt lgkmcnt(0)
	s_barrier
	ds_read_b32 v201, v168
	v_cmp_lt_u32_e32 vcc, 31, v25
	s_and_saveexec_b64 s[2:3], vcc
	s_cbranch_execz .LBB109_176
; %bb.175:
	ds_read_b32 v208, v169 offset:128
	ds_read2_b32 v[202:203], v169 offset0:33 offset1:34
	ds_read2_b32 v[204:205], v169 offset0:35 offset1:36
	s_waitcnt vmcnt(23) lgkmcnt(3)
	v_mul_f32_e32 v92, v201, v92
	ds_read2_b32 v[206:207], v169 offset0:37 offset1:38
	s_waitcnt vmcnt(22) lgkmcnt(3)
	v_fma_f32 v93, -v92, v208, v93
	s_waitcnt vmcnt(20) lgkmcnt(2)
	v_pk_fma_f32 v[118:119], v[92:93], v[202:203], v[118:119] op_sel_hi:[0,1,1] neg_lo:[1,0,0] neg_hi:[1,0,0]
	s_waitcnt vmcnt(18) lgkmcnt(1)
	v_pk_fma_f32 v[122:123], v[92:93], v[204:205], v[122:123] op_sel_hi:[0,1,1] neg_lo:[1,0,0] neg_hi:[1,0,0]
	ds_read2_b32 v[202:203], v169 offset0:39 offset1:40
	ds_read2_b32 v[204:205], v169 offset0:41 offset1:42
	;; [unrolled: 1-line block ×3, first 2 shown]
	s_waitcnt vmcnt(16) lgkmcnt(3)
	v_pk_fma_f32 v[116:117], v[92:93], v[206:207], v[116:117] op_sel_hi:[0,1,1] neg_lo:[1,0,0] neg_hi:[1,0,0]
	ds_read2_b32 v[206:207], v169 offset0:45 offset1:46
	s_waitcnt vmcnt(14) lgkmcnt(3)
	v_pk_fma_f32 v[120:121], v[92:93], v[202:203], v[120:121] op_sel_hi:[0,1,1] neg_lo:[1,0,0] neg_hi:[1,0,0]
	s_waitcnt vmcnt(12) lgkmcnt(2)
	v_pk_fma_f32 v[146:147], v[92:93], v[204:205], v[146:147] op_sel_hi:[0,1,1] neg_lo:[1,0,0] neg_hi:[1,0,0]
	;; [unrolled: 2-line block ×3, first 2 shown]
	ds_read2_b32 v[202:203], v169 offset0:47 offset1:48
	ds_read2_b32 v[204:205], v169 offset0:49 offset1:50
	;; [unrolled: 1-line block ×4, first 2 shown]
	s_waitcnt vmcnt(8) lgkmcnt(4)
	v_pk_fma_f32 v[142:143], v[92:93], v[206:207], v[142:143] op_sel_hi:[0,1,1] neg_lo:[1,0,0] neg_hi:[1,0,0]
	s_waitcnt vmcnt(6) lgkmcnt(3)
	v_pk_fma_f32 v[144:145], v[92:93], v[202:203], v[144:145] op_sel_hi:[0,1,1] neg_lo:[1,0,0] neg_hi:[1,0,0]
	;; [unrolled: 2-line block ×5, first 2 shown]
.LBB109_176:
	s_or_b64 exec, exec, s[2:3]
	v_cmp_ne_u32_e32 vcc, 32, v25
	s_waitcnt lgkmcnt(0)
	s_barrier
	s_and_saveexec_b64 s[2:3], vcc
	s_xor_b64 s[2:3], exec, s[2:3]
	s_andn2_saveexec_b64 s[2:3], s[2:3]
	s_cbranch_execz .LBB109_180
; %bb.177:
	s_waitcnt vmcnt(22)
	ds_write_b32 v168, v93
	s_waitcnt vmcnt(20)
	ds_write2_b32 v169, v118, v119 offset0:33 offset1:34
	s_waitcnt vmcnt(18)
	ds_write2_b32 v169, v122, v123 offset0:35 offset1:36
	;; [unrolled: 2-line block ×11, first 2 shown]
	ds_read_b32 v202, v168
	s_waitcnt lgkmcnt(0)
	v_cmp_neq_f32_e32 vcc, 0, v202
	s_and_saveexec_b64 s[4:5], vcc
	s_cbranch_execz .LBB109_179
; %bb.178:
	v_div_scale_f32 v203, s[10:11], v202, v202, 1.0
	v_rcp_f32_e32 v204, v203
	v_div_scale_f32 v205, vcc, 1.0, v202, 1.0
	v_fma_f32 v206, -v203, v204, 1.0
	v_fmac_f32_e32 v204, v206, v204
	v_mul_f32_e32 v206, v205, v204
	v_fma_f32 v207, -v203, v206, v205
	v_fmac_f32_e32 v206, v207, v204
	v_fma_f32 v203, -v203, v206, v205
	v_div_fmas_f32 v203, v203, v204, v206
	v_div_fixup_f32 v202, v203, v202, 1.0
	ds_write_b32 v168, v202
.LBB109_179:
	s_or_b64 exec, exec, s[4:5]
.LBB109_180:
	s_or_b64 exec, exec, s[2:3]
	s_waitcnt lgkmcnt(0)
	s_barrier
	ds_read_b32 v202, v168
	v_cmp_lt_u32_e32 vcc, 32, v25
	s_and_saveexec_b64 s[2:3], vcc
	s_cbranch_execz .LBB109_182
; %bb.181:
	ds_read2_b32 v[204:205], v169 offset0:33 offset1:34
	ds_read2_b32 v[206:207], v169 offset0:35 offset1:36
	;; [unrolled: 1-line block ×3, first 2 shown]
	s_waitcnt vmcnt(22) lgkmcnt(3)
	v_mul_f32_e32 v210, v202, v93
	ds_read2_b32 v[212:213], v169 offset0:39 offset1:40
	s_waitcnt vmcnt(20) lgkmcnt(3)
	v_pk_fma_f32 v[118:119], v[210:211], v[204:205], v[118:119] op_sel_hi:[0,1,1] neg_lo:[1,0,0] neg_hi:[1,0,0]
	s_waitcnt vmcnt(18) lgkmcnt(2)
	v_pk_fma_f32 v[122:123], v[210:211], v[206:207], v[122:123] op_sel_hi:[0,1,1] neg_lo:[1,0,0] neg_hi:[1,0,0]
	ds_read2_b32 v[204:205], v169 offset0:41 offset1:42
	ds_read2_b32 v[206:207], v169 offset0:43 offset1:44
	s_waitcnt vmcnt(16) lgkmcnt(3)
	v_pk_fma_f32 v[116:117], v[210:211], v[208:209], v[116:117] op_sel_hi:[0,1,1] neg_lo:[1,0,0] neg_hi:[1,0,0]
	s_waitcnt vmcnt(14) lgkmcnt(2)
	v_pk_fma_f32 v[120:121], v[210:211], v[212:213], v[120:121] op_sel_hi:[0,1,1] neg_lo:[1,0,0] neg_hi:[1,0,0]
	ds_read2_b32 v[208:209], v169 offset0:45 offset1:46
	;; [unrolled: 6-line block ×3, first 2 shown]
	ds_read2_b32 v[206:207], v169 offset0:51 offset1:52
	ds_read2_b32 v[214:215], v169 offset0:53 offset1:54
	s_waitcnt vmcnt(8) lgkmcnt(4)
	v_pk_fma_f32 v[142:143], v[210:211], v[208:209], v[142:143] op_sel_hi:[0,1,1] neg_lo:[1,0,0] neg_hi:[1,0,0]
	s_waitcnt vmcnt(6) lgkmcnt(3)
	v_pk_fma_f32 v[144:145], v[210:211], v[212:213], v[144:145] op_sel_hi:[0,1,1] neg_lo:[1,0,0] neg_hi:[1,0,0]
	;; [unrolled: 2-line block ×5, first 2 shown]
	v_mov_b32_e32 v93, v210
.LBB109_182:
	s_or_b64 exec, exec, s[2:3]
	v_cmp_eq_u32_e32 vcc, 33, v25
	s_waitcnt lgkmcnt(0)
	s_barrier
	s_and_saveexec_b64 s[2:3], vcc
	s_cbranch_execz .LBB109_185
; %bb.183:
	s_waitcnt vmcnt(18)
	v_pk_mov_b32 v[204:205], v[118:119], v[122:123] op_sel:[1,0]
	ds_write_b32 v168, v118
	ds_write2_b32 v169, v204, v205 offset0:34 offset1:35
	s_waitcnt vmcnt(16)
	v_pk_mov_b32 v[204:205], v[122:123], v[116:117] op_sel:[1,0]
	ds_write2_b32 v169, v204, v205 offset0:36 offset1:37
	s_waitcnt vmcnt(14)
	v_pk_mov_b32 v[204:205], v[116:117], v[120:121] op_sel:[1,0]
	;; [unrolled: 3-line block ×9, first 2 shown]
	ds_write2_b32 v169, v204, v205 offset0:52 offset1:53
	ds_write_b32 v169, v167 offset:216
	ds_read_b32 v203, v168
	s_waitcnt lgkmcnt(0)
	v_cmp_neq_f32_e32 vcc, 0, v203
	s_and_b64 exec, exec, vcc
	s_cbranch_execz .LBB109_185
; %bb.184:
	v_div_scale_f32 v204, s[4:5], v203, v203, 1.0
	v_rcp_f32_e32 v205, v204
	v_div_scale_f32 v206, vcc, 1.0, v203, 1.0
	v_fma_f32 v207, -v204, v205, 1.0
	v_fmac_f32_e32 v205, v207, v205
	v_mul_f32_e32 v207, v206, v205
	v_fma_f32 v208, -v204, v207, v206
	v_fmac_f32_e32 v207, v208, v205
	v_fma_f32 v204, -v204, v207, v206
	v_div_fmas_f32 v204, v204, v205, v207
	v_div_fixup_f32 v203, v204, v203, 1.0
	ds_write_b32 v168, v203
.LBB109_185:
	s_or_b64 exec, exec, s[2:3]
	s_waitcnt lgkmcnt(0)
	s_barrier
	ds_read_b32 v203, v168
	v_cmp_lt_u32_e32 vcc, 33, v25
	s_and_saveexec_b64 s[2:3], vcc
	s_cbranch_execz .LBB109_187
; %bb.186:
	ds_read_b32 v210, v169 offset:136
	ds_read2_b32 v[204:205], v169 offset0:35 offset1:36
	ds_read2_b32 v[206:207], v169 offset0:37 offset1:38
	s_waitcnt vmcnt(21) lgkmcnt(3)
	v_mul_f32_e32 v118, v203, v118
	ds_read2_b32 v[208:209], v169 offset0:39 offset1:40
	s_waitcnt vmcnt(20) lgkmcnt(3)
	v_fma_f32 v119, -v118, v210, v119
	s_waitcnt vmcnt(18) lgkmcnt(2)
	v_pk_fma_f32 v[122:123], v[118:119], v[204:205], v[122:123] op_sel_hi:[0,1,1] neg_lo:[1,0,0] neg_hi:[1,0,0]
	s_waitcnt vmcnt(16) lgkmcnt(1)
	v_pk_fma_f32 v[116:117], v[118:119], v[206:207], v[116:117] op_sel_hi:[0,1,1] neg_lo:[1,0,0] neg_hi:[1,0,0]
	ds_read2_b32 v[204:205], v169 offset0:41 offset1:42
	ds_read2_b32 v[206:207], v169 offset0:43 offset1:44
	s_waitcnt vmcnt(14) lgkmcnt(2)
	v_pk_fma_f32 v[120:121], v[118:119], v[208:209], v[120:121] op_sel_hi:[0,1,1] neg_lo:[1,0,0] neg_hi:[1,0,0]
	ds_read2_b32 v[208:209], v169 offset0:45 offset1:46
	ds_read2_b32 v[210:211], v169 offset0:47 offset1:48
	s_waitcnt vmcnt(12) lgkmcnt(3)
	v_pk_fma_f32 v[146:147], v[118:119], v[204:205], v[146:147] op_sel_hi:[0,1,1] neg_lo:[1,0,0] neg_hi:[1,0,0]
	s_waitcnt vmcnt(10) lgkmcnt(2)
	v_pk_fma_f32 v[140:141], v[118:119], v[206:207], v[140:141] op_sel_hi:[0,1,1] neg_lo:[1,0,0] neg_hi:[1,0,0]
	ds_read2_b32 v[204:205], v169 offset0:49 offset1:50
	ds_read2_b32 v[206:207], v169 offset0:51 offset1:52
	;; [unrolled: 1-line block ×3, first 2 shown]
	s_waitcnt vmcnt(8) lgkmcnt(4)
	v_pk_fma_f32 v[142:143], v[118:119], v[208:209], v[142:143] op_sel_hi:[0,1,1] neg_lo:[1,0,0] neg_hi:[1,0,0]
	s_waitcnt vmcnt(6) lgkmcnt(3)
	v_pk_fma_f32 v[144:145], v[118:119], v[210:211], v[144:145] op_sel_hi:[0,1,1] neg_lo:[1,0,0] neg_hi:[1,0,0]
	;; [unrolled: 2-line block ×5, first 2 shown]
.LBB109_187:
	s_or_b64 exec, exec, s[2:3]
	v_cmp_ne_u32_e32 vcc, 34, v25
	s_waitcnt lgkmcnt(0)
	s_barrier
	s_and_saveexec_b64 s[2:3], vcc
	s_xor_b64 s[2:3], exec, s[2:3]
	s_andn2_saveexec_b64 s[2:3], s[2:3]
	s_cbranch_execz .LBB109_191
; %bb.188:
	s_waitcnt vmcnt(20)
	ds_write_b32 v168, v119
	s_waitcnt vmcnt(18)
	ds_write2_b32 v169, v122, v123 offset0:35 offset1:36
	s_waitcnt vmcnt(16)
	ds_write2_b32 v169, v116, v117 offset0:37 offset1:38
	;; [unrolled: 2-line block ×10, first 2 shown]
	ds_read_b32 v204, v168
	s_waitcnt lgkmcnt(0)
	v_cmp_neq_f32_e32 vcc, 0, v204
	s_and_saveexec_b64 s[4:5], vcc
	s_cbranch_execz .LBB109_190
; %bb.189:
	v_div_scale_f32 v205, s[10:11], v204, v204, 1.0
	v_rcp_f32_e32 v206, v205
	v_div_scale_f32 v207, vcc, 1.0, v204, 1.0
	v_fma_f32 v208, -v205, v206, 1.0
	v_fmac_f32_e32 v206, v208, v206
	v_mul_f32_e32 v208, v207, v206
	v_fma_f32 v209, -v205, v208, v207
	v_fmac_f32_e32 v208, v209, v206
	v_fma_f32 v205, -v205, v208, v207
	v_div_fmas_f32 v205, v205, v206, v208
	v_div_fixup_f32 v204, v205, v204, 1.0
	ds_write_b32 v168, v204
.LBB109_190:
	s_or_b64 exec, exec, s[4:5]
.LBB109_191:
	s_or_b64 exec, exec, s[2:3]
	s_waitcnt lgkmcnt(0)
	s_barrier
	ds_read_b32 v204, v168
	v_cmp_lt_u32_e32 vcc, 34, v25
	s_and_saveexec_b64 s[2:3], vcc
	s_cbranch_execz .LBB109_193
; %bb.192:
	ds_read2_b32 v[206:207], v169 offset0:35 offset1:36
	ds_read2_b32 v[208:209], v169 offset0:37 offset1:38
	;; [unrolled: 1-line block ×3, first 2 shown]
	s_waitcnt vmcnt(20) lgkmcnt(3)
	v_mul_f32_e32 v212, v204, v119
	ds_read2_b32 v[214:215], v169 offset0:41 offset1:42
	s_waitcnt vmcnt(18) lgkmcnt(3)
	v_pk_fma_f32 v[122:123], v[212:213], v[206:207], v[122:123] op_sel_hi:[0,1,1] neg_lo:[1,0,0] neg_hi:[1,0,0]
	ds_read2_b32 v[206:207], v169 offset0:43 offset1:44
	s_waitcnt vmcnt(16) lgkmcnt(3)
	v_pk_fma_f32 v[116:117], v[212:213], v[208:209], v[116:117] op_sel_hi:[0,1,1] neg_lo:[1,0,0] neg_hi:[1,0,0]
	s_waitcnt vmcnt(14) lgkmcnt(2)
	v_pk_fma_f32 v[120:121], v[212:213], v[210:211], v[120:121] op_sel_hi:[0,1,1] neg_lo:[1,0,0] neg_hi:[1,0,0]
	;; [unrolled: 2-line block ×3, first 2 shown]
	ds_read2_b32 v[208:209], v169 offset0:45 offset1:46
	ds_read2_b32 v[210:211], v169 offset0:47 offset1:48
	;; [unrolled: 1-line block ×3, first 2 shown]
	s_waitcnt vmcnt(10) lgkmcnt(3)
	v_pk_fma_f32 v[140:141], v[212:213], v[206:207], v[140:141] op_sel_hi:[0,1,1] neg_lo:[1,0,0] neg_hi:[1,0,0]
	ds_read2_b32 v[206:207], v169 offset0:51 offset1:52
	ds_read2_b32 v[216:217], v169 offset0:53 offset1:54
	s_waitcnt vmcnt(8) lgkmcnt(4)
	v_pk_fma_f32 v[142:143], v[212:213], v[208:209], v[142:143] op_sel_hi:[0,1,1] neg_lo:[1,0,0] neg_hi:[1,0,0]
	s_waitcnt vmcnt(6) lgkmcnt(3)
	v_pk_fma_f32 v[144:145], v[212:213], v[210:211], v[144:145] op_sel_hi:[0,1,1] neg_lo:[1,0,0] neg_hi:[1,0,0]
	s_waitcnt vmcnt(4) lgkmcnt(2)
	v_pk_fma_f32 v[162:163], v[212:213], v[214:215], v[162:163] op_sel_hi:[0,1,1] neg_lo:[1,0,0] neg_hi:[1,0,0]
	s_waitcnt vmcnt(2) lgkmcnt(1)
	v_pk_fma_f32 v[164:165], v[212:213], v[206:207], v[164:165] op_sel_hi:[0,1,1] neg_lo:[1,0,0] neg_hi:[1,0,0]
	s_waitcnt vmcnt(0) lgkmcnt(0)
	v_pk_fma_f32 v[166:167], v[212:213], v[216:217], v[166:167] op_sel_hi:[0,1,1] neg_lo:[1,0,0] neg_hi:[1,0,0]
	v_mov_b32_e32 v119, v212
.LBB109_193:
	s_or_b64 exec, exec, s[2:3]
	v_cmp_eq_u32_e32 vcc, 35, v25
	s_waitcnt lgkmcnt(0)
	s_barrier
	s_and_saveexec_b64 s[2:3], vcc
	s_cbranch_execz .LBB109_196
; %bb.194:
	s_waitcnt vmcnt(16)
	v_pk_mov_b32 v[206:207], v[122:123], v[116:117] op_sel:[1,0]
	ds_write_b32 v168, v122
	ds_write2_b32 v169, v206, v207 offset0:36 offset1:37
	s_waitcnt vmcnt(14)
	v_pk_mov_b32 v[206:207], v[116:117], v[120:121] op_sel:[1,0]
	ds_write2_b32 v169, v206, v207 offset0:38 offset1:39
	s_waitcnt vmcnt(12)
	v_pk_mov_b32 v[206:207], v[120:121], v[146:147] op_sel:[1,0]
	;; [unrolled: 3-line block ×8, first 2 shown]
	ds_write2_b32 v169, v206, v207 offset0:52 offset1:53
	ds_write_b32 v169, v167 offset:216
	ds_read_b32 v205, v168
	s_waitcnt lgkmcnt(0)
	v_cmp_neq_f32_e32 vcc, 0, v205
	s_and_b64 exec, exec, vcc
	s_cbranch_execz .LBB109_196
; %bb.195:
	v_div_scale_f32 v206, s[4:5], v205, v205, 1.0
	v_rcp_f32_e32 v207, v206
	v_div_scale_f32 v208, vcc, 1.0, v205, 1.0
	v_fma_f32 v209, -v206, v207, 1.0
	v_fmac_f32_e32 v207, v209, v207
	v_mul_f32_e32 v209, v208, v207
	v_fma_f32 v210, -v206, v209, v208
	v_fmac_f32_e32 v209, v210, v207
	v_fma_f32 v206, -v206, v209, v208
	v_div_fmas_f32 v206, v206, v207, v209
	v_div_fixup_f32 v205, v206, v205, 1.0
	ds_write_b32 v168, v205
.LBB109_196:
	s_or_b64 exec, exec, s[2:3]
	s_waitcnt lgkmcnt(0)
	s_barrier
	ds_read_b32 v205, v168
	v_cmp_lt_u32_e32 vcc, 35, v25
	s_and_saveexec_b64 s[2:3], vcc
	s_cbranch_execz .LBB109_198
; %bb.197:
	ds_read_b32 v212, v169 offset:144
	ds_read2_b32 v[206:207], v169 offset0:37 offset1:38
	ds_read2_b32 v[208:209], v169 offset0:39 offset1:40
	s_waitcnt vmcnt(19) lgkmcnt(3)
	v_mul_f32_e32 v122, v205, v122
	ds_read2_b32 v[210:211], v169 offset0:41 offset1:42
	s_waitcnt vmcnt(18) lgkmcnt(3)
	v_fma_f32 v123, -v122, v212, v123
	s_waitcnt vmcnt(16) lgkmcnt(2)
	v_pk_fma_f32 v[116:117], v[122:123], v[206:207], v[116:117] op_sel_hi:[0,1,1] neg_lo:[1,0,0] neg_hi:[1,0,0]
	ds_read2_b32 v[206:207], v169 offset0:43 offset1:44
	s_waitcnt vmcnt(14) lgkmcnt(2)
	v_pk_fma_f32 v[120:121], v[122:123], v[208:209], v[120:121] op_sel_hi:[0,1,1] neg_lo:[1,0,0] neg_hi:[1,0,0]
	s_waitcnt vmcnt(12) lgkmcnt(1)
	v_pk_fma_f32 v[146:147], v[122:123], v[210:211], v[146:147] op_sel_hi:[0,1,1] neg_lo:[1,0,0] neg_hi:[1,0,0]
	ds_read2_b32 v[208:209], v169 offset0:45 offset1:46
	ds_read2_b32 v[210:211], v169 offset0:47 offset1:48
	;; [unrolled: 1-line block ×3, first 2 shown]
	s_waitcnt vmcnt(10) lgkmcnt(3)
	v_pk_fma_f32 v[140:141], v[122:123], v[206:207], v[140:141] op_sel_hi:[0,1,1] neg_lo:[1,0,0] neg_hi:[1,0,0]
	ds_read2_b32 v[206:207], v169 offset0:51 offset1:52
	ds_read2_b32 v[214:215], v169 offset0:53 offset1:54
	s_waitcnt vmcnt(8) lgkmcnt(4)
	v_pk_fma_f32 v[142:143], v[122:123], v[208:209], v[142:143] op_sel_hi:[0,1,1] neg_lo:[1,0,0] neg_hi:[1,0,0]
	s_waitcnt vmcnt(6) lgkmcnt(3)
	v_pk_fma_f32 v[144:145], v[122:123], v[210:211], v[144:145] op_sel_hi:[0,1,1] neg_lo:[1,0,0] neg_hi:[1,0,0]
	;; [unrolled: 2-line block ×5, first 2 shown]
.LBB109_198:
	s_or_b64 exec, exec, s[2:3]
	v_cmp_ne_u32_e32 vcc, 36, v25
	s_waitcnt lgkmcnt(0)
	s_barrier
	s_and_saveexec_b64 s[2:3], vcc
	s_xor_b64 s[2:3], exec, s[2:3]
	s_andn2_saveexec_b64 s[2:3], s[2:3]
	s_cbranch_execz .LBB109_202
; %bb.199:
	s_waitcnt vmcnt(18)
	ds_write_b32 v168, v123
	s_waitcnt vmcnt(16)
	ds_write2_b32 v169, v116, v117 offset0:37 offset1:38
	s_waitcnt vmcnt(14)
	ds_write2_b32 v169, v120, v121 offset0:39 offset1:40
	s_waitcnt vmcnt(12)
	ds_write2_b32 v169, v146, v147 offset0:41 offset1:42
	s_waitcnt vmcnt(10)
	ds_write2_b32 v169, v140, v141 offset0:43 offset1:44
	s_waitcnt vmcnt(8)
	ds_write2_b32 v169, v142, v143 offset0:45 offset1:46
	s_waitcnt vmcnt(6)
	ds_write2_b32 v169, v144, v145 offset0:47 offset1:48
	s_waitcnt vmcnt(4)
	ds_write2_b32 v169, v162, v163 offset0:49 offset1:50
	s_waitcnt vmcnt(2)
	ds_write2_b32 v169, v164, v165 offset0:51 offset1:52
	s_waitcnt vmcnt(0)
	ds_write2_b32 v169, v166, v167 offset0:53 offset1:54
	ds_read_b32 v206, v168
	s_waitcnt lgkmcnt(0)
	v_cmp_neq_f32_e32 vcc, 0, v206
	s_and_saveexec_b64 s[4:5], vcc
	s_cbranch_execz .LBB109_201
; %bb.200:
	v_div_scale_f32 v207, s[10:11], v206, v206, 1.0
	v_rcp_f32_e32 v208, v207
	v_div_scale_f32 v209, vcc, 1.0, v206, 1.0
	v_fma_f32 v210, -v207, v208, 1.0
	v_fmac_f32_e32 v208, v210, v208
	v_mul_f32_e32 v210, v209, v208
	v_fma_f32 v211, -v207, v210, v209
	v_fmac_f32_e32 v210, v211, v208
	v_fma_f32 v207, -v207, v210, v209
	v_div_fmas_f32 v207, v207, v208, v210
	v_div_fixup_f32 v206, v207, v206, 1.0
	ds_write_b32 v168, v206
.LBB109_201:
	s_or_b64 exec, exec, s[4:5]
.LBB109_202:
	s_or_b64 exec, exec, s[2:3]
	s_waitcnt lgkmcnt(0)
	s_barrier
	ds_read_b32 v206, v168
	v_cmp_lt_u32_e32 vcc, 36, v25
	s_and_saveexec_b64 s[2:3], vcc
	s_cbranch_execz .LBB109_204
; %bb.203:
	ds_read2_b32 v[208:209], v169 offset0:37 offset1:38
	ds_read2_b32 v[210:211], v169 offset0:39 offset1:40
	;; [unrolled: 1-line block ×4, first 2 shown]
	s_waitcnt vmcnt(18) lgkmcnt(4)
	v_mul_f32_e32 v216, v206, v123
	s_waitcnt vmcnt(16) lgkmcnt(3)
	v_pk_fma_f32 v[116:117], v[216:217], v[208:209], v[116:117] op_sel_hi:[0,1,1] neg_lo:[1,0,0] neg_hi:[1,0,0]
	s_waitcnt vmcnt(14) lgkmcnt(2)
	v_pk_fma_f32 v[120:121], v[216:217], v[210:211], v[120:121] op_sel_hi:[0,1,1] neg_lo:[1,0,0] neg_hi:[1,0,0]
	;; [unrolled: 2-line block ×4, first 2 shown]
	ds_read2_b32 v[208:209], v169 offset0:45 offset1:46
	ds_read2_b32 v[210:211], v169 offset0:47 offset1:48
	;; [unrolled: 1-line block ×5, first 2 shown]
	s_waitcnt vmcnt(8) lgkmcnt(4)
	v_pk_fma_f32 v[142:143], v[216:217], v[208:209], v[142:143] op_sel_hi:[0,1,1] neg_lo:[1,0,0] neg_hi:[1,0,0]
	s_waitcnt vmcnt(6) lgkmcnt(3)
	v_pk_fma_f32 v[144:145], v[216:217], v[210:211], v[144:145] op_sel_hi:[0,1,1] neg_lo:[1,0,0] neg_hi:[1,0,0]
	;; [unrolled: 2-line block ×5, first 2 shown]
	v_mov_b32_e32 v123, v216
.LBB109_204:
	s_or_b64 exec, exec, s[2:3]
	v_cmp_eq_u32_e32 vcc, 37, v25
	s_waitcnt lgkmcnt(0)
	s_barrier
	s_and_saveexec_b64 s[2:3], vcc
	s_cbranch_execz .LBB109_207
; %bb.205:
	s_waitcnt vmcnt(14)
	v_pk_mov_b32 v[208:209], v[116:117], v[120:121] op_sel:[1,0]
	ds_write_b32 v168, v116
	ds_write2_b32 v169, v208, v209 offset0:38 offset1:39
	s_waitcnt vmcnt(12)
	v_pk_mov_b32 v[208:209], v[120:121], v[146:147] op_sel:[1,0]
	ds_write2_b32 v169, v208, v209 offset0:40 offset1:41
	s_waitcnt vmcnt(10)
	v_pk_mov_b32 v[208:209], v[146:147], v[140:141] op_sel:[1,0]
	;; [unrolled: 3-line block ×7, first 2 shown]
	ds_write2_b32 v169, v208, v209 offset0:52 offset1:53
	ds_write_b32 v169, v167 offset:216
	ds_read_b32 v207, v168
	s_waitcnt lgkmcnt(0)
	v_cmp_neq_f32_e32 vcc, 0, v207
	s_and_b64 exec, exec, vcc
	s_cbranch_execz .LBB109_207
; %bb.206:
	v_div_scale_f32 v208, s[4:5], v207, v207, 1.0
	v_rcp_f32_e32 v209, v208
	v_div_scale_f32 v210, vcc, 1.0, v207, 1.0
	v_fma_f32 v211, -v208, v209, 1.0
	v_fmac_f32_e32 v209, v211, v209
	v_mul_f32_e32 v211, v210, v209
	v_fma_f32 v212, -v208, v211, v210
	v_fmac_f32_e32 v211, v212, v209
	v_fma_f32 v208, -v208, v211, v210
	v_div_fmas_f32 v208, v208, v209, v211
	v_div_fixup_f32 v207, v208, v207, 1.0
	ds_write_b32 v168, v207
.LBB109_207:
	s_or_b64 exec, exec, s[2:3]
	s_waitcnt lgkmcnt(0)
	s_barrier
	ds_read_b32 v207, v168
	v_cmp_lt_u32_e32 vcc, 37, v25
	s_and_saveexec_b64 s[2:3], vcc
	s_cbranch_execz .LBB109_209
; %bb.208:
	ds_read_b32 v214, v169 offset:152
	ds_read2_b32 v[208:209], v169 offset0:39 offset1:40
	ds_read2_b32 v[210:211], v169 offset0:41 offset1:42
	;; [unrolled: 1-line block ×3, first 2 shown]
	s_waitcnt vmcnt(17) lgkmcnt(4)
	v_mul_f32_e32 v116, v207, v116
	s_waitcnt vmcnt(16) lgkmcnt(3)
	v_fma_f32 v117, -v116, v214, v117
	s_waitcnt vmcnt(14) lgkmcnt(2)
	v_pk_fma_f32 v[120:121], v[116:117], v[208:209], v[120:121] op_sel_hi:[0,1,1] neg_lo:[1,0,0] neg_hi:[1,0,0]
	s_waitcnt vmcnt(12) lgkmcnt(1)
	v_pk_fma_f32 v[146:147], v[116:117], v[210:211], v[146:147] op_sel_hi:[0,1,1] neg_lo:[1,0,0] neg_hi:[1,0,0]
	;; [unrolled: 2-line block ×3, first 2 shown]
	ds_read2_b32 v[208:209], v169 offset0:45 offset1:46
	ds_read2_b32 v[210:211], v169 offset0:47 offset1:48
	;; [unrolled: 1-line block ×5, first 2 shown]
	s_waitcnt vmcnt(8) lgkmcnt(4)
	v_pk_fma_f32 v[142:143], v[116:117], v[208:209], v[142:143] op_sel_hi:[0,1,1] neg_lo:[1,0,0] neg_hi:[1,0,0]
	s_waitcnt vmcnt(6) lgkmcnt(3)
	v_pk_fma_f32 v[144:145], v[116:117], v[210:211], v[144:145] op_sel_hi:[0,1,1] neg_lo:[1,0,0] neg_hi:[1,0,0]
	s_waitcnt vmcnt(4) lgkmcnt(2)
	v_pk_fma_f32 v[162:163], v[116:117], v[212:213], v[162:163] op_sel_hi:[0,1,1] neg_lo:[1,0,0] neg_hi:[1,0,0]
	s_waitcnt vmcnt(2) lgkmcnt(1)
	v_pk_fma_f32 v[164:165], v[116:117], v[214:215], v[164:165] op_sel_hi:[0,1,1] neg_lo:[1,0,0] neg_hi:[1,0,0]
	s_waitcnt vmcnt(0) lgkmcnt(0)
	v_pk_fma_f32 v[166:167], v[116:117], v[216:217], v[166:167] op_sel_hi:[0,1,1] neg_lo:[1,0,0] neg_hi:[1,0,0]
.LBB109_209:
	s_or_b64 exec, exec, s[2:3]
	v_cmp_ne_u32_e32 vcc, 38, v25
	s_waitcnt lgkmcnt(0)
	s_barrier
	s_and_saveexec_b64 s[2:3], vcc
	s_xor_b64 s[2:3], exec, s[2:3]
	s_andn2_saveexec_b64 s[2:3], s[2:3]
	s_cbranch_execz .LBB109_213
; %bb.210:
	s_waitcnt vmcnt(16)
	ds_write_b32 v168, v117
	s_waitcnt vmcnt(14)
	ds_write2_b32 v169, v120, v121 offset0:39 offset1:40
	s_waitcnt vmcnt(12)
	ds_write2_b32 v169, v146, v147 offset0:41 offset1:42
	;; [unrolled: 2-line block ×8, first 2 shown]
	ds_read_b32 v208, v168
	s_waitcnt lgkmcnt(0)
	v_cmp_neq_f32_e32 vcc, 0, v208
	s_and_saveexec_b64 s[4:5], vcc
	s_cbranch_execz .LBB109_212
; %bb.211:
	v_div_scale_f32 v209, s[10:11], v208, v208, 1.0
	v_rcp_f32_e32 v210, v209
	v_div_scale_f32 v211, vcc, 1.0, v208, 1.0
	v_fma_f32 v212, -v209, v210, 1.0
	v_fmac_f32_e32 v210, v212, v210
	v_mul_f32_e32 v212, v211, v210
	v_fma_f32 v213, -v209, v212, v211
	v_fmac_f32_e32 v212, v213, v210
	v_fma_f32 v209, -v209, v212, v211
	v_div_fmas_f32 v209, v209, v210, v212
	v_div_fixup_f32 v208, v209, v208, 1.0
	ds_write_b32 v168, v208
.LBB109_212:
	s_or_b64 exec, exec, s[4:5]
.LBB109_213:
	s_or_b64 exec, exec, s[2:3]
	s_waitcnt lgkmcnt(0)
	s_barrier
	ds_read_b32 v208, v168
	v_cmp_lt_u32_e32 vcc, 38, v25
	s_and_saveexec_b64 s[2:3], vcc
	s_cbranch_execz .LBB109_215
; %bb.214:
	ds_read2_b32 v[210:211], v169 offset0:39 offset1:40
	ds_read2_b32 v[212:213], v169 offset0:41 offset1:42
	;; [unrolled: 1-line block ×3, first 2 shown]
	s_waitcnt vmcnt(16) lgkmcnt(3)
	v_mul_f32_e32 v216, v208, v117
	ds_read2_b32 v[218:219], v169 offset0:45 offset1:46
	s_waitcnt vmcnt(14) lgkmcnt(3)
	v_pk_fma_f32 v[120:121], v[216:217], v[210:211], v[120:121] op_sel_hi:[0,1,1] neg_lo:[1,0,0] neg_hi:[1,0,0]
	s_waitcnt vmcnt(12) lgkmcnt(2)
	v_pk_fma_f32 v[146:147], v[216:217], v[212:213], v[146:147] op_sel_hi:[0,1,1] neg_lo:[1,0,0] neg_hi:[1,0,0]
	s_waitcnt vmcnt(10) lgkmcnt(1)
	v_pk_fma_f32 v[140:141], v[216:217], v[214:215], v[140:141] op_sel_hi:[0,1,1] neg_lo:[1,0,0] neg_hi:[1,0,0]
	ds_read2_b32 v[210:211], v169 offset0:47 offset1:48
	ds_read2_b32 v[212:213], v169 offset0:49 offset1:50
	;; [unrolled: 1-line block ×4, first 2 shown]
	s_waitcnt vmcnt(8) lgkmcnt(4)
	v_pk_fma_f32 v[142:143], v[216:217], v[218:219], v[142:143] op_sel_hi:[0,1,1] neg_lo:[1,0,0] neg_hi:[1,0,0]
	s_waitcnt vmcnt(6) lgkmcnt(3)
	v_pk_fma_f32 v[144:145], v[216:217], v[210:211], v[144:145] op_sel_hi:[0,1,1] neg_lo:[1,0,0] neg_hi:[1,0,0]
	s_waitcnt vmcnt(4) lgkmcnt(2)
	v_pk_fma_f32 v[162:163], v[216:217], v[212:213], v[162:163] op_sel_hi:[0,1,1] neg_lo:[1,0,0] neg_hi:[1,0,0]
	s_waitcnt vmcnt(2) lgkmcnt(1)
	v_pk_fma_f32 v[164:165], v[216:217], v[214:215], v[164:165] op_sel_hi:[0,1,1] neg_lo:[1,0,0] neg_hi:[1,0,0]
	s_waitcnt vmcnt(0) lgkmcnt(0)
	v_pk_fma_f32 v[166:167], v[216:217], v[220:221], v[166:167] op_sel_hi:[0,1,1] neg_lo:[1,0,0] neg_hi:[1,0,0]
	v_mov_b32_e32 v117, v216
.LBB109_215:
	s_or_b64 exec, exec, s[2:3]
	v_cmp_eq_u32_e32 vcc, 39, v25
	s_waitcnt lgkmcnt(0)
	s_barrier
	s_and_saveexec_b64 s[2:3], vcc
	s_cbranch_execz .LBB109_218
; %bb.216:
	s_waitcnt vmcnt(12)
	v_pk_mov_b32 v[210:211], v[120:121], v[146:147] op_sel:[1,0]
	ds_write_b32 v168, v120
	ds_write2_b32 v169, v210, v211 offset0:40 offset1:41
	s_waitcnt vmcnt(10)
	v_pk_mov_b32 v[210:211], v[146:147], v[140:141] op_sel:[1,0]
	ds_write2_b32 v169, v210, v211 offset0:42 offset1:43
	s_waitcnt vmcnt(8)
	v_pk_mov_b32 v[210:211], v[140:141], v[142:143] op_sel:[1,0]
	;; [unrolled: 3-line block ×6, first 2 shown]
	ds_write2_b32 v169, v210, v211 offset0:52 offset1:53
	ds_write_b32 v169, v167 offset:216
	ds_read_b32 v209, v168
	s_waitcnt lgkmcnt(0)
	v_cmp_neq_f32_e32 vcc, 0, v209
	s_and_b64 exec, exec, vcc
	s_cbranch_execz .LBB109_218
; %bb.217:
	v_div_scale_f32 v210, s[4:5], v209, v209, 1.0
	v_rcp_f32_e32 v211, v210
	v_div_scale_f32 v212, vcc, 1.0, v209, 1.0
	v_fma_f32 v213, -v210, v211, 1.0
	v_fmac_f32_e32 v211, v213, v211
	v_mul_f32_e32 v213, v212, v211
	v_fma_f32 v214, -v210, v213, v212
	v_fmac_f32_e32 v213, v214, v211
	v_fma_f32 v210, -v210, v213, v212
	v_div_fmas_f32 v210, v210, v211, v213
	v_div_fixup_f32 v209, v210, v209, 1.0
	ds_write_b32 v168, v209
.LBB109_218:
	s_or_b64 exec, exec, s[2:3]
	s_waitcnt lgkmcnt(0)
	s_barrier
	ds_read_b32 v209, v168
	v_cmp_lt_u32_e32 vcc, 39, v25
	s_and_saveexec_b64 s[2:3], vcc
	s_cbranch_execz .LBB109_220
; %bb.219:
	ds_read_b32 v216, v169 offset:160
	ds_read2_b32 v[210:211], v169 offset0:41 offset1:42
	ds_read2_b32 v[212:213], v169 offset0:43 offset1:44
	s_waitcnt vmcnt(15) lgkmcnt(3)
	v_mul_f32_e32 v120, v209, v120
	ds_read2_b32 v[214:215], v169 offset0:45 offset1:46
	s_waitcnt vmcnt(14) lgkmcnt(3)
	v_fma_f32 v121, -v120, v216, v121
	s_waitcnt vmcnt(12) lgkmcnt(2)
	v_pk_fma_f32 v[146:147], v[120:121], v[210:211], v[146:147] op_sel_hi:[0,1,1] neg_lo:[1,0,0] neg_hi:[1,0,0]
	s_waitcnt vmcnt(10) lgkmcnt(1)
	v_pk_fma_f32 v[140:141], v[120:121], v[212:213], v[140:141] op_sel_hi:[0,1,1] neg_lo:[1,0,0] neg_hi:[1,0,0]
	ds_read2_b32 v[210:211], v169 offset0:47 offset1:48
	ds_read2_b32 v[212:213], v169 offset0:49 offset1:50
	;; [unrolled: 1-line block ×4, first 2 shown]
	s_waitcnt vmcnt(8) lgkmcnt(4)
	v_pk_fma_f32 v[142:143], v[120:121], v[214:215], v[142:143] op_sel_hi:[0,1,1] neg_lo:[1,0,0] neg_hi:[1,0,0]
	s_waitcnt vmcnt(6) lgkmcnt(3)
	v_pk_fma_f32 v[144:145], v[120:121], v[210:211], v[144:145] op_sel_hi:[0,1,1] neg_lo:[1,0,0] neg_hi:[1,0,0]
	;; [unrolled: 2-line block ×5, first 2 shown]
.LBB109_220:
	s_or_b64 exec, exec, s[2:3]
	v_cmp_ne_u32_e32 vcc, 40, v25
	s_waitcnt lgkmcnt(0)
	s_barrier
	s_and_saveexec_b64 s[2:3], vcc
	s_xor_b64 s[2:3], exec, s[2:3]
	s_andn2_saveexec_b64 s[2:3], s[2:3]
	s_cbranch_execz .LBB109_224
; %bb.221:
	s_waitcnt vmcnt(14)
	ds_write_b32 v168, v121
	s_waitcnt vmcnt(12)
	ds_write2_b32 v169, v146, v147 offset0:41 offset1:42
	s_waitcnt vmcnt(10)
	ds_write2_b32 v169, v140, v141 offset0:43 offset1:44
	;; [unrolled: 2-line block ×7, first 2 shown]
	ds_read_b32 v210, v168
	s_waitcnt lgkmcnt(0)
	v_cmp_neq_f32_e32 vcc, 0, v210
	s_and_saveexec_b64 s[4:5], vcc
	s_cbranch_execz .LBB109_223
; %bb.222:
	v_div_scale_f32 v211, s[10:11], v210, v210, 1.0
	v_rcp_f32_e32 v212, v211
	v_div_scale_f32 v213, vcc, 1.0, v210, 1.0
	v_fma_f32 v214, -v211, v212, 1.0
	v_fmac_f32_e32 v212, v214, v212
	v_mul_f32_e32 v214, v213, v212
	v_fma_f32 v215, -v211, v214, v213
	v_fmac_f32_e32 v214, v215, v212
	v_fma_f32 v211, -v211, v214, v213
	v_div_fmas_f32 v211, v211, v212, v214
	v_div_fixup_f32 v210, v211, v210, 1.0
	ds_write_b32 v168, v210
.LBB109_223:
	s_or_b64 exec, exec, s[4:5]
.LBB109_224:
	s_or_b64 exec, exec, s[2:3]
	s_waitcnt lgkmcnt(0)
	s_barrier
	ds_read_b32 v210, v168
	v_cmp_lt_u32_e32 vcc, 40, v25
	s_and_saveexec_b64 s[2:3], vcc
	s_cbranch_execz .LBB109_226
; %bb.225:
	ds_read2_b32 v[212:213], v169 offset0:41 offset1:42
	ds_read2_b32 v[214:215], v169 offset0:43 offset1:44
	s_waitcnt vmcnt(14) lgkmcnt(2)
	v_mul_f32_e32 v216, v210, v121
	ds_read2_b32 v[218:219], v169 offset0:45 offset1:46
	ds_read2_b32 v[220:221], v169 offset0:47 offset1:48
	v_mov_b32_e32 v121, v216
	s_waitcnt vmcnt(12) lgkmcnt(3)
	v_pk_fma_f32 v[146:147], v[216:217], v[212:213], v[146:147] op_sel_hi:[0,1,1] neg_lo:[1,0,0] neg_hi:[1,0,0]
	s_waitcnt vmcnt(10) lgkmcnt(2)
	v_pk_fma_f32 v[140:141], v[216:217], v[214:215], v[140:141] op_sel_hi:[0,1,1] neg_lo:[1,0,0] neg_hi:[1,0,0]
	ds_read2_b32 v[212:213], v169 offset0:49 offset1:50
	ds_read2_b32 v[214:215], v169 offset0:51 offset1:52
	;; [unrolled: 1-line block ×3, first 2 shown]
	s_waitcnt vmcnt(8) lgkmcnt(4)
	v_pk_fma_f32 v[142:143], v[216:217], v[218:219], v[142:143] op_sel_hi:[0,1,1] neg_lo:[1,0,0] neg_hi:[1,0,0]
	s_waitcnt vmcnt(6) lgkmcnt(3)
	v_pk_fma_f32 v[144:145], v[216:217], v[220:221], v[144:145] op_sel_hi:[0,1,1] neg_lo:[1,0,0] neg_hi:[1,0,0]
	;; [unrolled: 2-line block ×5, first 2 shown]
.LBB109_226:
	s_or_b64 exec, exec, s[2:3]
	v_cmp_eq_u32_e32 vcc, 41, v25
	s_waitcnt lgkmcnt(0)
	s_barrier
	s_and_saveexec_b64 s[2:3], vcc
	s_cbranch_execz .LBB109_229
; %bb.227:
	s_waitcnt vmcnt(10)
	v_pk_mov_b32 v[212:213], v[146:147], v[140:141] op_sel:[1,0]
	ds_write_b32 v168, v146
	ds_write2_b32 v169, v212, v213 offset0:42 offset1:43
	s_waitcnt vmcnt(8)
	v_pk_mov_b32 v[212:213], v[140:141], v[142:143] op_sel:[1,0]
	ds_write2_b32 v169, v212, v213 offset0:44 offset1:45
	s_waitcnt vmcnt(6)
	v_pk_mov_b32 v[212:213], v[142:143], v[144:145] op_sel:[1,0]
	;; [unrolled: 3-line block ×5, first 2 shown]
	ds_write2_b32 v169, v212, v213 offset0:52 offset1:53
	ds_write_b32 v169, v167 offset:216
	ds_read_b32 v211, v168
	s_waitcnt lgkmcnt(0)
	v_cmp_neq_f32_e32 vcc, 0, v211
	s_and_b64 exec, exec, vcc
	s_cbranch_execz .LBB109_229
; %bb.228:
	v_div_scale_f32 v212, s[4:5], v211, v211, 1.0
	v_rcp_f32_e32 v213, v212
	v_div_scale_f32 v214, vcc, 1.0, v211, 1.0
	v_fma_f32 v215, -v212, v213, 1.0
	v_fmac_f32_e32 v213, v215, v213
	v_mul_f32_e32 v215, v214, v213
	v_fma_f32 v216, -v212, v215, v214
	v_fmac_f32_e32 v215, v216, v213
	v_fma_f32 v212, -v212, v215, v214
	v_div_fmas_f32 v212, v212, v213, v215
	v_div_fixup_f32 v211, v212, v211, 1.0
	ds_write_b32 v168, v211
.LBB109_229:
	s_or_b64 exec, exec, s[2:3]
	s_waitcnt lgkmcnt(0)
	s_barrier
	ds_read_b32 v211, v168
	v_cmp_lt_u32_e32 vcc, 41, v25
	s_and_saveexec_b64 s[2:3], vcc
	s_cbranch_execz .LBB109_231
; %bb.230:
	ds_read_b32 v218, v169 offset:168
	ds_read2_b32 v[212:213], v169 offset0:43 offset1:44
	s_waitcnt vmcnt(13) lgkmcnt(2)
	v_mul_f32_e32 v146, v211, v146
	ds_read2_b32 v[214:215], v169 offset0:45 offset1:46
	ds_read2_b32 v[216:217], v169 offset0:47 offset1:48
	s_waitcnt vmcnt(12) lgkmcnt(3)
	v_fma_f32 v147, -v146, v218, v147
	s_waitcnt vmcnt(10) lgkmcnt(2)
	v_pk_fma_f32 v[140:141], v[146:147], v[212:213], v[140:141] op_sel_hi:[0,1,1] neg_lo:[1,0,0] neg_hi:[1,0,0]
	ds_read2_b32 v[212:213], v169 offset0:49 offset1:50
	ds_read2_b32 v[218:219], v169 offset0:51 offset1:52
	;; [unrolled: 1-line block ×3, first 2 shown]
	s_waitcnt vmcnt(8) lgkmcnt(4)
	v_pk_fma_f32 v[142:143], v[146:147], v[214:215], v[142:143] op_sel_hi:[0,1,1] neg_lo:[1,0,0] neg_hi:[1,0,0]
	s_waitcnt vmcnt(6) lgkmcnt(3)
	v_pk_fma_f32 v[144:145], v[146:147], v[216:217], v[144:145] op_sel_hi:[0,1,1] neg_lo:[1,0,0] neg_hi:[1,0,0]
	;; [unrolled: 2-line block ×5, first 2 shown]
.LBB109_231:
	s_or_b64 exec, exec, s[2:3]
	v_cmp_ne_u32_e32 vcc, 42, v25
	s_waitcnt lgkmcnt(0)
	s_barrier
	s_and_saveexec_b64 s[2:3], vcc
	s_xor_b64 s[2:3], exec, s[2:3]
	s_andn2_saveexec_b64 s[2:3], s[2:3]
	s_cbranch_execz .LBB109_235
; %bb.232:
	s_waitcnt vmcnt(12)
	ds_write_b32 v168, v147
	s_waitcnt vmcnt(10)
	ds_write2_b32 v169, v140, v141 offset0:43 offset1:44
	s_waitcnt vmcnt(8)
	ds_write2_b32 v169, v142, v143 offset0:45 offset1:46
	;; [unrolled: 2-line block ×6, first 2 shown]
	ds_read_b32 v212, v168
	s_waitcnt lgkmcnt(0)
	v_cmp_neq_f32_e32 vcc, 0, v212
	s_and_saveexec_b64 s[4:5], vcc
	s_cbranch_execz .LBB109_234
; %bb.233:
	v_div_scale_f32 v213, s[10:11], v212, v212, 1.0
	v_rcp_f32_e32 v214, v213
	v_div_scale_f32 v215, vcc, 1.0, v212, 1.0
	v_fma_f32 v216, -v213, v214, 1.0
	v_fmac_f32_e32 v214, v216, v214
	v_mul_f32_e32 v216, v215, v214
	v_fma_f32 v217, -v213, v216, v215
	v_fmac_f32_e32 v216, v217, v214
	v_fma_f32 v213, -v213, v216, v215
	v_div_fmas_f32 v213, v213, v214, v216
	v_div_fixup_f32 v212, v213, v212, 1.0
	ds_write_b32 v168, v212
.LBB109_234:
	s_or_b64 exec, exec, s[4:5]
.LBB109_235:
	s_or_b64 exec, exec, s[2:3]
	s_waitcnt lgkmcnt(0)
	s_barrier
	ds_read_b32 v212, v168
	v_cmp_lt_u32_e32 vcc, 42, v25
	s_and_saveexec_b64 s[2:3], vcc
	s_cbranch_execz .LBB109_237
; %bb.236:
	ds_read2_b32 v[214:215], v169 offset0:43 offset1:44
	s_waitcnt vmcnt(12) lgkmcnt(1)
	v_mul_f32_e32 v216, v212, v147
	ds_read2_b32 v[218:219], v169 offset0:45 offset1:46
	ds_read2_b32 v[220:221], v169 offset0:47 offset1:48
	;; [unrolled: 1-line block ×3, first 2 shown]
	v_mov_b32_e32 v147, v216
	s_waitcnt vmcnt(8) lgkmcnt(2)
	v_pk_fma_f32 v[142:143], v[216:217], v[218:219], v[142:143] op_sel_hi:[0,1,1] neg_lo:[1,0,0] neg_hi:[1,0,0]
	v_pk_fma_f32 v[140:141], v[216:217], v[214:215], v[140:141] op_sel_hi:[0,1,1] neg_lo:[1,0,0] neg_hi:[1,0,0]
	ds_read2_b32 v[214:215], v169 offset0:51 offset1:52
	ds_read2_b32 v[224:225], v169 offset0:53 offset1:54
	s_waitcnt vmcnt(6) lgkmcnt(3)
	v_pk_fma_f32 v[144:145], v[216:217], v[220:221], v[144:145] op_sel_hi:[0,1,1] neg_lo:[1,0,0] neg_hi:[1,0,0]
	s_waitcnt vmcnt(4) lgkmcnt(2)
	v_pk_fma_f32 v[162:163], v[216:217], v[222:223], v[162:163] op_sel_hi:[0,1,1] neg_lo:[1,0,0] neg_hi:[1,0,0]
	;; [unrolled: 2-line block ×4, first 2 shown]
.LBB109_237:
	s_or_b64 exec, exec, s[2:3]
	v_cmp_eq_u32_e32 vcc, 43, v25
	s_waitcnt lgkmcnt(0)
	s_barrier
	s_and_saveexec_b64 s[2:3], vcc
	s_cbranch_execz .LBB109_240
; %bb.238:
	s_waitcnt vmcnt(8)
	v_pk_mov_b32 v[214:215], v[140:141], v[142:143] op_sel:[1,0]
	ds_write_b32 v168, v140
	ds_write2_b32 v169, v214, v215 offset0:44 offset1:45
	s_waitcnt vmcnt(6)
	v_pk_mov_b32 v[214:215], v[142:143], v[144:145] op_sel:[1,0]
	ds_write2_b32 v169, v214, v215 offset0:46 offset1:47
	s_waitcnt vmcnt(4)
	v_pk_mov_b32 v[214:215], v[144:145], v[162:163] op_sel:[1,0]
	;; [unrolled: 3-line block ×4, first 2 shown]
	ds_write2_b32 v169, v214, v215 offset0:52 offset1:53
	ds_write_b32 v169, v167 offset:216
	ds_read_b32 v213, v168
	s_waitcnt lgkmcnt(0)
	v_cmp_neq_f32_e32 vcc, 0, v213
	s_and_b64 exec, exec, vcc
	s_cbranch_execz .LBB109_240
; %bb.239:
	v_div_scale_f32 v214, s[4:5], v213, v213, 1.0
	v_rcp_f32_e32 v215, v214
	v_div_scale_f32 v216, vcc, 1.0, v213, 1.0
	v_fma_f32 v217, -v214, v215, 1.0
	v_fmac_f32_e32 v215, v217, v215
	v_mul_f32_e32 v217, v216, v215
	v_fma_f32 v218, -v214, v217, v216
	v_fmac_f32_e32 v217, v218, v215
	v_fma_f32 v214, -v214, v217, v216
	v_div_fmas_f32 v214, v214, v215, v217
	v_div_fixup_f32 v213, v214, v213, 1.0
	ds_write_b32 v168, v213
.LBB109_240:
	s_or_b64 exec, exec, s[2:3]
	s_waitcnt lgkmcnt(0)
	s_barrier
	ds_read_b32 v213, v168
	v_cmp_lt_u32_e32 vcc, 43, v25
	s_and_saveexec_b64 s[2:3], vcc
	s_cbranch_execz .LBB109_242
; %bb.241:
	ds_read_b32 v220, v169 offset:176
	s_waitcnt vmcnt(11) lgkmcnt(1)
	v_mul_f32_e32 v140, v213, v140
	ds_read2_b32 v[214:215], v169 offset0:45 offset1:46
	ds_read2_b32 v[216:217], v169 offset0:47 offset1:48
	;; [unrolled: 1-line block ×3, first 2 shown]
	s_waitcnt vmcnt(10) lgkmcnt(3)
	v_fma_f32 v141, -v140, v220, v141
	ds_read2_b32 v[220:221], v169 offset0:51 offset1:52
	ds_read2_b32 v[222:223], v169 offset0:53 offset1:54
	s_waitcnt vmcnt(8) lgkmcnt(4)
	v_pk_fma_f32 v[142:143], v[140:141], v[214:215], v[142:143] op_sel_hi:[0,1,1] neg_lo:[1,0,0] neg_hi:[1,0,0]
	s_waitcnt vmcnt(6) lgkmcnt(3)
	v_pk_fma_f32 v[144:145], v[140:141], v[216:217], v[144:145] op_sel_hi:[0,1,1] neg_lo:[1,0,0] neg_hi:[1,0,0]
	;; [unrolled: 2-line block ×5, first 2 shown]
.LBB109_242:
	s_or_b64 exec, exec, s[2:3]
	v_cmp_ne_u32_e32 vcc, 44, v25
	s_waitcnt lgkmcnt(0)
	s_barrier
	s_and_saveexec_b64 s[2:3], vcc
	s_xor_b64 s[2:3], exec, s[2:3]
	s_andn2_saveexec_b64 s[2:3], s[2:3]
	s_cbranch_execz .LBB109_246
; %bb.243:
	s_waitcnt vmcnt(10)
	ds_write_b32 v168, v141
	s_waitcnt vmcnt(8)
	ds_write2_b32 v169, v142, v143 offset0:45 offset1:46
	s_waitcnt vmcnt(6)
	ds_write2_b32 v169, v144, v145 offset0:47 offset1:48
	;; [unrolled: 2-line block ×5, first 2 shown]
	ds_read_b32 v214, v168
	s_waitcnt lgkmcnt(0)
	v_cmp_neq_f32_e32 vcc, 0, v214
	s_and_saveexec_b64 s[4:5], vcc
	s_cbranch_execz .LBB109_245
; %bb.244:
	v_div_scale_f32 v215, s[10:11], v214, v214, 1.0
	v_rcp_f32_e32 v216, v215
	v_div_scale_f32 v217, vcc, 1.0, v214, 1.0
	v_fma_f32 v218, -v215, v216, 1.0
	v_fmac_f32_e32 v216, v218, v216
	v_mul_f32_e32 v218, v217, v216
	v_fma_f32 v219, -v215, v218, v217
	v_fmac_f32_e32 v218, v219, v216
	v_fma_f32 v215, -v215, v218, v217
	v_div_fmas_f32 v215, v215, v216, v218
	v_div_fixup_f32 v214, v215, v214, 1.0
	ds_write_b32 v168, v214
.LBB109_245:
	s_or_b64 exec, exec, s[4:5]
.LBB109_246:
	s_or_b64 exec, exec, s[2:3]
	s_waitcnt lgkmcnt(0)
	s_barrier
	ds_read_b32 v214, v168
	v_cmp_lt_u32_e32 vcc, 44, v25
	s_and_saveexec_b64 s[2:3], vcc
	s_cbranch_execz .LBB109_248
; %bb.247:
	ds_read2_b32 v[218:219], v169 offset0:45 offset1:46
	ds_read2_b32 v[220:221], v169 offset0:47 offset1:48
	;; [unrolled: 1-line block ×5, first 2 shown]
	s_waitcnt vmcnt(10) lgkmcnt(5)
	v_mul_f32_e32 v216, v214, v141
	s_waitcnt vmcnt(8) lgkmcnt(4)
	v_pk_fma_f32 v[142:143], v[216:217], v[218:219], v[142:143] op_sel_hi:[0,1,1] neg_lo:[1,0,0] neg_hi:[1,0,0]
	s_waitcnt vmcnt(6) lgkmcnt(3)
	v_pk_fma_f32 v[144:145], v[216:217], v[220:221], v[144:145] op_sel_hi:[0,1,1] neg_lo:[1,0,0] neg_hi:[1,0,0]
	;; [unrolled: 2-line block ×5, first 2 shown]
	v_mov_b32_e32 v141, v216
.LBB109_248:
	s_or_b64 exec, exec, s[2:3]
	v_cmp_eq_u32_e32 vcc, 45, v25
	s_waitcnt lgkmcnt(0)
	s_barrier
	s_and_saveexec_b64 s[2:3], vcc
	s_cbranch_execz .LBB109_251
; %bb.249:
	s_waitcnt vmcnt(6)
	v_pk_mov_b32 v[216:217], v[142:143], v[144:145] op_sel:[1,0]
	ds_write_b32 v168, v142
	ds_write2_b32 v169, v216, v217 offset0:46 offset1:47
	s_waitcnt vmcnt(4)
	v_pk_mov_b32 v[216:217], v[144:145], v[162:163] op_sel:[1,0]
	ds_write2_b32 v169, v216, v217 offset0:48 offset1:49
	s_waitcnt vmcnt(2)
	v_pk_mov_b32 v[216:217], v[162:163], v[164:165] op_sel:[1,0]
	;; [unrolled: 3-line block ×3, first 2 shown]
	ds_write2_b32 v169, v216, v217 offset0:52 offset1:53
	ds_write_b32 v169, v167 offset:216
	ds_read_b32 v215, v168
	s_waitcnt lgkmcnt(0)
	v_cmp_neq_f32_e32 vcc, 0, v215
	s_and_b64 exec, exec, vcc
	s_cbranch_execz .LBB109_251
; %bb.250:
	v_div_scale_f32 v216, s[4:5], v215, v215, 1.0
	v_rcp_f32_e32 v217, v216
	v_div_scale_f32 v218, vcc, 1.0, v215, 1.0
	v_fma_f32 v219, -v216, v217, 1.0
	v_fmac_f32_e32 v217, v219, v217
	v_mul_f32_e32 v219, v218, v217
	v_fma_f32 v220, -v216, v219, v218
	v_fmac_f32_e32 v219, v220, v217
	v_fma_f32 v216, -v216, v219, v218
	v_div_fmas_f32 v216, v216, v217, v219
	v_div_fixup_f32 v215, v216, v215, 1.0
	ds_write_b32 v168, v215
.LBB109_251:
	s_or_b64 exec, exec, s[2:3]
	s_waitcnt lgkmcnt(0)
	s_barrier
	ds_read_b32 v215, v168
	v_cmp_lt_u32_e32 vcc, 45, v25
	s_and_saveexec_b64 s[2:3], vcc
	s_cbranch_execz .LBB109_253
; %bb.252:
	ds_read_b32 v224, v169 offset:184
	ds_read2_b32 v[216:217], v169 offset0:47 offset1:48
	ds_read2_b32 v[218:219], v169 offset0:49 offset1:50
	;; [unrolled: 1-line block ×4, first 2 shown]
	s_waitcnt vmcnt(9) lgkmcnt(5)
	v_mul_f32_e32 v142, v215, v142
	s_waitcnt vmcnt(8) lgkmcnt(4)
	v_fma_f32 v143, -v142, v224, v143
	s_waitcnt vmcnt(6) lgkmcnt(3)
	v_pk_fma_f32 v[144:145], v[142:143], v[216:217], v[144:145] op_sel_hi:[0,1,1] neg_lo:[1,0,0] neg_hi:[1,0,0]
	s_waitcnt vmcnt(4) lgkmcnt(2)
	v_pk_fma_f32 v[162:163], v[142:143], v[218:219], v[162:163] op_sel_hi:[0,1,1] neg_lo:[1,0,0] neg_hi:[1,0,0]
	;; [unrolled: 2-line block ×4, first 2 shown]
.LBB109_253:
	s_or_b64 exec, exec, s[2:3]
	v_cmp_ne_u32_e32 vcc, 46, v25
	s_waitcnt lgkmcnt(0)
	s_barrier
	s_and_saveexec_b64 s[2:3], vcc
	s_xor_b64 s[2:3], exec, s[2:3]
	s_andn2_saveexec_b64 s[2:3], s[2:3]
	s_cbranch_execz .LBB109_257
; %bb.254:
	s_waitcnt vmcnt(8)
	ds_write_b32 v168, v143
	s_waitcnt vmcnt(6)
	ds_write2_b32 v169, v144, v145 offset0:47 offset1:48
	s_waitcnt vmcnt(4)
	ds_write2_b32 v169, v162, v163 offset0:49 offset1:50
	;; [unrolled: 2-line block ×4, first 2 shown]
	ds_read_b32 v216, v168
	s_waitcnt lgkmcnt(0)
	v_cmp_neq_f32_e32 vcc, 0, v216
	s_and_saveexec_b64 s[4:5], vcc
	s_cbranch_execz .LBB109_256
; %bb.255:
	v_div_scale_f32 v217, s[10:11], v216, v216, 1.0
	v_rcp_f32_e32 v218, v217
	v_div_scale_f32 v219, vcc, 1.0, v216, 1.0
	v_fma_f32 v220, -v217, v218, 1.0
	v_fmac_f32_e32 v218, v220, v218
	v_mul_f32_e32 v220, v219, v218
	v_fma_f32 v221, -v217, v220, v219
	v_fmac_f32_e32 v220, v221, v218
	v_fma_f32 v217, -v217, v220, v219
	v_div_fmas_f32 v217, v217, v218, v220
	v_div_fixup_f32 v216, v217, v216, 1.0
	ds_write_b32 v168, v216
.LBB109_256:
	s_or_b64 exec, exec, s[4:5]
.LBB109_257:
	s_or_b64 exec, exec, s[2:3]
	s_waitcnt lgkmcnt(0)
	s_barrier
	ds_read_b32 v216, v168
	v_cmp_lt_u32_e32 vcc, 46, v25
	s_and_saveexec_b64 s[2:3], vcc
	s_cbranch_execz .LBB109_259
; %bb.258:
	ds_read2_b32 v[218:219], v169 offset0:47 offset1:48
	ds_read2_b32 v[220:221], v169 offset0:49 offset1:50
	;; [unrolled: 1-line block ×4, first 2 shown]
	s_waitcnt vmcnt(8) lgkmcnt(4)
	v_mul_f32_e32 v226, v216, v143
	s_waitcnt vmcnt(6) lgkmcnt(3)
	v_pk_fma_f32 v[144:145], v[226:227], v[218:219], v[144:145] op_sel_hi:[0,1,1] neg_lo:[1,0,0] neg_hi:[1,0,0]
	s_waitcnt vmcnt(4) lgkmcnt(2)
	v_pk_fma_f32 v[162:163], v[226:227], v[220:221], v[162:163] op_sel_hi:[0,1,1] neg_lo:[1,0,0] neg_hi:[1,0,0]
	;; [unrolled: 2-line block ×4, first 2 shown]
	v_mov_b32_e32 v143, v226
.LBB109_259:
	s_or_b64 exec, exec, s[2:3]
	v_cmp_eq_u32_e32 vcc, 47, v25
	s_waitcnt lgkmcnt(0)
	s_barrier
	s_and_saveexec_b64 s[2:3], vcc
	s_cbranch_execz .LBB109_262
; %bb.260:
	s_waitcnt vmcnt(4)
	v_pk_mov_b32 v[218:219], v[144:145], v[162:163] op_sel:[1,0]
	ds_write_b32 v168, v144
	ds_write2_b32 v169, v218, v219 offset0:48 offset1:49
	s_waitcnt vmcnt(2)
	v_pk_mov_b32 v[218:219], v[162:163], v[164:165] op_sel:[1,0]
	ds_write2_b32 v169, v218, v219 offset0:50 offset1:51
	s_waitcnt vmcnt(0)
	v_pk_mov_b32 v[218:219], v[164:165], v[166:167] op_sel:[1,0]
	ds_write2_b32 v169, v218, v219 offset0:52 offset1:53
	ds_write_b32 v169, v167 offset:216
	ds_read_b32 v217, v168
	s_waitcnt lgkmcnt(0)
	v_cmp_neq_f32_e32 vcc, 0, v217
	s_and_b64 exec, exec, vcc
	s_cbranch_execz .LBB109_262
; %bb.261:
	v_div_scale_f32 v218, s[4:5], v217, v217, 1.0
	v_rcp_f32_e32 v219, v218
	v_div_scale_f32 v220, vcc, 1.0, v217, 1.0
	v_fma_f32 v221, -v218, v219, 1.0
	v_fmac_f32_e32 v219, v221, v219
	v_mul_f32_e32 v221, v220, v219
	v_fma_f32 v222, -v218, v221, v220
	v_fmac_f32_e32 v221, v222, v219
	v_fma_f32 v218, -v218, v221, v220
	v_div_fmas_f32 v218, v218, v219, v221
	v_div_fixup_f32 v217, v218, v217, 1.0
	ds_write_b32 v168, v217
.LBB109_262:
	s_or_b64 exec, exec, s[2:3]
	s_waitcnt lgkmcnt(0)
	s_barrier
	ds_read_b32 v217, v168
	v_cmp_lt_u32_e32 vcc, 47, v25
	s_and_saveexec_b64 s[2:3], vcc
	s_cbranch_execz .LBB109_264
; %bb.263:
	ds_read_b32 v224, v169 offset:192
	ds_read2_b32 v[218:219], v169 offset0:49 offset1:50
	ds_read2_b32 v[220:221], v169 offset0:51 offset1:52
	;; [unrolled: 1-line block ×3, first 2 shown]
	s_waitcnt vmcnt(7) lgkmcnt(4)
	v_mul_f32_e32 v144, v217, v144
	s_waitcnt vmcnt(6) lgkmcnt(3)
	v_fma_f32 v145, -v144, v224, v145
	s_waitcnt vmcnt(4) lgkmcnt(2)
	v_pk_fma_f32 v[162:163], v[144:145], v[218:219], v[162:163] op_sel_hi:[0,1,1] neg_lo:[1,0,0] neg_hi:[1,0,0]
	s_waitcnt vmcnt(2) lgkmcnt(1)
	v_pk_fma_f32 v[164:165], v[144:145], v[220:221], v[164:165] op_sel_hi:[0,1,1] neg_lo:[1,0,0] neg_hi:[1,0,0]
	;; [unrolled: 2-line block ×3, first 2 shown]
.LBB109_264:
	s_or_b64 exec, exec, s[2:3]
	v_cmp_ne_u32_e32 vcc, 48, v25
	s_waitcnt lgkmcnt(0)
	s_barrier
	s_and_saveexec_b64 s[2:3], vcc
	s_xor_b64 s[2:3], exec, s[2:3]
	s_andn2_saveexec_b64 s[2:3], s[2:3]
	s_cbranch_execz .LBB109_268
; %bb.265:
	s_waitcnt vmcnt(6)
	ds_write_b32 v168, v145
	s_waitcnt vmcnt(4)
	ds_write2_b32 v169, v162, v163 offset0:49 offset1:50
	s_waitcnt vmcnt(2)
	ds_write2_b32 v169, v164, v165 offset0:51 offset1:52
	;; [unrolled: 2-line block ×3, first 2 shown]
	ds_read_b32 v218, v168
	s_waitcnt lgkmcnt(0)
	v_cmp_neq_f32_e32 vcc, 0, v218
	s_and_saveexec_b64 s[4:5], vcc
	s_cbranch_execz .LBB109_267
; %bb.266:
	v_div_scale_f32 v219, s[10:11], v218, v218, 1.0
	v_rcp_f32_e32 v220, v219
	v_div_scale_f32 v221, vcc, 1.0, v218, 1.0
	v_fma_f32 v222, -v219, v220, 1.0
	v_fmac_f32_e32 v220, v222, v220
	v_mul_f32_e32 v222, v221, v220
	v_fma_f32 v223, -v219, v222, v221
	v_fmac_f32_e32 v222, v223, v220
	v_fma_f32 v219, -v219, v222, v221
	v_div_fmas_f32 v219, v219, v220, v222
	v_div_fixup_f32 v218, v219, v218, 1.0
	ds_write_b32 v168, v218
.LBB109_267:
	s_or_b64 exec, exec, s[4:5]
.LBB109_268:
	s_or_b64 exec, exec, s[2:3]
	s_waitcnt lgkmcnt(0)
	s_barrier
	ds_read_b32 v218, v168
	v_cmp_lt_u32_e32 vcc, 48, v25
	s_and_saveexec_b64 s[2:3], vcc
	s_cbranch_execz .LBB109_270
; %bb.269:
	ds_read2_b32 v[220:221], v169 offset0:49 offset1:50
	ds_read2_b32 v[222:223], v169 offset0:51 offset1:52
	;; [unrolled: 1-line block ×3, first 2 shown]
	s_waitcnt vmcnt(6) lgkmcnt(3)
	v_mul_f32_e32 v226, v218, v145
	v_mov_b32_e32 v145, v226
	s_waitcnt vmcnt(4) lgkmcnt(2)
	v_pk_fma_f32 v[162:163], v[226:227], v[220:221], v[162:163] op_sel_hi:[0,1,1] neg_lo:[1,0,0] neg_hi:[1,0,0]
	s_waitcnt vmcnt(2) lgkmcnt(1)
	v_pk_fma_f32 v[164:165], v[226:227], v[222:223], v[164:165] op_sel_hi:[0,1,1] neg_lo:[1,0,0] neg_hi:[1,0,0]
	;; [unrolled: 2-line block ×3, first 2 shown]
.LBB109_270:
	s_or_b64 exec, exec, s[2:3]
	v_cmp_eq_u32_e32 vcc, 49, v25
	s_waitcnt lgkmcnt(0)
	s_barrier
	s_and_saveexec_b64 s[2:3], vcc
	s_cbranch_execz .LBB109_273
; %bb.271:
	s_waitcnt vmcnt(2)
	v_pk_mov_b32 v[220:221], v[162:163], v[164:165] op_sel:[1,0]
	ds_write_b32 v168, v162
	ds_write2_b32 v169, v220, v221 offset0:50 offset1:51
	s_waitcnt vmcnt(0)
	v_pk_mov_b32 v[220:221], v[164:165], v[166:167] op_sel:[1,0]
	ds_write2_b32 v169, v220, v221 offset0:52 offset1:53
	ds_write_b32 v169, v167 offset:216
	ds_read_b32 v219, v168
	s_waitcnt lgkmcnt(0)
	v_cmp_neq_f32_e32 vcc, 0, v219
	s_and_b64 exec, exec, vcc
	s_cbranch_execz .LBB109_273
; %bb.272:
	v_div_scale_f32 v220, s[4:5], v219, v219, 1.0
	v_rcp_f32_e32 v221, v220
	v_div_scale_f32 v222, vcc, 1.0, v219, 1.0
	v_fma_f32 v223, -v220, v221, 1.0
	v_fmac_f32_e32 v221, v223, v221
	v_mul_f32_e32 v223, v222, v221
	v_fma_f32 v224, -v220, v223, v222
	v_fmac_f32_e32 v223, v224, v221
	v_fma_f32 v220, -v220, v223, v222
	v_div_fmas_f32 v220, v220, v221, v223
	v_div_fixup_f32 v219, v220, v219, 1.0
	ds_write_b32 v168, v219
.LBB109_273:
	s_or_b64 exec, exec, s[2:3]
	s_waitcnt lgkmcnt(0)
	s_barrier
	ds_read_b32 v219, v168
	v_cmp_lt_u32_e32 vcc, 49, v25
	s_and_saveexec_b64 s[2:3], vcc
	s_cbranch_execz .LBB109_275
; %bb.274:
	ds_read_b32 v224, v169 offset:200
	ds_read2_b32 v[220:221], v169 offset0:51 offset1:52
	ds_read2_b32 v[222:223], v169 offset0:53 offset1:54
	s_waitcnt vmcnt(5) lgkmcnt(3)
	v_mul_f32_e32 v162, v219, v162
	s_waitcnt vmcnt(4) lgkmcnt(2)
	v_fma_f32 v163, -v162, v224, v163
	s_waitcnt vmcnt(2) lgkmcnt(1)
	v_pk_fma_f32 v[164:165], v[162:163], v[220:221], v[164:165] op_sel_hi:[0,1,1] neg_lo:[1,0,0] neg_hi:[1,0,0]
	s_waitcnt vmcnt(0) lgkmcnt(0)
	v_pk_fma_f32 v[166:167], v[162:163], v[222:223], v[166:167] op_sel_hi:[0,1,1] neg_lo:[1,0,0] neg_hi:[1,0,0]
.LBB109_275:
	s_or_b64 exec, exec, s[2:3]
	v_cmp_ne_u32_e32 vcc, 50, v25
	s_waitcnt lgkmcnt(0)
	s_barrier
	s_and_saveexec_b64 s[2:3], vcc
	s_xor_b64 s[2:3], exec, s[2:3]
	s_andn2_saveexec_b64 s[2:3], s[2:3]
	s_cbranch_execz .LBB109_279
; %bb.276:
	s_waitcnt vmcnt(4)
	ds_write_b32 v168, v163
	s_waitcnt vmcnt(2)
	ds_write2_b32 v169, v164, v165 offset0:51 offset1:52
	s_waitcnt vmcnt(0)
	ds_write2_b32 v169, v166, v167 offset0:53 offset1:54
	ds_read_b32 v220, v168
	s_waitcnt lgkmcnt(0)
	v_cmp_neq_f32_e32 vcc, 0, v220
	s_and_saveexec_b64 s[4:5], vcc
	s_cbranch_execz .LBB109_278
; %bb.277:
	v_div_scale_f32 v221, s[10:11], v220, v220, 1.0
	v_rcp_f32_e32 v222, v221
	v_div_scale_f32 v223, vcc, 1.0, v220, 1.0
	v_fma_f32 v224, -v221, v222, 1.0
	v_fmac_f32_e32 v222, v224, v222
	v_mul_f32_e32 v224, v223, v222
	v_fma_f32 v225, -v221, v224, v223
	v_fmac_f32_e32 v224, v225, v222
	v_fma_f32 v221, -v221, v224, v223
	v_div_fmas_f32 v221, v221, v222, v224
	v_div_fixup_f32 v220, v221, v220, 1.0
	ds_write_b32 v168, v220
.LBB109_278:
	s_or_b64 exec, exec, s[4:5]
.LBB109_279:
	s_or_b64 exec, exec, s[2:3]
	s_waitcnt lgkmcnt(0)
	s_barrier
	ds_read_b32 v220, v168
	v_cmp_lt_u32_e32 vcc, 50, v25
	s_and_saveexec_b64 s[2:3], vcc
	s_cbranch_execz .LBB109_281
; %bb.280:
	ds_read2_b32 v[222:223], v169 offset0:51 offset1:52
	ds_read2_b32 v[224:225], v169 offset0:53 offset1:54
	s_waitcnt vmcnt(4) lgkmcnt(2)
	v_mul_f32_e32 v226, v220, v163
	v_mov_b32_e32 v163, v226
	s_waitcnt vmcnt(2) lgkmcnt(1)
	v_pk_fma_f32 v[164:165], v[226:227], v[222:223], v[164:165] op_sel_hi:[0,1,1] neg_lo:[1,0,0] neg_hi:[1,0,0]
	s_waitcnt vmcnt(0) lgkmcnt(0)
	v_pk_fma_f32 v[166:167], v[226:227], v[224:225], v[166:167] op_sel_hi:[0,1,1] neg_lo:[1,0,0] neg_hi:[1,0,0]
.LBB109_281:
	s_or_b64 exec, exec, s[2:3]
	v_cmp_eq_u32_e32 vcc, 51, v25
	s_waitcnt lgkmcnt(0)
	s_barrier
	s_and_saveexec_b64 s[2:3], vcc
	s_cbranch_execz .LBB109_284
; %bb.282:
	s_waitcnt vmcnt(0)
	v_pk_mov_b32 v[222:223], v[164:165], v[166:167] op_sel:[1,0]
	ds_write_b32 v168, v164
	ds_write2_b32 v169, v222, v223 offset0:52 offset1:53
	ds_write_b32 v169, v167 offset:216
	ds_read_b32 v221, v168
	s_waitcnt lgkmcnt(0)
	v_cmp_neq_f32_e32 vcc, 0, v221
	s_and_b64 exec, exec, vcc
	s_cbranch_execz .LBB109_284
; %bb.283:
	v_div_scale_f32 v222, s[4:5], v221, v221, 1.0
	v_rcp_f32_e32 v223, v222
	v_div_scale_f32 v224, vcc, 1.0, v221, 1.0
	v_fma_f32 v225, -v222, v223, 1.0
	v_fmac_f32_e32 v223, v225, v223
	v_mul_f32_e32 v225, v224, v223
	v_fma_f32 v226, -v222, v225, v224
	v_fmac_f32_e32 v225, v226, v223
	v_fma_f32 v222, -v222, v225, v224
	v_div_fmas_f32 v222, v222, v223, v225
	v_div_fixup_f32 v221, v222, v221, 1.0
	ds_write_b32 v168, v221
.LBB109_284:
	s_or_b64 exec, exec, s[2:3]
	s_waitcnt lgkmcnt(0)
	s_barrier
	ds_read_b32 v221, v168
	v_cmp_lt_u32_e32 vcc, 51, v25
	s_and_saveexec_b64 s[2:3], vcc
	s_cbranch_execz .LBB109_286
; %bb.285:
	ds_read_b32 v224, v169 offset:208
	ds_read2_b32 v[222:223], v169 offset0:53 offset1:54
	s_waitcnt vmcnt(3) lgkmcnt(2)
	v_mul_f32_e32 v164, v221, v164
	s_waitcnt vmcnt(2) lgkmcnt(1)
	v_fma_f32 v165, -v164, v224, v165
	s_waitcnt vmcnt(0) lgkmcnt(0)
	v_pk_fma_f32 v[166:167], v[164:165], v[222:223], v[166:167] op_sel_hi:[0,1,1] neg_lo:[1,0,0] neg_hi:[1,0,0]
.LBB109_286:
	s_or_b64 exec, exec, s[2:3]
	v_cmp_ne_u32_e32 vcc, 52, v25
	s_waitcnt lgkmcnt(0)
	s_barrier
	s_and_saveexec_b64 s[2:3], vcc
	s_xor_b64 s[2:3], exec, s[2:3]
	s_andn2_saveexec_b64 s[2:3], s[2:3]
	s_cbranch_execz .LBB109_290
; %bb.287:
	s_waitcnt vmcnt(2)
	ds_write_b32 v168, v165
	s_waitcnt vmcnt(0)
	ds_write2_b32 v169, v166, v167 offset0:53 offset1:54
	ds_read_b32 v222, v168
	s_waitcnt lgkmcnt(0)
	v_cmp_neq_f32_e32 vcc, 0, v222
	s_and_saveexec_b64 s[4:5], vcc
	s_cbranch_execz .LBB109_289
; %bb.288:
	v_div_scale_f32 v223, s[10:11], v222, v222, 1.0
	v_rcp_f32_e32 v224, v223
	v_div_scale_f32 v225, vcc, 1.0, v222, 1.0
	v_fma_f32 v226, -v223, v224, 1.0
	v_fmac_f32_e32 v224, v226, v224
	v_mul_f32_e32 v226, v225, v224
	v_fma_f32 v227, -v223, v226, v225
	v_fmac_f32_e32 v226, v227, v224
	v_fma_f32 v223, -v223, v226, v225
	v_div_fmas_f32 v223, v223, v224, v226
	v_div_fixup_f32 v222, v223, v222, 1.0
	ds_write_b32 v168, v222
.LBB109_289:
	s_or_b64 exec, exec, s[4:5]
.LBB109_290:
	s_or_b64 exec, exec, s[2:3]
	s_waitcnt lgkmcnt(0)
	s_barrier
	ds_read_b32 v222, v168
	v_cmp_lt_u32_e32 vcc, 52, v25
	s_and_saveexec_b64 s[2:3], vcc
	s_cbranch_execz .LBB109_292
; %bb.291:
	ds_read2_b32 v[224:225], v169 offset0:53 offset1:54
	s_waitcnt vmcnt(2) lgkmcnt(1)
	v_mul_f32_e32 v226, v222, v165
	v_mov_b32_e32 v165, v226
	s_waitcnt vmcnt(0) lgkmcnt(0)
	v_pk_fma_f32 v[166:167], v[226:227], v[224:225], v[166:167] op_sel_hi:[0,1,1] neg_lo:[1,0,0] neg_hi:[1,0,0]
.LBB109_292:
	s_or_b64 exec, exec, s[2:3]
	v_cmp_eq_u32_e32 vcc, 53, v25
	s_waitcnt lgkmcnt(0)
	s_barrier
	s_and_saveexec_b64 s[2:3], vcc
	s_cbranch_execz .LBB109_295
; %bb.293:
	s_waitcnt vmcnt(1)
	ds_write_b32 v168, v166
	s_waitcnt vmcnt(0)
	ds_write_b32 v169, v167 offset:216
	ds_read_b32 v223, v168
	s_waitcnt lgkmcnt(0)
	v_cmp_neq_f32_e32 vcc, 0, v223
	s_and_b64 exec, exec, vcc
	s_cbranch_execz .LBB109_295
; %bb.294:
	v_div_scale_f32 v224, s[4:5], v223, v223, 1.0
	v_rcp_f32_e32 v225, v224
	v_div_scale_f32 v226, vcc, 1.0, v223, 1.0
	v_fma_f32 v227, -v224, v225, 1.0
	v_fmac_f32_e32 v225, v227, v225
	v_mul_f32_e32 v227, v226, v225
	v_fma_f32 v228, -v224, v227, v226
	v_fmac_f32_e32 v227, v228, v225
	v_fma_f32 v224, -v224, v227, v226
	v_div_fmas_f32 v224, v224, v225, v227
	v_div_fixup_f32 v223, v224, v223, 1.0
	ds_write_b32 v168, v223
.LBB109_295:
	s_or_b64 exec, exec, s[2:3]
	s_waitcnt lgkmcnt(0)
	s_barrier
	ds_read_b32 v223, v168
	v_cmp_lt_u32_e32 vcc, 53, v25
	s_and_saveexec_b64 s[2:3], vcc
	s_cbranch_execz .LBB109_297
; %bb.296:
	ds_read_b32 v169, v169 offset:216
	s_waitcnt vmcnt(1) lgkmcnt(1)
	v_mul_f32_e32 v166, v223, v166
	s_waitcnt vmcnt(0) lgkmcnt(0)
	v_fma_f32 v167, -v166, v169, v167
.LBB109_297:
	s_or_b64 exec, exec, s[2:3]
	v_cmp_ne_u32_e32 vcc, 54, v25
	s_waitcnt lgkmcnt(0)
	s_barrier
	s_and_saveexec_b64 s[2:3], vcc
	s_xor_b64 s[2:3], exec, s[2:3]
	s_andn2_saveexec_b64 s[2:3], s[2:3]
	s_cbranch_execz .LBB109_301
; %bb.298:
	s_waitcnt vmcnt(0)
	v_cmp_neq_f32_e32 vcc, 0, v167
	ds_write_b32 v168, v167
	s_and_saveexec_b64 s[4:5], vcc
	s_cbranch_execz .LBB109_300
; %bb.299:
	v_div_scale_f32 v169, s[10:11], v167, v167, 1.0
	v_rcp_f32_e32 v224, v169
	v_div_scale_f32 v225, vcc, 1.0, v167, 1.0
	v_fma_f32 v226, -v169, v224, 1.0
	v_fmac_f32_e32 v224, v226, v224
	v_mul_f32_e32 v226, v225, v224
	v_fma_f32 v227, -v169, v226, v225
	v_fmac_f32_e32 v226, v227, v224
	v_fma_f32 v169, -v169, v226, v225
	v_div_fmas_f32 v169, v169, v224, v226
	v_div_fixup_f32 v169, v169, v167, 1.0
	ds_write_b32 v168, v169
.LBB109_300:
	s_or_b64 exec, exec, s[4:5]
.LBB109_301:
	s_or_b64 exec, exec, s[2:3]
	s_waitcnt lgkmcnt(0)
	s_barrier
	ds_read_b32 v168, v168
	s_waitcnt lgkmcnt(0)
	s_barrier
	s_and_saveexec_b64 s[2:3], s[0:1]
	s_cbranch_execz .LBB109_304
; %bb.302:
	v_cmp_eq_f32_e32 vcc, 0, v170
	v_cmp_neq_f32_e64 s[0:1], 0, v171
	v_mov_b32_e32 v170, s6
	v_cndmask_b32_e64 v169, 0, 1, vcc
	s_or_b64 vcc, s[0:1], vcc
	v_cndmask_b32_e32 v169, 2, v169, vcc
	v_cmp_eq_f32_e32 vcc, 0, v172
	v_cmp_eq_u32_e64 s[0:1], 0, v169
	s_and_b64 s[0:1], vcc, s[0:1]
	v_cmp_eq_f32_e32 vcc, 0, v173
	v_cndmask_b32_e64 v169, v169, 3, s[0:1]
	v_cmp_eq_u32_e64 s[0:1], 0, v169
	s_and_b64 s[0:1], vcc, s[0:1]
	v_cmp_eq_f32_e32 vcc, 0, v174
	v_cndmask_b32_e64 v169, v169, 4, s[0:1]
	;; [unrolled: 4-line block ×25, first 2 shown]
	v_cmp_eq_u32_e64 s[0:1], 0, v169
	s_and_b64 s[0:1], vcc, s[0:1]
	v_mov_b32_e32 v171, s7
	v_cndmask_b32_e64 v169, v169, 28, s[0:1]
	v_cmp_eq_f32_e32 vcc, 0, v198
	v_cmp_eq_u32_e64 s[0:1], 0, v169
	v_lshl_add_u64 v[34:35], v[34:35], 2, v[170:171]
	s_and_b64 s[0:1], vcc, s[0:1]
	global_load_dword v170, v[34:35], off
	v_cndmask_b32_e64 v169, v169, 29, s[0:1]
	v_cmp_eq_f32_e32 vcc, 0, v199
	v_cmp_eq_u32_e64 s[0:1], 0, v169
	s_and_b64 s[0:1], vcc, s[0:1]
	v_cmp_eq_f32_e32 vcc, 0, v200
	v_cndmask_b32_e64 v169, v169, 30, s[0:1]
	v_cmp_eq_u32_e64 s[0:1], 0, v169
	s_and_b64 s[0:1], vcc, s[0:1]
	v_cmp_eq_f32_e32 vcc, 0, v201
	v_cndmask_b32_e64 v169, v169, 31, s[0:1]
	;; [unrolled: 4-line block ×25, first 2 shown]
	v_cmp_eq_u32_e64 s[0:1], 0, v169
	s_and_b64 s[0:1], vcc, s[0:1]
	s_waitcnt vmcnt(0)
	v_cmp_eq_u32_e32 vcc, 0, v170
	v_cndmask_b32_e64 v169, v169, 55, s[0:1]
	v_cmp_ne_u32_e64 s[0:1], 0, v169
	s_and_b64 s[0:1], vcc, s[0:1]
	s_and_b64 exec, exec, s[0:1]
	s_cbranch_execz .LBB109_304
; %bb.303:
	v_add_u32_e32 v169, s9, v169
	global_store_dword v[34:35], v169, off
.LBB109_304:
	s_or_b64 exec, exec, s[2:3]
	s_waitcnt vmcnt(0)
	v_mul_f32_e32 v34, v168, v167
	v_cmp_lt_u32_e32 vcc, 54, v25
	s_nop 1
	v_cndmask_b32_e32 v25, v167, v34, vcc
	global_store_dword v[0:1], v24, off
	global_store_dword v[2:3], v18, off
	;; [unrolled: 1-line block ×55, first 2 shown]
.LBB109_305:
	s_endpgm
	.section	.rodata,"a",@progbits
	.p2align	6, 0x0
	.amdhsa_kernel _ZN9rocsolver6v33100L23getf2_npvt_small_kernelILi55EfiiPfEEvT1_T3_lS3_lPT2_S3_S3_
		.amdhsa_group_segment_fixed_size 0
		.amdhsa_private_segment_fixed_size 0
		.amdhsa_kernarg_size 312
		.amdhsa_user_sgpr_count 2
		.amdhsa_user_sgpr_dispatch_ptr 0
		.amdhsa_user_sgpr_queue_ptr 0
		.amdhsa_user_sgpr_kernarg_segment_ptr 1
		.amdhsa_user_sgpr_dispatch_id 0
		.amdhsa_user_sgpr_kernarg_preload_length 0
		.amdhsa_user_sgpr_kernarg_preload_offset 0
		.amdhsa_user_sgpr_private_segment_size 0
		.amdhsa_uses_dynamic_stack 0
		.amdhsa_enable_private_segment 0
		.amdhsa_system_sgpr_workgroup_id_x 1
		.amdhsa_system_sgpr_workgroup_id_y 1
		.amdhsa_system_sgpr_workgroup_id_z 0
		.amdhsa_system_sgpr_workgroup_info 0
		.amdhsa_system_vgpr_workitem_id 1
		.amdhsa_next_free_vgpr 229
		.amdhsa_next_free_sgpr 16
		.amdhsa_accum_offset 232
		.amdhsa_reserve_vcc 1
		.amdhsa_float_round_mode_32 0
		.amdhsa_float_round_mode_16_64 0
		.amdhsa_float_denorm_mode_32 3
		.amdhsa_float_denorm_mode_16_64 3
		.amdhsa_dx10_clamp 1
		.amdhsa_ieee_mode 1
		.amdhsa_fp16_overflow 0
		.amdhsa_tg_split 0
		.amdhsa_exception_fp_ieee_invalid_op 0
		.amdhsa_exception_fp_denorm_src 0
		.amdhsa_exception_fp_ieee_div_zero 0
		.amdhsa_exception_fp_ieee_overflow 0
		.amdhsa_exception_fp_ieee_underflow 0
		.amdhsa_exception_fp_ieee_inexact 0
		.amdhsa_exception_int_div_zero 0
	.end_amdhsa_kernel
	.section	.text._ZN9rocsolver6v33100L23getf2_npvt_small_kernelILi55EfiiPfEEvT1_T3_lS3_lPT2_S3_S3_,"axG",@progbits,_ZN9rocsolver6v33100L23getf2_npvt_small_kernelILi55EfiiPfEEvT1_T3_lS3_lPT2_S3_S3_,comdat
.Lfunc_end109:
	.size	_ZN9rocsolver6v33100L23getf2_npvt_small_kernelILi55EfiiPfEEvT1_T3_lS3_lPT2_S3_S3_, .Lfunc_end109-_ZN9rocsolver6v33100L23getf2_npvt_small_kernelILi55EfiiPfEEvT1_T3_lS3_lPT2_S3_S3_
                                        ; -- End function
	.set _ZN9rocsolver6v33100L23getf2_npvt_small_kernelILi55EfiiPfEEvT1_T3_lS3_lPT2_S3_S3_.num_vgpr, 229
	.set _ZN9rocsolver6v33100L23getf2_npvt_small_kernelILi55EfiiPfEEvT1_T3_lS3_lPT2_S3_S3_.num_agpr, 0
	.set _ZN9rocsolver6v33100L23getf2_npvt_small_kernelILi55EfiiPfEEvT1_T3_lS3_lPT2_S3_S3_.numbered_sgpr, 16
	.set _ZN9rocsolver6v33100L23getf2_npvt_small_kernelILi55EfiiPfEEvT1_T3_lS3_lPT2_S3_S3_.num_named_barrier, 0
	.set _ZN9rocsolver6v33100L23getf2_npvt_small_kernelILi55EfiiPfEEvT1_T3_lS3_lPT2_S3_S3_.private_seg_size, 0
	.set _ZN9rocsolver6v33100L23getf2_npvt_small_kernelILi55EfiiPfEEvT1_T3_lS3_lPT2_S3_S3_.uses_vcc, 1
	.set _ZN9rocsolver6v33100L23getf2_npvt_small_kernelILi55EfiiPfEEvT1_T3_lS3_lPT2_S3_S3_.uses_flat_scratch, 0
	.set _ZN9rocsolver6v33100L23getf2_npvt_small_kernelILi55EfiiPfEEvT1_T3_lS3_lPT2_S3_S3_.has_dyn_sized_stack, 0
	.set _ZN9rocsolver6v33100L23getf2_npvt_small_kernelILi55EfiiPfEEvT1_T3_lS3_lPT2_S3_S3_.has_recursion, 0
	.set _ZN9rocsolver6v33100L23getf2_npvt_small_kernelILi55EfiiPfEEvT1_T3_lS3_lPT2_S3_S3_.has_indirect_call, 0
	.section	.AMDGPU.csdata,"",@progbits
; Kernel info:
; codeLenInByte = 40432
; TotalNumSgprs: 22
; NumVgprs: 229
; NumAgprs: 0
; TotalNumVgprs: 229
; ScratchSize: 0
; MemoryBound: 0
; FloatMode: 240
; IeeeMode: 1
; LDSByteSize: 0 bytes/workgroup (compile time only)
; SGPRBlocks: 2
; VGPRBlocks: 28
; NumSGPRsForWavesPerEU: 22
; NumVGPRsForWavesPerEU: 229
; AccumOffset: 232
; Occupancy: 2
; WaveLimiterHint : 0
; COMPUTE_PGM_RSRC2:SCRATCH_EN: 0
; COMPUTE_PGM_RSRC2:USER_SGPR: 2
; COMPUTE_PGM_RSRC2:TRAP_HANDLER: 0
; COMPUTE_PGM_RSRC2:TGID_X_EN: 1
; COMPUTE_PGM_RSRC2:TGID_Y_EN: 1
; COMPUTE_PGM_RSRC2:TGID_Z_EN: 0
; COMPUTE_PGM_RSRC2:TIDIG_COMP_CNT: 1
; COMPUTE_PGM_RSRC3_GFX90A:ACCUM_OFFSET: 57
; COMPUTE_PGM_RSRC3_GFX90A:TG_SPLIT: 0
	.section	.text._ZN9rocsolver6v33100L18getf2_small_kernelILi56EfiiPfEEvT1_T3_lS3_lPS3_llPT2_S3_S3_S5_l,"axG",@progbits,_ZN9rocsolver6v33100L18getf2_small_kernelILi56EfiiPfEEvT1_T3_lS3_lPS3_llPT2_S3_S3_S5_l,comdat
	.globl	_ZN9rocsolver6v33100L18getf2_small_kernelILi56EfiiPfEEvT1_T3_lS3_lPS3_llPT2_S3_S3_S5_l ; -- Begin function _ZN9rocsolver6v33100L18getf2_small_kernelILi56EfiiPfEEvT1_T3_lS3_lPS3_llPT2_S3_S3_S5_l
	.p2align	8
	.type	_ZN9rocsolver6v33100L18getf2_small_kernelILi56EfiiPfEEvT1_T3_lS3_lPS3_llPT2_S3_S3_S5_l,@function
_ZN9rocsolver6v33100L18getf2_small_kernelILi56EfiiPfEEvT1_T3_lS3_lPS3_llPT2_S3_S3_S5_l: ; @_ZN9rocsolver6v33100L18getf2_small_kernelILi56EfiiPfEEvT1_T3_lS3_lPS3_llPT2_S3_S3_S5_l
; %bb.0:
	s_load_dword s2, s[0:1], 0x6c
	s_load_dwordx2 s[18:19], s[0:1], 0x48
	v_bfe_u32 v61, v0, 10, 10
	s_waitcnt lgkmcnt(0)
	s_lshr_b32 s2, s2, 16
	s_mul_i32 s3, s3, s2
	v_add_u32_e32 v2, s3, v61
	v_cmp_gt_i32_e32 vcc, s18, v2
	s_and_saveexec_b64 s[2:3], vcc
	s_cbranch_execz .LBB110_949
; %bb.1:
	s_load_dwordx4 s[4:7], s[0:1], 0x50
	v_ashrrev_i32_e32 v3, 31, v2
	v_mov_b64_e32 v[4:5], 0
	s_waitcnt lgkmcnt(0)
	s_cmp_eq_u64 s[4:5], 0
	s_cselect_b64 s[20:21], -1, 0
	s_and_b64 vcc, exec, s[20:21]
	s_cbranch_vccnz .LBB110_3
; %bb.2:
	v_mul_lo_u32 v1, s7, v2
	v_mul_lo_u32 v6, s6, v3
	v_mad_u64_u32 v[4:5], s[2:3], s6, v2, 0
	v_add3_u32 v5, v5, v6, v1
	v_lshl_add_u64 v[4:5], v[4:5], 2, s[4:5]
.LBB110_3:
	s_load_dwordx4 s[12:15], s[0:1], 0x8
	s_load_dwordx8 s[4:11], s[0:1], 0x20
	s_load_dword s16, s[0:1], 0x18
	s_load_dword s22, s[0:1], 0x0
	v_and_b32_e32 v63, 0x3ff, v0
	s_waitcnt lgkmcnt(0)
	v_mov_b32_e32 v6, s12
	v_mul_lo_u32 v1, s5, v2
	v_mul_lo_u32 v10, s4, v3
	v_mad_u64_u32 v[8:9], s[2:3], s4, v2, 0
	v_mov_b32_e32 v7, s13
	v_add3_u32 v9, v9, v10, v1
	s_add_i32 s18, s16, s16
	v_lshl_add_u64 v[6:7], v[8:9], 2, v[6:7]
	v_add_u32_e32 v0, s18, v63
	v_lshl_add_u64 v[6:7], s[14:15], 2, v[6:7]
	v_ashrrev_i32_e32 v1, 31, v0
	v_lshl_add_u64 v[64:65], v[0:1], 2, v[6:7]
	v_add_u32_e32 v0, s16, v0
	v_ashrrev_i32_e32 v1, 31, v0
	v_lshl_add_u64 v[66:67], v[0:1], 2, v[6:7]
	v_add_u32_e32 v0, s16, v0
	;; [unrolled: 3-line block ×14, first 2 shown]
	v_ashrrev_i32_e32 v1, 31, v0
	global_load_dword v52, v[8:9], off
	global_load_dword v53, v[10:11], off
	global_load_dword v48, v[12:13], off
	global_load_dword v49, v[14:15], off
	global_load_dword v42, v[16:17], off
	global_load_dword v43, v[18:19], off
	global_load_dword v34, v[20:21], off
	global_load_dword v35, v[22:23], off
	v_lshl_add_u64 v[8:9], v[0:1], 2, v[6:7]
	v_add_u32_e32 v0, s16, v0
	v_ashrrev_i32_e32 v1, 31, v0
	v_lshl_add_u64 v[10:11], v[0:1], 2, v[6:7]
	v_add_u32_e32 v0, s16, v0
	v_ashrrev_i32_e32 v1, 31, v0
	v_lshl_add_u64 v[12:13], v[0:1], 2, v[6:7]
	v_add_u32_e32 v0, s16, v0
	v_ashrrev_i32_e32 v1, 31, v0
	v_lshl_add_u64 v[14:15], v[0:1], 2, v[6:7]
	v_add_u32_e32 v0, s16, v0
	v_ashrrev_i32_e32 v1, 31, v0
	v_lshl_add_u64 v[16:17], v[0:1], 2, v[6:7]
	v_add_u32_e32 v0, s16, v0
	v_ashrrev_i32_e32 v1, 31, v0
	v_lshl_add_u64 v[18:19], v[0:1], 2, v[6:7]
	v_add_u32_e32 v0, s16, v0
	v_ashrrev_i32_e32 v1, 31, v0
	v_lshl_add_u64 v[20:21], v[0:1], 2, v[6:7]
	v_add_u32_e32 v0, s16, v0
	v_ashrrev_i32_e32 v1, 31, v0
	v_lshl_add_u64 v[22:23], v[0:1], 2, v[6:7]
	v_add_u32_e32 v0, s16, v0
	v_ashrrev_i32_e32 v1, 31, v0
	global_load_dword v50, v[8:9], off
	global_load_dword v51, v[10:11], off
	global_load_dword v44, v[12:13], off
	global_load_dword v45, v[14:15], off
	global_load_dword v36, v[16:17], off
	global_load_dword v37, v[18:19], off
	global_load_dword v26, v[20:21], off
	global_load_dword v27, v[22:23], off
	v_lshl_add_u64 v[8:9], v[0:1], 2, v[6:7]
	v_add_u32_e32 v0, s16, v0
	v_ashrrev_i32_e32 v1, 31, v0
	v_lshl_add_u64 v[10:11], v[0:1], 2, v[6:7]
	v_add_u32_e32 v0, s16, v0
	v_ashrrev_i32_e32 v1, 31, v0
	v_lshl_add_u64 v[12:13], v[0:1], 2, v[6:7]
	v_add_u32_e32 v0, s16, v0
	v_ashrrev_i32_e32 v1, 31, v0
	v_lshl_add_u64 v[14:15], v[0:1], 2, v[6:7]
	v_add_u32_e32 v0, s16, v0
	v_ashrrev_i32_e32 v1, 31, v0
	v_lshl_add_u64 v[16:17], v[0:1], 2, v[6:7]
	v_add_u32_e32 v0, s16, v0
	v_ashrrev_i32_e32 v1, 31, v0
	v_lshl_add_u64 v[18:19], v[0:1], 2, v[6:7]
	v_add_u32_e32 v0, s16, v0
	v_ashrrev_i32_e32 v1, 31, v0
	v_lshl_add_u64 v[22:23], v[0:1], 2, v[6:7]
	v_add_u32_e32 v0, s16, v0
	v_ashrrev_i32_e32 v1, 31, v0
	v_lshl_add_u64 v[24:25], v[0:1], 2, v[6:7]
	v_add_u32_e32 v0, s16, v0
	;; [unrolled: 32-line block ×3, first 2 shown]
	v_ashrrev_i32_e32 v1, 31, v0
	global_load_dword v40, v[8:9], off
	global_load_dword v41, v[10:11], off
	;; [unrolled: 1-line block ×8, first 2 shown]
	v_lshl_add_u64 v[8:9], v[0:1], 2, v[6:7]
	v_add_u32_e32 v0, s16, v0
	v_ashrrev_i32_e32 v1, 31, v0
	v_lshl_add_u64 v[10:11], v[0:1], 2, v[6:7]
	v_add_u32_e32 v0, s16, v0
	v_ashrrev_i32_e32 v1, 31, v0
	v_lshl_add_u64 v[14:15], v[0:1], 2, v[6:7]
	v_add_u32_e32 v0, s16, v0
	v_ashrrev_i32_e32 v1, 31, v0
	v_lshl_add_u64 v[16:17], v[0:1], 2, v[6:7]
	v_add_u32_e32 v0, s16, v0
	v_ashrrev_i32_e32 v1, 31, v0
	v_lshl_add_u64 v[54:55], v[0:1], 2, v[6:7]
	v_add_u32_e32 v0, s16, v0
	v_ashrrev_i32_e32 v1, 31, v0
	v_lshl_add_u64 v[56:57], v[0:1], 2, v[6:7]
	v_add_u32_e32 v0, s16, v0
	v_add_u32_e32 v74, s16, v0
	v_ashrrev_i32_e32 v1, 31, v0
	v_ashrrev_i32_e32 v75, 31, v74
	v_lshl_add_u64 v[58:59], v[0:1], 2, v[6:7]
	v_lshl_add_u64 v[78:79], v[74:75], 2, v[6:7]
	global_load_dword v32, v[8:9], off
	global_load_dword v33, v[10:11], off
	;; [unrolled: 1-line block ×8, first 2 shown]
	v_add_u32_e32 v8, s16, v74
	v_ashrrev_i32_e32 v9, 31, v8
	v_lshl_add_u64 v[10:11], v[8:9], 2, v[6:7]
	v_add_u32_e32 v8, s16, v8
	v_ashrrev_i32_e32 v9, 31, v8
	v_lshl_add_u64 v[16:17], v[8:9], 2, v[6:7]
	v_add_u32_e32 v8, s16, v8
	v_add_u32_e32 v56, s16, v8
	v_ashrrev_i32_e32 v9, 31, v8
	v_ashrrev_i32_e32 v57, 31, v56
	v_lshl_add_u64 v[54:55], v[8:9], 2, v[6:7]
	v_lshl_add_u64 v[58:59], v[56:57], 2, v[6:7]
	global_load_dword v14, v[10:11], off
	global_load_dword v15, v[16:17], off
	;; [unrolled: 1-line block ×4, first 2 shown]
	v_add_u32_e32 v10, s16, v56
	v_ashrrev_i32_e32 v11, 31, v10
	v_lshl_add_u64 v[54:55], v[10:11], 2, v[6:7]
	v_add_u32_e32 v10, s16, v10
	v_ashrrev_i32_e32 v11, 31, v10
	v_lshl_add_u64 v[56:57], v[10:11], 2, v[6:7]
	;; [unrolled: 3-line block ×3, first 2 shown]
	v_add_u32_e32 v10, s16, v10
	v_ashrrev_i32_e32 v11, 31, v10
	v_lshlrev_b32_e32 v74, 2, v63
	v_mov_b32_e32 v75, 0
	v_lshl_add_u64 v[78:79], v[10:11], 2, v[6:7]
	v_lshl_add_u64 v[80:81], v[6:7], 0, v[74:75]
	s_ashr_i32 s17, s16, 31
	global_load_dword v60, v[80:81], off
	global_load_dword v16, v[54:55], off
	;; [unrolled: 1-line block ×4, first 2 shown]
                                        ; kill: killed $vgpr54_vgpr55
                                        ; kill: killed $vgpr56_vgpr57
                                        ; kill: killed $vgpr58_vgpr59
	global_load_dword v11, v[78:79], off
	v_lshl_add_u64 v[78:79], s[16:17], 2, v[80:81]
	global_load_dword v58, v[64:65], off
	global_load_dword v59, v[66:67], off
	;; [unrolled: 1-line block ×7, first 2 shown]
	s_max_i32 s2, s22, 56
	v_mul_lo_u32 v65, s2, v61
	v_lshl_add_u32 v61, v65, 2, 0
	v_add_u32_e32 v64, v61, v74
	s_load_dwordx2 s[4:5], s[0:1], 0x40
	s_cmp_lt_i32 s22, 2
	v_lshlrev_b32_e32 v66, 2, v65
	s_waitcnt vmcnt(11)
	ds_write_b32 v64, v60
	s_waitcnt lgkmcnt(0)
	s_barrier
	ds_read_b32 v64, v61
	s_cbranch_scc1 .LBB110_6
; %bb.4:
	v_add3_u32 v65, v66, 0, 4
	v_mov_b32_e32 v75, 0
	s_mov_b32 s0, 1
.LBB110_5:                              ; =>This Inner Loop Header: Depth=1
	ds_read_b32 v67, v65
	v_mov_b32_e32 v68, s0
	s_add_i32 s0, s0, 1
	v_add_u32_e32 v65, 4, v65
	s_cmp_eq_u32 s22, s0
	s_waitcnt lgkmcnt(0)
	v_cmp_lt_f32_e64 vcc, |v64|, |v67|
	s_nop 1
	v_cndmask_b32_e32 v64, v64, v67, vcc
	v_cndmask_b32_e32 v75, v75, v68, vcc
	s_cbranch_scc0 .LBB110_5
.LBB110_6:
	v_cmp_ne_u32_e32 vcc, v63, v75
                                        ; implicit-def: $vgpr67
	s_and_saveexec_b64 s[0:1], vcc
	s_xor_b64 s[0:1], exec, s[0:1]
	s_cbranch_execz .LBB110_12
; %bb.7:
	v_cmp_eq_u32_e32 vcc, 0, v63
	s_and_saveexec_b64 s[2:3], vcc
	s_cbranch_execz .LBB110_11
; %bb.8:
	v_cmp_ne_u32_e32 vcc, 0, v75
	s_xor_b64 s[12:13], s[20:21], -1
	s_and_b64 s[14:15], s[12:13], vcc
	s_and_saveexec_b64 s[12:13], s[14:15]
	s_cbranch_execz .LBB110_10
; %bb.9:
	v_ashrrev_i32_e32 v69, 31, v75
	v_mov_b32_e32 v68, v75
	v_lshl_add_u64 v[68:69], v[68:69], 2, v[4:5]
	global_load_dword v63, v[68:69], off
	global_load_dword v65, v[4:5], off
	s_waitcnt vmcnt(1)
	global_store_dword v[4:5], v63, off
	s_waitcnt vmcnt(1)
	global_store_dword v[68:69], v65, off
.LBB110_10:
	s_or_b64 exec, exec, s[12:13]
	v_mov_b32_e32 v63, v75
.LBB110_11:
	s_or_b64 exec, exec, s[2:3]
	v_mov_b32_e32 v67, v63
                                        ; implicit-def: $vgpr63
.LBB110_12:
	s_or_saveexec_b64 s[0:1], s[0:1]
	v_mov_b32_e32 v65, v67
	s_xor_b64 exec, exec, s[0:1]
	s_cbranch_execz .LBB110_14
; %bb.13:
	v_mov_b32_e32 v67, 0
	v_mov_b32_e32 v65, v63
	s_waitcnt vmcnt(0)
	ds_write2_b32 v61, v62, v58 offset0:1 offset1:2
	ds_write2_b32 v61, v59, v56 offset0:3 offset1:4
	;; [unrolled: 1-line block ×27, first 2 shown]
	ds_write_b32 v61, v11 offset:220
.LBB110_14:
	s_or_b64 exec, exec, s[0:1]
	s_waitcnt lgkmcnt(0)
	v_cmp_eq_f32_e64 s[0:1], 0, v64
	v_cmp_lt_i32_e32 vcc, 0, v67
	s_barrier
	s_and_saveexec_b64 s[2:3], vcc
	s_cbranch_execz .LBB110_16
; %bb.15:
	v_div_scale_f32 v63, s[12:13], v64, v64, 1.0
	v_rcp_f32_e32 v68, v63
	v_div_scale_f32 v69, vcc, 1.0, v64, 1.0
	v_fma_f32 v70, -v63, v68, 1.0
	v_fmac_f32_e32 v68, v70, v68
	v_mul_f32_e32 v70, v69, v68
	v_fma_f32 v71, -v63, v70, v69
	v_fmac_f32_e32 v70, v71, v68
	v_fma_f32 v63, -v63, v70, v69
	v_div_fmas_f32 v63, v63, v68, v70
	v_div_fixup_f32 v63, v63, v64, 1.0
	v_cndmask_b32_e64 v63, v63, v64, s[0:1]
	ds_read_b32 v64, v61 offset:4
	ds_read2_b32 v[68:69], v61 offset0:2 offset1:3
	ds_read2_b32 v[70:71], v61 offset0:4 offset1:5
	v_mul_f32_e32 v60, v63, v60
	ds_read2_b32 v[72:73], v61 offset0:6 offset1:7
	s_waitcnt vmcnt(0) lgkmcnt(3)
	v_fma_f32 v62, -v60, v64, v62
	s_waitcnt lgkmcnt(2)
	v_pk_fma_f32 v[58:59], v[60:61], v[68:69], v[58:59] op_sel_hi:[0,1,1] neg_lo:[1,0,0] neg_hi:[1,0,0]
	s_waitcnt lgkmcnt(1)
	v_pk_fma_f32 v[56:57], v[60:61], v[70:71], v[56:57] op_sel_hi:[0,1,1] neg_lo:[1,0,0] neg_hi:[1,0,0]
	ds_read2_b32 v[68:69], v61 offset0:8 offset1:9
	ds_read2_b32 v[70:71], v61 offset0:10 offset1:11
	ds_read2_b32 v[74:75], v61 offset0:12 offset1:13
	s_waitcnt lgkmcnt(3)
	v_pk_fma_f32 v[54:55], v[60:61], v[72:73], v[54:55] op_sel_hi:[0,1,1] neg_lo:[1,0,0] neg_hi:[1,0,0]
	ds_read2_b32 v[72:73], v61 offset0:14 offset1:15
	s_waitcnt lgkmcnt(3)
	v_pk_fma_f32 v[52:53], v[60:61], v[68:69], v[52:53] op_sel_hi:[0,1,1] neg_lo:[1,0,0] neg_hi:[1,0,0]
	s_waitcnt lgkmcnt(2)
	v_pk_fma_f32 v[48:49], v[60:61], v[70:71], v[48:49] op_sel_hi:[0,1,1] neg_lo:[1,0,0] neg_hi:[1,0,0]
	s_waitcnt lgkmcnt(1)
	v_pk_fma_f32 v[42:43], v[60:61], v[74:75], v[42:43] op_sel_hi:[0,1,1] neg_lo:[1,0,0] neg_hi:[1,0,0]
	ds_read2_b32 v[68:69], v61 offset0:16 offset1:17
	ds_read2_b32 v[70:71], v61 offset0:18 offset1:19
	ds_read2_b32 v[74:75], v61 offset0:20 offset1:21
	s_waitcnt lgkmcnt(3)
	v_pk_fma_f32 v[34:35], v[60:61], v[72:73], v[34:35] op_sel_hi:[0,1,1] neg_lo:[1,0,0] neg_hi:[1,0,0]
	ds_read2_b32 v[72:73], v61 offset0:22 offset1:23
	s_waitcnt lgkmcnt(3)
	v_pk_fma_f32 v[50:51], v[60:61], v[68:69], v[50:51] op_sel_hi:[0,1,1] neg_lo:[1,0,0] neg_hi:[1,0,0]
	;; [unrolled: 12-line block ×5, first 2 shown]
	s_waitcnt lgkmcnt(2)
	v_pk_fma_f32 v[24:25], v[60:61], v[70:71], v[24:25] op_sel_hi:[0,1,1] neg_lo:[1,0,0] neg_hi:[1,0,0]
	s_waitcnt lgkmcnt(1)
	v_pk_fma_f32 v[18:19], v[60:61], v[74:75], v[18:19] op_sel_hi:[0,1,1] neg_lo:[1,0,0] neg_hi:[1,0,0]
	ds_read2_b32 v[68:69], v61 offset0:48 offset1:49
	ds_read2_b32 v[70:71], v61 offset0:50 offset1:51
	;; [unrolled: 1-line block ×4, first 2 shown]
	s_waitcnt lgkmcnt(4)
	v_pk_fma_f32 v[0:1], v[60:61], v[72:73], v[0:1] op_sel_hi:[0,1,1] neg_lo:[1,0,0] neg_hi:[1,0,0]
	s_waitcnt lgkmcnt(3)
	v_pk_fma_f32 v[14:15], v[60:61], v[68:69], v[14:15] op_sel_hi:[0,1,1] neg_lo:[1,0,0] neg_hi:[1,0,0]
	;; [unrolled: 2-line block ×5, first 2 shown]
.LBB110_16:
	s_or_b64 exec, exec, s[2:3]
	v_lshl_add_u32 v63, v67, 2, v61
	s_barrier
	s_waitcnt vmcnt(0)
	ds_write_b32 v63, v62
	s_waitcnt lgkmcnt(0)
	s_barrier
	ds_read_b32 v63, v61 offset:4
	s_mov_b32 s2, 2
	s_cmp_lt_i32 s22, 3
	v_mov_b32_e32 v64, 1
	s_cbranch_scc1 .LBB110_19
; %bb.17:
	v_add3_u32 v68, v66, 0, 8
	v_mov_b32_e32 v64, 1
.LBB110_18:                             ; =>This Inner Loop Header: Depth=1
	ds_read_b32 v69, v68
	v_mov_b32_e32 v70, s2
	s_add_i32 s2, s2, 1
	v_add_u32_e32 v68, 4, v68
	s_cmp_lg_u32 s22, s2
	s_waitcnt lgkmcnt(0)
	v_cmp_lt_f32_e64 vcc, |v63|, |v69|
	s_nop 1
	v_cndmask_b32_e32 v63, v63, v69, vcc
	v_cndmask_b32_e32 v64, v64, v70, vcc
	s_cbranch_scc1 .LBB110_18
.LBB110_19:
	v_cmp_ne_u32_e32 vcc, v67, v64
	s_and_saveexec_b64 s[2:3], vcc
	s_xor_b64 s[2:3], exec, s[2:3]
	s_cbranch_execz .LBB110_25
; %bb.20:
	v_cmp_eq_u32_e32 vcc, 1, v67
	s_and_saveexec_b64 s[12:13], vcc
	s_cbranch_execz .LBB110_24
; %bb.21:
	v_cmp_ne_u32_e32 vcc, 1, v64
	s_xor_b64 s[14:15], s[20:21], -1
	s_and_b64 s[24:25], s[14:15], vcc
	s_and_saveexec_b64 s[14:15], s[24:25]
	s_cbranch_execz .LBB110_23
; %bb.22:
	v_ashrrev_i32_e32 v65, 31, v64
	v_lshl_add_u64 v[68:69], v[64:65], 2, v[4:5]
	global_load_dword v65, v[68:69], off
	global_load_dword v67, v[4:5], off offset:4
	s_waitcnt vmcnt(1)
	global_store_dword v[4:5], v65, off offset:4
	s_waitcnt vmcnt(1)
	global_store_dword v[68:69], v67, off
.LBB110_23:
	s_or_b64 exec, exec, s[14:15]
	v_mov_b32_e32 v65, v64
	v_mov_b32_e32 v67, v64
.LBB110_24:
	s_or_b64 exec, exec, s[12:13]
.LBB110_25:
	s_andn2_saveexec_b64 s[2:3], s[2:3]
	s_cbranch_execz .LBB110_27
; %bb.26:
	v_mov_b32_e32 v67, 1
	ds_write2_b32 v61, v58, v59 offset0:2 offset1:3
	ds_write2_b32 v61, v56, v57 offset0:4 offset1:5
	;; [unrolled: 1-line block ×27, first 2 shown]
.LBB110_27:
	s_or_b64 exec, exec, s[2:3]
	s_waitcnt lgkmcnt(0)
	v_cmp_neq_f32_e64 s[2:3], 0, v63
	v_cmp_lt_i32_e32 vcc, 1, v67
	s_barrier
	s_and_saveexec_b64 s[12:13], vcc
	s_cbranch_execz .LBB110_29
; %bb.28:
	v_div_scale_f32 v64, s[14:15], v63, v63, 1.0
	v_rcp_f32_e32 v68, v64
	v_div_scale_f32 v69, vcc, 1.0, v63, 1.0
	v_fma_f32 v70, -v64, v68, 1.0
	v_fmac_f32_e32 v68, v70, v68
	v_mul_f32_e32 v70, v69, v68
	v_fma_f32 v71, -v64, v70, v69
	v_fmac_f32_e32 v70, v71, v68
	v_fma_f32 v64, -v64, v70, v69
	v_div_fmas_f32 v64, v64, v68, v70
	ds_read2_b32 v[68:69], v61 offset0:2 offset1:3
	ds_read2_b32 v[70:71], v61 offset0:4 offset1:5
	;; [unrolled: 1-line block ×3, first 2 shown]
	v_div_fixup_f32 v64, v64, v63, 1.0
	v_cndmask_b32_e64 v63, v63, v64, s[2:3]
	v_mul_f32_e32 v62, v63, v62
	ds_read2_b32 v[74:75], v61 offset0:8 offset1:9
	s_waitcnt lgkmcnt(3)
	v_pk_fma_f32 v[58:59], v[62:63], v[68:69], v[58:59] op_sel_hi:[0,1,1] neg_lo:[1,0,0] neg_hi:[1,0,0]
	s_waitcnt lgkmcnt(2)
	v_pk_fma_f32 v[56:57], v[62:63], v[70:71], v[56:57] op_sel_hi:[0,1,1] neg_lo:[1,0,0] neg_hi:[1,0,0]
	s_waitcnt lgkmcnt(1)
	v_pk_fma_f32 v[54:55], v[62:63], v[72:73], v[54:55] op_sel_hi:[0,1,1] neg_lo:[1,0,0] neg_hi:[1,0,0]
	ds_read2_b32 v[68:69], v61 offset0:10 offset1:11
	ds_read2_b32 v[70:71], v61 offset0:12 offset1:13
	ds_read2_b32 v[72:73], v61 offset0:14 offset1:15
	s_waitcnt lgkmcnt(3)
	v_pk_fma_f32 v[52:53], v[62:63], v[74:75], v[52:53] op_sel_hi:[0,1,1] neg_lo:[1,0,0] neg_hi:[1,0,0]
	ds_read2_b32 v[74:75], v61 offset0:16 offset1:17
	s_waitcnt lgkmcnt(3)
	v_pk_fma_f32 v[48:49], v[62:63], v[68:69], v[48:49] op_sel_hi:[0,1,1] neg_lo:[1,0,0] neg_hi:[1,0,0]
	s_waitcnt lgkmcnt(2)
	v_pk_fma_f32 v[42:43], v[62:63], v[70:71], v[42:43] op_sel_hi:[0,1,1] neg_lo:[1,0,0] neg_hi:[1,0,0]
	s_waitcnt lgkmcnt(1)
	v_pk_fma_f32 v[34:35], v[62:63], v[72:73], v[34:35] op_sel_hi:[0,1,1] neg_lo:[1,0,0] neg_hi:[1,0,0]
	ds_read2_b32 v[68:69], v61 offset0:18 offset1:19
	ds_read2_b32 v[70:71], v61 offset0:20 offset1:21
	ds_read2_b32 v[72:73], v61 offset0:22 offset1:23
	s_waitcnt lgkmcnt(3)
	v_pk_fma_f32 v[50:51], v[62:63], v[74:75], v[50:51] op_sel_hi:[0,1,1] neg_lo:[1,0,0] neg_hi:[1,0,0]
	;; [unrolled: 12-line block ×4, first 2 shown]
	ds_read2_b32 v[74:75], v61 offset0:40 offset1:41
	s_waitcnt lgkmcnt(3)
	v_pk_fma_f32 v[30:31], v[62:63], v[68:69], v[30:31] op_sel_hi:[0,1,1] neg_lo:[1,0,0] neg_hi:[1,0,0]
	s_waitcnt lgkmcnt(2)
	v_pk_fma_f32 v[22:23], v[62:63], v[70:71], v[22:23] op_sel_hi:[0,1,1] neg_lo:[1,0,0] neg_hi:[1,0,0]
	ds_read2_b32 v[68:69], v61 offset0:42 offset1:43
	ds_read2_b32 v[70:71], v61 offset0:44 offset1:45
	s_waitcnt lgkmcnt(3)
	v_pk_fma_f32 v[12:13], v[62:63], v[72:73], v[12:13] op_sel_hi:[0,1,1] neg_lo:[1,0,0] neg_hi:[1,0,0]
	s_waitcnt lgkmcnt(2)
	v_pk_fma_f32 v[32:33], v[62:63], v[74:75], v[32:33] op_sel_hi:[0,1,1] neg_lo:[1,0,0] neg_hi:[1,0,0]
	ds_read2_b32 v[72:73], v61 offset0:46 offset1:47
	;; [unrolled: 6-line block ×3, first 2 shown]
	ds_read2_b32 v[70:71], v61 offset0:52 offset1:53
	ds_read2_b32 v[76:77], v61 offset0:54 offset1:55
	s_waitcnt lgkmcnt(4)
	v_pk_fma_f32 v[0:1], v[62:63], v[72:73], v[0:1] op_sel_hi:[0,1,1] neg_lo:[1,0,0] neg_hi:[1,0,0]
	s_waitcnt lgkmcnt(3)
	v_pk_fma_f32 v[14:15], v[62:63], v[74:75], v[14:15] op_sel_hi:[0,1,1] neg_lo:[1,0,0] neg_hi:[1,0,0]
	;; [unrolled: 2-line block ×5, first 2 shown]
.LBB110_29:
	s_or_b64 exec, exec, s[12:13]
	v_lshl_add_u32 v63, v67, 2, v61
	s_barrier
	ds_write_b32 v63, v58
	s_waitcnt lgkmcnt(0)
	s_barrier
	ds_read_b32 v68, v61 offset:8
	s_cmp_lt_i32 s22, 4
	v_mov_b32_e32 v64, 2
	s_cbranch_scc1 .LBB110_32
; %bb.30:
	v_mov_b32_e32 v64, 2
	v_add3_u32 v63, v66, 0, 12
	s_mov_b32 s12, 3
.LBB110_31:                             ; =>This Inner Loop Header: Depth=1
	ds_read_b32 v69, v63
	v_mov_b32_e32 v70, s12
	s_add_i32 s12, s12, 1
	v_add_u32_e32 v63, 4, v63
	s_cmp_lg_u32 s22, s12
	s_waitcnt lgkmcnt(0)
	v_cmp_lt_f32_e64 vcc, |v68|, |v69|
	s_nop 1
	v_cndmask_b32_e32 v68, v68, v69, vcc
	v_cndmask_b32_e32 v64, v64, v70, vcc
	s_cbranch_scc1 .LBB110_31
.LBB110_32:
	v_cndmask_b32_e64 v63, 2, 1, s[0:1]
	v_cndmask_b32_e64 v69, 0, 1, s[0:1]
	;; [unrolled: 1-line block ×3, first 2 shown]
	s_waitcnt lgkmcnt(0)
	v_cmp_eq_f32_e32 vcc, 0, v68
	s_and_saveexec_b64 s[0:1], vcc
	s_xor_b64 s[0:1], exec, s[0:1]
; %bb.33:
	v_cmp_ne_u32_e32 vcc, 0, v63
	s_nop 1
	v_cndmask_b32_e32 v63, 3, v63, vcc
; %bb.34:
	s_andn2_saveexec_b64 s[0:1], s[0:1]
	s_cbranch_execz .LBB110_36
; %bb.35:
	v_div_scale_f32 v69, s[2:3], v68, v68, 1.0
	v_rcp_f32_e32 v70, v69
	v_div_scale_f32 v71, vcc, 1.0, v68, 1.0
	v_fma_f32 v72, -v69, v70, 1.0
	v_fmac_f32_e32 v70, v72, v70
	v_mul_f32_e32 v72, v71, v70
	v_fma_f32 v73, -v69, v72, v71
	v_fmac_f32_e32 v72, v73, v70
	v_fma_f32 v69, -v69, v72, v71
	v_div_fmas_f32 v69, v69, v70, v72
	v_div_fixup_f32 v68, v69, v68, 1.0
.LBB110_36:
	s_or_b64 exec, exec, s[0:1]
	v_cmp_ne_u32_e32 vcc, v67, v64
	s_and_saveexec_b64 s[0:1], vcc
	s_xor_b64 s[0:1], exec, s[0:1]
	s_cbranch_execz .LBB110_42
; %bb.37:
	v_cmp_eq_u32_e32 vcc, 2, v67
	s_and_saveexec_b64 s[2:3], vcc
	s_cbranch_execz .LBB110_41
; %bb.38:
	v_cmp_ne_u32_e32 vcc, 2, v64
	s_xor_b64 s[12:13], s[20:21], -1
	s_and_b64 s[14:15], s[12:13], vcc
	s_and_saveexec_b64 s[12:13], s[14:15]
	s_cbranch_execz .LBB110_40
; %bb.39:
	v_ashrrev_i32_e32 v65, 31, v64
	v_lshl_add_u64 v[70:71], v[64:65], 2, v[4:5]
	global_load_dword v65, v[70:71], off
	global_load_dword v67, v[4:5], off offset:8
	s_waitcnt vmcnt(1)
	global_store_dword v[4:5], v65, off offset:8
	s_waitcnt vmcnt(1)
	global_store_dword v[70:71], v67, off
.LBB110_40:
	s_or_b64 exec, exec, s[12:13]
	v_mov_b32_e32 v65, v64
	v_mov_b32_e32 v67, v64
.LBB110_41:
	s_or_b64 exec, exec, s[2:3]
.LBB110_42:
	s_andn2_saveexec_b64 s[0:1], s[0:1]
	s_cbranch_execz .LBB110_44
; %bb.43:
	v_pk_mov_b32 v[70:71], v[58:59], v[56:57] op_sel:[1,0]
	ds_write2_b32 v61, v70, v71 offset0:3 offset1:4
	v_pk_mov_b32 v[70:71], v[56:57], v[54:55] op_sel:[1,0]
	ds_write2_b32 v61, v70, v71 offset0:5 offset1:6
	;; [unrolled: 2-line block ×25, first 2 shown]
	v_pk_mov_b32 v[70:71], v[16:17], v[10:11] op_sel:[1,0]
	v_mov_b32_e32 v67, 2
	ds_write2_b32 v61, v70, v71 offset0:53 offset1:54
	ds_write_b32 v61, v11 offset:220
.LBB110_44:
	s_or_b64 exec, exec, s[0:1]
	v_cmp_lt_i32_e32 vcc, 2, v67
	s_waitcnt lgkmcnt(0)
	s_barrier
	s_and_saveexec_b64 s[0:1], vcc
	s_cbranch_execz .LBB110_46
; %bb.45:
	ds_read_b32 v64, v61 offset:12
	ds_read2_b32 v[70:71], v61 offset0:4 offset1:5
	ds_read2_b32 v[72:73], v61 offset0:6 offset1:7
	v_mul_f32_e32 v58, v68, v58
	ds_read2_b32 v[68:69], v61 offset0:8 offset1:9
	s_waitcnt lgkmcnt(3)
	v_fma_f32 v59, -v58, v64, v59
	s_waitcnt lgkmcnt(2)
	v_pk_fma_f32 v[56:57], v[58:59], v[70:71], v[56:57] op_sel_hi:[0,1,1] neg_lo:[1,0,0] neg_hi:[1,0,0]
	s_waitcnt lgkmcnt(1)
	v_pk_fma_f32 v[54:55], v[58:59], v[72:73], v[54:55] op_sel_hi:[0,1,1] neg_lo:[1,0,0] neg_hi:[1,0,0]
	ds_read2_b32 v[70:71], v61 offset0:10 offset1:11
	ds_read2_b32 v[72:73], v61 offset0:12 offset1:13
	ds_read2_b32 v[74:75], v61 offset0:14 offset1:15
	s_waitcnt lgkmcnt(3)
	v_pk_fma_f32 v[52:53], v[58:59], v[68:69], v[52:53] op_sel_hi:[0,1,1] neg_lo:[1,0,0] neg_hi:[1,0,0]
	ds_read2_b32 v[68:69], v61 offset0:16 offset1:17
	s_waitcnt lgkmcnt(3)
	v_pk_fma_f32 v[48:49], v[58:59], v[70:71], v[48:49] op_sel_hi:[0,1,1] neg_lo:[1,0,0] neg_hi:[1,0,0]
	s_waitcnt lgkmcnt(2)
	v_pk_fma_f32 v[42:43], v[58:59], v[72:73], v[42:43] op_sel_hi:[0,1,1] neg_lo:[1,0,0] neg_hi:[1,0,0]
	s_waitcnt lgkmcnt(1)
	v_pk_fma_f32 v[34:35], v[58:59], v[74:75], v[34:35] op_sel_hi:[0,1,1] neg_lo:[1,0,0] neg_hi:[1,0,0]
	ds_read2_b32 v[70:71], v61 offset0:18 offset1:19
	ds_read2_b32 v[72:73], v61 offset0:20 offset1:21
	ds_read2_b32 v[74:75], v61 offset0:22 offset1:23
	s_waitcnt lgkmcnt(3)
	v_pk_fma_f32 v[50:51], v[58:59], v[68:69], v[50:51] op_sel_hi:[0,1,1] neg_lo:[1,0,0] neg_hi:[1,0,0]
	ds_read2_b32 v[68:69], v61 offset0:24 offset1:25
	s_waitcnt lgkmcnt(3)
	v_pk_fma_f32 v[44:45], v[58:59], v[70:71], v[44:45] op_sel_hi:[0,1,1] neg_lo:[1,0,0] neg_hi:[1,0,0]
	;; [unrolled: 12-line block ×4, first 2 shown]
	s_waitcnt lgkmcnt(2)
	v_pk_fma_f32 v[22:23], v[58:59], v[72:73], v[22:23] op_sel_hi:[0,1,1] neg_lo:[1,0,0] neg_hi:[1,0,0]
	ds_read2_b32 v[70:71], v61 offset0:42 offset1:43
	ds_read2_b32 v[72:73], v61 offset0:44 offset1:45
	s_waitcnt lgkmcnt(3)
	v_pk_fma_f32 v[12:13], v[58:59], v[74:75], v[12:13] op_sel_hi:[0,1,1] neg_lo:[1,0,0] neg_hi:[1,0,0]
	s_waitcnt lgkmcnt(2)
	v_pk_fma_f32 v[32:33], v[58:59], v[68:69], v[32:33] op_sel_hi:[0,1,1] neg_lo:[1,0,0] neg_hi:[1,0,0]
	ds_read2_b32 v[68:69], v61 offset0:46 offset1:47
	ds_read2_b32 v[74:75], v61 offset0:48 offset1:49
	s_waitcnt lgkmcnt(3)
	v_pk_fma_f32 v[24:25], v[58:59], v[70:71], v[24:25] op_sel_hi:[0,1,1] neg_lo:[1,0,0] neg_hi:[1,0,0]
	s_waitcnt lgkmcnt(2)
	v_pk_fma_f32 v[18:19], v[58:59], v[72:73], v[18:19] op_sel_hi:[0,1,1] neg_lo:[1,0,0] neg_hi:[1,0,0]
	ds_read2_b32 v[70:71], v61 offset0:50 offset1:51
	ds_read2_b32 v[72:73], v61 offset0:52 offset1:53
	ds_read2_b32 v[76:77], v61 offset0:54 offset1:55
	s_waitcnt lgkmcnt(4)
	v_pk_fma_f32 v[0:1], v[58:59], v[68:69], v[0:1] op_sel_hi:[0,1,1] neg_lo:[1,0,0] neg_hi:[1,0,0]
	s_waitcnt lgkmcnt(3)
	v_pk_fma_f32 v[14:15], v[58:59], v[74:75], v[14:15] op_sel_hi:[0,1,1] neg_lo:[1,0,0] neg_hi:[1,0,0]
	s_waitcnt lgkmcnt(2)
	v_pk_fma_f32 v[8:9], v[58:59], v[70:71], v[8:9] op_sel_hi:[0,1,1] neg_lo:[1,0,0] neg_hi:[1,0,0]
	s_waitcnt lgkmcnt(1)
	v_pk_fma_f32 v[16:17], v[58:59], v[72:73], v[16:17] op_sel_hi:[0,1,1] neg_lo:[1,0,0] neg_hi:[1,0,0]
	s_waitcnt lgkmcnt(0)
	v_pk_fma_f32 v[10:11], v[58:59], v[76:77], v[10:11] op_sel_hi:[0,1,1] neg_lo:[1,0,0] neg_hi:[1,0,0]
.LBB110_46:
	s_or_b64 exec, exec, s[0:1]
	v_lshl_add_u32 v64, v67, 2, v61
	s_barrier
	ds_write_b32 v64, v59
	s_waitcnt lgkmcnt(0)
	s_barrier
	ds_read_b32 v68, v61 offset:12
	s_cmp_lt_i32 s22, 5
	v_mov_b32_e32 v64, 3
	s_cbranch_scc1 .LBB110_49
; %bb.47:
	v_add3_u32 v69, v66, 0, 16
	v_mov_b32_e32 v64, 3
	s_mov_b32 s0, 4
.LBB110_48:                             ; =>This Inner Loop Header: Depth=1
	ds_read_b32 v70, v69
	v_mov_b32_e32 v71, s0
	s_add_i32 s0, s0, 1
	v_add_u32_e32 v69, 4, v69
	s_cmp_lg_u32 s22, s0
	s_waitcnt lgkmcnt(0)
	v_cmp_lt_f32_e64 vcc, |v68|, |v70|
	s_nop 1
	v_cndmask_b32_e32 v68, v68, v70, vcc
	v_cndmask_b32_e32 v64, v64, v71, vcc
	s_cbranch_scc1 .LBB110_48
.LBB110_49:
	s_waitcnt lgkmcnt(0)
	v_cmp_eq_f32_e32 vcc, 0, v68
	s_and_saveexec_b64 s[0:1], vcc
	s_xor_b64 s[0:1], exec, s[0:1]
; %bb.50:
	v_cmp_ne_u32_e32 vcc, 0, v63
	s_nop 1
	v_cndmask_b32_e32 v63, 4, v63, vcc
; %bb.51:
	s_andn2_saveexec_b64 s[0:1], s[0:1]
	s_cbranch_execz .LBB110_53
; %bb.52:
	v_div_scale_f32 v69, s[2:3], v68, v68, 1.0
	v_rcp_f32_e32 v70, v69
	v_div_scale_f32 v71, vcc, 1.0, v68, 1.0
	v_fma_f32 v72, -v69, v70, 1.0
	v_fmac_f32_e32 v70, v72, v70
	v_mul_f32_e32 v72, v71, v70
	v_fma_f32 v73, -v69, v72, v71
	v_fmac_f32_e32 v72, v73, v70
	v_fma_f32 v69, -v69, v72, v71
	v_div_fmas_f32 v69, v69, v70, v72
	v_div_fixup_f32 v68, v69, v68, 1.0
.LBB110_53:
	s_or_b64 exec, exec, s[0:1]
	v_cmp_ne_u32_e32 vcc, v67, v64
	s_and_saveexec_b64 s[0:1], vcc
	s_xor_b64 s[0:1], exec, s[0:1]
	s_cbranch_execz .LBB110_59
; %bb.54:
	v_cmp_eq_u32_e32 vcc, 3, v67
	s_and_saveexec_b64 s[2:3], vcc
	s_cbranch_execz .LBB110_58
; %bb.55:
	v_cmp_ne_u32_e32 vcc, 3, v64
	s_xor_b64 s[12:13], s[20:21], -1
	s_and_b64 s[14:15], s[12:13], vcc
	s_and_saveexec_b64 s[12:13], s[14:15]
	s_cbranch_execz .LBB110_57
; %bb.56:
	v_ashrrev_i32_e32 v65, 31, v64
	v_lshl_add_u64 v[70:71], v[64:65], 2, v[4:5]
	global_load_dword v65, v[70:71], off
	global_load_dword v67, v[4:5], off offset:12
	s_waitcnt vmcnt(1)
	global_store_dword v[4:5], v65, off offset:12
	s_waitcnt vmcnt(1)
	global_store_dword v[70:71], v67, off
.LBB110_57:
	s_or_b64 exec, exec, s[12:13]
	v_mov_b32_e32 v65, v64
	v_mov_b32_e32 v67, v64
.LBB110_58:
	s_or_b64 exec, exec, s[2:3]
.LBB110_59:
	s_andn2_saveexec_b64 s[0:1], s[0:1]
	s_cbranch_execz .LBB110_61
; %bb.60:
	v_mov_b32_e32 v67, 3
	ds_write2_b32 v61, v56, v57 offset0:4 offset1:5
	ds_write2_b32 v61, v54, v55 offset0:6 offset1:7
	;; [unrolled: 1-line block ×26, first 2 shown]
.LBB110_61:
	s_or_b64 exec, exec, s[0:1]
	v_cmp_lt_i32_e32 vcc, 3, v67
	s_waitcnt lgkmcnt(0)
	s_barrier
	s_and_saveexec_b64 s[0:1], vcc
	s_cbranch_execz .LBB110_63
; %bb.62:
	ds_read2_b32 v[70:71], v61 offset0:4 offset1:5
	ds_read2_b32 v[72:73], v61 offset0:6 offset1:7
	;; [unrolled: 1-line block ×3, first 2 shown]
	v_mul_f32_e32 v64, v68, v59
	ds_read2_b32 v[68:69], v61 offset0:10 offset1:11
	s_waitcnt lgkmcnt(3)
	v_pk_fma_f32 v[56:57], v[64:65], v[70:71], v[56:57] op_sel_hi:[0,1,1] neg_lo:[1,0,0] neg_hi:[1,0,0]
	s_waitcnt lgkmcnt(2)
	v_pk_fma_f32 v[54:55], v[64:65], v[72:73], v[54:55] op_sel_hi:[0,1,1] neg_lo:[1,0,0] neg_hi:[1,0,0]
	s_waitcnt lgkmcnt(1)
	v_pk_fma_f32 v[52:53], v[64:65], v[74:75], v[52:53] op_sel_hi:[0,1,1] neg_lo:[1,0,0] neg_hi:[1,0,0]
	ds_read2_b32 v[70:71], v61 offset0:12 offset1:13
	ds_read2_b32 v[72:73], v61 offset0:14 offset1:15
	ds_read2_b32 v[74:75], v61 offset0:16 offset1:17
	s_waitcnt lgkmcnt(3)
	v_pk_fma_f32 v[48:49], v[64:65], v[68:69], v[48:49] op_sel_hi:[0,1,1] neg_lo:[1,0,0] neg_hi:[1,0,0]
	ds_read2_b32 v[68:69], v61 offset0:18 offset1:19
	s_waitcnt lgkmcnt(3)
	v_pk_fma_f32 v[42:43], v[64:65], v[70:71], v[42:43] op_sel_hi:[0,1,1] neg_lo:[1,0,0] neg_hi:[1,0,0]
	s_waitcnt lgkmcnt(2)
	v_pk_fma_f32 v[34:35], v[64:65], v[72:73], v[34:35] op_sel_hi:[0,1,1] neg_lo:[1,0,0] neg_hi:[1,0,0]
	s_waitcnt lgkmcnt(1)
	v_pk_fma_f32 v[50:51], v[64:65], v[74:75], v[50:51] op_sel_hi:[0,1,1] neg_lo:[1,0,0] neg_hi:[1,0,0]
	ds_read2_b32 v[70:71], v61 offset0:20 offset1:21
	ds_read2_b32 v[72:73], v61 offset0:22 offset1:23
	ds_read2_b32 v[74:75], v61 offset0:24 offset1:25
	s_waitcnt lgkmcnt(3)
	v_pk_fma_f32 v[44:45], v[64:65], v[68:69], v[44:45] op_sel_hi:[0,1,1] neg_lo:[1,0,0] neg_hi:[1,0,0]
	;; [unrolled: 12-line block ×4, first 2 shown]
	ds_read2_b32 v[68:69], v61 offset0:42 offset1:43
	s_waitcnt lgkmcnt(3)
	v_pk_fma_f32 v[22:23], v[64:65], v[70:71], v[22:23] op_sel_hi:[0,1,1] neg_lo:[1,0,0] neg_hi:[1,0,0]
	ds_read2_b32 v[70:71], v61 offset0:44 offset1:45
	s_waitcnt lgkmcnt(3)
	v_pk_fma_f32 v[12:13], v[64:65], v[72:73], v[12:13] op_sel_hi:[0,1,1] neg_lo:[1,0,0] neg_hi:[1,0,0]
	s_waitcnt lgkmcnt(2)
	v_pk_fma_f32 v[32:33], v[64:65], v[74:75], v[32:33] op_sel_hi:[0,1,1] neg_lo:[1,0,0] neg_hi:[1,0,0]
	;; [unrolled: 2-line block ×3, first 2 shown]
	ds_read2_b32 v[68:69], v61 offset0:46 offset1:47
	ds_read2_b32 v[72:73], v61 offset0:48 offset1:49
	;; [unrolled: 1-line block ×3, first 2 shown]
	s_waitcnt lgkmcnt(3)
	v_pk_fma_f32 v[18:19], v[64:65], v[70:71], v[18:19] op_sel_hi:[0,1,1] neg_lo:[1,0,0] neg_hi:[1,0,0]
	ds_read2_b32 v[70:71], v61 offset0:52 offset1:53
	ds_read2_b32 v[76:77], v61 offset0:54 offset1:55
	s_waitcnt lgkmcnt(4)
	v_pk_fma_f32 v[0:1], v[64:65], v[68:69], v[0:1] op_sel_hi:[0,1,1] neg_lo:[1,0,0] neg_hi:[1,0,0]
	s_waitcnt lgkmcnt(3)
	v_pk_fma_f32 v[14:15], v[64:65], v[72:73], v[14:15] op_sel_hi:[0,1,1] neg_lo:[1,0,0] neg_hi:[1,0,0]
	;; [unrolled: 2-line block ×5, first 2 shown]
	v_mov_b32_e32 v59, v64
.LBB110_63:
	s_or_b64 exec, exec, s[0:1]
	v_lshl_add_u32 v64, v67, 2, v61
	s_barrier
	ds_write_b32 v64, v56
	s_waitcnt lgkmcnt(0)
	s_barrier
	ds_read_b32 v68, v61 offset:16
	s_cmp_lt_i32 s22, 6
	v_mov_b32_e32 v64, 4
	s_cbranch_scc1 .LBB110_66
; %bb.64:
	v_add3_u32 v69, v66, 0, 20
	v_mov_b32_e32 v64, 4
	s_mov_b32 s0, 5
.LBB110_65:                             ; =>This Inner Loop Header: Depth=1
	ds_read_b32 v70, v69
	v_mov_b32_e32 v71, s0
	s_add_i32 s0, s0, 1
	v_add_u32_e32 v69, 4, v69
	s_cmp_lg_u32 s22, s0
	s_waitcnt lgkmcnt(0)
	v_cmp_lt_f32_e64 vcc, |v68|, |v70|
	s_nop 1
	v_cndmask_b32_e32 v68, v68, v70, vcc
	v_cndmask_b32_e32 v64, v64, v71, vcc
	s_cbranch_scc1 .LBB110_65
.LBB110_66:
	s_waitcnt lgkmcnt(0)
	v_cmp_eq_f32_e32 vcc, 0, v68
	s_and_saveexec_b64 s[0:1], vcc
	s_xor_b64 s[0:1], exec, s[0:1]
; %bb.67:
	v_cmp_ne_u32_e32 vcc, 0, v63
	s_nop 1
	v_cndmask_b32_e32 v63, 5, v63, vcc
; %bb.68:
	s_andn2_saveexec_b64 s[0:1], s[0:1]
	s_cbranch_execz .LBB110_70
; %bb.69:
	v_div_scale_f32 v69, s[2:3], v68, v68, 1.0
	v_rcp_f32_e32 v70, v69
	v_div_scale_f32 v71, vcc, 1.0, v68, 1.0
	v_fma_f32 v72, -v69, v70, 1.0
	v_fmac_f32_e32 v70, v72, v70
	v_mul_f32_e32 v72, v71, v70
	v_fma_f32 v73, -v69, v72, v71
	v_fmac_f32_e32 v72, v73, v70
	v_fma_f32 v69, -v69, v72, v71
	v_div_fmas_f32 v69, v69, v70, v72
	v_div_fixup_f32 v68, v69, v68, 1.0
.LBB110_70:
	s_or_b64 exec, exec, s[0:1]
	v_cmp_ne_u32_e32 vcc, v67, v64
	s_and_saveexec_b64 s[0:1], vcc
	s_xor_b64 s[0:1], exec, s[0:1]
	s_cbranch_execz .LBB110_76
; %bb.71:
	v_cmp_eq_u32_e32 vcc, 4, v67
	s_and_saveexec_b64 s[2:3], vcc
	s_cbranch_execz .LBB110_75
; %bb.72:
	v_cmp_ne_u32_e32 vcc, 4, v64
	s_xor_b64 s[12:13], s[20:21], -1
	s_and_b64 s[14:15], s[12:13], vcc
	s_and_saveexec_b64 s[12:13], s[14:15]
	s_cbranch_execz .LBB110_74
; %bb.73:
	v_ashrrev_i32_e32 v65, 31, v64
	v_lshl_add_u64 v[70:71], v[64:65], 2, v[4:5]
	global_load_dword v65, v[70:71], off
	global_load_dword v67, v[4:5], off offset:16
	s_waitcnt vmcnt(1)
	global_store_dword v[4:5], v65, off offset:16
	s_waitcnt vmcnt(1)
	global_store_dword v[70:71], v67, off
.LBB110_74:
	s_or_b64 exec, exec, s[12:13]
	v_mov_b32_e32 v65, v64
	v_mov_b32_e32 v67, v64
.LBB110_75:
	s_or_b64 exec, exec, s[2:3]
.LBB110_76:
	s_andn2_saveexec_b64 s[0:1], s[0:1]
	s_cbranch_execz .LBB110_78
; %bb.77:
	v_pk_mov_b32 v[70:71], v[56:57], v[54:55] op_sel:[1,0]
	ds_write2_b32 v61, v70, v71 offset0:5 offset1:6
	v_pk_mov_b32 v[70:71], v[54:55], v[52:53] op_sel:[1,0]
	ds_write2_b32 v61, v70, v71 offset0:7 offset1:8
	;; [unrolled: 2-line block ×24, first 2 shown]
	v_pk_mov_b32 v[70:71], v[16:17], v[10:11] op_sel:[1,0]
	v_mov_b32_e32 v67, 4
	ds_write2_b32 v61, v70, v71 offset0:53 offset1:54
	ds_write_b32 v61, v11 offset:220
.LBB110_78:
	s_or_b64 exec, exec, s[0:1]
	v_cmp_lt_i32_e32 vcc, 4, v67
	s_waitcnt lgkmcnt(0)
	s_barrier
	s_and_saveexec_b64 s[0:1], vcc
	s_cbranch_execz .LBB110_80
; %bb.79:
	ds_read_b32 v64, v61 offset:20
	ds_read2_b32 v[70:71], v61 offset0:6 offset1:7
	ds_read2_b32 v[72:73], v61 offset0:8 offset1:9
	v_mul_f32_e32 v56, v68, v56
	ds_read2_b32 v[68:69], v61 offset0:10 offset1:11
	s_waitcnt lgkmcnt(3)
	v_fma_f32 v57, -v56, v64, v57
	s_waitcnt lgkmcnt(2)
	v_pk_fma_f32 v[54:55], v[56:57], v[70:71], v[54:55] op_sel_hi:[0,1,1] neg_lo:[1,0,0] neg_hi:[1,0,0]
	s_waitcnt lgkmcnt(1)
	v_pk_fma_f32 v[52:53], v[56:57], v[72:73], v[52:53] op_sel_hi:[0,1,1] neg_lo:[1,0,0] neg_hi:[1,0,0]
	ds_read2_b32 v[70:71], v61 offset0:12 offset1:13
	ds_read2_b32 v[72:73], v61 offset0:14 offset1:15
	ds_read2_b32 v[74:75], v61 offset0:16 offset1:17
	s_waitcnt lgkmcnt(3)
	v_pk_fma_f32 v[48:49], v[56:57], v[68:69], v[48:49] op_sel_hi:[0,1,1] neg_lo:[1,0,0] neg_hi:[1,0,0]
	ds_read2_b32 v[68:69], v61 offset0:18 offset1:19
	s_waitcnt lgkmcnt(3)
	v_pk_fma_f32 v[42:43], v[56:57], v[70:71], v[42:43] op_sel_hi:[0,1,1] neg_lo:[1,0,0] neg_hi:[1,0,0]
	s_waitcnt lgkmcnt(2)
	v_pk_fma_f32 v[34:35], v[56:57], v[72:73], v[34:35] op_sel_hi:[0,1,1] neg_lo:[1,0,0] neg_hi:[1,0,0]
	s_waitcnt lgkmcnt(1)
	v_pk_fma_f32 v[50:51], v[56:57], v[74:75], v[50:51] op_sel_hi:[0,1,1] neg_lo:[1,0,0] neg_hi:[1,0,0]
	ds_read2_b32 v[70:71], v61 offset0:20 offset1:21
	ds_read2_b32 v[72:73], v61 offset0:22 offset1:23
	ds_read2_b32 v[74:75], v61 offset0:24 offset1:25
	s_waitcnt lgkmcnt(3)
	v_pk_fma_f32 v[44:45], v[56:57], v[68:69], v[44:45] op_sel_hi:[0,1,1] neg_lo:[1,0,0] neg_hi:[1,0,0]
	ds_read2_b32 v[68:69], v61 offset0:26 offset1:27
	s_waitcnt lgkmcnt(3)
	v_pk_fma_f32 v[36:37], v[56:57], v[70:71], v[36:37] op_sel_hi:[0,1,1] neg_lo:[1,0,0] neg_hi:[1,0,0]
	;; [unrolled: 12-line block ×4, first 2 shown]
	ds_read2_b32 v[70:71], v61 offset0:44 offset1:45
	s_waitcnt lgkmcnt(3)
	v_pk_fma_f32 v[12:13], v[56:57], v[72:73], v[12:13] op_sel_hi:[0,1,1] neg_lo:[1,0,0] neg_hi:[1,0,0]
	s_waitcnt lgkmcnt(2)
	v_pk_fma_f32 v[32:33], v[56:57], v[74:75], v[32:33] op_sel_hi:[0,1,1] neg_lo:[1,0,0] neg_hi:[1,0,0]
	;; [unrolled: 2-line block ×3, first 2 shown]
	ds_read2_b32 v[68:69], v61 offset0:46 offset1:47
	ds_read2_b32 v[72:73], v61 offset0:48 offset1:49
	;; [unrolled: 1-line block ×3, first 2 shown]
	s_waitcnt lgkmcnt(3)
	v_pk_fma_f32 v[18:19], v[56:57], v[70:71], v[18:19] op_sel_hi:[0,1,1] neg_lo:[1,0,0] neg_hi:[1,0,0]
	ds_read2_b32 v[70:71], v61 offset0:52 offset1:53
	ds_read2_b32 v[76:77], v61 offset0:54 offset1:55
	s_waitcnt lgkmcnt(4)
	v_pk_fma_f32 v[0:1], v[56:57], v[68:69], v[0:1] op_sel_hi:[0,1,1] neg_lo:[1,0,0] neg_hi:[1,0,0]
	s_waitcnt lgkmcnt(3)
	v_pk_fma_f32 v[14:15], v[56:57], v[72:73], v[14:15] op_sel_hi:[0,1,1] neg_lo:[1,0,0] neg_hi:[1,0,0]
	;; [unrolled: 2-line block ×5, first 2 shown]
.LBB110_80:
	s_or_b64 exec, exec, s[0:1]
	v_lshl_add_u32 v64, v67, 2, v61
	s_barrier
	ds_write_b32 v64, v57
	s_waitcnt lgkmcnt(0)
	s_barrier
	ds_read_b32 v68, v61 offset:20
	s_cmp_lt_i32 s22, 7
	v_mov_b32_e32 v64, 5
	s_cbranch_scc1 .LBB110_83
; %bb.81:
	v_add3_u32 v69, v66, 0, 24
	v_mov_b32_e32 v64, 5
	s_mov_b32 s0, 6
.LBB110_82:                             ; =>This Inner Loop Header: Depth=1
	ds_read_b32 v70, v69
	v_mov_b32_e32 v71, s0
	s_add_i32 s0, s0, 1
	v_add_u32_e32 v69, 4, v69
	s_cmp_lg_u32 s22, s0
	s_waitcnt lgkmcnt(0)
	v_cmp_lt_f32_e64 vcc, |v68|, |v70|
	s_nop 1
	v_cndmask_b32_e32 v68, v68, v70, vcc
	v_cndmask_b32_e32 v64, v64, v71, vcc
	s_cbranch_scc1 .LBB110_82
.LBB110_83:
	s_waitcnt lgkmcnt(0)
	v_cmp_eq_f32_e32 vcc, 0, v68
	s_and_saveexec_b64 s[0:1], vcc
	s_xor_b64 s[0:1], exec, s[0:1]
; %bb.84:
	v_cmp_ne_u32_e32 vcc, 0, v63
	s_nop 1
	v_cndmask_b32_e32 v63, 6, v63, vcc
; %bb.85:
	s_andn2_saveexec_b64 s[0:1], s[0:1]
	s_cbranch_execz .LBB110_87
; %bb.86:
	v_div_scale_f32 v69, s[2:3], v68, v68, 1.0
	v_rcp_f32_e32 v70, v69
	v_div_scale_f32 v71, vcc, 1.0, v68, 1.0
	v_fma_f32 v72, -v69, v70, 1.0
	v_fmac_f32_e32 v70, v72, v70
	v_mul_f32_e32 v72, v71, v70
	v_fma_f32 v73, -v69, v72, v71
	v_fmac_f32_e32 v72, v73, v70
	v_fma_f32 v69, -v69, v72, v71
	v_div_fmas_f32 v69, v69, v70, v72
	v_div_fixup_f32 v68, v69, v68, 1.0
.LBB110_87:
	s_or_b64 exec, exec, s[0:1]
	v_cmp_ne_u32_e32 vcc, v67, v64
	s_and_saveexec_b64 s[0:1], vcc
	s_xor_b64 s[0:1], exec, s[0:1]
	s_cbranch_execz .LBB110_93
; %bb.88:
	v_cmp_eq_u32_e32 vcc, 5, v67
	s_and_saveexec_b64 s[2:3], vcc
	s_cbranch_execz .LBB110_92
; %bb.89:
	v_cmp_ne_u32_e32 vcc, 5, v64
	s_xor_b64 s[12:13], s[20:21], -1
	s_and_b64 s[14:15], s[12:13], vcc
	s_and_saveexec_b64 s[12:13], s[14:15]
	s_cbranch_execz .LBB110_91
; %bb.90:
	v_ashrrev_i32_e32 v65, 31, v64
	v_lshl_add_u64 v[70:71], v[64:65], 2, v[4:5]
	global_load_dword v65, v[70:71], off
	global_load_dword v67, v[4:5], off offset:20
	s_waitcnt vmcnt(1)
	global_store_dword v[4:5], v65, off offset:20
	s_waitcnt vmcnt(1)
	global_store_dword v[70:71], v67, off
.LBB110_91:
	s_or_b64 exec, exec, s[12:13]
	v_mov_b32_e32 v65, v64
	v_mov_b32_e32 v67, v64
.LBB110_92:
	s_or_b64 exec, exec, s[2:3]
.LBB110_93:
	s_andn2_saveexec_b64 s[0:1], s[0:1]
	s_cbranch_execz .LBB110_95
; %bb.94:
	v_mov_b32_e32 v67, 5
	ds_write2_b32 v61, v54, v55 offset0:6 offset1:7
	ds_write2_b32 v61, v52, v53 offset0:8 offset1:9
	;; [unrolled: 1-line block ×25, first 2 shown]
.LBB110_95:
	s_or_b64 exec, exec, s[0:1]
	v_cmp_lt_i32_e32 vcc, 5, v67
	s_waitcnt lgkmcnt(0)
	s_barrier
	s_and_saveexec_b64 s[0:1], vcc
	s_cbranch_execz .LBB110_97
; %bb.96:
	ds_read2_b32 v[70:71], v61 offset0:6 offset1:7
	ds_read2_b32 v[72:73], v61 offset0:8 offset1:9
	;; [unrolled: 1-line block ×3, first 2 shown]
	v_mul_f32_e32 v64, v68, v57
	ds_read2_b32 v[68:69], v61 offset0:12 offset1:13
	s_waitcnt lgkmcnt(3)
	v_pk_fma_f32 v[54:55], v[64:65], v[70:71], v[54:55] op_sel_hi:[0,1,1] neg_lo:[1,0,0] neg_hi:[1,0,0]
	s_waitcnt lgkmcnt(2)
	v_pk_fma_f32 v[52:53], v[64:65], v[72:73], v[52:53] op_sel_hi:[0,1,1] neg_lo:[1,0,0] neg_hi:[1,0,0]
	s_waitcnt lgkmcnt(1)
	v_pk_fma_f32 v[48:49], v[64:65], v[74:75], v[48:49] op_sel_hi:[0,1,1] neg_lo:[1,0,0] neg_hi:[1,0,0]
	ds_read2_b32 v[70:71], v61 offset0:14 offset1:15
	ds_read2_b32 v[72:73], v61 offset0:16 offset1:17
	ds_read2_b32 v[74:75], v61 offset0:18 offset1:19
	s_waitcnt lgkmcnt(3)
	v_pk_fma_f32 v[42:43], v[64:65], v[68:69], v[42:43] op_sel_hi:[0,1,1] neg_lo:[1,0,0] neg_hi:[1,0,0]
	ds_read2_b32 v[68:69], v61 offset0:20 offset1:21
	s_waitcnt lgkmcnt(3)
	v_pk_fma_f32 v[34:35], v[64:65], v[70:71], v[34:35] op_sel_hi:[0,1,1] neg_lo:[1,0,0] neg_hi:[1,0,0]
	s_waitcnt lgkmcnt(2)
	v_pk_fma_f32 v[50:51], v[64:65], v[72:73], v[50:51] op_sel_hi:[0,1,1] neg_lo:[1,0,0] neg_hi:[1,0,0]
	s_waitcnt lgkmcnt(1)
	v_pk_fma_f32 v[44:45], v[64:65], v[74:75], v[44:45] op_sel_hi:[0,1,1] neg_lo:[1,0,0] neg_hi:[1,0,0]
	ds_read2_b32 v[70:71], v61 offset0:22 offset1:23
	ds_read2_b32 v[72:73], v61 offset0:24 offset1:25
	ds_read2_b32 v[74:75], v61 offset0:26 offset1:27
	s_waitcnt lgkmcnt(3)
	v_pk_fma_f32 v[36:37], v[64:65], v[68:69], v[36:37] op_sel_hi:[0,1,1] neg_lo:[1,0,0] neg_hi:[1,0,0]
	;; [unrolled: 12-line block ×3, first 2 shown]
	ds_read2_b32 v[68:69], v61 offset0:36 offset1:37
	s_waitcnt lgkmcnt(3)
	v_pk_fma_f32 v[20:21], v[64:65], v[70:71], v[20:21] op_sel_hi:[0,1,1] neg_lo:[1,0,0] neg_hi:[1,0,0]
	s_waitcnt lgkmcnt(2)
	v_pk_fma_f32 v[40:41], v[64:65], v[72:73], v[40:41] op_sel_hi:[0,1,1] neg_lo:[1,0,0] neg_hi:[1,0,0]
	s_waitcnt lgkmcnt(1)
	v_pk_fma_f32 v[30:31], v[64:65], v[74:75], v[30:31] op_sel_hi:[0,1,1] neg_lo:[1,0,0] neg_hi:[1,0,0]
	ds_read2_b32 v[70:71], v61 offset0:38 offset1:39
	ds_read2_b32 v[72:73], v61 offset0:40 offset1:41
	;; [unrolled: 1-line block ×4, first 2 shown]
	s_waitcnt lgkmcnt(4)
	v_pk_fma_f32 v[22:23], v[64:65], v[68:69], v[22:23] op_sel_hi:[0,1,1] neg_lo:[1,0,0] neg_hi:[1,0,0]
	s_waitcnt lgkmcnt(3)
	v_pk_fma_f32 v[12:13], v[64:65], v[70:71], v[12:13] op_sel_hi:[0,1,1] neg_lo:[1,0,0] neg_hi:[1,0,0]
	;; [unrolled: 2-line block ×5, first 2 shown]
	ds_read2_b32 v[68:69], v61 offset0:46 offset1:47
	ds_read2_b32 v[70:71], v61 offset0:48 offset1:49
	;; [unrolled: 1-line block ×5, first 2 shown]
	s_waitcnt lgkmcnt(4)
	v_pk_fma_f32 v[0:1], v[64:65], v[68:69], v[0:1] op_sel_hi:[0,1,1] neg_lo:[1,0,0] neg_hi:[1,0,0]
	s_waitcnt lgkmcnt(3)
	v_pk_fma_f32 v[14:15], v[64:65], v[70:71], v[14:15] op_sel_hi:[0,1,1] neg_lo:[1,0,0] neg_hi:[1,0,0]
	;; [unrolled: 2-line block ×5, first 2 shown]
	v_mov_b32_e32 v57, v64
.LBB110_97:
	s_or_b64 exec, exec, s[0:1]
	v_lshl_add_u32 v64, v67, 2, v61
	s_barrier
	ds_write_b32 v64, v54
	s_waitcnt lgkmcnt(0)
	s_barrier
	ds_read_b32 v68, v61 offset:24
	s_cmp_lt_i32 s22, 8
	v_mov_b32_e32 v64, 6
	s_cbranch_scc1 .LBB110_100
; %bb.98:
	v_add3_u32 v69, v66, 0, 28
	v_mov_b32_e32 v64, 6
	s_mov_b32 s0, 7
.LBB110_99:                             ; =>This Inner Loop Header: Depth=1
	ds_read_b32 v70, v69
	v_mov_b32_e32 v71, s0
	s_add_i32 s0, s0, 1
	v_add_u32_e32 v69, 4, v69
	s_cmp_lg_u32 s22, s0
	s_waitcnt lgkmcnt(0)
	v_cmp_lt_f32_e64 vcc, |v68|, |v70|
	s_nop 1
	v_cndmask_b32_e32 v68, v68, v70, vcc
	v_cndmask_b32_e32 v64, v64, v71, vcc
	s_cbranch_scc1 .LBB110_99
.LBB110_100:
	s_waitcnt lgkmcnt(0)
	v_cmp_eq_f32_e32 vcc, 0, v68
	s_and_saveexec_b64 s[0:1], vcc
	s_xor_b64 s[0:1], exec, s[0:1]
; %bb.101:
	v_cmp_ne_u32_e32 vcc, 0, v63
	s_nop 1
	v_cndmask_b32_e32 v63, 7, v63, vcc
; %bb.102:
	s_andn2_saveexec_b64 s[0:1], s[0:1]
	s_cbranch_execz .LBB110_104
; %bb.103:
	v_div_scale_f32 v69, s[2:3], v68, v68, 1.0
	v_rcp_f32_e32 v70, v69
	v_div_scale_f32 v71, vcc, 1.0, v68, 1.0
	v_fma_f32 v72, -v69, v70, 1.0
	v_fmac_f32_e32 v70, v72, v70
	v_mul_f32_e32 v72, v71, v70
	v_fma_f32 v73, -v69, v72, v71
	v_fmac_f32_e32 v72, v73, v70
	v_fma_f32 v69, -v69, v72, v71
	v_div_fmas_f32 v69, v69, v70, v72
	v_div_fixup_f32 v68, v69, v68, 1.0
.LBB110_104:
	s_or_b64 exec, exec, s[0:1]
	v_cmp_ne_u32_e32 vcc, v67, v64
	s_and_saveexec_b64 s[0:1], vcc
	s_xor_b64 s[0:1], exec, s[0:1]
	s_cbranch_execz .LBB110_110
; %bb.105:
	v_cmp_eq_u32_e32 vcc, 6, v67
	s_and_saveexec_b64 s[2:3], vcc
	s_cbranch_execz .LBB110_109
; %bb.106:
	v_cmp_ne_u32_e32 vcc, 6, v64
	s_xor_b64 s[12:13], s[20:21], -1
	s_and_b64 s[14:15], s[12:13], vcc
	s_and_saveexec_b64 s[12:13], s[14:15]
	s_cbranch_execz .LBB110_108
; %bb.107:
	v_ashrrev_i32_e32 v65, 31, v64
	v_lshl_add_u64 v[70:71], v[64:65], 2, v[4:5]
	global_load_dword v65, v[70:71], off
	global_load_dword v67, v[4:5], off offset:24
	s_waitcnt vmcnt(1)
	global_store_dword v[4:5], v65, off offset:24
	s_waitcnt vmcnt(1)
	global_store_dword v[70:71], v67, off
.LBB110_108:
	s_or_b64 exec, exec, s[12:13]
	v_mov_b32_e32 v65, v64
	v_mov_b32_e32 v67, v64
.LBB110_109:
	s_or_b64 exec, exec, s[2:3]
.LBB110_110:
	s_andn2_saveexec_b64 s[0:1], s[0:1]
	s_cbranch_execz .LBB110_112
; %bb.111:
	v_pk_mov_b32 v[70:71], v[54:55], v[52:53] op_sel:[1,0]
	ds_write2_b32 v61, v70, v71 offset0:7 offset1:8
	v_pk_mov_b32 v[70:71], v[52:53], v[48:49] op_sel:[1,0]
	ds_write2_b32 v61, v70, v71 offset0:9 offset1:10
	;; [unrolled: 2-line block ×23, first 2 shown]
	v_pk_mov_b32 v[70:71], v[16:17], v[10:11] op_sel:[1,0]
	v_mov_b32_e32 v67, 6
	ds_write2_b32 v61, v70, v71 offset0:53 offset1:54
	ds_write_b32 v61, v11 offset:220
.LBB110_112:
	s_or_b64 exec, exec, s[0:1]
	v_cmp_lt_i32_e32 vcc, 6, v67
	s_waitcnt lgkmcnt(0)
	s_barrier
	s_and_saveexec_b64 s[0:1], vcc
	s_cbranch_execz .LBB110_114
; %bb.113:
	ds_read_b32 v64, v61 offset:28
	ds_read2_b32 v[70:71], v61 offset0:8 offset1:9
	ds_read2_b32 v[72:73], v61 offset0:10 offset1:11
	v_mul_f32_e32 v54, v68, v54
	ds_read2_b32 v[68:69], v61 offset0:12 offset1:13
	s_waitcnt lgkmcnt(3)
	v_fma_f32 v55, -v54, v64, v55
	s_waitcnt lgkmcnt(2)
	v_pk_fma_f32 v[52:53], v[54:55], v[70:71], v[52:53] op_sel_hi:[0,1,1] neg_lo:[1,0,0] neg_hi:[1,0,0]
	s_waitcnt lgkmcnt(1)
	v_pk_fma_f32 v[48:49], v[54:55], v[72:73], v[48:49] op_sel_hi:[0,1,1] neg_lo:[1,0,0] neg_hi:[1,0,0]
	ds_read2_b32 v[70:71], v61 offset0:14 offset1:15
	ds_read2_b32 v[72:73], v61 offset0:16 offset1:17
	ds_read2_b32 v[74:75], v61 offset0:18 offset1:19
	s_waitcnt lgkmcnt(3)
	v_pk_fma_f32 v[42:43], v[54:55], v[68:69], v[42:43] op_sel_hi:[0,1,1] neg_lo:[1,0,0] neg_hi:[1,0,0]
	ds_read2_b32 v[68:69], v61 offset0:20 offset1:21
	s_waitcnt lgkmcnt(3)
	v_pk_fma_f32 v[34:35], v[54:55], v[70:71], v[34:35] op_sel_hi:[0,1,1] neg_lo:[1,0,0] neg_hi:[1,0,0]
	s_waitcnt lgkmcnt(2)
	v_pk_fma_f32 v[50:51], v[54:55], v[72:73], v[50:51] op_sel_hi:[0,1,1] neg_lo:[1,0,0] neg_hi:[1,0,0]
	s_waitcnt lgkmcnt(1)
	v_pk_fma_f32 v[44:45], v[54:55], v[74:75], v[44:45] op_sel_hi:[0,1,1] neg_lo:[1,0,0] neg_hi:[1,0,0]
	ds_read2_b32 v[70:71], v61 offset0:22 offset1:23
	ds_read2_b32 v[72:73], v61 offset0:24 offset1:25
	ds_read2_b32 v[74:75], v61 offset0:26 offset1:27
	s_waitcnt lgkmcnt(3)
	v_pk_fma_f32 v[36:37], v[54:55], v[68:69], v[36:37] op_sel_hi:[0,1,1] neg_lo:[1,0,0] neg_hi:[1,0,0]
	ds_read2_b32 v[68:69], v61 offset0:28 offset1:29
	s_waitcnt lgkmcnt(3)
	v_pk_fma_f32 v[26:27], v[54:55], v[70:71], v[26:27] op_sel_hi:[0,1,1] neg_lo:[1,0,0] neg_hi:[1,0,0]
	;; [unrolled: 12-line block ×3, first 2 shown]
	s_waitcnt lgkmcnt(2)
	v_pk_fma_f32 v[40:41], v[54:55], v[72:73], v[40:41] op_sel_hi:[0,1,1] neg_lo:[1,0,0] neg_hi:[1,0,0]
	s_waitcnt lgkmcnt(1)
	v_pk_fma_f32 v[30:31], v[54:55], v[74:75], v[30:31] op_sel_hi:[0,1,1] neg_lo:[1,0,0] neg_hi:[1,0,0]
	ds_read2_b32 v[70:71], v61 offset0:38 offset1:39
	ds_read2_b32 v[72:73], v61 offset0:40 offset1:41
	;; [unrolled: 1-line block ×4, first 2 shown]
	s_waitcnt lgkmcnt(4)
	v_pk_fma_f32 v[22:23], v[54:55], v[68:69], v[22:23] op_sel_hi:[0,1,1] neg_lo:[1,0,0] neg_hi:[1,0,0]
	s_waitcnt lgkmcnt(3)
	v_pk_fma_f32 v[12:13], v[54:55], v[70:71], v[12:13] op_sel_hi:[0,1,1] neg_lo:[1,0,0] neg_hi:[1,0,0]
	;; [unrolled: 2-line block ×5, first 2 shown]
	ds_read2_b32 v[68:69], v61 offset0:46 offset1:47
	ds_read2_b32 v[70:71], v61 offset0:48 offset1:49
	;; [unrolled: 1-line block ×5, first 2 shown]
	s_waitcnt lgkmcnt(4)
	v_pk_fma_f32 v[0:1], v[54:55], v[68:69], v[0:1] op_sel_hi:[0,1,1] neg_lo:[1,0,0] neg_hi:[1,0,0]
	s_waitcnt lgkmcnt(3)
	v_pk_fma_f32 v[14:15], v[54:55], v[70:71], v[14:15] op_sel_hi:[0,1,1] neg_lo:[1,0,0] neg_hi:[1,0,0]
	;; [unrolled: 2-line block ×5, first 2 shown]
.LBB110_114:
	s_or_b64 exec, exec, s[0:1]
	v_lshl_add_u32 v64, v67, 2, v61
	s_barrier
	ds_write_b32 v64, v55
	s_waitcnt lgkmcnt(0)
	s_barrier
	ds_read_b32 v68, v61 offset:28
	s_cmp_lt_i32 s22, 9
	v_mov_b32_e32 v64, 7
	s_cbranch_scc1 .LBB110_117
; %bb.115:
	v_add3_u32 v69, v66, 0, 32
	v_mov_b32_e32 v64, 7
	s_mov_b32 s0, 8
.LBB110_116:                            ; =>This Inner Loop Header: Depth=1
	ds_read_b32 v70, v69
	v_mov_b32_e32 v71, s0
	s_add_i32 s0, s0, 1
	v_add_u32_e32 v69, 4, v69
	s_cmp_lg_u32 s22, s0
	s_waitcnt lgkmcnt(0)
	v_cmp_lt_f32_e64 vcc, |v68|, |v70|
	s_nop 1
	v_cndmask_b32_e32 v68, v68, v70, vcc
	v_cndmask_b32_e32 v64, v64, v71, vcc
	s_cbranch_scc1 .LBB110_116
.LBB110_117:
	s_waitcnt lgkmcnt(0)
	v_cmp_eq_f32_e32 vcc, 0, v68
	s_and_saveexec_b64 s[0:1], vcc
	s_xor_b64 s[0:1], exec, s[0:1]
; %bb.118:
	v_cmp_ne_u32_e32 vcc, 0, v63
	s_nop 1
	v_cndmask_b32_e32 v63, 8, v63, vcc
; %bb.119:
	s_andn2_saveexec_b64 s[0:1], s[0:1]
	s_cbranch_execz .LBB110_121
; %bb.120:
	v_div_scale_f32 v69, s[2:3], v68, v68, 1.0
	v_rcp_f32_e32 v70, v69
	v_div_scale_f32 v71, vcc, 1.0, v68, 1.0
	v_fma_f32 v72, -v69, v70, 1.0
	v_fmac_f32_e32 v70, v72, v70
	v_mul_f32_e32 v72, v71, v70
	v_fma_f32 v73, -v69, v72, v71
	v_fmac_f32_e32 v72, v73, v70
	v_fma_f32 v69, -v69, v72, v71
	v_div_fmas_f32 v69, v69, v70, v72
	v_div_fixup_f32 v68, v69, v68, 1.0
.LBB110_121:
	s_or_b64 exec, exec, s[0:1]
	v_cmp_ne_u32_e32 vcc, v67, v64
	s_and_saveexec_b64 s[0:1], vcc
	s_xor_b64 s[0:1], exec, s[0:1]
	s_cbranch_execz .LBB110_127
; %bb.122:
	v_cmp_eq_u32_e32 vcc, 7, v67
	s_and_saveexec_b64 s[2:3], vcc
	s_cbranch_execz .LBB110_126
; %bb.123:
	v_cmp_ne_u32_e32 vcc, 7, v64
	s_xor_b64 s[12:13], s[20:21], -1
	s_and_b64 s[14:15], s[12:13], vcc
	s_and_saveexec_b64 s[12:13], s[14:15]
	s_cbranch_execz .LBB110_125
; %bb.124:
	v_ashrrev_i32_e32 v65, 31, v64
	v_lshl_add_u64 v[70:71], v[64:65], 2, v[4:5]
	global_load_dword v65, v[70:71], off
	global_load_dword v67, v[4:5], off offset:28
	s_waitcnt vmcnt(1)
	global_store_dword v[4:5], v65, off offset:28
	s_waitcnt vmcnt(1)
	global_store_dword v[70:71], v67, off
.LBB110_125:
	s_or_b64 exec, exec, s[12:13]
	v_mov_b32_e32 v65, v64
	v_mov_b32_e32 v67, v64
.LBB110_126:
	s_or_b64 exec, exec, s[2:3]
.LBB110_127:
	s_andn2_saveexec_b64 s[0:1], s[0:1]
	s_cbranch_execz .LBB110_129
; %bb.128:
	v_mov_b32_e32 v67, 7
	ds_write2_b32 v61, v52, v53 offset0:8 offset1:9
	ds_write2_b32 v61, v48, v49 offset0:10 offset1:11
	;; [unrolled: 1-line block ×24, first 2 shown]
.LBB110_129:
	s_or_b64 exec, exec, s[0:1]
	v_cmp_lt_i32_e32 vcc, 7, v67
	s_waitcnt lgkmcnt(0)
	s_barrier
	s_and_saveexec_b64 s[0:1], vcc
	s_cbranch_execz .LBB110_131
; %bb.130:
	ds_read2_b32 v[70:71], v61 offset0:8 offset1:9
	ds_read2_b32 v[72:73], v61 offset0:10 offset1:11
	;; [unrolled: 1-line block ×3, first 2 shown]
	v_mul_f32_e32 v64, v68, v55
	ds_read2_b32 v[68:69], v61 offset0:14 offset1:15
	s_waitcnt lgkmcnt(3)
	v_pk_fma_f32 v[52:53], v[64:65], v[70:71], v[52:53] op_sel_hi:[0,1,1] neg_lo:[1,0,0] neg_hi:[1,0,0]
	s_waitcnt lgkmcnt(2)
	v_pk_fma_f32 v[48:49], v[64:65], v[72:73], v[48:49] op_sel_hi:[0,1,1] neg_lo:[1,0,0] neg_hi:[1,0,0]
	s_waitcnt lgkmcnt(1)
	v_pk_fma_f32 v[42:43], v[64:65], v[74:75], v[42:43] op_sel_hi:[0,1,1] neg_lo:[1,0,0] neg_hi:[1,0,0]
	ds_read2_b32 v[70:71], v61 offset0:16 offset1:17
	ds_read2_b32 v[72:73], v61 offset0:18 offset1:19
	ds_read2_b32 v[74:75], v61 offset0:20 offset1:21
	s_waitcnt lgkmcnt(3)
	v_pk_fma_f32 v[34:35], v[64:65], v[68:69], v[34:35] op_sel_hi:[0,1,1] neg_lo:[1,0,0] neg_hi:[1,0,0]
	ds_read2_b32 v[68:69], v61 offset0:22 offset1:23
	s_waitcnt lgkmcnt(3)
	v_pk_fma_f32 v[50:51], v[64:65], v[70:71], v[50:51] op_sel_hi:[0,1,1] neg_lo:[1,0,0] neg_hi:[1,0,0]
	s_waitcnt lgkmcnt(2)
	v_pk_fma_f32 v[44:45], v[64:65], v[72:73], v[44:45] op_sel_hi:[0,1,1] neg_lo:[1,0,0] neg_hi:[1,0,0]
	s_waitcnt lgkmcnt(1)
	v_pk_fma_f32 v[36:37], v[64:65], v[74:75], v[36:37] op_sel_hi:[0,1,1] neg_lo:[1,0,0] neg_hi:[1,0,0]
	ds_read2_b32 v[70:71], v61 offset0:24 offset1:25
	ds_read2_b32 v[72:73], v61 offset0:26 offset1:27
	ds_read2_b32 v[74:75], v61 offset0:28 offset1:29
	s_waitcnt lgkmcnt(3)
	v_pk_fma_f32 v[26:27], v[64:65], v[68:69], v[26:27] op_sel_hi:[0,1,1] neg_lo:[1,0,0] neg_hi:[1,0,0]
	;; [unrolled: 12-line block ×4, first 2 shown]
	ds_read2_b32 v[68:69], v61 offset0:46 offset1:47
	s_waitcnt lgkmcnt(3)
	v_pk_fma_f32 v[32:33], v[64:65], v[70:71], v[32:33] op_sel_hi:[0,1,1] neg_lo:[1,0,0] neg_hi:[1,0,0]
	s_waitcnt lgkmcnt(2)
	v_pk_fma_f32 v[24:25], v[64:65], v[72:73], v[24:25] op_sel_hi:[0,1,1] neg_lo:[1,0,0] neg_hi:[1,0,0]
	;; [unrolled: 2-line block ×3, first 2 shown]
	ds_read2_b32 v[70:71], v61 offset0:48 offset1:49
	ds_read2_b32 v[72:73], v61 offset0:50 offset1:51
	;; [unrolled: 1-line block ×4, first 2 shown]
	s_waitcnt lgkmcnt(4)
	v_pk_fma_f32 v[0:1], v[64:65], v[68:69], v[0:1] op_sel_hi:[0,1,1] neg_lo:[1,0,0] neg_hi:[1,0,0]
	s_waitcnt lgkmcnt(3)
	v_pk_fma_f32 v[14:15], v[64:65], v[70:71], v[14:15] op_sel_hi:[0,1,1] neg_lo:[1,0,0] neg_hi:[1,0,0]
	;; [unrolled: 2-line block ×5, first 2 shown]
	v_mov_b32_e32 v55, v64
.LBB110_131:
	s_or_b64 exec, exec, s[0:1]
	v_lshl_add_u32 v64, v67, 2, v61
	s_barrier
	ds_write_b32 v64, v52
	s_waitcnt lgkmcnt(0)
	s_barrier
	ds_read_b32 v68, v61 offset:32
	s_cmp_lt_i32 s22, 10
	v_mov_b32_e32 v64, 8
	s_cbranch_scc1 .LBB110_134
; %bb.132:
	v_add3_u32 v69, v66, 0, 36
	v_mov_b32_e32 v64, 8
	s_mov_b32 s0, 9
.LBB110_133:                            ; =>This Inner Loop Header: Depth=1
	ds_read_b32 v70, v69
	v_mov_b32_e32 v71, s0
	s_add_i32 s0, s0, 1
	v_add_u32_e32 v69, 4, v69
	s_cmp_lg_u32 s22, s0
	s_waitcnt lgkmcnt(0)
	v_cmp_lt_f32_e64 vcc, |v68|, |v70|
	s_nop 1
	v_cndmask_b32_e32 v68, v68, v70, vcc
	v_cndmask_b32_e32 v64, v64, v71, vcc
	s_cbranch_scc1 .LBB110_133
.LBB110_134:
	s_waitcnt lgkmcnt(0)
	v_cmp_eq_f32_e32 vcc, 0, v68
	s_and_saveexec_b64 s[0:1], vcc
	s_xor_b64 s[0:1], exec, s[0:1]
; %bb.135:
	v_cmp_ne_u32_e32 vcc, 0, v63
	s_nop 1
	v_cndmask_b32_e32 v63, 9, v63, vcc
; %bb.136:
	s_andn2_saveexec_b64 s[0:1], s[0:1]
	s_cbranch_execz .LBB110_138
; %bb.137:
	v_div_scale_f32 v69, s[2:3], v68, v68, 1.0
	v_rcp_f32_e32 v70, v69
	v_div_scale_f32 v71, vcc, 1.0, v68, 1.0
	v_fma_f32 v72, -v69, v70, 1.0
	v_fmac_f32_e32 v70, v72, v70
	v_mul_f32_e32 v72, v71, v70
	v_fma_f32 v73, -v69, v72, v71
	v_fmac_f32_e32 v72, v73, v70
	v_fma_f32 v69, -v69, v72, v71
	v_div_fmas_f32 v69, v69, v70, v72
	v_div_fixup_f32 v68, v69, v68, 1.0
.LBB110_138:
	s_or_b64 exec, exec, s[0:1]
	v_cmp_ne_u32_e32 vcc, v67, v64
	s_and_saveexec_b64 s[0:1], vcc
	s_xor_b64 s[0:1], exec, s[0:1]
	s_cbranch_execz .LBB110_144
; %bb.139:
	v_cmp_eq_u32_e32 vcc, 8, v67
	s_and_saveexec_b64 s[2:3], vcc
	s_cbranch_execz .LBB110_143
; %bb.140:
	v_cmp_ne_u32_e32 vcc, 8, v64
	s_xor_b64 s[12:13], s[20:21], -1
	s_and_b64 s[14:15], s[12:13], vcc
	s_and_saveexec_b64 s[12:13], s[14:15]
	s_cbranch_execz .LBB110_142
; %bb.141:
	v_ashrrev_i32_e32 v65, 31, v64
	v_lshl_add_u64 v[70:71], v[64:65], 2, v[4:5]
	global_load_dword v65, v[70:71], off
	global_load_dword v67, v[4:5], off offset:32
	s_waitcnt vmcnt(1)
	global_store_dword v[4:5], v65, off offset:32
	s_waitcnt vmcnt(1)
	global_store_dword v[70:71], v67, off
.LBB110_142:
	s_or_b64 exec, exec, s[12:13]
	v_mov_b32_e32 v65, v64
	v_mov_b32_e32 v67, v64
.LBB110_143:
	s_or_b64 exec, exec, s[2:3]
.LBB110_144:
	s_andn2_saveexec_b64 s[0:1], s[0:1]
	s_cbranch_execz .LBB110_146
; %bb.145:
	v_pk_mov_b32 v[70:71], v[52:53], v[48:49] op_sel:[1,0]
	ds_write2_b32 v61, v70, v71 offset0:9 offset1:10
	v_pk_mov_b32 v[70:71], v[48:49], v[42:43] op_sel:[1,0]
	ds_write2_b32 v61, v70, v71 offset0:11 offset1:12
	;; [unrolled: 2-line block ×22, first 2 shown]
	v_pk_mov_b32 v[70:71], v[16:17], v[10:11] op_sel:[1,0]
	v_mov_b32_e32 v67, 8
	ds_write2_b32 v61, v70, v71 offset0:53 offset1:54
	ds_write_b32 v61, v11 offset:220
.LBB110_146:
	s_or_b64 exec, exec, s[0:1]
	v_cmp_lt_i32_e32 vcc, 8, v67
	s_waitcnt lgkmcnt(0)
	s_barrier
	s_and_saveexec_b64 s[0:1], vcc
	s_cbranch_execz .LBB110_148
; %bb.147:
	ds_read_b32 v64, v61 offset:36
	ds_read2_b32 v[70:71], v61 offset0:10 offset1:11
	ds_read2_b32 v[72:73], v61 offset0:12 offset1:13
	v_mul_f32_e32 v52, v68, v52
	ds_read2_b32 v[68:69], v61 offset0:14 offset1:15
	s_waitcnt lgkmcnt(3)
	v_fma_f32 v53, -v52, v64, v53
	s_waitcnt lgkmcnt(2)
	v_pk_fma_f32 v[48:49], v[52:53], v[70:71], v[48:49] op_sel_hi:[0,1,1] neg_lo:[1,0,0] neg_hi:[1,0,0]
	s_waitcnt lgkmcnt(1)
	v_pk_fma_f32 v[42:43], v[52:53], v[72:73], v[42:43] op_sel_hi:[0,1,1] neg_lo:[1,0,0] neg_hi:[1,0,0]
	ds_read2_b32 v[70:71], v61 offset0:16 offset1:17
	ds_read2_b32 v[72:73], v61 offset0:18 offset1:19
	ds_read2_b32 v[74:75], v61 offset0:20 offset1:21
	s_waitcnt lgkmcnt(3)
	v_pk_fma_f32 v[34:35], v[52:53], v[68:69], v[34:35] op_sel_hi:[0,1,1] neg_lo:[1,0,0] neg_hi:[1,0,0]
	ds_read2_b32 v[68:69], v61 offset0:22 offset1:23
	s_waitcnt lgkmcnt(3)
	v_pk_fma_f32 v[50:51], v[52:53], v[70:71], v[50:51] op_sel_hi:[0,1,1] neg_lo:[1,0,0] neg_hi:[1,0,0]
	s_waitcnt lgkmcnt(2)
	v_pk_fma_f32 v[44:45], v[52:53], v[72:73], v[44:45] op_sel_hi:[0,1,1] neg_lo:[1,0,0] neg_hi:[1,0,0]
	s_waitcnt lgkmcnt(1)
	v_pk_fma_f32 v[36:37], v[52:53], v[74:75], v[36:37] op_sel_hi:[0,1,1] neg_lo:[1,0,0] neg_hi:[1,0,0]
	ds_read2_b32 v[70:71], v61 offset0:24 offset1:25
	ds_read2_b32 v[72:73], v61 offset0:26 offset1:27
	ds_read2_b32 v[74:75], v61 offset0:28 offset1:29
	s_waitcnt lgkmcnt(3)
	v_pk_fma_f32 v[26:27], v[52:53], v[68:69], v[26:27] op_sel_hi:[0,1,1] neg_lo:[1,0,0] neg_hi:[1,0,0]
	ds_read2_b32 v[68:69], v61 offset0:30 offset1:31
	s_waitcnt lgkmcnt(3)
	v_pk_fma_f32 v[46:47], v[52:53], v[70:71], v[46:47] op_sel_hi:[0,1,1] neg_lo:[1,0,0] neg_hi:[1,0,0]
	;; [unrolled: 12-line block ×4, first 2 shown]
	s_waitcnt lgkmcnt(2)
	v_pk_fma_f32 v[24:25], v[52:53], v[72:73], v[24:25] op_sel_hi:[0,1,1] neg_lo:[1,0,0] neg_hi:[1,0,0]
	s_waitcnt lgkmcnt(1)
	v_pk_fma_f32 v[18:19], v[52:53], v[74:75], v[18:19] op_sel_hi:[0,1,1] neg_lo:[1,0,0] neg_hi:[1,0,0]
	ds_read2_b32 v[70:71], v61 offset0:48 offset1:49
	ds_read2_b32 v[72:73], v61 offset0:50 offset1:51
	;; [unrolled: 1-line block ×4, first 2 shown]
	s_waitcnt lgkmcnt(4)
	v_pk_fma_f32 v[0:1], v[52:53], v[68:69], v[0:1] op_sel_hi:[0,1,1] neg_lo:[1,0,0] neg_hi:[1,0,0]
	s_waitcnt lgkmcnt(3)
	v_pk_fma_f32 v[14:15], v[52:53], v[70:71], v[14:15] op_sel_hi:[0,1,1] neg_lo:[1,0,0] neg_hi:[1,0,0]
	;; [unrolled: 2-line block ×5, first 2 shown]
.LBB110_148:
	s_or_b64 exec, exec, s[0:1]
	v_lshl_add_u32 v64, v67, 2, v61
	s_barrier
	ds_write_b32 v64, v53
	s_waitcnt lgkmcnt(0)
	s_barrier
	ds_read_b32 v68, v61 offset:36
	s_cmp_lt_i32 s22, 11
	v_mov_b32_e32 v64, 9
	s_cbranch_scc1 .LBB110_151
; %bb.149:
	v_add3_u32 v69, v66, 0, 40
	v_mov_b32_e32 v64, 9
	s_mov_b32 s0, 10
.LBB110_150:                            ; =>This Inner Loop Header: Depth=1
	ds_read_b32 v70, v69
	v_mov_b32_e32 v71, s0
	s_add_i32 s0, s0, 1
	v_add_u32_e32 v69, 4, v69
	s_cmp_lg_u32 s22, s0
	s_waitcnt lgkmcnt(0)
	v_cmp_lt_f32_e64 vcc, |v68|, |v70|
	s_nop 1
	v_cndmask_b32_e32 v68, v68, v70, vcc
	v_cndmask_b32_e32 v64, v64, v71, vcc
	s_cbranch_scc1 .LBB110_150
.LBB110_151:
	s_waitcnt lgkmcnt(0)
	v_cmp_eq_f32_e32 vcc, 0, v68
	s_and_saveexec_b64 s[0:1], vcc
	s_xor_b64 s[0:1], exec, s[0:1]
; %bb.152:
	v_cmp_ne_u32_e32 vcc, 0, v63
	s_nop 1
	v_cndmask_b32_e32 v63, 10, v63, vcc
; %bb.153:
	s_andn2_saveexec_b64 s[0:1], s[0:1]
	s_cbranch_execz .LBB110_155
; %bb.154:
	v_div_scale_f32 v69, s[2:3], v68, v68, 1.0
	v_rcp_f32_e32 v70, v69
	v_div_scale_f32 v71, vcc, 1.0, v68, 1.0
	v_fma_f32 v72, -v69, v70, 1.0
	v_fmac_f32_e32 v70, v72, v70
	v_mul_f32_e32 v72, v71, v70
	v_fma_f32 v73, -v69, v72, v71
	v_fmac_f32_e32 v72, v73, v70
	v_fma_f32 v69, -v69, v72, v71
	v_div_fmas_f32 v69, v69, v70, v72
	v_div_fixup_f32 v68, v69, v68, 1.0
.LBB110_155:
	s_or_b64 exec, exec, s[0:1]
	v_cmp_ne_u32_e32 vcc, v67, v64
	s_and_saveexec_b64 s[0:1], vcc
	s_xor_b64 s[0:1], exec, s[0:1]
	s_cbranch_execz .LBB110_161
; %bb.156:
	v_cmp_eq_u32_e32 vcc, 9, v67
	s_and_saveexec_b64 s[2:3], vcc
	s_cbranch_execz .LBB110_160
; %bb.157:
	v_cmp_ne_u32_e32 vcc, 9, v64
	s_xor_b64 s[12:13], s[20:21], -1
	s_and_b64 s[14:15], s[12:13], vcc
	s_and_saveexec_b64 s[12:13], s[14:15]
	s_cbranch_execz .LBB110_159
; %bb.158:
	v_ashrrev_i32_e32 v65, 31, v64
	v_lshl_add_u64 v[70:71], v[64:65], 2, v[4:5]
	global_load_dword v65, v[70:71], off
	global_load_dword v67, v[4:5], off offset:36
	s_waitcnt vmcnt(1)
	global_store_dword v[4:5], v65, off offset:36
	s_waitcnt vmcnt(1)
	global_store_dword v[70:71], v67, off
.LBB110_159:
	s_or_b64 exec, exec, s[12:13]
	v_mov_b32_e32 v65, v64
	v_mov_b32_e32 v67, v64
.LBB110_160:
	s_or_b64 exec, exec, s[2:3]
.LBB110_161:
	s_andn2_saveexec_b64 s[0:1], s[0:1]
	s_cbranch_execz .LBB110_163
; %bb.162:
	v_mov_b32_e32 v67, 9
	ds_write2_b32 v61, v48, v49 offset0:10 offset1:11
	ds_write2_b32 v61, v42, v43 offset0:12 offset1:13
	;; [unrolled: 1-line block ×23, first 2 shown]
.LBB110_163:
	s_or_b64 exec, exec, s[0:1]
	v_cmp_lt_i32_e32 vcc, 9, v67
	s_waitcnt lgkmcnt(0)
	s_barrier
	s_and_saveexec_b64 s[0:1], vcc
	s_cbranch_execz .LBB110_165
; %bb.164:
	ds_read2_b32 v[70:71], v61 offset0:10 offset1:11
	ds_read2_b32 v[72:73], v61 offset0:12 offset1:13
	;; [unrolled: 1-line block ×3, first 2 shown]
	v_mul_f32_e32 v64, v68, v53
	ds_read2_b32 v[68:69], v61 offset0:16 offset1:17
	s_waitcnt lgkmcnt(3)
	v_pk_fma_f32 v[48:49], v[64:65], v[70:71], v[48:49] op_sel_hi:[0,1,1] neg_lo:[1,0,0] neg_hi:[1,0,0]
	s_waitcnt lgkmcnt(2)
	v_pk_fma_f32 v[42:43], v[64:65], v[72:73], v[42:43] op_sel_hi:[0,1,1] neg_lo:[1,0,0] neg_hi:[1,0,0]
	s_waitcnt lgkmcnt(1)
	v_pk_fma_f32 v[34:35], v[64:65], v[74:75], v[34:35] op_sel_hi:[0,1,1] neg_lo:[1,0,0] neg_hi:[1,0,0]
	ds_read2_b32 v[70:71], v61 offset0:18 offset1:19
	ds_read2_b32 v[72:73], v61 offset0:20 offset1:21
	ds_read2_b32 v[74:75], v61 offset0:22 offset1:23
	s_waitcnt lgkmcnt(3)
	v_pk_fma_f32 v[50:51], v[64:65], v[68:69], v[50:51] op_sel_hi:[0,1,1] neg_lo:[1,0,0] neg_hi:[1,0,0]
	ds_read2_b32 v[68:69], v61 offset0:24 offset1:25
	s_waitcnt lgkmcnt(3)
	v_pk_fma_f32 v[44:45], v[64:65], v[70:71], v[44:45] op_sel_hi:[0,1,1] neg_lo:[1,0,0] neg_hi:[1,0,0]
	s_waitcnt lgkmcnt(2)
	v_pk_fma_f32 v[36:37], v[64:65], v[72:73], v[36:37] op_sel_hi:[0,1,1] neg_lo:[1,0,0] neg_hi:[1,0,0]
	s_waitcnt lgkmcnt(1)
	v_pk_fma_f32 v[26:27], v[64:65], v[74:75], v[26:27] op_sel_hi:[0,1,1] neg_lo:[1,0,0] neg_hi:[1,0,0]
	ds_read2_b32 v[70:71], v61 offset0:26 offset1:27
	ds_read2_b32 v[72:73], v61 offset0:28 offset1:29
	ds_read2_b32 v[74:75], v61 offset0:30 offset1:31
	s_waitcnt lgkmcnt(3)
	v_pk_fma_f32 v[46:47], v[64:65], v[68:69], v[46:47] op_sel_hi:[0,1,1] neg_lo:[1,0,0] neg_hi:[1,0,0]
	;; [unrolled: 12-line block ×3, first 2 shown]
	ds_read2_b32 v[68:69], v61 offset0:40 offset1:41
	s_waitcnt lgkmcnt(3)
	v_pk_fma_f32 v[30:31], v[64:65], v[70:71], v[30:31] op_sel_hi:[0,1,1] neg_lo:[1,0,0] neg_hi:[1,0,0]
	s_waitcnt lgkmcnt(2)
	v_pk_fma_f32 v[22:23], v[64:65], v[72:73], v[22:23] op_sel_hi:[0,1,1] neg_lo:[1,0,0] neg_hi:[1,0,0]
	ds_read2_b32 v[70:71], v61 offset0:42 offset1:43
	ds_read2_b32 v[72:73], v61 offset0:44 offset1:45
	s_waitcnt lgkmcnt(3)
	v_pk_fma_f32 v[12:13], v[64:65], v[74:75], v[12:13] op_sel_hi:[0,1,1] neg_lo:[1,0,0] neg_hi:[1,0,0]
	s_waitcnt lgkmcnt(2)
	v_pk_fma_f32 v[32:33], v[64:65], v[68:69], v[32:33] op_sel_hi:[0,1,1] neg_lo:[1,0,0] neg_hi:[1,0,0]
	ds_read2_b32 v[68:69], v61 offset0:46 offset1:47
	;; [unrolled: 6-line block ×3, first 2 shown]
	ds_read2_b32 v[72:73], v61 offset0:52 offset1:53
	ds_read2_b32 v[76:77], v61 offset0:54 offset1:55
	s_waitcnt lgkmcnt(4)
	v_pk_fma_f32 v[0:1], v[64:65], v[68:69], v[0:1] op_sel_hi:[0,1,1] neg_lo:[1,0,0] neg_hi:[1,0,0]
	s_waitcnt lgkmcnt(3)
	v_pk_fma_f32 v[14:15], v[64:65], v[74:75], v[14:15] op_sel_hi:[0,1,1] neg_lo:[1,0,0] neg_hi:[1,0,0]
	;; [unrolled: 2-line block ×5, first 2 shown]
	v_mov_b32_e32 v53, v64
.LBB110_165:
	s_or_b64 exec, exec, s[0:1]
	v_lshl_add_u32 v64, v67, 2, v61
	s_barrier
	ds_write_b32 v64, v48
	s_waitcnt lgkmcnt(0)
	s_barrier
	ds_read_b32 v68, v61 offset:40
	s_cmp_lt_i32 s22, 12
	v_mov_b32_e32 v64, 10
	s_cbranch_scc1 .LBB110_168
; %bb.166:
	v_add3_u32 v69, v66, 0, 44
	v_mov_b32_e32 v64, 10
	s_mov_b32 s0, 11
.LBB110_167:                            ; =>This Inner Loop Header: Depth=1
	ds_read_b32 v70, v69
	v_mov_b32_e32 v71, s0
	s_add_i32 s0, s0, 1
	v_add_u32_e32 v69, 4, v69
	s_cmp_lg_u32 s22, s0
	s_waitcnt lgkmcnt(0)
	v_cmp_lt_f32_e64 vcc, |v68|, |v70|
	s_nop 1
	v_cndmask_b32_e32 v68, v68, v70, vcc
	v_cndmask_b32_e32 v64, v64, v71, vcc
	s_cbranch_scc1 .LBB110_167
.LBB110_168:
	s_waitcnt lgkmcnt(0)
	v_cmp_eq_f32_e32 vcc, 0, v68
	s_and_saveexec_b64 s[0:1], vcc
	s_xor_b64 s[0:1], exec, s[0:1]
; %bb.169:
	v_cmp_ne_u32_e32 vcc, 0, v63
	s_nop 1
	v_cndmask_b32_e32 v63, 11, v63, vcc
; %bb.170:
	s_andn2_saveexec_b64 s[0:1], s[0:1]
	s_cbranch_execz .LBB110_172
; %bb.171:
	v_div_scale_f32 v69, s[2:3], v68, v68, 1.0
	v_rcp_f32_e32 v70, v69
	v_div_scale_f32 v71, vcc, 1.0, v68, 1.0
	v_fma_f32 v72, -v69, v70, 1.0
	v_fmac_f32_e32 v70, v72, v70
	v_mul_f32_e32 v72, v71, v70
	v_fma_f32 v73, -v69, v72, v71
	v_fmac_f32_e32 v72, v73, v70
	v_fma_f32 v69, -v69, v72, v71
	v_div_fmas_f32 v69, v69, v70, v72
	v_div_fixup_f32 v68, v69, v68, 1.0
.LBB110_172:
	s_or_b64 exec, exec, s[0:1]
	v_cmp_ne_u32_e32 vcc, v67, v64
	s_and_saveexec_b64 s[0:1], vcc
	s_xor_b64 s[0:1], exec, s[0:1]
	s_cbranch_execz .LBB110_178
; %bb.173:
	v_cmp_eq_u32_e32 vcc, 10, v67
	s_and_saveexec_b64 s[2:3], vcc
	s_cbranch_execz .LBB110_177
; %bb.174:
	v_cmp_ne_u32_e32 vcc, 10, v64
	s_xor_b64 s[12:13], s[20:21], -1
	s_and_b64 s[14:15], s[12:13], vcc
	s_and_saveexec_b64 s[12:13], s[14:15]
	s_cbranch_execz .LBB110_176
; %bb.175:
	v_ashrrev_i32_e32 v65, 31, v64
	v_lshl_add_u64 v[70:71], v[64:65], 2, v[4:5]
	global_load_dword v65, v[70:71], off
	global_load_dword v67, v[4:5], off offset:40
	s_waitcnt vmcnt(1)
	global_store_dword v[4:5], v65, off offset:40
	s_waitcnt vmcnt(1)
	global_store_dword v[70:71], v67, off
.LBB110_176:
	s_or_b64 exec, exec, s[12:13]
	v_mov_b32_e32 v65, v64
	v_mov_b32_e32 v67, v64
.LBB110_177:
	s_or_b64 exec, exec, s[2:3]
.LBB110_178:
	s_andn2_saveexec_b64 s[0:1], s[0:1]
	s_cbranch_execz .LBB110_180
; %bb.179:
	v_pk_mov_b32 v[70:71], v[48:49], v[42:43] op_sel:[1,0]
	ds_write2_b32 v61, v70, v71 offset0:11 offset1:12
	v_pk_mov_b32 v[70:71], v[42:43], v[34:35] op_sel:[1,0]
	ds_write2_b32 v61, v70, v71 offset0:13 offset1:14
	;; [unrolled: 2-line block ×21, first 2 shown]
	v_pk_mov_b32 v[70:71], v[16:17], v[10:11] op_sel:[1,0]
	v_mov_b32_e32 v67, 10
	ds_write2_b32 v61, v70, v71 offset0:53 offset1:54
	ds_write_b32 v61, v11 offset:220
.LBB110_180:
	s_or_b64 exec, exec, s[0:1]
	v_cmp_lt_i32_e32 vcc, 10, v67
	s_waitcnt lgkmcnt(0)
	s_barrier
	s_and_saveexec_b64 s[0:1], vcc
	s_cbranch_execz .LBB110_182
; %bb.181:
	ds_read_b32 v64, v61 offset:44
	ds_read2_b32 v[70:71], v61 offset0:12 offset1:13
	ds_read2_b32 v[72:73], v61 offset0:14 offset1:15
	v_mul_f32_e32 v48, v68, v48
	ds_read2_b32 v[68:69], v61 offset0:16 offset1:17
	s_waitcnt lgkmcnt(3)
	v_fma_f32 v49, -v48, v64, v49
	s_waitcnt lgkmcnt(2)
	v_pk_fma_f32 v[42:43], v[48:49], v[70:71], v[42:43] op_sel_hi:[0,1,1] neg_lo:[1,0,0] neg_hi:[1,0,0]
	s_waitcnt lgkmcnt(1)
	v_pk_fma_f32 v[34:35], v[48:49], v[72:73], v[34:35] op_sel_hi:[0,1,1] neg_lo:[1,0,0] neg_hi:[1,0,0]
	ds_read2_b32 v[70:71], v61 offset0:18 offset1:19
	ds_read2_b32 v[72:73], v61 offset0:20 offset1:21
	ds_read2_b32 v[74:75], v61 offset0:22 offset1:23
	s_waitcnt lgkmcnt(3)
	v_pk_fma_f32 v[50:51], v[48:49], v[68:69], v[50:51] op_sel_hi:[0,1,1] neg_lo:[1,0,0] neg_hi:[1,0,0]
	ds_read2_b32 v[68:69], v61 offset0:24 offset1:25
	s_waitcnt lgkmcnt(3)
	v_pk_fma_f32 v[44:45], v[48:49], v[70:71], v[44:45] op_sel_hi:[0,1,1] neg_lo:[1,0,0] neg_hi:[1,0,0]
	s_waitcnt lgkmcnt(2)
	v_pk_fma_f32 v[36:37], v[48:49], v[72:73], v[36:37] op_sel_hi:[0,1,1] neg_lo:[1,0,0] neg_hi:[1,0,0]
	s_waitcnt lgkmcnt(1)
	v_pk_fma_f32 v[26:27], v[48:49], v[74:75], v[26:27] op_sel_hi:[0,1,1] neg_lo:[1,0,0] neg_hi:[1,0,0]
	ds_read2_b32 v[70:71], v61 offset0:26 offset1:27
	ds_read2_b32 v[72:73], v61 offset0:28 offset1:29
	ds_read2_b32 v[74:75], v61 offset0:30 offset1:31
	s_waitcnt lgkmcnt(3)
	v_pk_fma_f32 v[46:47], v[48:49], v[68:69], v[46:47] op_sel_hi:[0,1,1] neg_lo:[1,0,0] neg_hi:[1,0,0]
	ds_read2_b32 v[68:69], v61 offset0:32 offset1:33
	s_waitcnt lgkmcnt(3)
	v_pk_fma_f32 v[38:39], v[48:49], v[70:71], v[38:39] op_sel_hi:[0,1,1] neg_lo:[1,0,0] neg_hi:[1,0,0]
	;; [unrolled: 12-line block ×3, first 2 shown]
	s_waitcnt lgkmcnt(2)
	v_pk_fma_f32 v[22:23], v[48:49], v[72:73], v[22:23] op_sel_hi:[0,1,1] neg_lo:[1,0,0] neg_hi:[1,0,0]
	ds_read2_b32 v[70:71], v61 offset0:42 offset1:43
	ds_read2_b32 v[72:73], v61 offset0:44 offset1:45
	s_waitcnt lgkmcnt(3)
	v_pk_fma_f32 v[12:13], v[48:49], v[74:75], v[12:13] op_sel_hi:[0,1,1] neg_lo:[1,0,0] neg_hi:[1,0,0]
	s_waitcnt lgkmcnt(2)
	v_pk_fma_f32 v[32:33], v[48:49], v[68:69], v[32:33] op_sel_hi:[0,1,1] neg_lo:[1,0,0] neg_hi:[1,0,0]
	ds_read2_b32 v[68:69], v61 offset0:46 offset1:47
	ds_read2_b32 v[74:75], v61 offset0:48 offset1:49
	s_waitcnt lgkmcnt(3)
	v_pk_fma_f32 v[24:25], v[48:49], v[70:71], v[24:25] op_sel_hi:[0,1,1] neg_lo:[1,0,0] neg_hi:[1,0,0]
	s_waitcnt lgkmcnt(2)
	v_pk_fma_f32 v[18:19], v[48:49], v[72:73], v[18:19] op_sel_hi:[0,1,1] neg_lo:[1,0,0] neg_hi:[1,0,0]
	ds_read2_b32 v[70:71], v61 offset0:50 offset1:51
	ds_read2_b32 v[72:73], v61 offset0:52 offset1:53
	;; [unrolled: 1-line block ×3, first 2 shown]
	s_waitcnt lgkmcnt(4)
	v_pk_fma_f32 v[0:1], v[48:49], v[68:69], v[0:1] op_sel_hi:[0,1,1] neg_lo:[1,0,0] neg_hi:[1,0,0]
	s_waitcnt lgkmcnt(3)
	v_pk_fma_f32 v[14:15], v[48:49], v[74:75], v[14:15] op_sel_hi:[0,1,1] neg_lo:[1,0,0] neg_hi:[1,0,0]
	;; [unrolled: 2-line block ×5, first 2 shown]
.LBB110_182:
	s_or_b64 exec, exec, s[0:1]
	v_lshl_add_u32 v64, v67, 2, v61
	s_barrier
	ds_write_b32 v64, v49
	s_waitcnt lgkmcnt(0)
	s_barrier
	ds_read_b32 v68, v61 offset:44
	s_cmp_lt_i32 s22, 13
	v_mov_b32_e32 v64, 11
	s_cbranch_scc1 .LBB110_185
; %bb.183:
	v_add3_u32 v69, v66, 0, 48
	v_mov_b32_e32 v64, 11
	s_mov_b32 s0, 12
.LBB110_184:                            ; =>This Inner Loop Header: Depth=1
	ds_read_b32 v70, v69
	v_mov_b32_e32 v71, s0
	s_add_i32 s0, s0, 1
	v_add_u32_e32 v69, 4, v69
	s_cmp_lg_u32 s22, s0
	s_waitcnt lgkmcnt(0)
	v_cmp_lt_f32_e64 vcc, |v68|, |v70|
	s_nop 1
	v_cndmask_b32_e32 v68, v68, v70, vcc
	v_cndmask_b32_e32 v64, v64, v71, vcc
	s_cbranch_scc1 .LBB110_184
.LBB110_185:
	s_waitcnt lgkmcnt(0)
	v_cmp_eq_f32_e32 vcc, 0, v68
	s_and_saveexec_b64 s[0:1], vcc
	s_xor_b64 s[0:1], exec, s[0:1]
; %bb.186:
	v_cmp_ne_u32_e32 vcc, 0, v63
	s_nop 1
	v_cndmask_b32_e32 v63, 12, v63, vcc
; %bb.187:
	s_andn2_saveexec_b64 s[0:1], s[0:1]
	s_cbranch_execz .LBB110_189
; %bb.188:
	v_div_scale_f32 v69, s[2:3], v68, v68, 1.0
	v_rcp_f32_e32 v70, v69
	v_div_scale_f32 v71, vcc, 1.0, v68, 1.0
	v_fma_f32 v72, -v69, v70, 1.0
	v_fmac_f32_e32 v70, v72, v70
	v_mul_f32_e32 v72, v71, v70
	v_fma_f32 v73, -v69, v72, v71
	v_fmac_f32_e32 v72, v73, v70
	v_fma_f32 v69, -v69, v72, v71
	v_div_fmas_f32 v69, v69, v70, v72
	v_div_fixup_f32 v68, v69, v68, 1.0
.LBB110_189:
	s_or_b64 exec, exec, s[0:1]
	v_cmp_ne_u32_e32 vcc, v67, v64
	s_and_saveexec_b64 s[0:1], vcc
	s_xor_b64 s[0:1], exec, s[0:1]
	s_cbranch_execz .LBB110_195
; %bb.190:
	v_cmp_eq_u32_e32 vcc, 11, v67
	s_and_saveexec_b64 s[2:3], vcc
	s_cbranch_execz .LBB110_194
; %bb.191:
	v_cmp_ne_u32_e32 vcc, 11, v64
	s_xor_b64 s[12:13], s[20:21], -1
	s_and_b64 s[14:15], s[12:13], vcc
	s_and_saveexec_b64 s[12:13], s[14:15]
	s_cbranch_execz .LBB110_193
; %bb.192:
	v_ashrrev_i32_e32 v65, 31, v64
	v_lshl_add_u64 v[70:71], v[64:65], 2, v[4:5]
	global_load_dword v65, v[70:71], off
	global_load_dword v67, v[4:5], off offset:44
	s_waitcnt vmcnt(1)
	global_store_dword v[4:5], v65, off offset:44
	s_waitcnt vmcnt(1)
	global_store_dword v[70:71], v67, off
.LBB110_193:
	s_or_b64 exec, exec, s[12:13]
	v_mov_b32_e32 v65, v64
	v_mov_b32_e32 v67, v64
.LBB110_194:
	s_or_b64 exec, exec, s[2:3]
.LBB110_195:
	s_andn2_saveexec_b64 s[0:1], s[0:1]
	s_cbranch_execz .LBB110_197
; %bb.196:
	v_mov_b32_e32 v67, 11
	ds_write2_b32 v61, v42, v43 offset0:12 offset1:13
	ds_write2_b32 v61, v34, v35 offset0:14 offset1:15
	;; [unrolled: 1-line block ×22, first 2 shown]
.LBB110_197:
	s_or_b64 exec, exec, s[0:1]
	v_cmp_lt_i32_e32 vcc, 11, v67
	s_waitcnt lgkmcnt(0)
	s_barrier
	s_and_saveexec_b64 s[0:1], vcc
	s_cbranch_execz .LBB110_199
; %bb.198:
	ds_read2_b32 v[70:71], v61 offset0:12 offset1:13
	ds_read2_b32 v[72:73], v61 offset0:14 offset1:15
	;; [unrolled: 1-line block ×3, first 2 shown]
	v_mul_f32_e32 v64, v68, v49
	ds_read2_b32 v[68:69], v61 offset0:18 offset1:19
	s_waitcnt lgkmcnt(3)
	v_pk_fma_f32 v[42:43], v[64:65], v[70:71], v[42:43] op_sel_hi:[0,1,1] neg_lo:[1,0,0] neg_hi:[1,0,0]
	s_waitcnt lgkmcnt(2)
	v_pk_fma_f32 v[34:35], v[64:65], v[72:73], v[34:35] op_sel_hi:[0,1,1] neg_lo:[1,0,0] neg_hi:[1,0,0]
	s_waitcnt lgkmcnt(1)
	v_pk_fma_f32 v[50:51], v[64:65], v[74:75], v[50:51] op_sel_hi:[0,1,1] neg_lo:[1,0,0] neg_hi:[1,0,0]
	ds_read2_b32 v[70:71], v61 offset0:20 offset1:21
	ds_read2_b32 v[72:73], v61 offset0:22 offset1:23
	ds_read2_b32 v[74:75], v61 offset0:24 offset1:25
	s_waitcnt lgkmcnt(3)
	v_pk_fma_f32 v[44:45], v[64:65], v[68:69], v[44:45] op_sel_hi:[0,1,1] neg_lo:[1,0,0] neg_hi:[1,0,0]
	ds_read2_b32 v[68:69], v61 offset0:26 offset1:27
	s_waitcnt lgkmcnt(3)
	v_pk_fma_f32 v[36:37], v[64:65], v[70:71], v[36:37] op_sel_hi:[0,1,1] neg_lo:[1,0,0] neg_hi:[1,0,0]
	s_waitcnt lgkmcnt(2)
	v_pk_fma_f32 v[26:27], v[64:65], v[72:73], v[26:27] op_sel_hi:[0,1,1] neg_lo:[1,0,0] neg_hi:[1,0,0]
	s_waitcnt lgkmcnt(1)
	v_pk_fma_f32 v[46:47], v[64:65], v[74:75], v[46:47] op_sel_hi:[0,1,1] neg_lo:[1,0,0] neg_hi:[1,0,0]
	ds_read2_b32 v[70:71], v61 offset0:28 offset1:29
	ds_read2_b32 v[72:73], v61 offset0:30 offset1:31
	ds_read2_b32 v[74:75], v61 offset0:32 offset1:33
	s_waitcnt lgkmcnt(3)
	v_pk_fma_f32 v[38:39], v[64:65], v[68:69], v[38:39] op_sel_hi:[0,1,1] neg_lo:[1,0,0] neg_hi:[1,0,0]
	;; [unrolled: 12-line block ×3, first 2 shown]
	ds_read2_b32 v[68:69], v61 offset0:42 offset1:43
	s_waitcnt lgkmcnt(3)
	v_pk_fma_f32 v[22:23], v[64:65], v[70:71], v[22:23] op_sel_hi:[0,1,1] neg_lo:[1,0,0] neg_hi:[1,0,0]
	ds_read2_b32 v[70:71], v61 offset0:44 offset1:45
	s_waitcnt lgkmcnt(3)
	v_pk_fma_f32 v[12:13], v[64:65], v[72:73], v[12:13] op_sel_hi:[0,1,1] neg_lo:[1,0,0] neg_hi:[1,0,0]
	s_waitcnt lgkmcnt(2)
	v_pk_fma_f32 v[32:33], v[64:65], v[74:75], v[32:33] op_sel_hi:[0,1,1] neg_lo:[1,0,0] neg_hi:[1,0,0]
	;; [unrolled: 2-line block ×3, first 2 shown]
	ds_read2_b32 v[68:69], v61 offset0:46 offset1:47
	ds_read2_b32 v[72:73], v61 offset0:48 offset1:49
	;; [unrolled: 1-line block ×3, first 2 shown]
	s_waitcnt lgkmcnt(3)
	v_pk_fma_f32 v[18:19], v[64:65], v[70:71], v[18:19] op_sel_hi:[0,1,1] neg_lo:[1,0,0] neg_hi:[1,0,0]
	ds_read2_b32 v[70:71], v61 offset0:52 offset1:53
	ds_read2_b32 v[76:77], v61 offset0:54 offset1:55
	s_waitcnt lgkmcnt(4)
	v_pk_fma_f32 v[0:1], v[64:65], v[68:69], v[0:1] op_sel_hi:[0,1,1] neg_lo:[1,0,0] neg_hi:[1,0,0]
	s_waitcnt lgkmcnt(3)
	v_pk_fma_f32 v[14:15], v[64:65], v[72:73], v[14:15] op_sel_hi:[0,1,1] neg_lo:[1,0,0] neg_hi:[1,0,0]
	;; [unrolled: 2-line block ×5, first 2 shown]
	v_mov_b32_e32 v49, v64
.LBB110_199:
	s_or_b64 exec, exec, s[0:1]
	v_lshl_add_u32 v64, v67, 2, v61
	s_barrier
	ds_write_b32 v64, v42
	s_waitcnt lgkmcnt(0)
	s_barrier
	ds_read_b32 v68, v61 offset:48
	s_cmp_lt_i32 s22, 14
	v_mov_b32_e32 v64, 12
	s_cbranch_scc1 .LBB110_202
; %bb.200:
	v_add3_u32 v69, v66, 0, 52
	v_mov_b32_e32 v64, 12
	s_mov_b32 s0, 13
.LBB110_201:                            ; =>This Inner Loop Header: Depth=1
	ds_read_b32 v70, v69
	v_mov_b32_e32 v71, s0
	s_add_i32 s0, s0, 1
	v_add_u32_e32 v69, 4, v69
	s_cmp_lg_u32 s22, s0
	s_waitcnt lgkmcnt(0)
	v_cmp_lt_f32_e64 vcc, |v68|, |v70|
	s_nop 1
	v_cndmask_b32_e32 v68, v68, v70, vcc
	v_cndmask_b32_e32 v64, v64, v71, vcc
	s_cbranch_scc1 .LBB110_201
.LBB110_202:
	s_waitcnt lgkmcnt(0)
	v_cmp_eq_f32_e32 vcc, 0, v68
	s_and_saveexec_b64 s[0:1], vcc
	s_xor_b64 s[0:1], exec, s[0:1]
; %bb.203:
	v_cmp_ne_u32_e32 vcc, 0, v63
	s_nop 1
	v_cndmask_b32_e32 v63, 13, v63, vcc
; %bb.204:
	s_andn2_saveexec_b64 s[0:1], s[0:1]
	s_cbranch_execz .LBB110_206
; %bb.205:
	v_div_scale_f32 v69, s[2:3], v68, v68, 1.0
	v_rcp_f32_e32 v70, v69
	v_div_scale_f32 v71, vcc, 1.0, v68, 1.0
	v_fma_f32 v72, -v69, v70, 1.0
	v_fmac_f32_e32 v70, v72, v70
	v_mul_f32_e32 v72, v71, v70
	v_fma_f32 v73, -v69, v72, v71
	v_fmac_f32_e32 v72, v73, v70
	v_fma_f32 v69, -v69, v72, v71
	v_div_fmas_f32 v69, v69, v70, v72
	v_div_fixup_f32 v68, v69, v68, 1.0
.LBB110_206:
	s_or_b64 exec, exec, s[0:1]
	v_cmp_ne_u32_e32 vcc, v67, v64
	s_and_saveexec_b64 s[0:1], vcc
	s_xor_b64 s[0:1], exec, s[0:1]
	s_cbranch_execz .LBB110_212
; %bb.207:
	v_cmp_eq_u32_e32 vcc, 12, v67
	s_and_saveexec_b64 s[2:3], vcc
	s_cbranch_execz .LBB110_211
; %bb.208:
	v_cmp_ne_u32_e32 vcc, 12, v64
	s_xor_b64 s[12:13], s[20:21], -1
	s_and_b64 s[14:15], s[12:13], vcc
	s_and_saveexec_b64 s[12:13], s[14:15]
	s_cbranch_execz .LBB110_210
; %bb.209:
	v_ashrrev_i32_e32 v65, 31, v64
	v_lshl_add_u64 v[70:71], v[64:65], 2, v[4:5]
	global_load_dword v65, v[70:71], off
	global_load_dword v67, v[4:5], off offset:48
	s_waitcnt vmcnt(1)
	global_store_dword v[4:5], v65, off offset:48
	s_waitcnt vmcnt(1)
	global_store_dword v[70:71], v67, off
.LBB110_210:
	s_or_b64 exec, exec, s[12:13]
	v_mov_b32_e32 v65, v64
	v_mov_b32_e32 v67, v64
.LBB110_211:
	s_or_b64 exec, exec, s[2:3]
.LBB110_212:
	s_andn2_saveexec_b64 s[0:1], s[0:1]
	s_cbranch_execz .LBB110_214
; %bb.213:
	v_pk_mov_b32 v[70:71], v[42:43], v[34:35] op_sel:[1,0]
	ds_write2_b32 v61, v70, v71 offset0:13 offset1:14
	v_pk_mov_b32 v[70:71], v[34:35], v[50:51] op_sel:[1,0]
	ds_write2_b32 v61, v70, v71 offset0:15 offset1:16
	;; [unrolled: 2-line block ×20, first 2 shown]
	v_pk_mov_b32 v[70:71], v[16:17], v[10:11] op_sel:[1,0]
	v_mov_b32_e32 v67, 12
	ds_write2_b32 v61, v70, v71 offset0:53 offset1:54
	ds_write_b32 v61, v11 offset:220
.LBB110_214:
	s_or_b64 exec, exec, s[0:1]
	v_cmp_lt_i32_e32 vcc, 12, v67
	s_waitcnt lgkmcnt(0)
	s_barrier
	s_and_saveexec_b64 s[0:1], vcc
	s_cbranch_execz .LBB110_216
; %bb.215:
	ds_read_b32 v64, v61 offset:52
	ds_read2_b32 v[70:71], v61 offset0:14 offset1:15
	ds_read2_b32 v[72:73], v61 offset0:16 offset1:17
	v_mul_f32_e32 v42, v68, v42
	ds_read2_b32 v[68:69], v61 offset0:18 offset1:19
	s_waitcnt lgkmcnt(3)
	v_fma_f32 v43, -v42, v64, v43
	s_waitcnt lgkmcnt(2)
	v_pk_fma_f32 v[34:35], v[42:43], v[70:71], v[34:35] op_sel_hi:[0,1,1] neg_lo:[1,0,0] neg_hi:[1,0,0]
	s_waitcnt lgkmcnt(1)
	v_pk_fma_f32 v[50:51], v[42:43], v[72:73], v[50:51] op_sel_hi:[0,1,1] neg_lo:[1,0,0] neg_hi:[1,0,0]
	ds_read2_b32 v[70:71], v61 offset0:20 offset1:21
	ds_read2_b32 v[72:73], v61 offset0:22 offset1:23
	ds_read2_b32 v[74:75], v61 offset0:24 offset1:25
	s_waitcnt lgkmcnt(3)
	v_pk_fma_f32 v[44:45], v[42:43], v[68:69], v[44:45] op_sel_hi:[0,1,1] neg_lo:[1,0,0] neg_hi:[1,0,0]
	ds_read2_b32 v[68:69], v61 offset0:26 offset1:27
	s_waitcnt lgkmcnt(3)
	v_pk_fma_f32 v[36:37], v[42:43], v[70:71], v[36:37] op_sel_hi:[0,1,1] neg_lo:[1,0,0] neg_hi:[1,0,0]
	s_waitcnt lgkmcnt(2)
	v_pk_fma_f32 v[26:27], v[42:43], v[72:73], v[26:27] op_sel_hi:[0,1,1] neg_lo:[1,0,0] neg_hi:[1,0,0]
	s_waitcnt lgkmcnt(1)
	v_pk_fma_f32 v[46:47], v[42:43], v[74:75], v[46:47] op_sel_hi:[0,1,1] neg_lo:[1,0,0] neg_hi:[1,0,0]
	ds_read2_b32 v[70:71], v61 offset0:28 offset1:29
	ds_read2_b32 v[72:73], v61 offset0:30 offset1:31
	ds_read2_b32 v[74:75], v61 offset0:32 offset1:33
	s_waitcnt lgkmcnt(3)
	v_pk_fma_f32 v[38:39], v[42:43], v[68:69], v[38:39] op_sel_hi:[0,1,1] neg_lo:[1,0,0] neg_hi:[1,0,0]
	ds_read2_b32 v[68:69], v61 offset0:34 offset1:35
	s_waitcnt lgkmcnt(3)
	v_pk_fma_f32 v[28:29], v[42:43], v[70:71], v[28:29] op_sel_hi:[0,1,1] neg_lo:[1,0,0] neg_hi:[1,0,0]
	;; [unrolled: 12-line block ×3, first 2 shown]
	ds_read2_b32 v[70:71], v61 offset0:44 offset1:45
	s_waitcnt lgkmcnt(3)
	v_pk_fma_f32 v[12:13], v[42:43], v[72:73], v[12:13] op_sel_hi:[0,1,1] neg_lo:[1,0,0] neg_hi:[1,0,0]
	s_waitcnt lgkmcnt(2)
	v_pk_fma_f32 v[32:33], v[42:43], v[74:75], v[32:33] op_sel_hi:[0,1,1] neg_lo:[1,0,0] neg_hi:[1,0,0]
	;; [unrolled: 2-line block ×3, first 2 shown]
	ds_read2_b32 v[68:69], v61 offset0:46 offset1:47
	ds_read2_b32 v[72:73], v61 offset0:48 offset1:49
	;; [unrolled: 1-line block ×3, first 2 shown]
	s_waitcnt lgkmcnt(3)
	v_pk_fma_f32 v[18:19], v[42:43], v[70:71], v[18:19] op_sel_hi:[0,1,1] neg_lo:[1,0,0] neg_hi:[1,0,0]
	ds_read2_b32 v[70:71], v61 offset0:52 offset1:53
	ds_read2_b32 v[76:77], v61 offset0:54 offset1:55
	s_waitcnt lgkmcnt(4)
	v_pk_fma_f32 v[0:1], v[42:43], v[68:69], v[0:1] op_sel_hi:[0,1,1] neg_lo:[1,0,0] neg_hi:[1,0,0]
	s_waitcnt lgkmcnt(3)
	v_pk_fma_f32 v[14:15], v[42:43], v[72:73], v[14:15] op_sel_hi:[0,1,1] neg_lo:[1,0,0] neg_hi:[1,0,0]
	;; [unrolled: 2-line block ×5, first 2 shown]
.LBB110_216:
	s_or_b64 exec, exec, s[0:1]
	v_lshl_add_u32 v64, v67, 2, v61
	s_barrier
	ds_write_b32 v64, v43
	s_waitcnt lgkmcnt(0)
	s_barrier
	ds_read_b32 v68, v61 offset:52
	s_cmp_lt_i32 s22, 15
	v_mov_b32_e32 v64, 13
	s_cbranch_scc1 .LBB110_219
; %bb.217:
	v_add3_u32 v69, v66, 0, 56
	v_mov_b32_e32 v64, 13
	s_mov_b32 s0, 14
.LBB110_218:                            ; =>This Inner Loop Header: Depth=1
	ds_read_b32 v70, v69
	v_mov_b32_e32 v71, s0
	s_add_i32 s0, s0, 1
	v_add_u32_e32 v69, 4, v69
	s_cmp_lg_u32 s22, s0
	s_waitcnt lgkmcnt(0)
	v_cmp_lt_f32_e64 vcc, |v68|, |v70|
	s_nop 1
	v_cndmask_b32_e32 v68, v68, v70, vcc
	v_cndmask_b32_e32 v64, v64, v71, vcc
	s_cbranch_scc1 .LBB110_218
.LBB110_219:
	s_waitcnt lgkmcnt(0)
	v_cmp_eq_f32_e32 vcc, 0, v68
	s_and_saveexec_b64 s[0:1], vcc
	s_xor_b64 s[0:1], exec, s[0:1]
; %bb.220:
	v_cmp_ne_u32_e32 vcc, 0, v63
	s_nop 1
	v_cndmask_b32_e32 v63, 14, v63, vcc
; %bb.221:
	s_andn2_saveexec_b64 s[0:1], s[0:1]
	s_cbranch_execz .LBB110_223
; %bb.222:
	v_div_scale_f32 v69, s[2:3], v68, v68, 1.0
	v_rcp_f32_e32 v70, v69
	v_div_scale_f32 v71, vcc, 1.0, v68, 1.0
	v_fma_f32 v72, -v69, v70, 1.0
	v_fmac_f32_e32 v70, v72, v70
	v_mul_f32_e32 v72, v71, v70
	v_fma_f32 v73, -v69, v72, v71
	v_fmac_f32_e32 v72, v73, v70
	v_fma_f32 v69, -v69, v72, v71
	v_div_fmas_f32 v69, v69, v70, v72
	v_div_fixup_f32 v68, v69, v68, 1.0
.LBB110_223:
	s_or_b64 exec, exec, s[0:1]
	v_cmp_ne_u32_e32 vcc, v67, v64
	s_and_saveexec_b64 s[0:1], vcc
	s_xor_b64 s[0:1], exec, s[0:1]
	s_cbranch_execz .LBB110_229
; %bb.224:
	v_cmp_eq_u32_e32 vcc, 13, v67
	s_and_saveexec_b64 s[2:3], vcc
	s_cbranch_execz .LBB110_228
; %bb.225:
	v_cmp_ne_u32_e32 vcc, 13, v64
	s_xor_b64 s[12:13], s[20:21], -1
	s_and_b64 s[14:15], s[12:13], vcc
	s_and_saveexec_b64 s[12:13], s[14:15]
	s_cbranch_execz .LBB110_227
; %bb.226:
	v_ashrrev_i32_e32 v65, 31, v64
	v_lshl_add_u64 v[70:71], v[64:65], 2, v[4:5]
	global_load_dword v65, v[70:71], off
	global_load_dword v67, v[4:5], off offset:52
	s_waitcnt vmcnt(1)
	global_store_dword v[4:5], v65, off offset:52
	s_waitcnt vmcnt(1)
	global_store_dword v[70:71], v67, off
.LBB110_227:
	s_or_b64 exec, exec, s[12:13]
	v_mov_b32_e32 v65, v64
	v_mov_b32_e32 v67, v64
.LBB110_228:
	s_or_b64 exec, exec, s[2:3]
.LBB110_229:
	s_andn2_saveexec_b64 s[0:1], s[0:1]
	s_cbranch_execz .LBB110_231
; %bb.230:
	v_mov_b32_e32 v67, 13
	ds_write2_b32 v61, v34, v35 offset0:14 offset1:15
	ds_write2_b32 v61, v50, v51 offset0:16 offset1:17
	;; [unrolled: 1-line block ×21, first 2 shown]
.LBB110_231:
	s_or_b64 exec, exec, s[0:1]
	v_cmp_lt_i32_e32 vcc, 13, v67
	s_waitcnt lgkmcnt(0)
	s_barrier
	s_and_saveexec_b64 s[0:1], vcc
	s_cbranch_execz .LBB110_233
; %bb.232:
	ds_read2_b32 v[70:71], v61 offset0:14 offset1:15
	ds_read2_b32 v[72:73], v61 offset0:16 offset1:17
	;; [unrolled: 1-line block ×3, first 2 shown]
	v_mul_f32_e32 v64, v68, v43
	ds_read2_b32 v[68:69], v61 offset0:20 offset1:21
	s_waitcnt lgkmcnt(3)
	v_pk_fma_f32 v[34:35], v[64:65], v[70:71], v[34:35] op_sel_hi:[0,1,1] neg_lo:[1,0,0] neg_hi:[1,0,0]
	s_waitcnt lgkmcnt(2)
	v_pk_fma_f32 v[50:51], v[64:65], v[72:73], v[50:51] op_sel_hi:[0,1,1] neg_lo:[1,0,0] neg_hi:[1,0,0]
	;; [unrolled: 2-line block ×3, first 2 shown]
	ds_read2_b32 v[70:71], v61 offset0:22 offset1:23
	ds_read2_b32 v[72:73], v61 offset0:24 offset1:25
	;; [unrolled: 1-line block ×3, first 2 shown]
	s_waitcnt lgkmcnt(3)
	v_pk_fma_f32 v[36:37], v[64:65], v[68:69], v[36:37] op_sel_hi:[0,1,1] neg_lo:[1,0,0] neg_hi:[1,0,0]
	ds_read2_b32 v[68:69], v61 offset0:28 offset1:29
	s_waitcnt lgkmcnt(3)
	v_pk_fma_f32 v[26:27], v[64:65], v[70:71], v[26:27] op_sel_hi:[0,1,1] neg_lo:[1,0,0] neg_hi:[1,0,0]
	s_waitcnt lgkmcnt(2)
	v_pk_fma_f32 v[46:47], v[64:65], v[72:73], v[46:47] op_sel_hi:[0,1,1] neg_lo:[1,0,0] neg_hi:[1,0,0]
	s_waitcnt lgkmcnt(1)
	v_pk_fma_f32 v[38:39], v[64:65], v[74:75], v[38:39] op_sel_hi:[0,1,1] neg_lo:[1,0,0] neg_hi:[1,0,0]
	ds_read2_b32 v[70:71], v61 offset0:30 offset1:31
	ds_read2_b32 v[72:73], v61 offset0:32 offset1:33
	;; [unrolled: 1-line block ×3, first 2 shown]
	s_waitcnt lgkmcnt(3)
	v_pk_fma_f32 v[28:29], v[64:65], v[68:69], v[28:29] op_sel_hi:[0,1,1] neg_lo:[1,0,0] neg_hi:[1,0,0]
	ds_read2_b32 v[68:69], v61 offset0:36 offset1:37
	s_waitcnt lgkmcnt(3)
	v_pk_fma_f32 v[20:21], v[64:65], v[70:71], v[20:21] op_sel_hi:[0,1,1] neg_lo:[1,0,0] neg_hi:[1,0,0]
	s_waitcnt lgkmcnt(2)
	v_pk_fma_f32 v[40:41], v[64:65], v[72:73], v[40:41] op_sel_hi:[0,1,1] neg_lo:[1,0,0] neg_hi:[1,0,0]
	;; [unrolled: 2-line block ×3, first 2 shown]
	ds_read2_b32 v[70:71], v61 offset0:38 offset1:39
	ds_read2_b32 v[72:73], v61 offset0:40 offset1:41
	;; [unrolled: 1-line block ×4, first 2 shown]
	s_waitcnt lgkmcnt(4)
	v_pk_fma_f32 v[22:23], v[64:65], v[68:69], v[22:23] op_sel_hi:[0,1,1] neg_lo:[1,0,0] neg_hi:[1,0,0]
	s_waitcnt lgkmcnt(3)
	v_pk_fma_f32 v[12:13], v[64:65], v[70:71], v[12:13] op_sel_hi:[0,1,1] neg_lo:[1,0,0] neg_hi:[1,0,0]
	;; [unrolled: 2-line block ×5, first 2 shown]
	ds_read2_b32 v[68:69], v61 offset0:46 offset1:47
	ds_read2_b32 v[70:71], v61 offset0:48 offset1:49
	;; [unrolled: 1-line block ×5, first 2 shown]
	s_waitcnt lgkmcnt(4)
	v_pk_fma_f32 v[0:1], v[64:65], v[68:69], v[0:1] op_sel_hi:[0,1,1] neg_lo:[1,0,0] neg_hi:[1,0,0]
	s_waitcnt lgkmcnt(3)
	v_pk_fma_f32 v[14:15], v[64:65], v[70:71], v[14:15] op_sel_hi:[0,1,1] neg_lo:[1,0,0] neg_hi:[1,0,0]
	;; [unrolled: 2-line block ×5, first 2 shown]
	v_mov_b32_e32 v43, v64
.LBB110_233:
	s_or_b64 exec, exec, s[0:1]
	v_lshl_add_u32 v64, v67, 2, v61
	s_barrier
	ds_write_b32 v64, v34
	s_waitcnt lgkmcnt(0)
	s_barrier
	ds_read_b32 v68, v61 offset:56
	s_cmp_lt_i32 s22, 16
	v_mov_b32_e32 v64, 14
	s_cbranch_scc1 .LBB110_236
; %bb.234:
	v_add3_u32 v69, v66, 0, 60
	v_mov_b32_e32 v64, 14
	s_mov_b32 s0, 15
.LBB110_235:                            ; =>This Inner Loop Header: Depth=1
	ds_read_b32 v70, v69
	v_mov_b32_e32 v71, s0
	s_add_i32 s0, s0, 1
	v_add_u32_e32 v69, 4, v69
	s_cmp_lg_u32 s22, s0
	s_waitcnt lgkmcnt(0)
	v_cmp_lt_f32_e64 vcc, |v68|, |v70|
	s_nop 1
	v_cndmask_b32_e32 v68, v68, v70, vcc
	v_cndmask_b32_e32 v64, v64, v71, vcc
	s_cbranch_scc1 .LBB110_235
.LBB110_236:
	s_waitcnt lgkmcnt(0)
	v_cmp_eq_f32_e32 vcc, 0, v68
	s_and_saveexec_b64 s[0:1], vcc
	s_xor_b64 s[0:1], exec, s[0:1]
; %bb.237:
	v_cmp_ne_u32_e32 vcc, 0, v63
	s_nop 1
	v_cndmask_b32_e32 v63, 15, v63, vcc
; %bb.238:
	s_andn2_saveexec_b64 s[0:1], s[0:1]
	s_cbranch_execz .LBB110_240
; %bb.239:
	v_div_scale_f32 v69, s[2:3], v68, v68, 1.0
	v_rcp_f32_e32 v70, v69
	v_div_scale_f32 v71, vcc, 1.0, v68, 1.0
	v_fma_f32 v72, -v69, v70, 1.0
	v_fmac_f32_e32 v70, v72, v70
	v_mul_f32_e32 v72, v71, v70
	v_fma_f32 v73, -v69, v72, v71
	v_fmac_f32_e32 v72, v73, v70
	v_fma_f32 v69, -v69, v72, v71
	v_div_fmas_f32 v69, v69, v70, v72
	v_div_fixup_f32 v68, v69, v68, 1.0
.LBB110_240:
	s_or_b64 exec, exec, s[0:1]
	v_cmp_ne_u32_e32 vcc, v67, v64
	s_and_saveexec_b64 s[0:1], vcc
	s_xor_b64 s[0:1], exec, s[0:1]
	s_cbranch_execz .LBB110_246
; %bb.241:
	v_cmp_eq_u32_e32 vcc, 14, v67
	s_and_saveexec_b64 s[2:3], vcc
	s_cbranch_execz .LBB110_245
; %bb.242:
	v_cmp_ne_u32_e32 vcc, 14, v64
	s_xor_b64 s[12:13], s[20:21], -1
	s_and_b64 s[14:15], s[12:13], vcc
	s_and_saveexec_b64 s[12:13], s[14:15]
	s_cbranch_execz .LBB110_244
; %bb.243:
	v_ashrrev_i32_e32 v65, 31, v64
	v_lshl_add_u64 v[70:71], v[64:65], 2, v[4:5]
	global_load_dword v65, v[70:71], off
	global_load_dword v67, v[4:5], off offset:56
	s_waitcnt vmcnt(1)
	global_store_dword v[4:5], v65, off offset:56
	s_waitcnt vmcnt(1)
	global_store_dword v[70:71], v67, off
.LBB110_244:
	s_or_b64 exec, exec, s[12:13]
	v_mov_b32_e32 v65, v64
	v_mov_b32_e32 v67, v64
.LBB110_245:
	s_or_b64 exec, exec, s[2:3]
.LBB110_246:
	s_andn2_saveexec_b64 s[0:1], s[0:1]
	s_cbranch_execz .LBB110_248
; %bb.247:
	v_pk_mov_b32 v[70:71], v[34:35], v[50:51] op_sel:[1,0]
	ds_write2_b32 v61, v70, v71 offset0:15 offset1:16
	v_pk_mov_b32 v[70:71], v[50:51], v[44:45] op_sel:[1,0]
	ds_write2_b32 v61, v70, v71 offset0:17 offset1:18
	;; [unrolled: 2-line block ×19, first 2 shown]
	v_pk_mov_b32 v[70:71], v[16:17], v[10:11] op_sel:[1,0]
	v_mov_b32_e32 v67, 14
	ds_write2_b32 v61, v70, v71 offset0:53 offset1:54
	ds_write_b32 v61, v11 offset:220
.LBB110_248:
	s_or_b64 exec, exec, s[0:1]
	v_cmp_lt_i32_e32 vcc, 14, v67
	s_waitcnt lgkmcnt(0)
	s_barrier
	s_and_saveexec_b64 s[0:1], vcc
	s_cbranch_execz .LBB110_250
; %bb.249:
	ds_read_b32 v64, v61 offset:60
	ds_read2_b32 v[70:71], v61 offset0:16 offset1:17
	ds_read2_b32 v[72:73], v61 offset0:18 offset1:19
	v_mul_f32_e32 v34, v68, v34
	ds_read2_b32 v[68:69], v61 offset0:20 offset1:21
	s_waitcnt lgkmcnt(3)
	v_fma_f32 v35, -v34, v64, v35
	s_waitcnt lgkmcnt(2)
	v_pk_fma_f32 v[50:51], v[34:35], v[70:71], v[50:51] op_sel_hi:[0,1,1] neg_lo:[1,0,0] neg_hi:[1,0,0]
	s_waitcnt lgkmcnt(1)
	v_pk_fma_f32 v[44:45], v[34:35], v[72:73], v[44:45] op_sel_hi:[0,1,1] neg_lo:[1,0,0] neg_hi:[1,0,0]
	ds_read2_b32 v[70:71], v61 offset0:22 offset1:23
	ds_read2_b32 v[72:73], v61 offset0:24 offset1:25
	ds_read2_b32 v[74:75], v61 offset0:26 offset1:27
	s_waitcnt lgkmcnt(3)
	v_pk_fma_f32 v[36:37], v[34:35], v[68:69], v[36:37] op_sel_hi:[0,1,1] neg_lo:[1,0,0] neg_hi:[1,0,0]
	ds_read2_b32 v[68:69], v61 offset0:28 offset1:29
	s_waitcnt lgkmcnt(3)
	v_pk_fma_f32 v[26:27], v[34:35], v[70:71], v[26:27] op_sel_hi:[0,1,1] neg_lo:[1,0,0] neg_hi:[1,0,0]
	s_waitcnt lgkmcnt(2)
	v_pk_fma_f32 v[46:47], v[34:35], v[72:73], v[46:47] op_sel_hi:[0,1,1] neg_lo:[1,0,0] neg_hi:[1,0,0]
	;; [unrolled: 2-line block ×3, first 2 shown]
	ds_read2_b32 v[70:71], v61 offset0:30 offset1:31
	ds_read2_b32 v[72:73], v61 offset0:32 offset1:33
	;; [unrolled: 1-line block ×3, first 2 shown]
	s_waitcnt lgkmcnt(3)
	v_pk_fma_f32 v[28:29], v[34:35], v[68:69], v[28:29] op_sel_hi:[0,1,1] neg_lo:[1,0,0] neg_hi:[1,0,0]
	ds_read2_b32 v[68:69], v61 offset0:36 offset1:37
	s_waitcnt lgkmcnt(3)
	v_pk_fma_f32 v[20:21], v[34:35], v[70:71], v[20:21] op_sel_hi:[0,1,1] neg_lo:[1,0,0] neg_hi:[1,0,0]
	s_waitcnt lgkmcnt(2)
	v_pk_fma_f32 v[40:41], v[34:35], v[72:73], v[40:41] op_sel_hi:[0,1,1] neg_lo:[1,0,0] neg_hi:[1,0,0]
	;; [unrolled: 2-line block ×3, first 2 shown]
	ds_read2_b32 v[70:71], v61 offset0:38 offset1:39
	ds_read2_b32 v[72:73], v61 offset0:40 offset1:41
	;; [unrolled: 1-line block ×4, first 2 shown]
	s_waitcnt lgkmcnt(4)
	v_pk_fma_f32 v[22:23], v[34:35], v[68:69], v[22:23] op_sel_hi:[0,1,1] neg_lo:[1,0,0] neg_hi:[1,0,0]
	s_waitcnt lgkmcnt(3)
	v_pk_fma_f32 v[12:13], v[34:35], v[70:71], v[12:13] op_sel_hi:[0,1,1] neg_lo:[1,0,0] neg_hi:[1,0,0]
	;; [unrolled: 2-line block ×5, first 2 shown]
	ds_read2_b32 v[68:69], v61 offset0:46 offset1:47
	ds_read2_b32 v[70:71], v61 offset0:48 offset1:49
	;; [unrolled: 1-line block ×5, first 2 shown]
	s_waitcnt lgkmcnt(4)
	v_pk_fma_f32 v[0:1], v[34:35], v[68:69], v[0:1] op_sel_hi:[0,1,1] neg_lo:[1,0,0] neg_hi:[1,0,0]
	s_waitcnt lgkmcnt(3)
	v_pk_fma_f32 v[14:15], v[34:35], v[70:71], v[14:15] op_sel_hi:[0,1,1] neg_lo:[1,0,0] neg_hi:[1,0,0]
	;; [unrolled: 2-line block ×5, first 2 shown]
.LBB110_250:
	s_or_b64 exec, exec, s[0:1]
	v_lshl_add_u32 v64, v67, 2, v61
	s_barrier
	ds_write_b32 v64, v35
	s_waitcnt lgkmcnt(0)
	s_barrier
	ds_read_b32 v68, v61 offset:60
	s_cmp_lt_i32 s22, 17
	v_mov_b32_e32 v64, 15
	s_cbranch_scc1 .LBB110_253
; %bb.251:
	v_add3_u32 v66, v66, 0, 64
	v_mov_b32_e32 v64, 15
	s_mov_b32 s0, 16
.LBB110_252:                            ; =>This Inner Loop Header: Depth=1
	ds_read_b32 v69, v66
	v_mov_b32_e32 v70, s0
	s_add_i32 s0, s0, 1
	v_add_u32_e32 v66, 4, v66
	s_cmp_lg_u32 s22, s0
	s_waitcnt lgkmcnt(0)
	v_cmp_lt_f32_e64 vcc, |v68|, |v69|
	s_nop 1
	v_cndmask_b32_e32 v68, v68, v69, vcc
	v_cndmask_b32_e32 v64, v64, v70, vcc
	s_cbranch_scc1 .LBB110_252
.LBB110_253:
	s_waitcnt lgkmcnt(0)
	v_cmp_eq_f32_e32 vcc, 0, v68
	s_and_saveexec_b64 s[0:1], vcc
	s_xor_b64 s[0:1], exec, s[0:1]
; %bb.254:
	v_cmp_ne_u32_e32 vcc, 0, v63
	s_nop 1
	v_cndmask_b32_e32 v63, 16, v63, vcc
; %bb.255:
	s_andn2_saveexec_b64 s[0:1], s[0:1]
	s_cbranch_execz .LBB110_257
; %bb.256:
	v_div_scale_f32 v66, s[2:3], v68, v68, 1.0
	v_rcp_f32_e32 v69, v66
	v_div_scale_f32 v70, vcc, 1.0, v68, 1.0
	v_fma_f32 v71, -v66, v69, 1.0
	v_fmac_f32_e32 v69, v71, v69
	v_mul_f32_e32 v71, v70, v69
	v_fma_f32 v72, -v66, v71, v70
	v_fmac_f32_e32 v71, v72, v69
	v_fma_f32 v66, -v66, v71, v70
	v_div_fmas_f32 v66, v66, v69, v71
	v_div_fixup_f32 v68, v66, v68, 1.0
.LBB110_257:
	s_or_b64 exec, exec, s[0:1]
	v_cmp_ne_u32_e32 vcc, v67, v64
	s_and_saveexec_b64 s[0:1], vcc
	s_xor_b64 s[0:1], exec, s[0:1]
	s_cbranch_execz .LBB110_263
; %bb.258:
	v_cmp_eq_u32_e32 vcc, 15, v67
	s_and_saveexec_b64 s[2:3], vcc
	s_cbranch_execz .LBB110_262
; %bb.259:
	v_cmp_ne_u32_e32 vcc, 15, v64
	s_xor_b64 s[12:13], s[20:21], -1
	s_and_b64 s[14:15], s[12:13], vcc
	s_and_saveexec_b64 s[12:13], s[14:15]
	s_cbranch_execz .LBB110_261
; %bb.260:
	v_ashrrev_i32_e32 v65, 31, v64
	v_lshl_add_u64 v[66:67], v[64:65], 2, v[4:5]
	global_load_dword v65, v[66:67], off
	global_load_dword v69, v[4:5], off offset:60
	s_waitcnt vmcnt(1)
	global_store_dword v[4:5], v65, off offset:60
	s_waitcnt vmcnt(1)
	global_store_dword v[66:67], v69, off
.LBB110_261:
	s_or_b64 exec, exec, s[12:13]
	v_mov_b32_e32 v65, v64
	v_mov_b32_e32 v67, v64
.LBB110_262:
	s_or_b64 exec, exec, s[2:3]
.LBB110_263:
	s_andn2_saveexec_b64 s[0:1], s[0:1]
	s_cbranch_execz .LBB110_265
; %bb.264:
	v_mov_b32_e32 v67, 15
	ds_write2_b32 v61, v50, v51 offset0:16 offset1:17
	ds_write2_b32 v61, v44, v45 offset0:18 offset1:19
	;; [unrolled: 1-line block ×20, first 2 shown]
.LBB110_265:
	s_or_b64 exec, exec, s[0:1]
	v_cmp_lt_i32_e32 vcc, 15, v67
	s_waitcnt lgkmcnt(0)
	s_barrier
	s_and_saveexec_b64 s[0:1], vcc
	s_cbranch_execz .LBB110_267
; %bb.266:
	ds_read2_b32 v[70:71], v61 offset0:16 offset1:17
	ds_read2_b32 v[72:73], v61 offset0:18 offset1:19
	;; [unrolled: 1-line block ×3, first 2 shown]
	v_mul_f32_e32 v64, v68, v35
	ds_read2_b32 v[68:69], v61 offset0:22 offset1:23
	s_waitcnt lgkmcnt(3)
	v_pk_fma_f32 v[50:51], v[64:65], v[70:71], v[50:51] op_sel_hi:[0,1,1] neg_lo:[1,0,0] neg_hi:[1,0,0]
	s_waitcnt lgkmcnt(2)
	v_pk_fma_f32 v[44:45], v[64:65], v[72:73], v[44:45] op_sel_hi:[0,1,1] neg_lo:[1,0,0] neg_hi:[1,0,0]
	s_waitcnt lgkmcnt(1)
	v_pk_fma_f32 v[36:37], v[64:65], v[74:75], v[36:37] op_sel_hi:[0,1,1] neg_lo:[1,0,0] neg_hi:[1,0,0]
	ds_read2_b32 v[70:71], v61 offset0:24 offset1:25
	ds_read2_b32 v[72:73], v61 offset0:26 offset1:27
	ds_read2_b32 v[74:75], v61 offset0:28 offset1:29
	s_waitcnt lgkmcnt(3)
	v_pk_fma_f32 v[26:27], v[64:65], v[68:69], v[26:27] op_sel_hi:[0,1,1] neg_lo:[1,0,0] neg_hi:[1,0,0]
	ds_read2_b32 v[68:69], v61 offset0:30 offset1:31
	s_waitcnt lgkmcnt(3)
	v_pk_fma_f32 v[46:47], v[64:65], v[70:71], v[46:47] op_sel_hi:[0,1,1] neg_lo:[1,0,0] neg_hi:[1,0,0]
	s_waitcnt lgkmcnt(2)
	v_pk_fma_f32 v[38:39], v[64:65], v[72:73], v[38:39] op_sel_hi:[0,1,1] neg_lo:[1,0,0] neg_hi:[1,0,0]
	s_waitcnt lgkmcnt(1)
	v_pk_fma_f32 v[28:29], v[64:65], v[74:75], v[28:29] op_sel_hi:[0,1,1] neg_lo:[1,0,0] neg_hi:[1,0,0]
	ds_read2_b32 v[70:71], v61 offset0:32 offset1:33
	ds_read2_b32 v[72:73], v61 offset0:34 offset1:35
	ds_read2_b32 v[74:75], v61 offset0:36 offset1:37
	s_waitcnt lgkmcnt(3)
	v_pk_fma_f32 v[20:21], v[64:65], v[68:69], v[20:21] op_sel_hi:[0,1,1] neg_lo:[1,0,0] neg_hi:[1,0,0]
	;; [unrolled: 12-line block ×3, first 2 shown]
	ds_read2_b32 v[68:69], v61 offset0:46 offset1:47
	s_waitcnt lgkmcnt(3)
	v_pk_fma_f32 v[32:33], v[64:65], v[70:71], v[32:33] op_sel_hi:[0,1,1] neg_lo:[1,0,0] neg_hi:[1,0,0]
	s_waitcnt lgkmcnt(2)
	v_pk_fma_f32 v[24:25], v[64:65], v[72:73], v[24:25] op_sel_hi:[0,1,1] neg_lo:[1,0,0] neg_hi:[1,0,0]
	;; [unrolled: 2-line block ×3, first 2 shown]
	ds_read2_b32 v[70:71], v61 offset0:48 offset1:49
	ds_read2_b32 v[72:73], v61 offset0:50 offset1:51
	;; [unrolled: 1-line block ×4, first 2 shown]
	s_waitcnt lgkmcnt(4)
	v_pk_fma_f32 v[0:1], v[64:65], v[68:69], v[0:1] op_sel_hi:[0,1,1] neg_lo:[1,0,0] neg_hi:[1,0,0]
	s_waitcnt lgkmcnt(3)
	v_pk_fma_f32 v[14:15], v[64:65], v[70:71], v[14:15] op_sel_hi:[0,1,1] neg_lo:[1,0,0] neg_hi:[1,0,0]
	;; [unrolled: 2-line block ×5, first 2 shown]
	v_mov_b32_e32 v35, v64
.LBB110_267:
	s_or_b64 exec, exec, s[0:1]
	v_lshl_add_u32 v64, v67, 2, v61
	s_barrier
	ds_write_b32 v64, v50
	s_waitcnt lgkmcnt(0)
	s_barrier
	ds_read_b32 v66, v61 offset:64
	s_cmp_lt_i32 s22, 18
	v_mov_b32_e32 v64, 16
	s_cbranch_scc1 .LBB110_270
; %bb.268:
	v_add_u32_e32 v68, 0x44, v61
	v_mov_b32_e32 v64, 16
	s_mov_b32 s0, 17
.LBB110_269:                            ; =>This Inner Loop Header: Depth=1
	ds_read_b32 v69, v68
	v_mov_b32_e32 v70, s0
	s_add_i32 s0, s0, 1
	v_add_u32_e32 v68, 4, v68
	s_cmp_lg_u32 s22, s0
	s_waitcnt lgkmcnt(0)
	v_cmp_lt_f32_e64 vcc, |v66|, |v69|
	s_nop 1
	v_cndmask_b32_e32 v66, v66, v69, vcc
	v_cndmask_b32_e32 v64, v64, v70, vcc
	s_cbranch_scc1 .LBB110_269
.LBB110_270:
	s_waitcnt lgkmcnt(0)
	v_cmp_eq_f32_e32 vcc, 0, v66
	s_and_saveexec_b64 s[0:1], vcc
	s_xor_b64 s[0:1], exec, s[0:1]
; %bb.271:
	v_cmp_ne_u32_e32 vcc, 0, v63
	s_nop 1
	v_cndmask_b32_e32 v63, 17, v63, vcc
; %bb.272:
	s_andn2_saveexec_b64 s[0:1], s[0:1]
	s_cbranch_execz .LBB110_274
; %bb.273:
	v_div_scale_f32 v68, s[2:3], v66, v66, 1.0
	v_rcp_f32_e32 v69, v68
	v_div_scale_f32 v70, vcc, 1.0, v66, 1.0
	v_fma_f32 v71, -v68, v69, 1.0
	v_fmac_f32_e32 v69, v71, v69
	v_mul_f32_e32 v71, v70, v69
	v_fma_f32 v72, -v68, v71, v70
	v_fmac_f32_e32 v71, v72, v69
	v_fma_f32 v68, -v68, v71, v70
	v_div_fmas_f32 v68, v68, v69, v71
	v_div_fixup_f32 v66, v68, v66, 1.0
.LBB110_274:
	s_or_b64 exec, exec, s[0:1]
	v_cmp_ne_u32_e32 vcc, v67, v64
	s_and_saveexec_b64 s[0:1], vcc
	s_xor_b64 s[0:1], exec, s[0:1]
	s_cbranch_execz .LBB110_280
; %bb.275:
	v_cmp_eq_u32_e32 vcc, 16, v67
	s_and_saveexec_b64 s[2:3], vcc
	s_cbranch_execz .LBB110_279
; %bb.276:
	v_cmp_ne_u32_e32 vcc, 16, v64
	s_xor_b64 s[12:13], s[20:21], -1
	s_and_b64 s[14:15], s[12:13], vcc
	s_and_saveexec_b64 s[12:13], s[14:15]
	s_cbranch_execz .LBB110_278
; %bb.277:
	v_ashrrev_i32_e32 v65, 31, v64
	v_lshl_add_u64 v[68:69], v[64:65], 2, v[4:5]
	global_load_dword v65, v[68:69], off
	global_load_dword v67, v[4:5], off offset:64
	s_waitcnt vmcnt(1)
	global_store_dword v[4:5], v65, off offset:64
	s_waitcnt vmcnt(1)
	global_store_dword v[68:69], v67, off
.LBB110_278:
	s_or_b64 exec, exec, s[12:13]
	v_mov_b32_e32 v65, v64
	v_mov_b32_e32 v67, v64
.LBB110_279:
	s_or_b64 exec, exec, s[2:3]
.LBB110_280:
	s_andn2_saveexec_b64 s[0:1], s[0:1]
	s_cbranch_execz .LBB110_282
; %bb.281:
	v_pk_mov_b32 v[68:69], v[50:51], v[44:45] op_sel:[1,0]
	ds_write2_b32 v61, v68, v69 offset0:17 offset1:18
	v_pk_mov_b32 v[68:69], v[44:45], v[36:37] op_sel:[1,0]
	ds_write2_b32 v61, v68, v69 offset0:19 offset1:20
	;; [unrolled: 2-line block ×18, first 2 shown]
	v_pk_mov_b32 v[68:69], v[16:17], v[10:11] op_sel:[1,0]
	v_mov_b32_e32 v67, 16
	ds_write2_b32 v61, v68, v69 offset0:53 offset1:54
	ds_write_b32 v61, v11 offset:220
.LBB110_282:
	s_or_b64 exec, exec, s[0:1]
	v_cmp_lt_i32_e32 vcc, 16, v67
	s_waitcnt lgkmcnt(0)
	s_barrier
	s_and_saveexec_b64 s[0:1], vcc
	s_cbranch_execz .LBB110_284
; %bb.283:
	ds_read_b32 v64, v61 offset:68
	ds_read2_b32 v[68:69], v61 offset0:18 offset1:19
	ds_read2_b32 v[70:71], v61 offset0:20 offset1:21
	v_mul_f32_e32 v50, v66, v50
	ds_read2_b32 v[72:73], v61 offset0:22 offset1:23
	s_waitcnt lgkmcnt(3)
	v_fma_f32 v51, -v50, v64, v51
	s_waitcnt lgkmcnt(2)
	v_pk_fma_f32 v[44:45], v[50:51], v[68:69], v[44:45] op_sel_hi:[0,1,1] neg_lo:[1,0,0] neg_hi:[1,0,0]
	s_waitcnt lgkmcnt(1)
	v_pk_fma_f32 v[36:37], v[50:51], v[70:71], v[36:37] op_sel_hi:[0,1,1] neg_lo:[1,0,0] neg_hi:[1,0,0]
	ds_read2_b32 v[68:69], v61 offset0:24 offset1:25
	ds_read2_b32 v[70:71], v61 offset0:26 offset1:27
	ds_read2_b32 v[74:75], v61 offset0:28 offset1:29
	s_waitcnt lgkmcnt(3)
	v_pk_fma_f32 v[26:27], v[50:51], v[72:73], v[26:27] op_sel_hi:[0,1,1] neg_lo:[1,0,0] neg_hi:[1,0,0]
	ds_read2_b32 v[72:73], v61 offset0:30 offset1:31
	s_waitcnt lgkmcnt(3)
	v_pk_fma_f32 v[46:47], v[50:51], v[68:69], v[46:47] op_sel_hi:[0,1,1] neg_lo:[1,0,0] neg_hi:[1,0,0]
	s_waitcnt lgkmcnt(2)
	v_pk_fma_f32 v[38:39], v[50:51], v[70:71], v[38:39] op_sel_hi:[0,1,1] neg_lo:[1,0,0] neg_hi:[1,0,0]
	s_waitcnt lgkmcnt(1)
	v_pk_fma_f32 v[28:29], v[50:51], v[74:75], v[28:29] op_sel_hi:[0,1,1] neg_lo:[1,0,0] neg_hi:[1,0,0]
	ds_read2_b32 v[68:69], v61 offset0:32 offset1:33
	ds_read2_b32 v[70:71], v61 offset0:34 offset1:35
	ds_read2_b32 v[74:75], v61 offset0:36 offset1:37
	s_waitcnt lgkmcnt(3)
	v_pk_fma_f32 v[20:21], v[50:51], v[72:73], v[20:21] op_sel_hi:[0,1,1] neg_lo:[1,0,0] neg_hi:[1,0,0]
	ds_read2_b32 v[72:73], v61 offset0:38 offset1:39
	s_waitcnt lgkmcnt(3)
	v_pk_fma_f32 v[40:41], v[50:51], v[68:69], v[40:41] op_sel_hi:[0,1,1] neg_lo:[1,0,0] neg_hi:[1,0,0]
	s_waitcnt lgkmcnt(2)
	v_pk_fma_f32 v[30:31], v[50:51], v[70:71], v[30:31] op_sel_hi:[0,1,1] neg_lo:[1,0,0] neg_hi:[1,0,0]
	s_waitcnt lgkmcnt(1)
	v_pk_fma_f32 v[22:23], v[50:51], v[74:75], v[22:23] op_sel_hi:[0,1,1] neg_lo:[1,0,0] neg_hi:[1,0,0]
	ds_read2_b32 v[68:69], v61 offset0:40 offset1:41
	ds_read2_b32 v[70:71], v61 offset0:42 offset1:43
	ds_read2_b32 v[74:75], v61 offset0:44 offset1:45
	s_waitcnt lgkmcnt(3)
	v_pk_fma_f32 v[12:13], v[50:51], v[72:73], v[12:13] op_sel_hi:[0,1,1] neg_lo:[1,0,0] neg_hi:[1,0,0]
	ds_read2_b32 v[72:73], v61 offset0:46 offset1:47
	s_waitcnt lgkmcnt(3)
	v_pk_fma_f32 v[32:33], v[50:51], v[68:69], v[32:33] op_sel_hi:[0,1,1] neg_lo:[1,0,0] neg_hi:[1,0,0]
	s_waitcnt lgkmcnt(2)
	v_pk_fma_f32 v[24:25], v[50:51], v[70:71], v[24:25] op_sel_hi:[0,1,1] neg_lo:[1,0,0] neg_hi:[1,0,0]
	s_waitcnt lgkmcnt(1)
	v_pk_fma_f32 v[18:19], v[50:51], v[74:75], v[18:19] op_sel_hi:[0,1,1] neg_lo:[1,0,0] neg_hi:[1,0,0]
	ds_read2_b32 v[68:69], v61 offset0:48 offset1:49
	ds_read2_b32 v[70:71], v61 offset0:50 offset1:51
	;; [unrolled: 1-line block ×4, first 2 shown]
	s_waitcnt lgkmcnt(4)
	v_pk_fma_f32 v[0:1], v[50:51], v[72:73], v[0:1] op_sel_hi:[0,1,1] neg_lo:[1,0,0] neg_hi:[1,0,0]
	s_waitcnt lgkmcnt(3)
	v_pk_fma_f32 v[14:15], v[50:51], v[68:69], v[14:15] op_sel_hi:[0,1,1] neg_lo:[1,0,0] neg_hi:[1,0,0]
	;; [unrolled: 2-line block ×5, first 2 shown]
.LBB110_284:
	s_or_b64 exec, exec, s[0:1]
	v_lshl_add_u32 v64, v67, 2, v61
	s_barrier
	ds_write_b32 v64, v51
	s_waitcnt lgkmcnt(0)
	s_barrier
	ds_read_b32 v66, v61 offset:68
	s_cmp_lt_i32 s22, 19
	v_mov_b32_e32 v64, 17
	s_cbranch_scc1 .LBB110_287
; %bb.285:
	v_add_u32_e32 v68, 0x48, v61
	v_mov_b32_e32 v64, 17
	s_mov_b32 s0, 18
.LBB110_286:                            ; =>This Inner Loop Header: Depth=1
	ds_read_b32 v69, v68
	v_mov_b32_e32 v70, s0
	s_add_i32 s0, s0, 1
	v_add_u32_e32 v68, 4, v68
	s_cmp_lg_u32 s22, s0
	s_waitcnt lgkmcnt(0)
	v_cmp_lt_f32_e64 vcc, |v66|, |v69|
	s_nop 1
	v_cndmask_b32_e32 v66, v66, v69, vcc
	v_cndmask_b32_e32 v64, v64, v70, vcc
	s_cbranch_scc1 .LBB110_286
.LBB110_287:
	s_waitcnt lgkmcnt(0)
	v_cmp_eq_f32_e32 vcc, 0, v66
	s_and_saveexec_b64 s[0:1], vcc
	s_xor_b64 s[0:1], exec, s[0:1]
; %bb.288:
	v_cmp_ne_u32_e32 vcc, 0, v63
	s_nop 1
	v_cndmask_b32_e32 v63, 18, v63, vcc
; %bb.289:
	s_andn2_saveexec_b64 s[0:1], s[0:1]
	s_cbranch_execz .LBB110_291
; %bb.290:
	v_div_scale_f32 v68, s[2:3], v66, v66, 1.0
	v_rcp_f32_e32 v69, v68
	v_div_scale_f32 v70, vcc, 1.0, v66, 1.0
	v_fma_f32 v71, -v68, v69, 1.0
	v_fmac_f32_e32 v69, v71, v69
	v_mul_f32_e32 v71, v70, v69
	v_fma_f32 v72, -v68, v71, v70
	v_fmac_f32_e32 v71, v72, v69
	v_fma_f32 v68, -v68, v71, v70
	v_div_fmas_f32 v68, v68, v69, v71
	v_div_fixup_f32 v66, v68, v66, 1.0
.LBB110_291:
	s_or_b64 exec, exec, s[0:1]
	v_cmp_ne_u32_e32 vcc, v67, v64
	s_and_saveexec_b64 s[0:1], vcc
	s_xor_b64 s[0:1], exec, s[0:1]
	s_cbranch_execz .LBB110_297
; %bb.292:
	v_cmp_eq_u32_e32 vcc, 17, v67
	s_and_saveexec_b64 s[2:3], vcc
	s_cbranch_execz .LBB110_296
; %bb.293:
	v_cmp_ne_u32_e32 vcc, 17, v64
	s_xor_b64 s[12:13], s[20:21], -1
	s_and_b64 s[14:15], s[12:13], vcc
	s_and_saveexec_b64 s[12:13], s[14:15]
	s_cbranch_execz .LBB110_295
; %bb.294:
	v_ashrrev_i32_e32 v65, 31, v64
	v_lshl_add_u64 v[68:69], v[64:65], 2, v[4:5]
	global_load_dword v65, v[68:69], off
	global_load_dword v67, v[4:5], off offset:68
	s_waitcnt vmcnt(1)
	global_store_dword v[4:5], v65, off offset:68
	s_waitcnt vmcnt(1)
	global_store_dword v[68:69], v67, off
.LBB110_295:
	s_or_b64 exec, exec, s[12:13]
	v_mov_b32_e32 v65, v64
	v_mov_b32_e32 v67, v64
.LBB110_296:
	s_or_b64 exec, exec, s[2:3]
.LBB110_297:
	s_andn2_saveexec_b64 s[0:1], s[0:1]
	s_cbranch_execz .LBB110_299
; %bb.298:
	v_mov_b32_e32 v67, 17
	ds_write2_b32 v61, v44, v45 offset0:18 offset1:19
	ds_write2_b32 v61, v36, v37 offset0:20 offset1:21
	;; [unrolled: 1-line block ×19, first 2 shown]
.LBB110_299:
	s_or_b64 exec, exec, s[0:1]
	v_cmp_lt_i32_e32 vcc, 17, v67
	s_waitcnt lgkmcnt(0)
	s_barrier
	s_and_saveexec_b64 s[0:1], vcc
	s_cbranch_execz .LBB110_301
; %bb.300:
	ds_read2_b32 v[68:69], v61 offset0:18 offset1:19
	ds_read2_b32 v[70:71], v61 offset0:20 offset1:21
	ds_read2_b32 v[72:73], v61 offset0:22 offset1:23
	v_mul_f32_e32 v64, v66, v51
	ds_read2_b32 v[74:75], v61 offset0:24 offset1:25
	s_waitcnt lgkmcnt(3)
	v_pk_fma_f32 v[44:45], v[64:65], v[68:69], v[44:45] op_sel_hi:[0,1,1] neg_lo:[1,0,0] neg_hi:[1,0,0]
	s_waitcnt lgkmcnt(2)
	v_pk_fma_f32 v[36:37], v[64:65], v[70:71], v[36:37] op_sel_hi:[0,1,1] neg_lo:[1,0,0] neg_hi:[1,0,0]
	;; [unrolled: 2-line block ×3, first 2 shown]
	ds_read2_b32 v[68:69], v61 offset0:26 offset1:27
	ds_read2_b32 v[70:71], v61 offset0:28 offset1:29
	;; [unrolled: 1-line block ×3, first 2 shown]
	s_waitcnt lgkmcnt(3)
	v_pk_fma_f32 v[46:47], v[64:65], v[74:75], v[46:47] op_sel_hi:[0,1,1] neg_lo:[1,0,0] neg_hi:[1,0,0]
	ds_read2_b32 v[74:75], v61 offset0:32 offset1:33
	s_waitcnt lgkmcnt(3)
	v_pk_fma_f32 v[38:39], v[64:65], v[68:69], v[38:39] op_sel_hi:[0,1,1] neg_lo:[1,0,0] neg_hi:[1,0,0]
	s_waitcnt lgkmcnt(2)
	v_pk_fma_f32 v[28:29], v[64:65], v[70:71], v[28:29] op_sel_hi:[0,1,1] neg_lo:[1,0,0] neg_hi:[1,0,0]
	;; [unrolled: 2-line block ×3, first 2 shown]
	ds_read2_b32 v[68:69], v61 offset0:34 offset1:35
	ds_read2_b32 v[70:71], v61 offset0:36 offset1:37
	;; [unrolled: 1-line block ×3, first 2 shown]
	s_waitcnt lgkmcnt(3)
	v_pk_fma_f32 v[40:41], v[64:65], v[74:75], v[40:41] op_sel_hi:[0,1,1] neg_lo:[1,0,0] neg_hi:[1,0,0]
	ds_read2_b32 v[74:75], v61 offset0:40 offset1:41
	s_waitcnt lgkmcnt(3)
	v_pk_fma_f32 v[30:31], v[64:65], v[68:69], v[30:31] op_sel_hi:[0,1,1] neg_lo:[1,0,0] neg_hi:[1,0,0]
	s_waitcnt lgkmcnt(2)
	v_pk_fma_f32 v[22:23], v[64:65], v[70:71], v[22:23] op_sel_hi:[0,1,1] neg_lo:[1,0,0] neg_hi:[1,0,0]
	ds_read2_b32 v[68:69], v61 offset0:42 offset1:43
	ds_read2_b32 v[70:71], v61 offset0:44 offset1:45
	s_waitcnt lgkmcnt(3)
	v_pk_fma_f32 v[12:13], v[64:65], v[72:73], v[12:13] op_sel_hi:[0,1,1] neg_lo:[1,0,0] neg_hi:[1,0,0]
	s_waitcnt lgkmcnt(2)
	v_pk_fma_f32 v[32:33], v[64:65], v[74:75], v[32:33] op_sel_hi:[0,1,1] neg_lo:[1,0,0] neg_hi:[1,0,0]
	ds_read2_b32 v[72:73], v61 offset0:46 offset1:47
	;; [unrolled: 6-line block ×3, first 2 shown]
	ds_read2_b32 v[70:71], v61 offset0:52 offset1:53
	ds_read2_b32 v[76:77], v61 offset0:54 offset1:55
	s_waitcnt lgkmcnt(4)
	v_pk_fma_f32 v[0:1], v[64:65], v[72:73], v[0:1] op_sel_hi:[0,1,1] neg_lo:[1,0,0] neg_hi:[1,0,0]
	s_waitcnt lgkmcnt(3)
	v_pk_fma_f32 v[14:15], v[64:65], v[74:75], v[14:15] op_sel_hi:[0,1,1] neg_lo:[1,0,0] neg_hi:[1,0,0]
	;; [unrolled: 2-line block ×5, first 2 shown]
	v_mov_b32_e32 v51, v64
.LBB110_301:
	s_or_b64 exec, exec, s[0:1]
	v_lshl_add_u32 v64, v67, 2, v61
	s_barrier
	ds_write_b32 v64, v44
	s_waitcnt lgkmcnt(0)
	s_barrier
	ds_read_b32 v66, v61 offset:72
	s_cmp_lt_i32 s22, 20
	v_mov_b32_e32 v64, 18
	s_cbranch_scc1 .LBB110_304
; %bb.302:
	v_add_u32_e32 v68, 0x4c, v61
	v_mov_b32_e32 v64, 18
	s_mov_b32 s0, 19
.LBB110_303:                            ; =>This Inner Loop Header: Depth=1
	ds_read_b32 v69, v68
	v_mov_b32_e32 v70, s0
	s_add_i32 s0, s0, 1
	v_add_u32_e32 v68, 4, v68
	s_cmp_lg_u32 s22, s0
	s_waitcnt lgkmcnt(0)
	v_cmp_lt_f32_e64 vcc, |v66|, |v69|
	s_nop 1
	v_cndmask_b32_e32 v66, v66, v69, vcc
	v_cndmask_b32_e32 v64, v64, v70, vcc
	s_cbranch_scc1 .LBB110_303
.LBB110_304:
	s_waitcnt lgkmcnt(0)
	v_cmp_eq_f32_e32 vcc, 0, v66
	s_and_saveexec_b64 s[0:1], vcc
	s_xor_b64 s[0:1], exec, s[0:1]
; %bb.305:
	v_cmp_ne_u32_e32 vcc, 0, v63
	s_nop 1
	v_cndmask_b32_e32 v63, 19, v63, vcc
; %bb.306:
	s_andn2_saveexec_b64 s[0:1], s[0:1]
	s_cbranch_execz .LBB110_308
; %bb.307:
	v_div_scale_f32 v68, s[2:3], v66, v66, 1.0
	v_rcp_f32_e32 v69, v68
	v_div_scale_f32 v70, vcc, 1.0, v66, 1.0
	v_fma_f32 v71, -v68, v69, 1.0
	v_fmac_f32_e32 v69, v71, v69
	v_mul_f32_e32 v71, v70, v69
	v_fma_f32 v72, -v68, v71, v70
	v_fmac_f32_e32 v71, v72, v69
	v_fma_f32 v68, -v68, v71, v70
	v_div_fmas_f32 v68, v68, v69, v71
	v_div_fixup_f32 v66, v68, v66, 1.0
.LBB110_308:
	s_or_b64 exec, exec, s[0:1]
	v_cmp_ne_u32_e32 vcc, v67, v64
	s_and_saveexec_b64 s[0:1], vcc
	s_xor_b64 s[0:1], exec, s[0:1]
	s_cbranch_execz .LBB110_314
; %bb.309:
	v_cmp_eq_u32_e32 vcc, 18, v67
	s_and_saveexec_b64 s[2:3], vcc
	s_cbranch_execz .LBB110_313
; %bb.310:
	v_cmp_ne_u32_e32 vcc, 18, v64
	s_xor_b64 s[12:13], s[20:21], -1
	s_and_b64 s[14:15], s[12:13], vcc
	s_and_saveexec_b64 s[12:13], s[14:15]
	s_cbranch_execz .LBB110_312
; %bb.311:
	v_ashrrev_i32_e32 v65, 31, v64
	v_lshl_add_u64 v[68:69], v[64:65], 2, v[4:5]
	global_load_dword v65, v[68:69], off
	global_load_dword v67, v[4:5], off offset:72
	s_waitcnt vmcnt(1)
	global_store_dword v[4:5], v65, off offset:72
	s_waitcnt vmcnt(1)
	global_store_dword v[68:69], v67, off
.LBB110_312:
	s_or_b64 exec, exec, s[12:13]
	v_mov_b32_e32 v65, v64
	v_mov_b32_e32 v67, v64
.LBB110_313:
	s_or_b64 exec, exec, s[2:3]
.LBB110_314:
	s_andn2_saveexec_b64 s[0:1], s[0:1]
	s_cbranch_execz .LBB110_316
; %bb.315:
	v_pk_mov_b32 v[68:69], v[44:45], v[36:37] op_sel:[1,0]
	ds_write2_b32 v61, v68, v69 offset0:19 offset1:20
	v_pk_mov_b32 v[68:69], v[36:37], v[26:27] op_sel:[1,0]
	ds_write2_b32 v61, v68, v69 offset0:21 offset1:22
	;; [unrolled: 2-line block ×17, first 2 shown]
	v_pk_mov_b32 v[68:69], v[16:17], v[10:11] op_sel:[1,0]
	v_mov_b32_e32 v67, 18
	ds_write2_b32 v61, v68, v69 offset0:53 offset1:54
	ds_write_b32 v61, v11 offset:220
.LBB110_316:
	s_or_b64 exec, exec, s[0:1]
	v_cmp_lt_i32_e32 vcc, 18, v67
	s_waitcnt lgkmcnt(0)
	s_barrier
	s_and_saveexec_b64 s[0:1], vcc
	s_cbranch_execz .LBB110_318
; %bb.317:
	ds_read_b32 v64, v61 offset:76
	ds_read2_b32 v[68:69], v61 offset0:20 offset1:21
	ds_read2_b32 v[70:71], v61 offset0:22 offset1:23
	v_mul_f32_e32 v44, v66, v44
	ds_read2_b32 v[72:73], v61 offset0:24 offset1:25
	s_waitcnt lgkmcnt(3)
	v_fma_f32 v45, -v44, v64, v45
	s_waitcnt lgkmcnt(2)
	v_pk_fma_f32 v[36:37], v[44:45], v[68:69], v[36:37] op_sel_hi:[0,1,1] neg_lo:[1,0,0] neg_hi:[1,0,0]
	s_waitcnt lgkmcnt(1)
	v_pk_fma_f32 v[26:27], v[44:45], v[70:71], v[26:27] op_sel_hi:[0,1,1] neg_lo:[1,0,0] neg_hi:[1,0,0]
	ds_read2_b32 v[68:69], v61 offset0:26 offset1:27
	ds_read2_b32 v[70:71], v61 offset0:28 offset1:29
	;; [unrolled: 1-line block ×3, first 2 shown]
	s_waitcnt lgkmcnt(3)
	v_pk_fma_f32 v[46:47], v[44:45], v[72:73], v[46:47] op_sel_hi:[0,1,1] neg_lo:[1,0,0] neg_hi:[1,0,0]
	ds_read2_b32 v[72:73], v61 offset0:32 offset1:33
	s_waitcnt lgkmcnt(3)
	v_pk_fma_f32 v[38:39], v[44:45], v[68:69], v[38:39] op_sel_hi:[0,1,1] neg_lo:[1,0,0] neg_hi:[1,0,0]
	s_waitcnt lgkmcnt(2)
	v_pk_fma_f32 v[28:29], v[44:45], v[70:71], v[28:29] op_sel_hi:[0,1,1] neg_lo:[1,0,0] neg_hi:[1,0,0]
	;; [unrolled: 2-line block ×3, first 2 shown]
	ds_read2_b32 v[68:69], v61 offset0:34 offset1:35
	ds_read2_b32 v[70:71], v61 offset0:36 offset1:37
	;; [unrolled: 1-line block ×3, first 2 shown]
	s_waitcnt lgkmcnt(3)
	v_pk_fma_f32 v[40:41], v[44:45], v[72:73], v[40:41] op_sel_hi:[0,1,1] neg_lo:[1,0,0] neg_hi:[1,0,0]
	ds_read2_b32 v[72:73], v61 offset0:40 offset1:41
	s_waitcnt lgkmcnt(3)
	v_pk_fma_f32 v[30:31], v[44:45], v[68:69], v[30:31] op_sel_hi:[0,1,1] neg_lo:[1,0,0] neg_hi:[1,0,0]
	s_waitcnt lgkmcnt(2)
	v_pk_fma_f32 v[22:23], v[44:45], v[70:71], v[22:23] op_sel_hi:[0,1,1] neg_lo:[1,0,0] neg_hi:[1,0,0]
	ds_read2_b32 v[68:69], v61 offset0:42 offset1:43
	ds_read2_b32 v[70:71], v61 offset0:44 offset1:45
	s_waitcnt lgkmcnt(3)
	v_pk_fma_f32 v[12:13], v[44:45], v[74:75], v[12:13] op_sel_hi:[0,1,1] neg_lo:[1,0,0] neg_hi:[1,0,0]
	s_waitcnt lgkmcnt(2)
	v_pk_fma_f32 v[32:33], v[44:45], v[72:73], v[32:33] op_sel_hi:[0,1,1] neg_lo:[1,0,0] neg_hi:[1,0,0]
	ds_read2_b32 v[72:73], v61 offset0:46 offset1:47
	;; [unrolled: 6-line block ×3, first 2 shown]
	ds_read2_b32 v[70:71], v61 offset0:52 offset1:53
	ds_read2_b32 v[76:77], v61 offset0:54 offset1:55
	s_waitcnt lgkmcnt(4)
	v_pk_fma_f32 v[0:1], v[44:45], v[72:73], v[0:1] op_sel_hi:[0,1,1] neg_lo:[1,0,0] neg_hi:[1,0,0]
	s_waitcnt lgkmcnt(3)
	v_pk_fma_f32 v[14:15], v[44:45], v[74:75], v[14:15] op_sel_hi:[0,1,1] neg_lo:[1,0,0] neg_hi:[1,0,0]
	;; [unrolled: 2-line block ×5, first 2 shown]
.LBB110_318:
	s_or_b64 exec, exec, s[0:1]
	v_lshl_add_u32 v64, v67, 2, v61
	s_barrier
	ds_write_b32 v64, v45
	s_waitcnt lgkmcnt(0)
	s_barrier
	ds_read_b32 v66, v61 offset:76
	s_cmp_lt_i32 s22, 21
	v_mov_b32_e32 v64, 19
	s_cbranch_scc1 .LBB110_321
; %bb.319:
	v_add_u32_e32 v68, 0x50, v61
	v_mov_b32_e32 v64, 19
	s_mov_b32 s0, 20
.LBB110_320:                            ; =>This Inner Loop Header: Depth=1
	ds_read_b32 v69, v68
	v_mov_b32_e32 v70, s0
	s_add_i32 s0, s0, 1
	v_add_u32_e32 v68, 4, v68
	s_cmp_lg_u32 s22, s0
	s_waitcnt lgkmcnt(0)
	v_cmp_lt_f32_e64 vcc, |v66|, |v69|
	s_nop 1
	v_cndmask_b32_e32 v66, v66, v69, vcc
	v_cndmask_b32_e32 v64, v64, v70, vcc
	s_cbranch_scc1 .LBB110_320
.LBB110_321:
	s_waitcnt lgkmcnt(0)
	v_cmp_eq_f32_e32 vcc, 0, v66
	s_and_saveexec_b64 s[0:1], vcc
	s_xor_b64 s[0:1], exec, s[0:1]
; %bb.322:
	v_cmp_ne_u32_e32 vcc, 0, v63
	s_nop 1
	v_cndmask_b32_e32 v63, 20, v63, vcc
; %bb.323:
	s_andn2_saveexec_b64 s[0:1], s[0:1]
	s_cbranch_execz .LBB110_325
; %bb.324:
	v_div_scale_f32 v68, s[2:3], v66, v66, 1.0
	v_rcp_f32_e32 v69, v68
	v_div_scale_f32 v70, vcc, 1.0, v66, 1.0
	v_fma_f32 v71, -v68, v69, 1.0
	v_fmac_f32_e32 v69, v71, v69
	v_mul_f32_e32 v71, v70, v69
	v_fma_f32 v72, -v68, v71, v70
	v_fmac_f32_e32 v71, v72, v69
	v_fma_f32 v68, -v68, v71, v70
	v_div_fmas_f32 v68, v68, v69, v71
	v_div_fixup_f32 v66, v68, v66, 1.0
.LBB110_325:
	s_or_b64 exec, exec, s[0:1]
	v_cmp_ne_u32_e32 vcc, v67, v64
	s_and_saveexec_b64 s[0:1], vcc
	s_xor_b64 s[0:1], exec, s[0:1]
	s_cbranch_execz .LBB110_331
; %bb.326:
	v_cmp_eq_u32_e32 vcc, 19, v67
	s_and_saveexec_b64 s[2:3], vcc
	s_cbranch_execz .LBB110_330
; %bb.327:
	v_cmp_ne_u32_e32 vcc, 19, v64
	s_xor_b64 s[12:13], s[20:21], -1
	s_and_b64 s[14:15], s[12:13], vcc
	s_and_saveexec_b64 s[12:13], s[14:15]
	s_cbranch_execz .LBB110_329
; %bb.328:
	v_ashrrev_i32_e32 v65, 31, v64
	v_lshl_add_u64 v[68:69], v[64:65], 2, v[4:5]
	global_load_dword v65, v[68:69], off
	global_load_dword v67, v[4:5], off offset:76
	s_waitcnt vmcnt(1)
	global_store_dword v[4:5], v65, off offset:76
	s_waitcnt vmcnt(1)
	global_store_dword v[68:69], v67, off
.LBB110_329:
	s_or_b64 exec, exec, s[12:13]
	v_mov_b32_e32 v65, v64
	v_mov_b32_e32 v67, v64
.LBB110_330:
	s_or_b64 exec, exec, s[2:3]
.LBB110_331:
	s_andn2_saveexec_b64 s[0:1], s[0:1]
	s_cbranch_execz .LBB110_333
; %bb.332:
	v_mov_b32_e32 v67, 19
	ds_write2_b32 v61, v36, v37 offset0:20 offset1:21
	ds_write2_b32 v61, v26, v27 offset0:22 offset1:23
	;; [unrolled: 1-line block ×18, first 2 shown]
.LBB110_333:
	s_or_b64 exec, exec, s[0:1]
	v_cmp_lt_i32_e32 vcc, 19, v67
	s_waitcnt lgkmcnt(0)
	s_barrier
	s_and_saveexec_b64 s[0:1], vcc
	s_cbranch_execz .LBB110_335
; %bb.334:
	ds_read2_b32 v[68:69], v61 offset0:20 offset1:21
	ds_read2_b32 v[70:71], v61 offset0:22 offset1:23
	;; [unrolled: 1-line block ×4, first 2 shown]
	v_mul_f32_e32 v64, v66, v45
	s_waitcnt lgkmcnt(3)
	v_pk_fma_f32 v[36:37], v[64:65], v[68:69], v[36:37] op_sel_hi:[0,1,1] neg_lo:[1,0,0] neg_hi:[1,0,0]
	s_waitcnt lgkmcnt(2)
	v_pk_fma_f32 v[26:27], v[64:65], v[70:71], v[26:27] op_sel_hi:[0,1,1] neg_lo:[1,0,0] neg_hi:[1,0,0]
	;; [unrolled: 2-line block ×3, first 2 shown]
	ds_read2_b32 v[68:69], v61 offset0:28 offset1:29
	ds_read2_b32 v[70:71], v61 offset0:30 offset1:31
	;; [unrolled: 1-line block ×3, first 2 shown]
	s_waitcnt lgkmcnt(3)
	v_pk_fma_f32 v[38:39], v[64:65], v[74:75], v[38:39] op_sel_hi:[0,1,1] neg_lo:[1,0,0] neg_hi:[1,0,0]
	ds_read2_b32 v[74:75], v61 offset0:34 offset1:35
	s_waitcnt lgkmcnt(3)
	v_pk_fma_f32 v[28:29], v[64:65], v[68:69], v[28:29] op_sel_hi:[0,1,1] neg_lo:[1,0,0] neg_hi:[1,0,0]
	s_waitcnt lgkmcnt(2)
	v_pk_fma_f32 v[20:21], v[64:65], v[70:71], v[20:21] op_sel_hi:[0,1,1] neg_lo:[1,0,0] neg_hi:[1,0,0]
	;; [unrolled: 2-line block ×3, first 2 shown]
	ds_read2_b32 v[68:69], v61 offset0:36 offset1:37
	ds_read2_b32 v[70:71], v61 offset0:38 offset1:39
	;; [unrolled: 1-line block ×3, first 2 shown]
	s_waitcnt lgkmcnt(3)
	v_pk_fma_f32 v[30:31], v[64:65], v[74:75], v[30:31] op_sel_hi:[0,1,1] neg_lo:[1,0,0] neg_hi:[1,0,0]
	ds_read2_b32 v[74:75], v61 offset0:42 offset1:43
	s_waitcnt lgkmcnt(3)
	v_pk_fma_f32 v[22:23], v[64:65], v[68:69], v[22:23] op_sel_hi:[0,1,1] neg_lo:[1,0,0] neg_hi:[1,0,0]
	ds_read2_b32 v[68:69], v61 offset0:44 offset1:45
	s_waitcnt lgkmcnt(3)
	v_pk_fma_f32 v[12:13], v[64:65], v[70:71], v[12:13] op_sel_hi:[0,1,1] neg_lo:[1,0,0] neg_hi:[1,0,0]
	s_waitcnt lgkmcnt(2)
	v_pk_fma_f32 v[32:33], v[64:65], v[72:73], v[32:33] op_sel_hi:[0,1,1] neg_lo:[1,0,0] neg_hi:[1,0,0]
	;; [unrolled: 2-line block ×3, first 2 shown]
	ds_read2_b32 v[70:71], v61 offset0:46 offset1:47
	ds_read2_b32 v[72:73], v61 offset0:48 offset1:49
	;; [unrolled: 1-line block ×3, first 2 shown]
	s_waitcnt lgkmcnt(3)
	v_pk_fma_f32 v[18:19], v[64:65], v[68:69], v[18:19] op_sel_hi:[0,1,1] neg_lo:[1,0,0] neg_hi:[1,0,0]
	ds_read2_b32 v[68:69], v61 offset0:52 offset1:53
	ds_read2_b32 v[76:77], v61 offset0:54 offset1:55
	s_waitcnt lgkmcnt(4)
	v_pk_fma_f32 v[0:1], v[64:65], v[70:71], v[0:1] op_sel_hi:[0,1,1] neg_lo:[1,0,0] neg_hi:[1,0,0]
	s_waitcnt lgkmcnt(3)
	v_pk_fma_f32 v[14:15], v[64:65], v[72:73], v[14:15] op_sel_hi:[0,1,1] neg_lo:[1,0,0] neg_hi:[1,0,0]
	;; [unrolled: 2-line block ×5, first 2 shown]
	v_mov_b32_e32 v45, v64
.LBB110_335:
	s_or_b64 exec, exec, s[0:1]
	v_lshl_add_u32 v64, v67, 2, v61
	s_barrier
	ds_write_b32 v64, v36
	s_waitcnt lgkmcnt(0)
	s_barrier
	ds_read_b32 v66, v61 offset:80
	s_cmp_lt_i32 s22, 22
	v_mov_b32_e32 v64, 20
	s_cbranch_scc1 .LBB110_338
; %bb.336:
	v_add_u32_e32 v68, 0x54, v61
	v_mov_b32_e32 v64, 20
	s_mov_b32 s0, 21
.LBB110_337:                            ; =>This Inner Loop Header: Depth=1
	ds_read_b32 v69, v68
	v_mov_b32_e32 v70, s0
	s_add_i32 s0, s0, 1
	v_add_u32_e32 v68, 4, v68
	s_cmp_lg_u32 s22, s0
	s_waitcnt lgkmcnt(0)
	v_cmp_lt_f32_e64 vcc, |v66|, |v69|
	s_nop 1
	v_cndmask_b32_e32 v66, v66, v69, vcc
	v_cndmask_b32_e32 v64, v64, v70, vcc
	s_cbranch_scc1 .LBB110_337
.LBB110_338:
	s_waitcnt lgkmcnt(0)
	v_cmp_eq_f32_e32 vcc, 0, v66
	s_and_saveexec_b64 s[0:1], vcc
	s_xor_b64 s[0:1], exec, s[0:1]
; %bb.339:
	v_cmp_ne_u32_e32 vcc, 0, v63
	s_nop 1
	v_cndmask_b32_e32 v63, 21, v63, vcc
; %bb.340:
	s_andn2_saveexec_b64 s[0:1], s[0:1]
	s_cbranch_execz .LBB110_342
; %bb.341:
	v_div_scale_f32 v68, s[2:3], v66, v66, 1.0
	v_rcp_f32_e32 v69, v68
	v_div_scale_f32 v70, vcc, 1.0, v66, 1.0
	v_fma_f32 v71, -v68, v69, 1.0
	v_fmac_f32_e32 v69, v71, v69
	v_mul_f32_e32 v71, v70, v69
	v_fma_f32 v72, -v68, v71, v70
	v_fmac_f32_e32 v71, v72, v69
	v_fma_f32 v68, -v68, v71, v70
	v_div_fmas_f32 v68, v68, v69, v71
	v_div_fixup_f32 v66, v68, v66, 1.0
.LBB110_342:
	s_or_b64 exec, exec, s[0:1]
	v_cmp_ne_u32_e32 vcc, v67, v64
	s_and_saveexec_b64 s[0:1], vcc
	s_xor_b64 s[0:1], exec, s[0:1]
	s_cbranch_execz .LBB110_348
; %bb.343:
	v_cmp_eq_u32_e32 vcc, 20, v67
	s_and_saveexec_b64 s[2:3], vcc
	s_cbranch_execz .LBB110_347
; %bb.344:
	v_cmp_ne_u32_e32 vcc, 20, v64
	s_xor_b64 s[12:13], s[20:21], -1
	s_and_b64 s[14:15], s[12:13], vcc
	s_and_saveexec_b64 s[12:13], s[14:15]
	s_cbranch_execz .LBB110_346
; %bb.345:
	v_ashrrev_i32_e32 v65, 31, v64
	v_lshl_add_u64 v[68:69], v[64:65], 2, v[4:5]
	global_load_dword v65, v[68:69], off
	global_load_dword v67, v[4:5], off offset:80
	s_waitcnt vmcnt(1)
	global_store_dword v[4:5], v65, off offset:80
	s_waitcnt vmcnt(1)
	global_store_dword v[68:69], v67, off
.LBB110_346:
	s_or_b64 exec, exec, s[12:13]
	v_mov_b32_e32 v65, v64
	v_mov_b32_e32 v67, v64
.LBB110_347:
	s_or_b64 exec, exec, s[2:3]
.LBB110_348:
	s_andn2_saveexec_b64 s[0:1], s[0:1]
	s_cbranch_execz .LBB110_350
; %bb.349:
	v_pk_mov_b32 v[68:69], v[36:37], v[26:27] op_sel:[1,0]
	ds_write2_b32 v61, v68, v69 offset0:21 offset1:22
	v_pk_mov_b32 v[68:69], v[26:27], v[46:47] op_sel:[1,0]
	ds_write2_b32 v61, v68, v69 offset0:23 offset1:24
	;; [unrolled: 2-line block ×16, first 2 shown]
	v_pk_mov_b32 v[68:69], v[16:17], v[10:11] op_sel:[1,0]
	v_mov_b32_e32 v67, 20
	ds_write2_b32 v61, v68, v69 offset0:53 offset1:54
	ds_write_b32 v61, v11 offset:220
.LBB110_350:
	s_or_b64 exec, exec, s[0:1]
	v_cmp_lt_i32_e32 vcc, 20, v67
	s_waitcnt lgkmcnt(0)
	s_barrier
	s_and_saveexec_b64 s[0:1], vcc
	s_cbranch_execz .LBB110_352
; %bb.351:
	ds_read_b32 v64, v61 offset:84
	ds_read2_b32 v[68:69], v61 offset0:22 offset1:23
	ds_read2_b32 v[70:71], v61 offset0:24 offset1:25
	v_mul_f32_e32 v36, v66, v36
	ds_read2_b32 v[72:73], v61 offset0:26 offset1:27
	s_waitcnt lgkmcnt(3)
	v_fma_f32 v37, -v36, v64, v37
	s_waitcnt lgkmcnt(2)
	v_pk_fma_f32 v[26:27], v[36:37], v[68:69], v[26:27] op_sel_hi:[0,1,1] neg_lo:[1,0,0] neg_hi:[1,0,0]
	s_waitcnt lgkmcnt(1)
	v_pk_fma_f32 v[46:47], v[36:37], v[70:71], v[46:47] op_sel_hi:[0,1,1] neg_lo:[1,0,0] neg_hi:[1,0,0]
	ds_read2_b32 v[68:69], v61 offset0:28 offset1:29
	ds_read2_b32 v[70:71], v61 offset0:30 offset1:31
	;; [unrolled: 1-line block ×3, first 2 shown]
	s_waitcnt lgkmcnt(3)
	v_pk_fma_f32 v[38:39], v[36:37], v[72:73], v[38:39] op_sel_hi:[0,1,1] neg_lo:[1,0,0] neg_hi:[1,0,0]
	ds_read2_b32 v[72:73], v61 offset0:34 offset1:35
	s_waitcnt lgkmcnt(3)
	v_pk_fma_f32 v[28:29], v[36:37], v[68:69], v[28:29] op_sel_hi:[0,1,1] neg_lo:[1,0,0] neg_hi:[1,0,0]
	s_waitcnt lgkmcnt(2)
	v_pk_fma_f32 v[20:21], v[36:37], v[70:71], v[20:21] op_sel_hi:[0,1,1] neg_lo:[1,0,0] neg_hi:[1,0,0]
	;; [unrolled: 2-line block ×3, first 2 shown]
	ds_read2_b32 v[68:69], v61 offset0:36 offset1:37
	ds_read2_b32 v[70:71], v61 offset0:38 offset1:39
	;; [unrolled: 1-line block ×3, first 2 shown]
	s_waitcnt lgkmcnt(3)
	v_pk_fma_f32 v[30:31], v[36:37], v[72:73], v[30:31] op_sel_hi:[0,1,1] neg_lo:[1,0,0] neg_hi:[1,0,0]
	ds_read2_b32 v[72:73], v61 offset0:42 offset1:43
	s_waitcnt lgkmcnt(3)
	v_pk_fma_f32 v[22:23], v[36:37], v[68:69], v[22:23] op_sel_hi:[0,1,1] neg_lo:[1,0,0] neg_hi:[1,0,0]
	ds_read2_b32 v[68:69], v61 offset0:44 offset1:45
	s_waitcnt lgkmcnt(3)
	v_pk_fma_f32 v[12:13], v[36:37], v[70:71], v[12:13] op_sel_hi:[0,1,1] neg_lo:[1,0,0] neg_hi:[1,0,0]
	s_waitcnt lgkmcnt(2)
	v_pk_fma_f32 v[32:33], v[36:37], v[74:75], v[32:33] op_sel_hi:[0,1,1] neg_lo:[1,0,0] neg_hi:[1,0,0]
	s_waitcnt lgkmcnt(1)
	v_pk_fma_f32 v[24:25], v[36:37], v[72:73], v[24:25] op_sel_hi:[0,1,1] neg_lo:[1,0,0] neg_hi:[1,0,0]
	ds_read2_b32 v[70:71], v61 offset0:46 offset1:47
	ds_read2_b32 v[72:73], v61 offset0:48 offset1:49
	;; [unrolled: 1-line block ×3, first 2 shown]
	s_waitcnt lgkmcnt(3)
	v_pk_fma_f32 v[18:19], v[36:37], v[68:69], v[18:19] op_sel_hi:[0,1,1] neg_lo:[1,0,0] neg_hi:[1,0,0]
	ds_read2_b32 v[68:69], v61 offset0:52 offset1:53
	ds_read2_b32 v[76:77], v61 offset0:54 offset1:55
	s_waitcnt lgkmcnt(4)
	v_pk_fma_f32 v[0:1], v[36:37], v[70:71], v[0:1] op_sel_hi:[0,1,1] neg_lo:[1,0,0] neg_hi:[1,0,0]
	s_waitcnt lgkmcnt(3)
	v_pk_fma_f32 v[14:15], v[36:37], v[72:73], v[14:15] op_sel_hi:[0,1,1] neg_lo:[1,0,0] neg_hi:[1,0,0]
	;; [unrolled: 2-line block ×5, first 2 shown]
.LBB110_352:
	s_or_b64 exec, exec, s[0:1]
	v_lshl_add_u32 v64, v67, 2, v61
	s_barrier
	ds_write_b32 v64, v37
	s_waitcnt lgkmcnt(0)
	s_barrier
	ds_read_b32 v66, v61 offset:84
	s_cmp_lt_i32 s22, 23
	v_mov_b32_e32 v64, 21
	s_cbranch_scc1 .LBB110_355
; %bb.353:
	v_add_u32_e32 v68, 0x58, v61
	v_mov_b32_e32 v64, 21
	s_mov_b32 s0, 22
.LBB110_354:                            ; =>This Inner Loop Header: Depth=1
	ds_read_b32 v69, v68
	v_mov_b32_e32 v70, s0
	s_add_i32 s0, s0, 1
	v_add_u32_e32 v68, 4, v68
	s_cmp_lg_u32 s22, s0
	s_waitcnt lgkmcnt(0)
	v_cmp_lt_f32_e64 vcc, |v66|, |v69|
	s_nop 1
	v_cndmask_b32_e32 v66, v66, v69, vcc
	v_cndmask_b32_e32 v64, v64, v70, vcc
	s_cbranch_scc1 .LBB110_354
.LBB110_355:
	s_waitcnt lgkmcnt(0)
	v_cmp_eq_f32_e32 vcc, 0, v66
	s_and_saveexec_b64 s[0:1], vcc
	s_xor_b64 s[0:1], exec, s[0:1]
; %bb.356:
	v_cmp_ne_u32_e32 vcc, 0, v63
	s_nop 1
	v_cndmask_b32_e32 v63, 22, v63, vcc
; %bb.357:
	s_andn2_saveexec_b64 s[0:1], s[0:1]
	s_cbranch_execz .LBB110_359
; %bb.358:
	v_div_scale_f32 v68, s[2:3], v66, v66, 1.0
	v_rcp_f32_e32 v69, v68
	v_div_scale_f32 v70, vcc, 1.0, v66, 1.0
	v_fma_f32 v71, -v68, v69, 1.0
	v_fmac_f32_e32 v69, v71, v69
	v_mul_f32_e32 v71, v70, v69
	v_fma_f32 v72, -v68, v71, v70
	v_fmac_f32_e32 v71, v72, v69
	v_fma_f32 v68, -v68, v71, v70
	v_div_fmas_f32 v68, v68, v69, v71
	v_div_fixup_f32 v66, v68, v66, 1.0
.LBB110_359:
	s_or_b64 exec, exec, s[0:1]
	v_cmp_ne_u32_e32 vcc, v67, v64
	s_and_saveexec_b64 s[0:1], vcc
	s_xor_b64 s[0:1], exec, s[0:1]
	s_cbranch_execz .LBB110_365
; %bb.360:
	v_cmp_eq_u32_e32 vcc, 21, v67
	s_and_saveexec_b64 s[2:3], vcc
	s_cbranch_execz .LBB110_364
; %bb.361:
	v_cmp_ne_u32_e32 vcc, 21, v64
	s_xor_b64 s[12:13], s[20:21], -1
	s_and_b64 s[14:15], s[12:13], vcc
	s_and_saveexec_b64 s[12:13], s[14:15]
	s_cbranch_execz .LBB110_363
; %bb.362:
	v_ashrrev_i32_e32 v65, 31, v64
	v_lshl_add_u64 v[68:69], v[64:65], 2, v[4:5]
	global_load_dword v65, v[68:69], off
	global_load_dword v67, v[4:5], off offset:84
	s_waitcnt vmcnt(1)
	global_store_dword v[4:5], v65, off offset:84
	s_waitcnt vmcnt(1)
	global_store_dword v[68:69], v67, off
.LBB110_363:
	s_or_b64 exec, exec, s[12:13]
	v_mov_b32_e32 v65, v64
	v_mov_b32_e32 v67, v64
.LBB110_364:
	s_or_b64 exec, exec, s[2:3]
.LBB110_365:
	s_andn2_saveexec_b64 s[0:1], s[0:1]
	s_cbranch_execz .LBB110_367
; %bb.366:
	v_mov_b32_e32 v67, 21
	ds_write2_b32 v61, v26, v27 offset0:22 offset1:23
	ds_write2_b32 v61, v46, v47 offset0:24 offset1:25
	;; [unrolled: 1-line block ×17, first 2 shown]
.LBB110_367:
	s_or_b64 exec, exec, s[0:1]
	v_cmp_lt_i32_e32 vcc, 21, v67
	s_waitcnt lgkmcnt(0)
	s_barrier
	s_and_saveexec_b64 s[0:1], vcc
	s_cbranch_execz .LBB110_369
; %bb.368:
	ds_read2_b32 v[68:69], v61 offset0:22 offset1:23
	ds_read2_b32 v[70:71], v61 offset0:24 offset1:25
	;; [unrolled: 1-line block ×3, first 2 shown]
	v_mul_f32_e32 v64, v66, v37
	ds_read2_b32 v[74:75], v61 offset0:28 offset1:29
	s_waitcnt lgkmcnt(3)
	v_pk_fma_f32 v[26:27], v[64:65], v[68:69], v[26:27] op_sel_hi:[0,1,1] neg_lo:[1,0,0] neg_hi:[1,0,0]
	s_waitcnt lgkmcnt(2)
	v_pk_fma_f32 v[46:47], v[64:65], v[70:71], v[46:47] op_sel_hi:[0,1,1] neg_lo:[1,0,0] neg_hi:[1,0,0]
	s_waitcnt lgkmcnt(1)
	v_pk_fma_f32 v[38:39], v[64:65], v[72:73], v[38:39] op_sel_hi:[0,1,1] neg_lo:[1,0,0] neg_hi:[1,0,0]
	ds_read2_b32 v[68:69], v61 offset0:30 offset1:31
	ds_read2_b32 v[70:71], v61 offset0:32 offset1:33
	;; [unrolled: 1-line block ×3, first 2 shown]
	s_waitcnt lgkmcnt(3)
	v_pk_fma_f32 v[28:29], v[64:65], v[74:75], v[28:29] op_sel_hi:[0,1,1] neg_lo:[1,0,0] neg_hi:[1,0,0]
	ds_read2_b32 v[74:75], v61 offset0:36 offset1:37
	s_waitcnt lgkmcnt(3)
	v_pk_fma_f32 v[20:21], v[64:65], v[68:69], v[20:21] op_sel_hi:[0,1,1] neg_lo:[1,0,0] neg_hi:[1,0,0]
	s_waitcnt lgkmcnt(2)
	v_pk_fma_f32 v[40:41], v[64:65], v[70:71], v[40:41] op_sel_hi:[0,1,1] neg_lo:[1,0,0] neg_hi:[1,0,0]
	;; [unrolled: 2-line block ×3, first 2 shown]
	ds_read2_b32 v[68:69], v61 offset0:38 offset1:39
	ds_read2_b32 v[70:71], v61 offset0:40 offset1:41
	;; [unrolled: 1-line block ×4, first 2 shown]
	s_waitcnt lgkmcnt(4)
	v_pk_fma_f32 v[22:23], v[64:65], v[74:75], v[22:23] op_sel_hi:[0,1,1] neg_lo:[1,0,0] neg_hi:[1,0,0]
	s_waitcnt lgkmcnt(3)
	v_pk_fma_f32 v[12:13], v[64:65], v[68:69], v[12:13] op_sel_hi:[0,1,1] neg_lo:[1,0,0] neg_hi:[1,0,0]
	;; [unrolled: 2-line block ×5, first 2 shown]
	ds_read2_b32 v[68:69], v61 offset0:46 offset1:47
	ds_read2_b32 v[70:71], v61 offset0:48 offset1:49
	;; [unrolled: 1-line block ×5, first 2 shown]
	s_waitcnt lgkmcnt(4)
	v_pk_fma_f32 v[0:1], v[64:65], v[68:69], v[0:1] op_sel_hi:[0,1,1] neg_lo:[1,0,0] neg_hi:[1,0,0]
	s_waitcnt lgkmcnt(3)
	v_pk_fma_f32 v[14:15], v[64:65], v[70:71], v[14:15] op_sel_hi:[0,1,1] neg_lo:[1,0,0] neg_hi:[1,0,0]
	;; [unrolled: 2-line block ×5, first 2 shown]
	v_mov_b32_e32 v37, v64
.LBB110_369:
	s_or_b64 exec, exec, s[0:1]
	v_lshl_add_u32 v64, v67, 2, v61
	s_barrier
	ds_write_b32 v64, v26
	s_waitcnt lgkmcnt(0)
	s_barrier
	ds_read_b32 v66, v61 offset:88
	s_cmp_lt_i32 s22, 24
	v_mov_b32_e32 v64, 22
	s_cbranch_scc1 .LBB110_372
; %bb.370:
	v_add_u32_e32 v68, 0x5c, v61
	v_mov_b32_e32 v64, 22
	s_mov_b32 s0, 23
.LBB110_371:                            ; =>This Inner Loop Header: Depth=1
	ds_read_b32 v69, v68
	v_mov_b32_e32 v70, s0
	s_add_i32 s0, s0, 1
	v_add_u32_e32 v68, 4, v68
	s_cmp_lg_u32 s22, s0
	s_waitcnt lgkmcnt(0)
	v_cmp_lt_f32_e64 vcc, |v66|, |v69|
	s_nop 1
	v_cndmask_b32_e32 v66, v66, v69, vcc
	v_cndmask_b32_e32 v64, v64, v70, vcc
	s_cbranch_scc1 .LBB110_371
.LBB110_372:
	s_waitcnt lgkmcnt(0)
	v_cmp_eq_f32_e32 vcc, 0, v66
	s_and_saveexec_b64 s[0:1], vcc
	s_xor_b64 s[0:1], exec, s[0:1]
; %bb.373:
	v_cmp_ne_u32_e32 vcc, 0, v63
	s_nop 1
	v_cndmask_b32_e32 v63, 23, v63, vcc
; %bb.374:
	s_andn2_saveexec_b64 s[0:1], s[0:1]
	s_cbranch_execz .LBB110_376
; %bb.375:
	v_div_scale_f32 v68, s[2:3], v66, v66, 1.0
	v_rcp_f32_e32 v69, v68
	v_div_scale_f32 v70, vcc, 1.0, v66, 1.0
	v_fma_f32 v71, -v68, v69, 1.0
	v_fmac_f32_e32 v69, v71, v69
	v_mul_f32_e32 v71, v70, v69
	v_fma_f32 v72, -v68, v71, v70
	v_fmac_f32_e32 v71, v72, v69
	v_fma_f32 v68, -v68, v71, v70
	v_div_fmas_f32 v68, v68, v69, v71
	v_div_fixup_f32 v66, v68, v66, 1.0
.LBB110_376:
	s_or_b64 exec, exec, s[0:1]
	v_cmp_ne_u32_e32 vcc, v67, v64
	s_and_saveexec_b64 s[0:1], vcc
	s_xor_b64 s[0:1], exec, s[0:1]
	s_cbranch_execz .LBB110_382
; %bb.377:
	v_cmp_eq_u32_e32 vcc, 22, v67
	s_and_saveexec_b64 s[2:3], vcc
	s_cbranch_execz .LBB110_381
; %bb.378:
	v_cmp_ne_u32_e32 vcc, 22, v64
	s_xor_b64 s[12:13], s[20:21], -1
	s_and_b64 s[14:15], s[12:13], vcc
	s_and_saveexec_b64 s[12:13], s[14:15]
	s_cbranch_execz .LBB110_380
; %bb.379:
	v_ashrrev_i32_e32 v65, 31, v64
	v_lshl_add_u64 v[68:69], v[64:65], 2, v[4:5]
	global_load_dword v65, v[68:69], off
	global_load_dword v67, v[4:5], off offset:88
	s_waitcnt vmcnt(1)
	global_store_dword v[4:5], v65, off offset:88
	s_waitcnt vmcnt(1)
	global_store_dword v[68:69], v67, off
.LBB110_380:
	s_or_b64 exec, exec, s[12:13]
	v_mov_b32_e32 v65, v64
	v_mov_b32_e32 v67, v64
.LBB110_381:
	s_or_b64 exec, exec, s[2:3]
.LBB110_382:
	s_andn2_saveexec_b64 s[0:1], s[0:1]
	s_cbranch_execz .LBB110_384
; %bb.383:
	v_pk_mov_b32 v[68:69], v[26:27], v[46:47] op_sel:[1,0]
	ds_write2_b32 v61, v68, v69 offset0:23 offset1:24
	v_pk_mov_b32 v[68:69], v[46:47], v[38:39] op_sel:[1,0]
	ds_write2_b32 v61, v68, v69 offset0:25 offset1:26
	;; [unrolled: 2-line block ×15, first 2 shown]
	v_pk_mov_b32 v[68:69], v[16:17], v[10:11] op_sel:[1,0]
	v_mov_b32_e32 v67, 22
	ds_write2_b32 v61, v68, v69 offset0:53 offset1:54
	ds_write_b32 v61, v11 offset:220
.LBB110_384:
	s_or_b64 exec, exec, s[0:1]
	v_cmp_lt_i32_e32 vcc, 22, v67
	s_waitcnt lgkmcnt(0)
	s_barrier
	s_and_saveexec_b64 s[0:1], vcc
	s_cbranch_execz .LBB110_386
; %bb.385:
	ds_read_b32 v64, v61 offset:92
	ds_read2_b32 v[68:69], v61 offset0:24 offset1:25
	ds_read2_b32 v[70:71], v61 offset0:26 offset1:27
	v_mul_f32_e32 v26, v66, v26
	ds_read2_b32 v[72:73], v61 offset0:28 offset1:29
	s_waitcnt lgkmcnt(3)
	v_fma_f32 v27, -v26, v64, v27
	s_waitcnt lgkmcnt(2)
	v_pk_fma_f32 v[46:47], v[26:27], v[68:69], v[46:47] op_sel_hi:[0,1,1] neg_lo:[1,0,0] neg_hi:[1,0,0]
	s_waitcnt lgkmcnt(1)
	v_pk_fma_f32 v[38:39], v[26:27], v[70:71], v[38:39] op_sel_hi:[0,1,1] neg_lo:[1,0,0] neg_hi:[1,0,0]
	ds_read2_b32 v[68:69], v61 offset0:30 offset1:31
	ds_read2_b32 v[70:71], v61 offset0:32 offset1:33
	;; [unrolled: 1-line block ×3, first 2 shown]
	s_waitcnt lgkmcnt(3)
	v_pk_fma_f32 v[28:29], v[26:27], v[72:73], v[28:29] op_sel_hi:[0,1,1] neg_lo:[1,0,0] neg_hi:[1,0,0]
	ds_read2_b32 v[72:73], v61 offset0:36 offset1:37
	s_waitcnt lgkmcnt(3)
	v_pk_fma_f32 v[20:21], v[26:27], v[68:69], v[20:21] op_sel_hi:[0,1,1] neg_lo:[1,0,0] neg_hi:[1,0,0]
	s_waitcnt lgkmcnt(2)
	v_pk_fma_f32 v[40:41], v[26:27], v[70:71], v[40:41] op_sel_hi:[0,1,1] neg_lo:[1,0,0] neg_hi:[1,0,0]
	;; [unrolled: 2-line block ×3, first 2 shown]
	ds_read2_b32 v[68:69], v61 offset0:38 offset1:39
	ds_read2_b32 v[70:71], v61 offset0:40 offset1:41
	;; [unrolled: 1-line block ×4, first 2 shown]
	s_waitcnt lgkmcnt(4)
	v_pk_fma_f32 v[22:23], v[26:27], v[72:73], v[22:23] op_sel_hi:[0,1,1] neg_lo:[1,0,0] neg_hi:[1,0,0]
	s_waitcnt lgkmcnt(3)
	v_pk_fma_f32 v[12:13], v[26:27], v[68:69], v[12:13] op_sel_hi:[0,1,1] neg_lo:[1,0,0] neg_hi:[1,0,0]
	;; [unrolled: 2-line block ×5, first 2 shown]
	ds_read2_b32 v[68:69], v61 offset0:46 offset1:47
	ds_read2_b32 v[70:71], v61 offset0:48 offset1:49
	;; [unrolled: 1-line block ×5, first 2 shown]
	s_waitcnt lgkmcnt(4)
	v_pk_fma_f32 v[0:1], v[26:27], v[68:69], v[0:1] op_sel_hi:[0,1,1] neg_lo:[1,0,0] neg_hi:[1,0,0]
	s_waitcnt lgkmcnt(3)
	v_pk_fma_f32 v[14:15], v[26:27], v[70:71], v[14:15] op_sel_hi:[0,1,1] neg_lo:[1,0,0] neg_hi:[1,0,0]
	;; [unrolled: 2-line block ×5, first 2 shown]
.LBB110_386:
	s_or_b64 exec, exec, s[0:1]
	v_lshl_add_u32 v64, v67, 2, v61
	s_barrier
	ds_write_b32 v64, v27
	s_waitcnt lgkmcnt(0)
	s_barrier
	ds_read_b32 v66, v61 offset:92
	s_cmp_lt_i32 s22, 25
	v_mov_b32_e32 v64, 23
	s_cbranch_scc1 .LBB110_389
; %bb.387:
	v_add_u32_e32 v68, 0x60, v61
	v_mov_b32_e32 v64, 23
	s_mov_b32 s0, 24
.LBB110_388:                            ; =>This Inner Loop Header: Depth=1
	ds_read_b32 v69, v68
	v_mov_b32_e32 v70, s0
	s_add_i32 s0, s0, 1
	v_add_u32_e32 v68, 4, v68
	s_cmp_lg_u32 s22, s0
	s_waitcnt lgkmcnt(0)
	v_cmp_lt_f32_e64 vcc, |v66|, |v69|
	s_nop 1
	v_cndmask_b32_e32 v66, v66, v69, vcc
	v_cndmask_b32_e32 v64, v64, v70, vcc
	s_cbranch_scc1 .LBB110_388
.LBB110_389:
	s_waitcnt lgkmcnt(0)
	v_cmp_eq_f32_e32 vcc, 0, v66
	s_and_saveexec_b64 s[0:1], vcc
	s_xor_b64 s[0:1], exec, s[0:1]
; %bb.390:
	v_cmp_ne_u32_e32 vcc, 0, v63
	s_nop 1
	v_cndmask_b32_e32 v63, 24, v63, vcc
; %bb.391:
	s_andn2_saveexec_b64 s[0:1], s[0:1]
	s_cbranch_execz .LBB110_393
; %bb.392:
	v_div_scale_f32 v68, s[2:3], v66, v66, 1.0
	v_rcp_f32_e32 v69, v68
	v_div_scale_f32 v70, vcc, 1.0, v66, 1.0
	v_fma_f32 v71, -v68, v69, 1.0
	v_fmac_f32_e32 v69, v71, v69
	v_mul_f32_e32 v71, v70, v69
	v_fma_f32 v72, -v68, v71, v70
	v_fmac_f32_e32 v71, v72, v69
	v_fma_f32 v68, -v68, v71, v70
	v_div_fmas_f32 v68, v68, v69, v71
	v_div_fixup_f32 v66, v68, v66, 1.0
.LBB110_393:
	s_or_b64 exec, exec, s[0:1]
	v_cmp_ne_u32_e32 vcc, v67, v64
	s_and_saveexec_b64 s[0:1], vcc
	s_xor_b64 s[0:1], exec, s[0:1]
	s_cbranch_execz .LBB110_399
; %bb.394:
	v_cmp_eq_u32_e32 vcc, 23, v67
	s_and_saveexec_b64 s[2:3], vcc
	s_cbranch_execz .LBB110_398
; %bb.395:
	v_cmp_ne_u32_e32 vcc, 23, v64
	s_xor_b64 s[12:13], s[20:21], -1
	s_and_b64 s[14:15], s[12:13], vcc
	s_and_saveexec_b64 s[12:13], s[14:15]
	s_cbranch_execz .LBB110_397
; %bb.396:
	v_ashrrev_i32_e32 v65, 31, v64
	v_lshl_add_u64 v[68:69], v[64:65], 2, v[4:5]
	global_load_dword v65, v[68:69], off
	global_load_dword v67, v[4:5], off offset:92
	s_waitcnt vmcnt(1)
	global_store_dword v[4:5], v65, off offset:92
	s_waitcnt vmcnt(1)
	global_store_dword v[68:69], v67, off
.LBB110_397:
	s_or_b64 exec, exec, s[12:13]
	v_mov_b32_e32 v65, v64
	v_mov_b32_e32 v67, v64
.LBB110_398:
	s_or_b64 exec, exec, s[2:3]
.LBB110_399:
	s_andn2_saveexec_b64 s[0:1], s[0:1]
	s_cbranch_execz .LBB110_401
; %bb.400:
	v_mov_b32_e32 v67, 23
	ds_write2_b32 v61, v46, v47 offset0:24 offset1:25
	ds_write2_b32 v61, v38, v39 offset0:26 offset1:27
	;; [unrolled: 1-line block ×16, first 2 shown]
.LBB110_401:
	s_or_b64 exec, exec, s[0:1]
	v_cmp_lt_i32_e32 vcc, 23, v67
	s_waitcnt lgkmcnt(0)
	s_barrier
	s_and_saveexec_b64 s[0:1], vcc
	s_cbranch_execz .LBB110_403
; %bb.402:
	ds_read2_b32 v[68:69], v61 offset0:24 offset1:25
	ds_read2_b32 v[70:71], v61 offset0:26 offset1:27
	;; [unrolled: 1-line block ×3, first 2 shown]
	v_mul_f32_e32 v64, v66, v27
	ds_read2_b32 v[74:75], v61 offset0:30 offset1:31
	s_waitcnt lgkmcnt(3)
	v_pk_fma_f32 v[46:47], v[64:65], v[68:69], v[46:47] op_sel_hi:[0,1,1] neg_lo:[1,0,0] neg_hi:[1,0,0]
	s_waitcnt lgkmcnt(2)
	v_pk_fma_f32 v[38:39], v[64:65], v[70:71], v[38:39] op_sel_hi:[0,1,1] neg_lo:[1,0,0] neg_hi:[1,0,0]
	;; [unrolled: 2-line block ×3, first 2 shown]
	ds_read2_b32 v[68:69], v61 offset0:32 offset1:33
	ds_read2_b32 v[70:71], v61 offset0:34 offset1:35
	ds_read2_b32 v[72:73], v61 offset0:36 offset1:37
	s_waitcnt lgkmcnt(3)
	v_pk_fma_f32 v[20:21], v[64:65], v[74:75], v[20:21] op_sel_hi:[0,1,1] neg_lo:[1,0,0] neg_hi:[1,0,0]
	ds_read2_b32 v[74:75], v61 offset0:38 offset1:39
	s_waitcnt lgkmcnt(3)
	v_pk_fma_f32 v[40:41], v[64:65], v[68:69], v[40:41] op_sel_hi:[0,1,1] neg_lo:[1,0,0] neg_hi:[1,0,0]
	s_waitcnt lgkmcnt(2)
	v_pk_fma_f32 v[30:31], v[64:65], v[70:71], v[30:31] op_sel_hi:[0,1,1] neg_lo:[1,0,0] neg_hi:[1,0,0]
	s_waitcnt lgkmcnt(1)
	v_pk_fma_f32 v[22:23], v[64:65], v[72:73], v[22:23] op_sel_hi:[0,1,1] neg_lo:[1,0,0] neg_hi:[1,0,0]
	ds_read2_b32 v[68:69], v61 offset0:40 offset1:41
	ds_read2_b32 v[70:71], v61 offset0:42 offset1:43
	;; [unrolled: 1-line block ×3, first 2 shown]
	s_waitcnt lgkmcnt(3)
	v_pk_fma_f32 v[12:13], v[64:65], v[74:75], v[12:13] op_sel_hi:[0,1,1] neg_lo:[1,0,0] neg_hi:[1,0,0]
	ds_read2_b32 v[74:75], v61 offset0:46 offset1:47
	s_waitcnt lgkmcnt(3)
	v_pk_fma_f32 v[32:33], v[64:65], v[68:69], v[32:33] op_sel_hi:[0,1,1] neg_lo:[1,0,0] neg_hi:[1,0,0]
	s_waitcnt lgkmcnt(2)
	v_pk_fma_f32 v[24:25], v[64:65], v[70:71], v[24:25] op_sel_hi:[0,1,1] neg_lo:[1,0,0] neg_hi:[1,0,0]
	;; [unrolled: 2-line block ×3, first 2 shown]
	ds_read2_b32 v[68:69], v61 offset0:48 offset1:49
	ds_read2_b32 v[70:71], v61 offset0:50 offset1:51
	ds_read2_b32 v[72:73], v61 offset0:52 offset1:53
	ds_read2_b32 v[76:77], v61 offset0:54 offset1:55
	s_waitcnt lgkmcnt(4)
	v_pk_fma_f32 v[0:1], v[64:65], v[74:75], v[0:1] op_sel_hi:[0,1,1] neg_lo:[1,0,0] neg_hi:[1,0,0]
	s_waitcnt lgkmcnt(3)
	v_pk_fma_f32 v[14:15], v[64:65], v[68:69], v[14:15] op_sel_hi:[0,1,1] neg_lo:[1,0,0] neg_hi:[1,0,0]
	;; [unrolled: 2-line block ×5, first 2 shown]
	v_mov_b32_e32 v27, v64
.LBB110_403:
	s_or_b64 exec, exec, s[0:1]
	v_lshl_add_u32 v64, v67, 2, v61
	s_barrier
	ds_write_b32 v64, v46
	s_waitcnt lgkmcnt(0)
	s_barrier
	ds_read_b32 v66, v61 offset:96
	s_cmp_lt_i32 s22, 26
	v_mov_b32_e32 v64, 24
	s_cbranch_scc1 .LBB110_406
; %bb.404:
	v_add_u32_e32 v68, 0x64, v61
	v_mov_b32_e32 v64, 24
	s_mov_b32 s0, 25
.LBB110_405:                            ; =>This Inner Loop Header: Depth=1
	ds_read_b32 v69, v68
	v_mov_b32_e32 v70, s0
	s_add_i32 s0, s0, 1
	v_add_u32_e32 v68, 4, v68
	s_cmp_lg_u32 s22, s0
	s_waitcnt lgkmcnt(0)
	v_cmp_lt_f32_e64 vcc, |v66|, |v69|
	s_nop 1
	v_cndmask_b32_e32 v66, v66, v69, vcc
	v_cndmask_b32_e32 v64, v64, v70, vcc
	s_cbranch_scc1 .LBB110_405
.LBB110_406:
	s_waitcnt lgkmcnt(0)
	v_cmp_eq_f32_e32 vcc, 0, v66
	s_and_saveexec_b64 s[0:1], vcc
	s_xor_b64 s[0:1], exec, s[0:1]
; %bb.407:
	v_cmp_ne_u32_e32 vcc, 0, v63
	s_nop 1
	v_cndmask_b32_e32 v63, 25, v63, vcc
; %bb.408:
	s_andn2_saveexec_b64 s[0:1], s[0:1]
	s_cbranch_execz .LBB110_410
; %bb.409:
	v_div_scale_f32 v68, s[2:3], v66, v66, 1.0
	v_rcp_f32_e32 v69, v68
	v_div_scale_f32 v70, vcc, 1.0, v66, 1.0
	v_fma_f32 v71, -v68, v69, 1.0
	v_fmac_f32_e32 v69, v71, v69
	v_mul_f32_e32 v71, v70, v69
	v_fma_f32 v72, -v68, v71, v70
	v_fmac_f32_e32 v71, v72, v69
	v_fma_f32 v68, -v68, v71, v70
	v_div_fmas_f32 v68, v68, v69, v71
	v_div_fixup_f32 v66, v68, v66, 1.0
.LBB110_410:
	s_or_b64 exec, exec, s[0:1]
	v_cmp_ne_u32_e32 vcc, v67, v64
	s_and_saveexec_b64 s[0:1], vcc
	s_xor_b64 s[0:1], exec, s[0:1]
	s_cbranch_execz .LBB110_416
; %bb.411:
	v_cmp_eq_u32_e32 vcc, 24, v67
	s_and_saveexec_b64 s[2:3], vcc
	s_cbranch_execz .LBB110_415
; %bb.412:
	v_cmp_ne_u32_e32 vcc, 24, v64
	s_xor_b64 s[12:13], s[20:21], -1
	s_and_b64 s[14:15], s[12:13], vcc
	s_and_saveexec_b64 s[12:13], s[14:15]
	s_cbranch_execz .LBB110_414
; %bb.413:
	v_ashrrev_i32_e32 v65, 31, v64
	v_lshl_add_u64 v[68:69], v[64:65], 2, v[4:5]
	global_load_dword v65, v[68:69], off
	global_load_dword v67, v[4:5], off offset:96
	s_waitcnt vmcnt(1)
	global_store_dword v[4:5], v65, off offset:96
	s_waitcnt vmcnt(1)
	global_store_dword v[68:69], v67, off
.LBB110_414:
	s_or_b64 exec, exec, s[12:13]
	v_mov_b32_e32 v65, v64
	v_mov_b32_e32 v67, v64
.LBB110_415:
	s_or_b64 exec, exec, s[2:3]
.LBB110_416:
	s_andn2_saveexec_b64 s[0:1], s[0:1]
	s_cbranch_execz .LBB110_418
; %bb.417:
	v_pk_mov_b32 v[68:69], v[46:47], v[38:39] op_sel:[1,0]
	ds_write2_b32 v61, v68, v69 offset0:25 offset1:26
	v_pk_mov_b32 v[68:69], v[38:39], v[28:29] op_sel:[1,0]
	ds_write2_b32 v61, v68, v69 offset0:27 offset1:28
	;; [unrolled: 2-line block ×14, first 2 shown]
	v_pk_mov_b32 v[68:69], v[16:17], v[10:11] op_sel:[1,0]
	v_mov_b32_e32 v67, 24
	ds_write2_b32 v61, v68, v69 offset0:53 offset1:54
	ds_write_b32 v61, v11 offset:220
.LBB110_418:
	s_or_b64 exec, exec, s[0:1]
	v_cmp_lt_i32_e32 vcc, 24, v67
	s_waitcnt lgkmcnt(0)
	s_barrier
	s_and_saveexec_b64 s[0:1], vcc
	s_cbranch_execz .LBB110_420
; %bb.419:
	ds_read_b32 v64, v61 offset:100
	ds_read2_b32 v[68:69], v61 offset0:26 offset1:27
	ds_read2_b32 v[70:71], v61 offset0:28 offset1:29
	v_mul_f32_e32 v46, v66, v46
	ds_read2_b32 v[72:73], v61 offset0:30 offset1:31
	s_waitcnt lgkmcnt(3)
	v_fma_f32 v47, -v46, v64, v47
	s_waitcnt lgkmcnt(2)
	v_pk_fma_f32 v[38:39], v[46:47], v[68:69], v[38:39] op_sel_hi:[0,1,1] neg_lo:[1,0,0] neg_hi:[1,0,0]
	s_waitcnt lgkmcnt(1)
	v_pk_fma_f32 v[28:29], v[46:47], v[70:71], v[28:29] op_sel_hi:[0,1,1] neg_lo:[1,0,0] neg_hi:[1,0,0]
	ds_read2_b32 v[68:69], v61 offset0:32 offset1:33
	ds_read2_b32 v[70:71], v61 offset0:34 offset1:35
	;; [unrolled: 1-line block ×3, first 2 shown]
	s_waitcnt lgkmcnt(3)
	v_pk_fma_f32 v[20:21], v[46:47], v[72:73], v[20:21] op_sel_hi:[0,1,1] neg_lo:[1,0,0] neg_hi:[1,0,0]
	ds_read2_b32 v[72:73], v61 offset0:38 offset1:39
	s_waitcnt lgkmcnt(3)
	v_pk_fma_f32 v[40:41], v[46:47], v[68:69], v[40:41] op_sel_hi:[0,1,1] neg_lo:[1,0,0] neg_hi:[1,0,0]
	s_waitcnt lgkmcnt(2)
	v_pk_fma_f32 v[30:31], v[46:47], v[70:71], v[30:31] op_sel_hi:[0,1,1] neg_lo:[1,0,0] neg_hi:[1,0,0]
	;; [unrolled: 2-line block ×3, first 2 shown]
	ds_read2_b32 v[68:69], v61 offset0:40 offset1:41
	ds_read2_b32 v[70:71], v61 offset0:42 offset1:43
	;; [unrolled: 1-line block ×3, first 2 shown]
	s_waitcnt lgkmcnt(3)
	v_pk_fma_f32 v[12:13], v[46:47], v[72:73], v[12:13] op_sel_hi:[0,1,1] neg_lo:[1,0,0] neg_hi:[1,0,0]
	ds_read2_b32 v[72:73], v61 offset0:46 offset1:47
	s_waitcnt lgkmcnt(3)
	v_pk_fma_f32 v[32:33], v[46:47], v[68:69], v[32:33] op_sel_hi:[0,1,1] neg_lo:[1,0,0] neg_hi:[1,0,0]
	s_waitcnt lgkmcnt(2)
	v_pk_fma_f32 v[24:25], v[46:47], v[70:71], v[24:25] op_sel_hi:[0,1,1] neg_lo:[1,0,0] neg_hi:[1,0,0]
	;; [unrolled: 2-line block ×3, first 2 shown]
	ds_read2_b32 v[68:69], v61 offset0:48 offset1:49
	ds_read2_b32 v[70:71], v61 offset0:50 offset1:51
	;; [unrolled: 1-line block ×4, first 2 shown]
	s_waitcnt lgkmcnt(4)
	v_pk_fma_f32 v[0:1], v[46:47], v[72:73], v[0:1] op_sel_hi:[0,1,1] neg_lo:[1,0,0] neg_hi:[1,0,0]
	s_waitcnt lgkmcnt(3)
	v_pk_fma_f32 v[14:15], v[46:47], v[68:69], v[14:15] op_sel_hi:[0,1,1] neg_lo:[1,0,0] neg_hi:[1,0,0]
	;; [unrolled: 2-line block ×5, first 2 shown]
.LBB110_420:
	s_or_b64 exec, exec, s[0:1]
	v_lshl_add_u32 v64, v67, 2, v61
	s_barrier
	ds_write_b32 v64, v47
	s_waitcnt lgkmcnt(0)
	s_barrier
	ds_read_b32 v66, v61 offset:100
	s_cmp_lt_i32 s22, 27
	v_mov_b32_e32 v64, 25
	s_cbranch_scc1 .LBB110_423
; %bb.421:
	v_add_u32_e32 v68, 0x68, v61
	v_mov_b32_e32 v64, 25
	s_mov_b32 s0, 26
.LBB110_422:                            ; =>This Inner Loop Header: Depth=1
	ds_read_b32 v69, v68
	v_mov_b32_e32 v70, s0
	s_add_i32 s0, s0, 1
	v_add_u32_e32 v68, 4, v68
	s_cmp_lg_u32 s22, s0
	s_waitcnt lgkmcnt(0)
	v_cmp_lt_f32_e64 vcc, |v66|, |v69|
	s_nop 1
	v_cndmask_b32_e32 v66, v66, v69, vcc
	v_cndmask_b32_e32 v64, v64, v70, vcc
	s_cbranch_scc1 .LBB110_422
.LBB110_423:
	s_waitcnt lgkmcnt(0)
	v_cmp_eq_f32_e32 vcc, 0, v66
	s_and_saveexec_b64 s[0:1], vcc
	s_xor_b64 s[0:1], exec, s[0:1]
; %bb.424:
	v_cmp_ne_u32_e32 vcc, 0, v63
	s_nop 1
	v_cndmask_b32_e32 v63, 26, v63, vcc
; %bb.425:
	s_andn2_saveexec_b64 s[0:1], s[0:1]
	s_cbranch_execz .LBB110_427
; %bb.426:
	v_div_scale_f32 v68, s[2:3], v66, v66, 1.0
	v_rcp_f32_e32 v69, v68
	v_div_scale_f32 v70, vcc, 1.0, v66, 1.0
	v_fma_f32 v71, -v68, v69, 1.0
	v_fmac_f32_e32 v69, v71, v69
	v_mul_f32_e32 v71, v70, v69
	v_fma_f32 v72, -v68, v71, v70
	v_fmac_f32_e32 v71, v72, v69
	v_fma_f32 v68, -v68, v71, v70
	v_div_fmas_f32 v68, v68, v69, v71
	v_div_fixup_f32 v66, v68, v66, 1.0
.LBB110_427:
	s_or_b64 exec, exec, s[0:1]
	v_cmp_ne_u32_e32 vcc, v67, v64
	s_and_saveexec_b64 s[0:1], vcc
	s_xor_b64 s[0:1], exec, s[0:1]
	s_cbranch_execz .LBB110_433
; %bb.428:
	v_cmp_eq_u32_e32 vcc, 25, v67
	s_and_saveexec_b64 s[2:3], vcc
	s_cbranch_execz .LBB110_432
; %bb.429:
	v_cmp_ne_u32_e32 vcc, 25, v64
	s_xor_b64 s[12:13], s[20:21], -1
	s_and_b64 s[14:15], s[12:13], vcc
	s_and_saveexec_b64 s[12:13], s[14:15]
	s_cbranch_execz .LBB110_431
; %bb.430:
	v_ashrrev_i32_e32 v65, 31, v64
	v_lshl_add_u64 v[68:69], v[64:65], 2, v[4:5]
	global_load_dword v65, v[68:69], off
	global_load_dword v67, v[4:5], off offset:100
	s_waitcnt vmcnt(1)
	global_store_dword v[4:5], v65, off offset:100
	s_waitcnt vmcnt(1)
	global_store_dword v[68:69], v67, off
.LBB110_431:
	s_or_b64 exec, exec, s[12:13]
	v_mov_b32_e32 v65, v64
	v_mov_b32_e32 v67, v64
.LBB110_432:
	s_or_b64 exec, exec, s[2:3]
.LBB110_433:
	s_andn2_saveexec_b64 s[0:1], s[0:1]
	s_cbranch_execz .LBB110_435
; %bb.434:
	v_mov_b32_e32 v67, 25
	ds_write2_b32 v61, v38, v39 offset0:26 offset1:27
	ds_write2_b32 v61, v28, v29 offset0:28 offset1:29
	;; [unrolled: 1-line block ×15, first 2 shown]
.LBB110_435:
	s_or_b64 exec, exec, s[0:1]
	v_cmp_lt_i32_e32 vcc, 25, v67
	s_waitcnt lgkmcnt(0)
	s_barrier
	s_and_saveexec_b64 s[0:1], vcc
	s_cbranch_execz .LBB110_437
; %bb.436:
	ds_read2_b32 v[68:69], v61 offset0:26 offset1:27
	ds_read2_b32 v[70:71], v61 offset0:28 offset1:29
	;; [unrolled: 1-line block ×3, first 2 shown]
	v_mul_f32_e32 v64, v66, v47
	ds_read2_b32 v[74:75], v61 offset0:32 offset1:33
	s_waitcnt lgkmcnt(3)
	v_pk_fma_f32 v[38:39], v[64:65], v[68:69], v[38:39] op_sel_hi:[0,1,1] neg_lo:[1,0,0] neg_hi:[1,0,0]
	s_waitcnt lgkmcnt(2)
	v_pk_fma_f32 v[28:29], v[64:65], v[70:71], v[28:29] op_sel_hi:[0,1,1] neg_lo:[1,0,0] neg_hi:[1,0,0]
	;; [unrolled: 2-line block ×3, first 2 shown]
	ds_read2_b32 v[68:69], v61 offset0:34 offset1:35
	ds_read2_b32 v[70:71], v61 offset0:36 offset1:37
	ds_read2_b32 v[72:73], v61 offset0:38 offset1:39
	s_waitcnt lgkmcnt(3)
	v_pk_fma_f32 v[40:41], v[64:65], v[74:75], v[40:41] op_sel_hi:[0,1,1] neg_lo:[1,0,0] neg_hi:[1,0,0]
	ds_read2_b32 v[74:75], v61 offset0:40 offset1:41
	s_waitcnt lgkmcnt(3)
	v_pk_fma_f32 v[30:31], v[64:65], v[68:69], v[30:31] op_sel_hi:[0,1,1] neg_lo:[1,0,0] neg_hi:[1,0,0]
	s_waitcnt lgkmcnt(2)
	v_pk_fma_f32 v[22:23], v[64:65], v[70:71], v[22:23] op_sel_hi:[0,1,1] neg_lo:[1,0,0] neg_hi:[1,0,0]
	ds_read2_b32 v[68:69], v61 offset0:42 offset1:43
	ds_read2_b32 v[70:71], v61 offset0:44 offset1:45
	s_waitcnt lgkmcnt(3)
	v_pk_fma_f32 v[12:13], v[64:65], v[72:73], v[12:13] op_sel_hi:[0,1,1] neg_lo:[1,0,0] neg_hi:[1,0,0]
	s_waitcnt lgkmcnt(2)
	v_pk_fma_f32 v[32:33], v[64:65], v[74:75], v[32:33] op_sel_hi:[0,1,1] neg_lo:[1,0,0] neg_hi:[1,0,0]
	ds_read2_b32 v[72:73], v61 offset0:46 offset1:47
	;; [unrolled: 6-line block ×3, first 2 shown]
	ds_read2_b32 v[70:71], v61 offset0:52 offset1:53
	ds_read2_b32 v[76:77], v61 offset0:54 offset1:55
	s_waitcnt lgkmcnt(4)
	v_pk_fma_f32 v[0:1], v[64:65], v[72:73], v[0:1] op_sel_hi:[0,1,1] neg_lo:[1,0,0] neg_hi:[1,0,0]
	s_waitcnt lgkmcnt(3)
	v_pk_fma_f32 v[14:15], v[64:65], v[74:75], v[14:15] op_sel_hi:[0,1,1] neg_lo:[1,0,0] neg_hi:[1,0,0]
	;; [unrolled: 2-line block ×5, first 2 shown]
	v_mov_b32_e32 v47, v64
.LBB110_437:
	s_or_b64 exec, exec, s[0:1]
	v_lshl_add_u32 v64, v67, 2, v61
	s_barrier
	ds_write_b32 v64, v38
	s_waitcnt lgkmcnt(0)
	s_barrier
	ds_read_b32 v66, v61 offset:104
	s_cmp_lt_i32 s22, 28
	v_mov_b32_e32 v64, 26
	s_cbranch_scc1 .LBB110_440
; %bb.438:
	v_add_u32_e32 v68, 0x6c, v61
	v_mov_b32_e32 v64, 26
	s_mov_b32 s0, 27
.LBB110_439:                            ; =>This Inner Loop Header: Depth=1
	ds_read_b32 v69, v68
	v_mov_b32_e32 v70, s0
	s_add_i32 s0, s0, 1
	v_add_u32_e32 v68, 4, v68
	s_cmp_lg_u32 s22, s0
	s_waitcnt lgkmcnt(0)
	v_cmp_lt_f32_e64 vcc, |v66|, |v69|
	s_nop 1
	v_cndmask_b32_e32 v66, v66, v69, vcc
	v_cndmask_b32_e32 v64, v64, v70, vcc
	s_cbranch_scc1 .LBB110_439
.LBB110_440:
	s_waitcnt lgkmcnt(0)
	v_cmp_eq_f32_e32 vcc, 0, v66
	s_and_saveexec_b64 s[0:1], vcc
	s_xor_b64 s[0:1], exec, s[0:1]
; %bb.441:
	v_cmp_ne_u32_e32 vcc, 0, v63
	s_nop 1
	v_cndmask_b32_e32 v63, 27, v63, vcc
; %bb.442:
	s_andn2_saveexec_b64 s[0:1], s[0:1]
	s_cbranch_execz .LBB110_444
; %bb.443:
	v_div_scale_f32 v68, s[2:3], v66, v66, 1.0
	v_rcp_f32_e32 v69, v68
	v_div_scale_f32 v70, vcc, 1.0, v66, 1.0
	v_fma_f32 v71, -v68, v69, 1.0
	v_fmac_f32_e32 v69, v71, v69
	v_mul_f32_e32 v71, v70, v69
	v_fma_f32 v72, -v68, v71, v70
	v_fmac_f32_e32 v71, v72, v69
	v_fma_f32 v68, -v68, v71, v70
	v_div_fmas_f32 v68, v68, v69, v71
	v_div_fixup_f32 v66, v68, v66, 1.0
.LBB110_444:
	s_or_b64 exec, exec, s[0:1]
	v_cmp_ne_u32_e32 vcc, v67, v64
	s_and_saveexec_b64 s[0:1], vcc
	s_xor_b64 s[0:1], exec, s[0:1]
	s_cbranch_execz .LBB110_450
; %bb.445:
	v_cmp_eq_u32_e32 vcc, 26, v67
	s_and_saveexec_b64 s[2:3], vcc
	s_cbranch_execz .LBB110_449
; %bb.446:
	v_cmp_ne_u32_e32 vcc, 26, v64
	s_xor_b64 s[12:13], s[20:21], -1
	s_and_b64 s[14:15], s[12:13], vcc
	s_and_saveexec_b64 s[12:13], s[14:15]
	s_cbranch_execz .LBB110_448
; %bb.447:
	v_ashrrev_i32_e32 v65, 31, v64
	v_lshl_add_u64 v[68:69], v[64:65], 2, v[4:5]
	global_load_dword v65, v[68:69], off
	global_load_dword v67, v[4:5], off offset:104
	s_waitcnt vmcnt(1)
	global_store_dword v[4:5], v65, off offset:104
	s_waitcnt vmcnt(1)
	global_store_dword v[68:69], v67, off
.LBB110_448:
	s_or_b64 exec, exec, s[12:13]
	v_mov_b32_e32 v65, v64
	v_mov_b32_e32 v67, v64
.LBB110_449:
	s_or_b64 exec, exec, s[2:3]
.LBB110_450:
	s_andn2_saveexec_b64 s[0:1], s[0:1]
	s_cbranch_execz .LBB110_452
; %bb.451:
	v_pk_mov_b32 v[68:69], v[38:39], v[28:29] op_sel:[1,0]
	ds_write2_b32 v61, v68, v69 offset0:27 offset1:28
	v_pk_mov_b32 v[68:69], v[28:29], v[20:21] op_sel:[1,0]
	ds_write2_b32 v61, v68, v69 offset0:29 offset1:30
	;; [unrolled: 2-line block ×13, first 2 shown]
	v_pk_mov_b32 v[68:69], v[16:17], v[10:11] op_sel:[1,0]
	v_mov_b32_e32 v67, 26
	ds_write2_b32 v61, v68, v69 offset0:53 offset1:54
	ds_write_b32 v61, v11 offset:220
.LBB110_452:
	s_or_b64 exec, exec, s[0:1]
	v_cmp_lt_i32_e32 vcc, 26, v67
	s_waitcnt lgkmcnt(0)
	s_barrier
	s_and_saveexec_b64 s[0:1], vcc
	s_cbranch_execz .LBB110_454
; %bb.453:
	ds_read_b32 v64, v61 offset:108
	ds_read2_b32 v[68:69], v61 offset0:28 offset1:29
	ds_read2_b32 v[70:71], v61 offset0:30 offset1:31
	v_mul_f32_e32 v38, v66, v38
	ds_read2_b32 v[72:73], v61 offset0:32 offset1:33
	s_waitcnt lgkmcnt(3)
	v_fma_f32 v39, -v38, v64, v39
	s_waitcnt lgkmcnt(2)
	v_pk_fma_f32 v[28:29], v[38:39], v[68:69], v[28:29] op_sel_hi:[0,1,1] neg_lo:[1,0,0] neg_hi:[1,0,0]
	s_waitcnt lgkmcnt(1)
	v_pk_fma_f32 v[20:21], v[38:39], v[70:71], v[20:21] op_sel_hi:[0,1,1] neg_lo:[1,0,0] neg_hi:[1,0,0]
	ds_read2_b32 v[68:69], v61 offset0:34 offset1:35
	ds_read2_b32 v[70:71], v61 offset0:36 offset1:37
	;; [unrolled: 1-line block ×3, first 2 shown]
	s_waitcnt lgkmcnt(3)
	v_pk_fma_f32 v[40:41], v[38:39], v[72:73], v[40:41] op_sel_hi:[0,1,1] neg_lo:[1,0,0] neg_hi:[1,0,0]
	ds_read2_b32 v[72:73], v61 offset0:40 offset1:41
	s_waitcnt lgkmcnt(3)
	v_pk_fma_f32 v[30:31], v[38:39], v[68:69], v[30:31] op_sel_hi:[0,1,1] neg_lo:[1,0,0] neg_hi:[1,0,0]
	s_waitcnt lgkmcnt(2)
	v_pk_fma_f32 v[22:23], v[38:39], v[70:71], v[22:23] op_sel_hi:[0,1,1] neg_lo:[1,0,0] neg_hi:[1,0,0]
	ds_read2_b32 v[68:69], v61 offset0:42 offset1:43
	ds_read2_b32 v[70:71], v61 offset0:44 offset1:45
	s_waitcnt lgkmcnt(3)
	v_pk_fma_f32 v[12:13], v[38:39], v[74:75], v[12:13] op_sel_hi:[0,1,1] neg_lo:[1,0,0] neg_hi:[1,0,0]
	s_waitcnt lgkmcnt(2)
	v_pk_fma_f32 v[32:33], v[38:39], v[72:73], v[32:33] op_sel_hi:[0,1,1] neg_lo:[1,0,0] neg_hi:[1,0,0]
	ds_read2_b32 v[72:73], v61 offset0:46 offset1:47
	;; [unrolled: 6-line block ×3, first 2 shown]
	ds_read2_b32 v[70:71], v61 offset0:52 offset1:53
	ds_read2_b32 v[76:77], v61 offset0:54 offset1:55
	s_waitcnt lgkmcnt(4)
	v_pk_fma_f32 v[0:1], v[38:39], v[72:73], v[0:1] op_sel_hi:[0,1,1] neg_lo:[1,0,0] neg_hi:[1,0,0]
	s_waitcnt lgkmcnt(3)
	v_pk_fma_f32 v[14:15], v[38:39], v[74:75], v[14:15] op_sel_hi:[0,1,1] neg_lo:[1,0,0] neg_hi:[1,0,0]
	;; [unrolled: 2-line block ×5, first 2 shown]
.LBB110_454:
	s_or_b64 exec, exec, s[0:1]
	v_lshl_add_u32 v64, v67, 2, v61
	s_barrier
	ds_write_b32 v64, v39
	s_waitcnt lgkmcnt(0)
	s_barrier
	ds_read_b32 v66, v61 offset:108
	s_cmp_lt_i32 s22, 29
	v_mov_b32_e32 v64, 27
	s_cbranch_scc1 .LBB110_457
; %bb.455:
	v_add_u32_e32 v68, 0x70, v61
	v_mov_b32_e32 v64, 27
	s_mov_b32 s0, 28
.LBB110_456:                            ; =>This Inner Loop Header: Depth=1
	ds_read_b32 v69, v68
	v_mov_b32_e32 v70, s0
	s_add_i32 s0, s0, 1
	v_add_u32_e32 v68, 4, v68
	s_cmp_lg_u32 s22, s0
	s_waitcnt lgkmcnt(0)
	v_cmp_lt_f32_e64 vcc, |v66|, |v69|
	s_nop 1
	v_cndmask_b32_e32 v66, v66, v69, vcc
	v_cndmask_b32_e32 v64, v64, v70, vcc
	s_cbranch_scc1 .LBB110_456
.LBB110_457:
	s_waitcnt lgkmcnt(0)
	v_cmp_eq_f32_e32 vcc, 0, v66
	s_and_saveexec_b64 s[0:1], vcc
	s_xor_b64 s[0:1], exec, s[0:1]
; %bb.458:
	v_cmp_ne_u32_e32 vcc, 0, v63
	s_nop 1
	v_cndmask_b32_e32 v63, 28, v63, vcc
; %bb.459:
	s_andn2_saveexec_b64 s[0:1], s[0:1]
	s_cbranch_execz .LBB110_461
; %bb.460:
	v_div_scale_f32 v68, s[2:3], v66, v66, 1.0
	v_rcp_f32_e32 v69, v68
	v_div_scale_f32 v70, vcc, 1.0, v66, 1.0
	v_fma_f32 v71, -v68, v69, 1.0
	v_fmac_f32_e32 v69, v71, v69
	v_mul_f32_e32 v71, v70, v69
	v_fma_f32 v72, -v68, v71, v70
	v_fmac_f32_e32 v71, v72, v69
	v_fma_f32 v68, -v68, v71, v70
	v_div_fmas_f32 v68, v68, v69, v71
	v_div_fixup_f32 v66, v68, v66, 1.0
.LBB110_461:
	s_or_b64 exec, exec, s[0:1]
	v_cmp_ne_u32_e32 vcc, v67, v64
	s_and_saveexec_b64 s[0:1], vcc
	s_xor_b64 s[0:1], exec, s[0:1]
	s_cbranch_execz .LBB110_467
; %bb.462:
	v_cmp_eq_u32_e32 vcc, 27, v67
	s_and_saveexec_b64 s[2:3], vcc
	s_cbranch_execz .LBB110_466
; %bb.463:
	v_cmp_ne_u32_e32 vcc, 27, v64
	s_xor_b64 s[12:13], s[20:21], -1
	s_and_b64 s[14:15], s[12:13], vcc
	s_and_saveexec_b64 s[12:13], s[14:15]
	s_cbranch_execz .LBB110_465
; %bb.464:
	v_ashrrev_i32_e32 v65, 31, v64
	v_lshl_add_u64 v[68:69], v[64:65], 2, v[4:5]
	global_load_dword v65, v[68:69], off
	global_load_dword v67, v[4:5], off offset:108
	s_waitcnt vmcnt(1)
	global_store_dword v[4:5], v65, off offset:108
	s_waitcnt vmcnt(1)
	global_store_dword v[68:69], v67, off
.LBB110_465:
	s_or_b64 exec, exec, s[12:13]
	v_mov_b32_e32 v65, v64
	v_mov_b32_e32 v67, v64
.LBB110_466:
	s_or_b64 exec, exec, s[2:3]
.LBB110_467:
	s_andn2_saveexec_b64 s[0:1], s[0:1]
	s_cbranch_execz .LBB110_469
; %bb.468:
	v_mov_b32_e32 v67, 27
	ds_write2_b32 v61, v28, v29 offset0:28 offset1:29
	ds_write2_b32 v61, v20, v21 offset0:30 offset1:31
	;; [unrolled: 1-line block ×14, first 2 shown]
.LBB110_469:
	s_or_b64 exec, exec, s[0:1]
	v_cmp_lt_i32_e32 vcc, 27, v67
	s_waitcnt lgkmcnt(0)
	s_barrier
	s_and_saveexec_b64 s[0:1], vcc
	s_cbranch_execz .LBB110_471
; %bb.470:
	ds_read2_b32 v[68:69], v61 offset0:28 offset1:29
	ds_read2_b32 v[70:71], v61 offset0:30 offset1:31
	;; [unrolled: 1-line block ×4, first 2 shown]
	v_mul_f32_e32 v64, v66, v39
	s_waitcnt lgkmcnt(3)
	v_pk_fma_f32 v[28:29], v[64:65], v[68:69], v[28:29] op_sel_hi:[0,1,1] neg_lo:[1,0,0] neg_hi:[1,0,0]
	s_waitcnt lgkmcnt(2)
	v_pk_fma_f32 v[20:21], v[64:65], v[70:71], v[20:21] op_sel_hi:[0,1,1] neg_lo:[1,0,0] neg_hi:[1,0,0]
	;; [unrolled: 2-line block ×3, first 2 shown]
	ds_read2_b32 v[68:69], v61 offset0:36 offset1:37
	ds_read2_b32 v[70:71], v61 offset0:38 offset1:39
	;; [unrolled: 1-line block ×3, first 2 shown]
	s_waitcnt lgkmcnt(3)
	v_pk_fma_f32 v[30:31], v[64:65], v[74:75], v[30:31] op_sel_hi:[0,1,1] neg_lo:[1,0,0] neg_hi:[1,0,0]
	ds_read2_b32 v[74:75], v61 offset0:42 offset1:43
	s_waitcnt lgkmcnt(3)
	v_pk_fma_f32 v[22:23], v[64:65], v[68:69], v[22:23] op_sel_hi:[0,1,1] neg_lo:[1,0,0] neg_hi:[1,0,0]
	ds_read2_b32 v[68:69], v61 offset0:44 offset1:45
	s_waitcnt lgkmcnt(3)
	v_pk_fma_f32 v[12:13], v[64:65], v[70:71], v[12:13] op_sel_hi:[0,1,1] neg_lo:[1,0,0] neg_hi:[1,0,0]
	s_waitcnt lgkmcnt(2)
	v_pk_fma_f32 v[32:33], v[64:65], v[72:73], v[32:33] op_sel_hi:[0,1,1] neg_lo:[1,0,0] neg_hi:[1,0,0]
	;; [unrolled: 2-line block ×3, first 2 shown]
	ds_read2_b32 v[70:71], v61 offset0:46 offset1:47
	ds_read2_b32 v[72:73], v61 offset0:48 offset1:49
	ds_read2_b32 v[74:75], v61 offset0:50 offset1:51
	s_waitcnt lgkmcnt(3)
	v_pk_fma_f32 v[18:19], v[64:65], v[68:69], v[18:19] op_sel_hi:[0,1,1] neg_lo:[1,0,0] neg_hi:[1,0,0]
	ds_read2_b32 v[68:69], v61 offset0:52 offset1:53
	ds_read2_b32 v[76:77], v61 offset0:54 offset1:55
	s_waitcnt lgkmcnt(4)
	v_pk_fma_f32 v[0:1], v[64:65], v[70:71], v[0:1] op_sel_hi:[0,1,1] neg_lo:[1,0,0] neg_hi:[1,0,0]
	s_waitcnt lgkmcnt(3)
	v_pk_fma_f32 v[14:15], v[64:65], v[72:73], v[14:15] op_sel_hi:[0,1,1] neg_lo:[1,0,0] neg_hi:[1,0,0]
	;; [unrolled: 2-line block ×5, first 2 shown]
	v_mov_b32_e32 v39, v64
.LBB110_471:
	s_or_b64 exec, exec, s[0:1]
	v_lshl_add_u32 v64, v67, 2, v61
	s_barrier
	ds_write_b32 v64, v28
	s_waitcnt lgkmcnt(0)
	s_barrier
	ds_read_b32 v66, v61 offset:112
	s_cmp_lt_i32 s22, 30
	v_mov_b32_e32 v64, 28
	s_cbranch_scc1 .LBB110_474
; %bb.472:
	v_add_u32_e32 v68, 0x74, v61
	v_mov_b32_e32 v64, 28
	s_mov_b32 s0, 29
.LBB110_473:                            ; =>This Inner Loop Header: Depth=1
	ds_read_b32 v69, v68
	v_mov_b32_e32 v70, s0
	s_add_i32 s0, s0, 1
	v_add_u32_e32 v68, 4, v68
	s_cmp_lg_u32 s22, s0
	s_waitcnt lgkmcnt(0)
	v_cmp_lt_f32_e64 vcc, |v66|, |v69|
	s_nop 1
	v_cndmask_b32_e32 v66, v66, v69, vcc
	v_cndmask_b32_e32 v64, v64, v70, vcc
	s_cbranch_scc1 .LBB110_473
.LBB110_474:
	s_waitcnt lgkmcnt(0)
	v_cmp_eq_f32_e32 vcc, 0, v66
	s_and_saveexec_b64 s[0:1], vcc
	s_xor_b64 s[0:1], exec, s[0:1]
; %bb.475:
	v_cmp_ne_u32_e32 vcc, 0, v63
	s_nop 1
	v_cndmask_b32_e32 v63, 29, v63, vcc
; %bb.476:
	s_andn2_saveexec_b64 s[0:1], s[0:1]
	s_cbranch_execz .LBB110_478
; %bb.477:
	v_div_scale_f32 v68, s[2:3], v66, v66, 1.0
	v_rcp_f32_e32 v69, v68
	v_div_scale_f32 v70, vcc, 1.0, v66, 1.0
	v_fma_f32 v71, -v68, v69, 1.0
	v_fmac_f32_e32 v69, v71, v69
	v_mul_f32_e32 v71, v70, v69
	v_fma_f32 v72, -v68, v71, v70
	v_fmac_f32_e32 v71, v72, v69
	v_fma_f32 v68, -v68, v71, v70
	v_div_fmas_f32 v68, v68, v69, v71
	v_div_fixup_f32 v66, v68, v66, 1.0
.LBB110_478:
	s_or_b64 exec, exec, s[0:1]
	v_cmp_ne_u32_e32 vcc, v67, v64
	s_and_saveexec_b64 s[0:1], vcc
	s_xor_b64 s[0:1], exec, s[0:1]
	s_cbranch_execz .LBB110_484
; %bb.479:
	v_cmp_eq_u32_e32 vcc, 28, v67
	s_and_saveexec_b64 s[2:3], vcc
	s_cbranch_execz .LBB110_483
; %bb.480:
	v_cmp_ne_u32_e32 vcc, 28, v64
	s_xor_b64 s[12:13], s[20:21], -1
	s_and_b64 s[14:15], s[12:13], vcc
	s_and_saveexec_b64 s[12:13], s[14:15]
	s_cbranch_execz .LBB110_482
; %bb.481:
	v_ashrrev_i32_e32 v65, 31, v64
	v_lshl_add_u64 v[68:69], v[64:65], 2, v[4:5]
	global_load_dword v65, v[68:69], off
	global_load_dword v67, v[4:5], off offset:112
	s_waitcnt vmcnt(1)
	global_store_dword v[4:5], v65, off offset:112
	s_waitcnt vmcnt(1)
	global_store_dword v[68:69], v67, off
.LBB110_482:
	s_or_b64 exec, exec, s[12:13]
	v_mov_b32_e32 v65, v64
	v_mov_b32_e32 v67, v64
.LBB110_483:
	s_or_b64 exec, exec, s[2:3]
.LBB110_484:
	s_andn2_saveexec_b64 s[0:1], s[0:1]
	s_cbranch_execz .LBB110_486
; %bb.485:
	v_pk_mov_b32 v[68:69], v[28:29], v[20:21] op_sel:[1,0]
	ds_write2_b32 v61, v68, v69 offset0:29 offset1:30
	v_pk_mov_b32 v[68:69], v[20:21], v[40:41] op_sel:[1,0]
	ds_write2_b32 v61, v68, v69 offset0:31 offset1:32
	;; [unrolled: 2-line block ×12, first 2 shown]
	v_pk_mov_b32 v[68:69], v[16:17], v[10:11] op_sel:[1,0]
	v_mov_b32_e32 v67, 28
	ds_write2_b32 v61, v68, v69 offset0:53 offset1:54
	ds_write_b32 v61, v11 offset:220
.LBB110_486:
	s_or_b64 exec, exec, s[0:1]
	v_cmp_lt_i32_e32 vcc, 28, v67
	s_waitcnt lgkmcnt(0)
	s_barrier
	s_and_saveexec_b64 s[0:1], vcc
	s_cbranch_execz .LBB110_488
; %bb.487:
	ds_read_b32 v64, v61 offset:116
	ds_read2_b32 v[68:69], v61 offset0:30 offset1:31
	ds_read2_b32 v[70:71], v61 offset0:32 offset1:33
	v_mul_f32_e32 v28, v66, v28
	ds_read2_b32 v[72:73], v61 offset0:34 offset1:35
	s_waitcnt lgkmcnt(3)
	v_fma_f32 v29, -v28, v64, v29
	s_waitcnt lgkmcnt(2)
	v_pk_fma_f32 v[20:21], v[28:29], v[68:69], v[20:21] op_sel_hi:[0,1,1] neg_lo:[1,0,0] neg_hi:[1,0,0]
	s_waitcnt lgkmcnt(1)
	v_pk_fma_f32 v[40:41], v[28:29], v[70:71], v[40:41] op_sel_hi:[0,1,1] neg_lo:[1,0,0] neg_hi:[1,0,0]
	ds_read2_b32 v[68:69], v61 offset0:36 offset1:37
	ds_read2_b32 v[70:71], v61 offset0:38 offset1:39
	;; [unrolled: 1-line block ×3, first 2 shown]
	s_waitcnt lgkmcnt(3)
	v_pk_fma_f32 v[30:31], v[28:29], v[72:73], v[30:31] op_sel_hi:[0,1,1] neg_lo:[1,0,0] neg_hi:[1,0,0]
	ds_read2_b32 v[72:73], v61 offset0:42 offset1:43
	s_waitcnt lgkmcnt(3)
	v_pk_fma_f32 v[22:23], v[28:29], v[68:69], v[22:23] op_sel_hi:[0,1,1] neg_lo:[1,0,0] neg_hi:[1,0,0]
	ds_read2_b32 v[68:69], v61 offset0:44 offset1:45
	s_waitcnt lgkmcnt(3)
	v_pk_fma_f32 v[12:13], v[28:29], v[70:71], v[12:13] op_sel_hi:[0,1,1] neg_lo:[1,0,0] neg_hi:[1,0,0]
	s_waitcnt lgkmcnt(2)
	v_pk_fma_f32 v[32:33], v[28:29], v[74:75], v[32:33] op_sel_hi:[0,1,1] neg_lo:[1,0,0] neg_hi:[1,0,0]
	;; [unrolled: 2-line block ×3, first 2 shown]
	ds_read2_b32 v[70:71], v61 offset0:46 offset1:47
	ds_read2_b32 v[72:73], v61 offset0:48 offset1:49
	;; [unrolled: 1-line block ×3, first 2 shown]
	s_waitcnt lgkmcnt(3)
	v_pk_fma_f32 v[18:19], v[28:29], v[68:69], v[18:19] op_sel_hi:[0,1,1] neg_lo:[1,0,0] neg_hi:[1,0,0]
	ds_read2_b32 v[68:69], v61 offset0:52 offset1:53
	ds_read2_b32 v[76:77], v61 offset0:54 offset1:55
	s_waitcnt lgkmcnt(4)
	v_pk_fma_f32 v[0:1], v[28:29], v[70:71], v[0:1] op_sel_hi:[0,1,1] neg_lo:[1,0,0] neg_hi:[1,0,0]
	s_waitcnt lgkmcnt(3)
	v_pk_fma_f32 v[14:15], v[28:29], v[72:73], v[14:15] op_sel_hi:[0,1,1] neg_lo:[1,0,0] neg_hi:[1,0,0]
	s_waitcnt lgkmcnt(2)
	v_pk_fma_f32 v[8:9], v[28:29], v[74:75], v[8:9] op_sel_hi:[0,1,1] neg_lo:[1,0,0] neg_hi:[1,0,0]
	s_waitcnt lgkmcnt(1)
	v_pk_fma_f32 v[16:17], v[28:29], v[68:69], v[16:17] op_sel_hi:[0,1,1] neg_lo:[1,0,0] neg_hi:[1,0,0]
	s_waitcnt lgkmcnt(0)
	v_pk_fma_f32 v[10:11], v[28:29], v[76:77], v[10:11] op_sel_hi:[0,1,1] neg_lo:[1,0,0] neg_hi:[1,0,0]
.LBB110_488:
	s_or_b64 exec, exec, s[0:1]
	v_lshl_add_u32 v64, v67, 2, v61
	s_barrier
	ds_write_b32 v64, v29
	s_waitcnt lgkmcnt(0)
	s_barrier
	ds_read_b32 v66, v61 offset:116
	s_cmp_lt_i32 s22, 31
	v_mov_b32_e32 v64, 29
	s_cbranch_scc1 .LBB110_491
; %bb.489:
	v_add_u32_e32 v68, 0x78, v61
	v_mov_b32_e32 v64, 29
	s_mov_b32 s0, 30
.LBB110_490:                            ; =>This Inner Loop Header: Depth=1
	ds_read_b32 v69, v68
	v_mov_b32_e32 v70, s0
	s_add_i32 s0, s0, 1
	v_add_u32_e32 v68, 4, v68
	s_cmp_lg_u32 s22, s0
	s_waitcnt lgkmcnt(0)
	v_cmp_lt_f32_e64 vcc, |v66|, |v69|
	s_nop 1
	v_cndmask_b32_e32 v66, v66, v69, vcc
	v_cndmask_b32_e32 v64, v64, v70, vcc
	s_cbranch_scc1 .LBB110_490
.LBB110_491:
	s_waitcnt lgkmcnt(0)
	v_cmp_eq_f32_e32 vcc, 0, v66
	s_and_saveexec_b64 s[0:1], vcc
	s_xor_b64 s[0:1], exec, s[0:1]
; %bb.492:
	v_cmp_ne_u32_e32 vcc, 0, v63
	s_nop 1
	v_cndmask_b32_e32 v63, 30, v63, vcc
; %bb.493:
	s_andn2_saveexec_b64 s[0:1], s[0:1]
	s_cbranch_execz .LBB110_495
; %bb.494:
	v_div_scale_f32 v68, s[2:3], v66, v66, 1.0
	v_rcp_f32_e32 v69, v68
	v_div_scale_f32 v70, vcc, 1.0, v66, 1.0
	v_fma_f32 v71, -v68, v69, 1.0
	v_fmac_f32_e32 v69, v71, v69
	v_mul_f32_e32 v71, v70, v69
	v_fma_f32 v72, -v68, v71, v70
	v_fmac_f32_e32 v71, v72, v69
	v_fma_f32 v68, -v68, v71, v70
	v_div_fmas_f32 v68, v68, v69, v71
	v_div_fixup_f32 v66, v68, v66, 1.0
.LBB110_495:
	s_or_b64 exec, exec, s[0:1]
	v_cmp_ne_u32_e32 vcc, v67, v64
	s_and_saveexec_b64 s[0:1], vcc
	s_xor_b64 s[0:1], exec, s[0:1]
	s_cbranch_execz .LBB110_501
; %bb.496:
	v_cmp_eq_u32_e32 vcc, 29, v67
	s_and_saveexec_b64 s[2:3], vcc
	s_cbranch_execz .LBB110_500
; %bb.497:
	v_cmp_ne_u32_e32 vcc, 29, v64
	s_xor_b64 s[12:13], s[20:21], -1
	s_and_b64 s[14:15], s[12:13], vcc
	s_and_saveexec_b64 s[12:13], s[14:15]
	s_cbranch_execz .LBB110_499
; %bb.498:
	v_ashrrev_i32_e32 v65, 31, v64
	v_lshl_add_u64 v[68:69], v[64:65], 2, v[4:5]
	global_load_dword v65, v[68:69], off
	global_load_dword v67, v[4:5], off offset:116
	s_waitcnt vmcnt(1)
	global_store_dword v[4:5], v65, off offset:116
	s_waitcnt vmcnt(1)
	global_store_dword v[68:69], v67, off
.LBB110_499:
	s_or_b64 exec, exec, s[12:13]
	v_mov_b32_e32 v65, v64
	v_mov_b32_e32 v67, v64
.LBB110_500:
	s_or_b64 exec, exec, s[2:3]
.LBB110_501:
	s_andn2_saveexec_b64 s[0:1], s[0:1]
	s_cbranch_execz .LBB110_503
; %bb.502:
	v_mov_b32_e32 v67, 29
	ds_write2_b32 v61, v20, v21 offset0:30 offset1:31
	ds_write2_b32 v61, v40, v41 offset0:32 offset1:33
	;; [unrolled: 1-line block ×13, first 2 shown]
.LBB110_503:
	s_or_b64 exec, exec, s[0:1]
	v_cmp_lt_i32_e32 vcc, 29, v67
	s_waitcnt lgkmcnt(0)
	s_barrier
	s_and_saveexec_b64 s[0:1], vcc
	s_cbranch_execz .LBB110_505
; %bb.504:
	ds_read2_b32 v[68:69], v61 offset0:30 offset1:31
	ds_read2_b32 v[70:71], v61 offset0:32 offset1:33
	;; [unrolled: 1-line block ×3, first 2 shown]
	v_mul_f32_e32 v64, v66, v29
	ds_read2_b32 v[74:75], v61 offset0:36 offset1:37
	s_waitcnt lgkmcnt(3)
	v_pk_fma_f32 v[20:21], v[64:65], v[68:69], v[20:21] op_sel_hi:[0,1,1] neg_lo:[1,0,0] neg_hi:[1,0,0]
	s_waitcnt lgkmcnt(2)
	v_pk_fma_f32 v[40:41], v[64:65], v[70:71], v[40:41] op_sel_hi:[0,1,1] neg_lo:[1,0,0] neg_hi:[1,0,0]
	;; [unrolled: 2-line block ×3, first 2 shown]
	ds_read2_b32 v[68:69], v61 offset0:38 offset1:39
	ds_read2_b32 v[70:71], v61 offset0:40 offset1:41
	;; [unrolled: 1-line block ×4, first 2 shown]
	s_waitcnt lgkmcnt(4)
	v_pk_fma_f32 v[22:23], v[64:65], v[74:75], v[22:23] op_sel_hi:[0,1,1] neg_lo:[1,0,0] neg_hi:[1,0,0]
	s_waitcnt lgkmcnt(3)
	v_pk_fma_f32 v[12:13], v[64:65], v[68:69], v[12:13] op_sel_hi:[0,1,1] neg_lo:[1,0,0] neg_hi:[1,0,0]
	;; [unrolled: 2-line block ×5, first 2 shown]
	ds_read2_b32 v[68:69], v61 offset0:46 offset1:47
	ds_read2_b32 v[70:71], v61 offset0:48 offset1:49
	;; [unrolled: 1-line block ×5, first 2 shown]
	s_waitcnt lgkmcnt(4)
	v_pk_fma_f32 v[0:1], v[64:65], v[68:69], v[0:1] op_sel_hi:[0,1,1] neg_lo:[1,0,0] neg_hi:[1,0,0]
	s_waitcnt lgkmcnt(3)
	v_pk_fma_f32 v[14:15], v[64:65], v[70:71], v[14:15] op_sel_hi:[0,1,1] neg_lo:[1,0,0] neg_hi:[1,0,0]
	;; [unrolled: 2-line block ×5, first 2 shown]
	v_mov_b32_e32 v29, v64
.LBB110_505:
	s_or_b64 exec, exec, s[0:1]
	v_lshl_add_u32 v64, v67, 2, v61
	s_barrier
	ds_write_b32 v64, v20
	s_waitcnt lgkmcnt(0)
	s_barrier
	ds_read_b32 v66, v61 offset:120
	s_cmp_lt_i32 s22, 32
	v_mov_b32_e32 v64, 30
	s_cbranch_scc1 .LBB110_508
; %bb.506:
	v_add_u32_e32 v68, 0x7c, v61
	v_mov_b32_e32 v64, 30
	s_mov_b32 s0, 31
.LBB110_507:                            ; =>This Inner Loop Header: Depth=1
	ds_read_b32 v69, v68
	v_mov_b32_e32 v70, s0
	s_add_i32 s0, s0, 1
	v_add_u32_e32 v68, 4, v68
	s_cmp_lg_u32 s22, s0
	s_waitcnt lgkmcnt(0)
	v_cmp_lt_f32_e64 vcc, |v66|, |v69|
	s_nop 1
	v_cndmask_b32_e32 v66, v66, v69, vcc
	v_cndmask_b32_e32 v64, v64, v70, vcc
	s_cbranch_scc1 .LBB110_507
.LBB110_508:
	s_waitcnt lgkmcnt(0)
	v_cmp_eq_f32_e32 vcc, 0, v66
	s_and_saveexec_b64 s[0:1], vcc
	s_xor_b64 s[0:1], exec, s[0:1]
; %bb.509:
	v_cmp_ne_u32_e32 vcc, 0, v63
	s_nop 1
	v_cndmask_b32_e32 v63, 31, v63, vcc
; %bb.510:
	s_andn2_saveexec_b64 s[0:1], s[0:1]
	s_cbranch_execz .LBB110_512
; %bb.511:
	v_div_scale_f32 v68, s[2:3], v66, v66, 1.0
	v_rcp_f32_e32 v69, v68
	v_div_scale_f32 v70, vcc, 1.0, v66, 1.0
	v_fma_f32 v71, -v68, v69, 1.0
	v_fmac_f32_e32 v69, v71, v69
	v_mul_f32_e32 v71, v70, v69
	v_fma_f32 v72, -v68, v71, v70
	v_fmac_f32_e32 v71, v72, v69
	v_fma_f32 v68, -v68, v71, v70
	v_div_fmas_f32 v68, v68, v69, v71
	v_div_fixup_f32 v66, v68, v66, 1.0
.LBB110_512:
	s_or_b64 exec, exec, s[0:1]
	v_cmp_ne_u32_e32 vcc, v67, v64
	s_and_saveexec_b64 s[0:1], vcc
	s_xor_b64 s[0:1], exec, s[0:1]
	s_cbranch_execz .LBB110_518
; %bb.513:
	v_cmp_eq_u32_e32 vcc, 30, v67
	s_and_saveexec_b64 s[2:3], vcc
	s_cbranch_execz .LBB110_517
; %bb.514:
	v_cmp_ne_u32_e32 vcc, 30, v64
	s_xor_b64 s[12:13], s[20:21], -1
	s_and_b64 s[14:15], s[12:13], vcc
	s_and_saveexec_b64 s[12:13], s[14:15]
	s_cbranch_execz .LBB110_516
; %bb.515:
	v_ashrrev_i32_e32 v65, 31, v64
	v_lshl_add_u64 v[68:69], v[64:65], 2, v[4:5]
	global_load_dword v65, v[68:69], off
	global_load_dword v67, v[4:5], off offset:120
	s_waitcnt vmcnt(1)
	global_store_dword v[4:5], v65, off offset:120
	s_waitcnt vmcnt(1)
	global_store_dword v[68:69], v67, off
.LBB110_516:
	s_or_b64 exec, exec, s[12:13]
	v_mov_b32_e32 v65, v64
	v_mov_b32_e32 v67, v64
.LBB110_517:
	s_or_b64 exec, exec, s[2:3]
.LBB110_518:
	s_andn2_saveexec_b64 s[0:1], s[0:1]
	s_cbranch_execz .LBB110_520
; %bb.519:
	v_pk_mov_b32 v[68:69], v[20:21], v[40:41] op_sel:[1,0]
	ds_write2_b32 v61, v68, v69 offset0:31 offset1:32
	v_pk_mov_b32 v[68:69], v[40:41], v[30:31] op_sel:[1,0]
	ds_write2_b32 v61, v68, v69 offset0:33 offset1:34
	;; [unrolled: 2-line block ×11, first 2 shown]
	v_pk_mov_b32 v[68:69], v[16:17], v[10:11] op_sel:[1,0]
	v_mov_b32_e32 v67, 30
	ds_write2_b32 v61, v68, v69 offset0:53 offset1:54
	ds_write_b32 v61, v11 offset:220
.LBB110_520:
	s_or_b64 exec, exec, s[0:1]
	v_cmp_lt_i32_e32 vcc, 30, v67
	s_waitcnt lgkmcnt(0)
	s_barrier
	s_and_saveexec_b64 s[0:1], vcc
	s_cbranch_execz .LBB110_522
; %bb.521:
	ds_read_b32 v64, v61 offset:124
	ds_read2_b32 v[68:69], v61 offset0:32 offset1:33
	ds_read2_b32 v[70:71], v61 offset0:34 offset1:35
	v_mul_f32_e32 v20, v66, v20
	ds_read2_b32 v[72:73], v61 offset0:36 offset1:37
	s_waitcnt lgkmcnt(3)
	v_fma_f32 v21, -v20, v64, v21
	s_waitcnt lgkmcnt(2)
	v_pk_fma_f32 v[40:41], v[20:21], v[68:69], v[40:41] op_sel_hi:[0,1,1] neg_lo:[1,0,0] neg_hi:[1,0,0]
	s_waitcnt lgkmcnt(1)
	v_pk_fma_f32 v[30:31], v[20:21], v[70:71], v[30:31] op_sel_hi:[0,1,1] neg_lo:[1,0,0] neg_hi:[1,0,0]
	ds_read2_b32 v[68:69], v61 offset0:38 offset1:39
	ds_read2_b32 v[70:71], v61 offset0:40 offset1:41
	;; [unrolled: 1-line block ×4, first 2 shown]
	s_waitcnt lgkmcnt(4)
	v_pk_fma_f32 v[22:23], v[20:21], v[72:73], v[22:23] op_sel_hi:[0,1,1] neg_lo:[1,0,0] neg_hi:[1,0,0]
	s_waitcnt lgkmcnt(3)
	v_pk_fma_f32 v[12:13], v[20:21], v[68:69], v[12:13] op_sel_hi:[0,1,1] neg_lo:[1,0,0] neg_hi:[1,0,0]
	;; [unrolled: 2-line block ×5, first 2 shown]
	ds_read2_b32 v[68:69], v61 offset0:46 offset1:47
	ds_read2_b32 v[70:71], v61 offset0:48 offset1:49
	;; [unrolled: 1-line block ×5, first 2 shown]
	s_waitcnt lgkmcnt(4)
	v_pk_fma_f32 v[0:1], v[20:21], v[68:69], v[0:1] op_sel_hi:[0,1,1] neg_lo:[1,0,0] neg_hi:[1,0,0]
	s_waitcnt lgkmcnt(3)
	v_pk_fma_f32 v[14:15], v[20:21], v[70:71], v[14:15] op_sel_hi:[0,1,1] neg_lo:[1,0,0] neg_hi:[1,0,0]
	;; [unrolled: 2-line block ×5, first 2 shown]
.LBB110_522:
	s_or_b64 exec, exec, s[0:1]
	v_lshl_add_u32 v64, v67, 2, v61
	s_barrier
	ds_write_b32 v64, v21
	s_waitcnt lgkmcnt(0)
	s_barrier
	ds_read_b32 v66, v61 offset:124
	s_cmp_lt_i32 s22, 33
	v_mov_b32_e32 v64, 31
	s_cbranch_scc1 .LBB110_525
; %bb.523:
	v_add_u32_e32 v68, 0x80, v61
	v_mov_b32_e32 v64, 31
	s_mov_b32 s0, 32
.LBB110_524:                            ; =>This Inner Loop Header: Depth=1
	ds_read_b32 v69, v68
	v_mov_b32_e32 v70, s0
	s_add_i32 s0, s0, 1
	v_add_u32_e32 v68, 4, v68
	s_cmp_lg_u32 s22, s0
	s_waitcnt lgkmcnt(0)
	v_cmp_lt_f32_e64 vcc, |v66|, |v69|
	s_nop 1
	v_cndmask_b32_e32 v66, v66, v69, vcc
	v_cndmask_b32_e32 v64, v64, v70, vcc
	s_cbranch_scc1 .LBB110_524
.LBB110_525:
	s_waitcnt lgkmcnt(0)
	v_cmp_eq_f32_e32 vcc, 0, v66
	s_and_saveexec_b64 s[0:1], vcc
	s_xor_b64 s[0:1], exec, s[0:1]
; %bb.526:
	v_cmp_ne_u32_e32 vcc, 0, v63
	s_nop 1
	v_cndmask_b32_e32 v63, 32, v63, vcc
; %bb.527:
	s_andn2_saveexec_b64 s[0:1], s[0:1]
	s_cbranch_execz .LBB110_529
; %bb.528:
	v_div_scale_f32 v68, s[2:3], v66, v66, 1.0
	v_rcp_f32_e32 v69, v68
	v_div_scale_f32 v70, vcc, 1.0, v66, 1.0
	v_fma_f32 v71, -v68, v69, 1.0
	v_fmac_f32_e32 v69, v71, v69
	v_mul_f32_e32 v71, v70, v69
	v_fma_f32 v72, -v68, v71, v70
	v_fmac_f32_e32 v71, v72, v69
	v_fma_f32 v68, -v68, v71, v70
	v_div_fmas_f32 v68, v68, v69, v71
	v_div_fixup_f32 v66, v68, v66, 1.0
.LBB110_529:
	s_or_b64 exec, exec, s[0:1]
	v_cmp_ne_u32_e32 vcc, v67, v64
	s_and_saveexec_b64 s[0:1], vcc
	s_xor_b64 s[0:1], exec, s[0:1]
	s_cbranch_execz .LBB110_535
; %bb.530:
	v_cmp_eq_u32_e32 vcc, 31, v67
	s_and_saveexec_b64 s[2:3], vcc
	s_cbranch_execz .LBB110_534
; %bb.531:
	v_cmp_ne_u32_e32 vcc, 31, v64
	s_xor_b64 s[12:13], s[20:21], -1
	s_and_b64 s[14:15], s[12:13], vcc
	s_and_saveexec_b64 s[12:13], s[14:15]
	s_cbranch_execz .LBB110_533
; %bb.532:
	v_ashrrev_i32_e32 v65, 31, v64
	v_lshl_add_u64 v[68:69], v[64:65], 2, v[4:5]
	global_load_dword v65, v[68:69], off
	global_load_dword v67, v[4:5], off offset:124
	s_waitcnt vmcnt(1)
	global_store_dword v[4:5], v65, off offset:124
	s_waitcnt vmcnt(1)
	global_store_dword v[68:69], v67, off
.LBB110_533:
	s_or_b64 exec, exec, s[12:13]
	v_mov_b32_e32 v65, v64
	v_mov_b32_e32 v67, v64
.LBB110_534:
	s_or_b64 exec, exec, s[2:3]
.LBB110_535:
	s_andn2_saveexec_b64 s[0:1], s[0:1]
	s_cbranch_execz .LBB110_537
; %bb.536:
	v_mov_b32_e32 v67, 31
	ds_write2_b32 v61, v40, v41 offset0:32 offset1:33
	ds_write2_b32 v61, v30, v31 offset0:34 offset1:35
	ds_write2_b32 v61, v22, v23 offset0:36 offset1:37
	ds_write2_b32 v61, v12, v13 offset0:38 offset1:39
	ds_write2_b32 v61, v32, v33 offset0:40 offset1:41
	ds_write2_b32 v61, v24, v25 offset0:42 offset1:43
	ds_write2_b32 v61, v18, v19 offset0:44 offset1:45
	ds_write2_b32 v61, v0, v1 offset0:46 offset1:47
	ds_write2_b32 v61, v14, v15 offset0:48 offset1:49
	ds_write2_b32 v61, v8, v9 offset0:50 offset1:51
	ds_write2_b32 v61, v16, v17 offset0:52 offset1:53
	ds_write2_b32 v61, v10, v11 offset0:54 offset1:55
.LBB110_537:
	s_or_b64 exec, exec, s[0:1]
	v_cmp_lt_i32_e32 vcc, 31, v67
	s_waitcnt lgkmcnt(0)
	s_barrier
	s_and_saveexec_b64 s[0:1], vcc
	s_cbranch_execz .LBB110_539
; %bb.538:
	ds_read2_b32 v[68:69], v61 offset0:32 offset1:33
	ds_read2_b32 v[70:71], v61 offset0:34 offset1:35
	;; [unrolled: 1-line block ×3, first 2 shown]
	v_mul_f32_e32 v64, v66, v21
	ds_read2_b32 v[74:75], v61 offset0:38 offset1:39
	s_waitcnt lgkmcnt(3)
	v_pk_fma_f32 v[40:41], v[64:65], v[68:69], v[40:41] op_sel_hi:[0,1,1] neg_lo:[1,0,0] neg_hi:[1,0,0]
	s_waitcnt lgkmcnt(2)
	v_pk_fma_f32 v[30:31], v[64:65], v[70:71], v[30:31] op_sel_hi:[0,1,1] neg_lo:[1,0,0] neg_hi:[1,0,0]
	;; [unrolled: 2-line block ×3, first 2 shown]
	ds_read2_b32 v[68:69], v61 offset0:40 offset1:41
	ds_read2_b32 v[70:71], v61 offset0:42 offset1:43
	;; [unrolled: 1-line block ×3, first 2 shown]
	s_waitcnt lgkmcnt(3)
	v_pk_fma_f32 v[12:13], v[64:65], v[74:75], v[12:13] op_sel_hi:[0,1,1] neg_lo:[1,0,0] neg_hi:[1,0,0]
	ds_read2_b32 v[74:75], v61 offset0:46 offset1:47
	s_waitcnt lgkmcnt(3)
	v_pk_fma_f32 v[32:33], v[64:65], v[68:69], v[32:33] op_sel_hi:[0,1,1] neg_lo:[1,0,0] neg_hi:[1,0,0]
	s_waitcnt lgkmcnt(2)
	v_pk_fma_f32 v[24:25], v[64:65], v[70:71], v[24:25] op_sel_hi:[0,1,1] neg_lo:[1,0,0] neg_hi:[1,0,0]
	;; [unrolled: 2-line block ×3, first 2 shown]
	ds_read2_b32 v[68:69], v61 offset0:48 offset1:49
	ds_read2_b32 v[70:71], v61 offset0:50 offset1:51
	ds_read2_b32 v[72:73], v61 offset0:52 offset1:53
	ds_read2_b32 v[76:77], v61 offset0:54 offset1:55
	s_waitcnt lgkmcnt(4)
	v_pk_fma_f32 v[0:1], v[64:65], v[74:75], v[0:1] op_sel_hi:[0,1,1] neg_lo:[1,0,0] neg_hi:[1,0,0]
	s_waitcnt lgkmcnt(3)
	v_pk_fma_f32 v[14:15], v[64:65], v[68:69], v[14:15] op_sel_hi:[0,1,1] neg_lo:[1,0,0] neg_hi:[1,0,0]
	;; [unrolled: 2-line block ×5, first 2 shown]
	v_mov_b32_e32 v21, v64
.LBB110_539:
	s_or_b64 exec, exec, s[0:1]
	v_lshl_add_u32 v64, v67, 2, v61
	s_barrier
	ds_write_b32 v64, v40
	s_waitcnt lgkmcnt(0)
	s_barrier
	ds_read_b32 v66, v61 offset:128
	s_cmp_lt_i32 s22, 34
	v_mov_b32_e32 v64, 32
	s_cbranch_scc1 .LBB110_542
; %bb.540:
	v_add_u32_e32 v68, 0x84, v61
	v_mov_b32_e32 v64, 32
	s_mov_b32 s0, 33
.LBB110_541:                            ; =>This Inner Loop Header: Depth=1
	ds_read_b32 v69, v68
	v_mov_b32_e32 v70, s0
	s_add_i32 s0, s0, 1
	v_add_u32_e32 v68, 4, v68
	s_cmp_lg_u32 s22, s0
	s_waitcnt lgkmcnt(0)
	v_cmp_lt_f32_e64 vcc, |v66|, |v69|
	s_nop 1
	v_cndmask_b32_e32 v66, v66, v69, vcc
	v_cndmask_b32_e32 v64, v64, v70, vcc
	s_cbranch_scc1 .LBB110_541
.LBB110_542:
	s_waitcnt lgkmcnt(0)
	v_cmp_eq_f32_e32 vcc, 0, v66
	s_and_saveexec_b64 s[0:1], vcc
	s_xor_b64 s[0:1], exec, s[0:1]
; %bb.543:
	v_cmp_ne_u32_e32 vcc, 0, v63
	s_nop 1
	v_cndmask_b32_e32 v63, 33, v63, vcc
; %bb.544:
	s_andn2_saveexec_b64 s[0:1], s[0:1]
	s_cbranch_execz .LBB110_546
; %bb.545:
	v_div_scale_f32 v68, s[2:3], v66, v66, 1.0
	v_rcp_f32_e32 v69, v68
	v_div_scale_f32 v70, vcc, 1.0, v66, 1.0
	v_fma_f32 v71, -v68, v69, 1.0
	v_fmac_f32_e32 v69, v71, v69
	v_mul_f32_e32 v71, v70, v69
	v_fma_f32 v72, -v68, v71, v70
	v_fmac_f32_e32 v71, v72, v69
	v_fma_f32 v68, -v68, v71, v70
	v_div_fmas_f32 v68, v68, v69, v71
	v_div_fixup_f32 v66, v68, v66, 1.0
.LBB110_546:
	s_or_b64 exec, exec, s[0:1]
	v_cmp_ne_u32_e32 vcc, v67, v64
	s_and_saveexec_b64 s[0:1], vcc
	s_xor_b64 s[0:1], exec, s[0:1]
	s_cbranch_execz .LBB110_552
; %bb.547:
	v_cmp_eq_u32_e32 vcc, 32, v67
	s_and_saveexec_b64 s[2:3], vcc
	s_cbranch_execz .LBB110_551
; %bb.548:
	v_cmp_ne_u32_e32 vcc, 32, v64
	s_xor_b64 s[12:13], s[20:21], -1
	s_and_b64 s[14:15], s[12:13], vcc
	s_and_saveexec_b64 s[12:13], s[14:15]
	s_cbranch_execz .LBB110_550
; %bb.549:
	v_ashrrev_i32_e32 v65, 31, v64
	v_lshl_add_u64 v[68:69], v[64:65], 2, v[4:5]
	global_load_dword v65, v[68:69], off
	global_load_dword v67, v[4:5], off offset:128
	s_waitcnt vmcnt(1)
	global_store_dword v[4:5], v65, off offset:128
	s_waitcnt vmcnt(1)
	global_store_dword v[68:69], v67, off
.LBB110_550:
	s_or_b64 exec, exec, s[12:13]
	v_mov_b32_e32 v65, v64
	v_mov_b32_e32 v67, v64
.LBB110_551:
	s_or_b64 exec, exec, s[2:3]
.LBB110_552:
	s_andn2_saveexec_b64 s[0:1], s[0:1]
	s_cbranch_execz .LBB110_554
; %bb.553:
	v_pk_mov_b32 v[68:69], v[40:41], v[30:31] op_sel:[1,0]
	ds_write2_b32 v61, v68, v69 offset0:33 offset1:34
	v_pk_mov_b32 v[68:69], v[30:31], v[22:23] op_sel:[1,0]
	ds_write2_b32 v61, v68, v69 offset0:35 offset1:36
	;; [unrolled: 2-line block ×10, first 2 shown]
	v_pk_mov_b32 v[68:69], v[16:17], v[10:11] op_sel:[1,0]
	v_mov_b32_e32 v67, 32
	ds_write2_b32 v61, v68, v69 offset0:53 offset1:54
	ds_write_b32 v61, v11 offset:220
.LBB110_554:
	s_or_b64 exec, exec, s[0:1]
	v_cmp_lt_i32_e32 vcc, 32, v67
	s_waitcnt lgkmcnt(0)
	s_barrier
	s_and_saveexec_b64 s[0:1], vcc
	s_cbranch_execz .LBB110_556
; %bb.555:
	ds_read_b32 v64, v61 offset:132
	ds_read2_b32 v[68:69], v61 offset0:34 offset1:35
	ds_read2_b32 v[70:71], v61 offset0:36 offset1:37
	v_mul_f32_e32 v40, v66, v40
	ds_read2_b32 v[72:73], v61 offset0:38 offset1:39
	s_waitcnt lgkmcnt(3)
	v_fma_f32 v41, -v40, v64, v41
	s_waitcnt lgkmcnt(2)
	v_pk_fma_f32 v[30:31], v[40:41], v[68:69], v[30:31] op_sel_hi:[0,1,1] neg_lo:[1,0,0] neg_hi:[1,0,0]
	s_waitcnt lgkmcnt(1)
	v_pk_fma_f32 v[22:23], v[40:41], v[70:71], v[22:23] op_sel_hi:[0,1,1] neg_lo:[1,0,0] neg_hi:[1,0,0]
	ds_read2_b32 v[68:69], v61 offset0:40 offset1:41
	ds_read2_b32 v[70:71], v61 offset0:42 offset1:43
	;; [unrolled: 1-line block ×3, first 2 shown]
	s_waitcnt lgkmcnt(3)
	v_pk_fma_f32 v[12:13], v[40:41], v[72:73], v[12:13] op_sel_hi:[0,1,1] neg_lo:[1,0,0] neg_hi:[1,0,0]
	ds_read2_b32 v[72:73], v61 offset0:46 offset1:47
	s_waitcnt lgkmcnt(3)
	v_pk_fma_f32 v[32:33], v[40:41], v[68:69], v[32:33] op_sel_hi:[0,1,1] neg_lo:[1,0,0] neg_hi:[1,0,0]
	s_waitcnt lgkmcnt(2)
	v_pk_fma_f32 v[24:25], v[40:41], v[70:71], v[24:25] op_sel_hi:[0,1,1] neg_lo:[1,0,0] neg_hi:[1,0,0]
	;; [unrolled: 2-line block ×3, first 2 shown]
	ds_read2_b32 v[68:69], v61 offset0:48 offset1:49
	ds_read2_b32 v[70:71], v61 offset0:50 offset1:51
	;; [unrolled: 1-line block ×4, first 2 shown]
	s_waitcnt lgkmcnt(4)
	v_pk_fma_f32 v[0:1], v[40:41], v[72:73], v[0:1] op_sel_hi:[0,1,1] neg_lo:[1,0,0] neg_hi:[1,0,0]
	s_waitcnt lgkmcnt(3)
	v_pk_fma_f32 v[14:15], v[40:41], v[68:69], v[14:15] op_sel_hi:[0,1,1] neg_lo:[1,0,0] neg_hi:[1,0,0]
	;; [unrolled: 2-line block ×5, first 2 shown]
.LBB110_556:
	s_or_b64 exec, exec, s[0:1]
	v_lshl_add_u32 v64, v67, 2, v61
	s_barrier
	ds_write_b32 v64, v41
	s_waitcnt lgkmcnt(0)
	s_barrier
	ds_read_b32 v66, v61 offset:132
	s_cmp_lt_i32 s22, 35
	v_mov_b32_e32 v64, 33
	s_cbranch_scc1 .LBB110_559
; %bb.557:
	v_add_u32_e32 v68, 0x88, v61
	v_mov_b32_e32 v64, 33
	s_mov_b32 s0, 34
.LBB110_558:                            ; =>This Inner Loop Header: Depth=1
	ds_read_b32 v69, v68
	v_mov_b32_e32 v70, s0
	s_add_i32 s0, s0, 1
	v_add_u32_e32 v68, 4, v68
	s_cmp_lg_u32 s22, s0
	s_waitcnt lgkmcnt(0)
	v_cmp_lt_f32_e64 vcc, |v66|, |v69|
	s_nop 1
	v_cndmask_b32_e32 v66, v66, v69, vcc
	v_cndmask_b32_e32 v64, v64, v70, vcc
	s_cbranch_scc1 .LBB110_558
.LBB110_559:
	s_waitcnt lgkmcnt(0)
	v_cmp_eq_f32_e32 vcc, 0, v66
	s_and_saveexec_b64 s[0:1], vcc
	s_xor_b64 s[0:1], exec, s[0:1]
; %bb.560:
	v_cmp_ne_u32_e32 vcc, 0, v63
	s_nop 1
	v_cndmask_b32_e32 v63, 34, v63, vcc
; %bb.561:
	s_andn2_saveexec_b64 s[0:1], s[0:1]
	s_cbranch_execz .LBB110_563
; %bb.562:
	v_div_scale_f32 v68, s[2:3], v66, v66, 1.0
	v_rcp_f32_e32 v69, v68
	v_div_scale_f32 v70, vcc, 1.0, v66, 1.0
	v_fma_f32 v71, -v68, v69, 1.0
	v_fmac_f32_e32 v69, v71, v69
	v_mul_f32_e32 v71, v70, v69
	v_fma_f32 v72, -v68, v71, v70
	v_fmac_f32_e32 v71, v72, v69
	v_fma_f32 v68, -v68, v71, v70
	v_div_fmas_f32 v68, v68, v69, v71
	v_div_fixup_f32 v66, v68, v66, 1.0
.LBB110_563:
	s_or_b64 exec, exec, s[0:1]
	v_cmp_ne_u32_e32 vcc, v67, v64
	s_and_saveexec_b64 s[0:1], vcc
	s_xor_b64 s[0:1], exec, s[0:1]
	s_cbranch_execz .LBB110_569
; %bb.564:
	v_cmp_eq_u32_e32 vcc, 33, v67
	s_and_saveexec_b64 s[2:3], vcc
	s_cbranch_execz .LBB110_568
; %bb.565:
	v_cmp_ne_u32_e32 vcc, 33, v64
	s_xor_b64 s[12:13], s[20:21], -1
	s_and_b64 s[14:15], s[12:13], vcc
	s_and_saveexec_b64 s[12:13], s[14:15]
	s_cbranch_execz .LBB110_567
; %bb.566:
	v_ashrrev_i32_e32 v65, 31, v64
	v_lshl_add_u64 v[68:69], v[64:65], 2, v[4:5]
	global_load_dword v65, v[68:69], off
	global_load_dword v67, v[4:5], off offset:132
	s_waitcnt vmcnt(1)
	global_store_dword v[4:5], v65, off offset:132
	s_waitcnt vmcnt(1)
	global_store_dword v[68:69], v67, off
.LBB110_567:
	s_or_b64 exec, exec, s[12:13]
	v_mov_b32_e32 v65, v64
	v_mov_b32_e32 v67, v64
.LBB110_568:
	s_or_b64 exec, exec, s[2:3]
.LBB110_569:
	s_andn2_saveexec_b64 s[0:1], s[0:1]
	s_cbranch_execz .LBB110_571
; %bb.570:
	v_mov_b32_e32 v67, 33
	ds_write2_b32 v61, v30, v31 offset0:34 offset1:35
	ds_write2_b32 v61, v22, v23 offset0:36 offset1:37
	;; [unrolled: 1-line block ×11, first 2 shown]
.LBB110_571:
	s_or_b64 exec, exec, s[0:1]
	v_cmp_lt_i32_e32 vcc, 33, v67
	s_waitcnt lgkmcnt(0)
	s_barrier
	s_and_saveexec_b64 s[0:1], vcc
	s_cbranch_execz .LBB110_573
; %bb.572:
	ds_read2_b32 v[68:69], v61 offset0:34 offset1:35
	ds_read2_b32 v[70:71], v61 offset0:36 offset1:37
	;; [unrolled: 1-line block ×3, first 2 shown]
	v_mul_f32_e32 v64, v66, v41
	ds_read2_b32 v[74:75], v61 offset0:40 offset1:41
	s_waitcnt lgkmcnt(3)
	v_pk_fma_f32 v[30:31], v[64:65], v[68:69], v[30:31] op_sel_hi:[0,1,1] neg_lo:[1,0,0] neg_hi:[1,0,0]
	s_waitcnt lgkmcnt(2)
	v_pk_fma_f32 v[22:23], v[64:65], v[70:71], v[22:23] op_sel_hi:[0,1,1] neg_lo:[1,0,0] neg_hi:[1,0,0]
	ds_read2_b32 v[68:69], v61 offset0:42 offset1:43
	ds_read2_b32 v[70:71], v61 offset0:44 offset1:45
	s_waitcnt lgkmcnt(3)
	v_pk_fma_f32 v[12:13], v[64:65], v[72:73], v[12:13] op_sel_hi:[0,1,1] neg_lo:[1,0,0] neg_hi:[1,0,0]
	s_waitcnt lgkmcnt(2)
	v_pk_fma_f32 v[32:33], v[64:65], v[74:75], v[32:33] op_sel_hi:[0,1,1] neg_lo:[1,0,0] neg_hi:[1,0,0]
	ds_read2_b32 v[72:73], v61 offset0:46 offset1:47
	;; [unrolled: 6-line block ×3, first 2 shown]
	ds_read2_b32 v[70:71], v61 offset0:52 offset1:53
	ds_read2_b32 v[76:77], v61 offset0:54 offset1:55
	s_waitcnt lgkmcnt(4)
	v_pk_fma_f32 v[0:1], v[64:65], v[72:73], v[0:1] op_sel_hi:[0,1,1] neg_lo:[1,0,0] neg_hi:[1,0,0]
	s_waitcnt lgkmcnt(3)
	v_pk_fma_f32 v[14:15], v[64:65], v[74:75], v[14:15] op_sel_hi:[0,1,1] neg_lo:[1,0,0] neg_hi:[1,0,0]
	;; [unrolled: 2-line block ×5, first 2 shown]
	v_mov_b32_e32 v41, v64
.LBB110_573:
	s_or_b64 exec, exec, s[0:1]
	v_lshl_add_u32 v64, v67, 2, v61
	s_barrier
	ds_write_b32 v64, v30
	s_waitcnt lgkmcnt(0)
	s_barrier
	ds_read_b32 v66, v61 offset:136
	s_cmp_lt_i32 s22, 36
	v_mov_b32_e32 v64, 34
	s_cbranch_scc1 .LBB110_576
; %bb.574:
	v_add_u32_e32 v68, 0x8c, v61
	v_mov_b32_e32 v64, 34
	s_mov_b32 s0, 35
.LBB110_575:                            ; =>This Inner Loop Header: Depth=1
	ds_read_b32 v69, v68
	v_mov_b32_e32 v70, s0
	s_add_i32 s0, s0, 1
	v_add_u32_e32 v68, 4, v68
	s_cmp_lg_u32 s22, s0
	s_waitcnt lgkmcnt(0)
	v_cmp_lt_f32_e64 vcc, |v66|, |v69|
	s_nop 1
	v_cndmask_b32_e32 v66, v66, v69, vcc
	v_cndmask_b32_e32 v64, v64, v70, vcc
	s_cbranch_scc1 .LBB110_575
.LBB110_576:
	s_waitcnt lgkmcnt(0)
	v_cmp_eq_f32_e32 vcc, 0, v66
	s_and_saveexec_b64 s[0:1], vcc
	s_xor_b64 s[0:1], exec, s[0:1]
; %bb.577:
	v_cmp_ne_u32_e32 vcc, 0, v63
	s_nop 1
	v_cndmask_b32_e32 v63, 35, v63, vcc
; %bb.578:
	s_andn2_saveexec_b64 s[0:1], s[0:1]
	s_cbranch_execz .LBB110_580
; %bb.579:
	v_div_scale_f32 v68, s[2:3], v66, v66, 1.0
	v_rcp_f32_e32 v69, v68
	v_div_scale_f32 v70, vcc, 1.0, v66, 1.0
	v_fma_f32 v71, -v68, v69, 1.0
	v_fmac_f32_e32 v69, v71, v69
	v_mul_f32_e32 v71, v70, v69
	v_fma_f32 v72, -v68, v71, v70
	v_fmac_f32_e32 v71, v72, v69
	v_fma_f32 v68, -v68, v71, v70
	v_div_fmas_f32 v68, v68, v69, v71
	v_div_fixup_f32 v66, v68, v66, 1.0
.LBB110_580:
	s_or_b64 exec, exec, s[0:1]
	v_cmp_ne_u32_e32 vcc, v67, v64
	s_and_saveexec_b64 s[0:1], vcc
	s_xor_b64 s[0:1], exec, s[0:1]
	s_cbranch_execz .LBB110_586
; %bb.581:
	v_cmp_eq_u32_e32 vcc, 34, v67
	s_and_saveexec_b64 s[2:3], vcc
	s_cbranch_execz .LBB110_585
; %bb.582:
	v_cmp_ne_u32_e32 vcc, 34, v64
	s_xor_b64 s[12:13], s[20:21], -1
	s_and_b64 s[14:15], s[12:13], vcc
	s_and_saveexec_b64 s[12:13], s[14:15]
	s_cbranch_execz .LBB110_584
; %bb.583:
	v_ashrrev_i32_e32 v65, 31, v64
	v_lshl_add_u64 v[68:69], v[64:65], 2, v[4:5]
	global_load_dword v65, v[68:69], off
	global_load_dword v67, v[4:5], off offset:136
	s_waitcnt vmcnt(1)
	global_store_dword v[4:5], v65, off offset:136
	s_waitcnt vmcnt(1)
	global_store_dword v[68:69], v67, off
.LBB110_584:
	s_or_b64 exec, exec, s[12:13]
	v_mov_b32_e32 v65, v64
	v_mov_b32_e32 v67, v64
.LBB110_585:
	s_or_b64 exec, exec, s[2:3]
.LBB110_586:
	s_andn2_saveexec_b64 s[0:1], s[0:1]
	s_cbranch_execz .LBB110_588
; %bb.587:
	v_pk_mov_b32 v[68:69], v[30:31], v[22:23] op_sel:[1,0]
	ds_write2_b32 v61, v68, v69 offset0:35 offset1:36
	v_pk_mov_b32 v[68:69], v[22:23], v[12:13] op_sel:[1,0]
	ds_write2_b32 v61, v68, v69 offset0:37 offset1:38
	;; [unrolled: 2-line block ×9, first 2 shown]
	v_pk_mov_b32 v[68:69], v[16:17], v[10:11] op_sel:[1,0]
	v_mov_b32_e32 v67, 34
	ds_write2_b32 v61, v68, v69 offset0:53 offset1:54
	ds_write_b32 v61, v11 offset:220
.LBB110_588:
	s_or_b64 exec, exec, s[0:1]
	v_cmp_lt_i32_e32 vcc, 34, v67
	s_waitcnt lgkmcnt(0)
	s_barrier
	s_and_saveexec_b64 s[0:1], vcc
	s_cbranch_execz .LBB110_590
; %bb.589:
	ds_read_b32 v64, v61 offset:140
	ds_read2_b32 v[68:69], v61 offset0:36 offset1:37
	ds_read2_b32 v[70:71], v61 offset0:38 offset1:39
	v_mul_f32_e32 v30, v66, v30
	ds_read2_b32 v[72:73], v61 offset0:40 offset1:41
	s_waitcnt lgkmcnt(3)
	v_fma_f32 v31, -v30, v64, v31
	s_waitcnt lgkmcnt(2)
	v_pk_fma_f32 v[22:23], v[30:31], v[68:69], v[22:23] op_sel_hi:[0,1,1] neg_lo:[1,0,0] neg_hi:[1,0,0]
	s_waitcnt lgkmcnt(1)
	v_pk_fma_f32 v[12:13], v[30:31], v[70:71], v[12:13] op_sel_hi:[0,1,1] neg_lo:[1,0,0] neg_hi:[1,0,0]
	ds_read2_b32 v[68:69], v61 offset0:42 offset1:43
	ds_read2_b32 v[70:71], v61 offset0:44 offset1:45
	s_waitcnt lgkmcnt(2)
	v_pk_fma_f32 v[32:33], v[30:31], v[72:73], v[32:33] op_sel_hi:[0,1,1] neg_lo:[1,0,0] neg_hi:[1,0,0]
	ds_read2_b32 v[72:73], v61 offset0:46 offset1:47
	ds_read2_b32 v[74:75], v61 offset0:48 offset1:49
	s_waitcnt lgkmcnt(3)
	v_pk_fma_f32 v[24:25], v[30:31], v[68:69], v[24:25] op_sel_hi:[0,1,1] neg_lo:[1,0,0] neg_hi:[1,0,0]
	s_waitcnt lgkmcnt(2)
	v_pk_fma_f32 v[18:19], v[30:31], v[70:71], v[18:19] op_sel_hi:[0,1,1] neg_lo:[1,0,0] neg_hi:[1,0,0]
	ds_read2_b32 v[68:69], v61 offset0:50 offset1:51
	ds_read2_b32 v[70:71], v61 offset0:52 offset1:53
	;; [unrolled: 1-line block ×3, first 2 shown]
	s_waitcnt lgkmcnt(4)
	v_pk_fma_f32 v[0:1], v[30:31], v[72:73], v[0:1] op_sel_hi:[0,1,1] neg_lo:[1,0,0] neg_hi:[1,0,0]
	s_waitcnt lgkmcnt(3)
	v_pk_fma_f32 v[14:15], v[30:31], v[74:75], v[14:15] op_sel_hi:[0,1,1] neg_lo:[1,0,0] neg_hi:[1,0,0]
	;; [unrolled: 2-line block ×5, first 2 shown]
.LBB110_590:
	s_or_b64 exec, exec, s[0:1]
	v_lshl_add_u32 v64, v67, 2, v61
	s_barrier
	ds_write_b32 v64, v31
	s_waitcnt lgkmcnt(0)
	s_barrier
	ds_read_b32 v66, v61 offset:140
	s_cmp_lt_i32 s22, 37
	v_mov_b32_e32 v64, 35
	s_cbranch_scc1 .LBB110_593
; %bb.591:
	v_add_u32_e32 v68, 0x90, v61
	v_mov_b32_e32 v64, 35
	s_mov_b32 s0, 36
.LBB110_592:                            ; =>This Inner Loop Header: Depth=1
	ds_read_b32 v69, v68
	v_mov_b32_e32 v70, s0
	s_add_i32 s0, s0, 1
	v_add_u32_e32 v68, 4, v68
	s_cmp_lg_u32 s22, s0
	s_waitcnt lgkmcnt(0)
	v_cmp_lt_f32_e64 vcc, |v66|, |v69|
	s_nop 1
	v_cndmask_b32_e32 v66, v66, v69, vcc
	v_cndmask_b32_e32 v64, v64, v70, vcc
	s_cbranch_scc1 .LBB110_592
.LBB110_593:
	s_waitcnt lgkmcnt(0)
	v_cmp_eq_f32_e32 vcc, 0, v66
	s_and_saveexec_b64 s[0:1], vcc
	s_xor_b64 s[0:1], exec, s[0:1]
; %bb.594:
	v_cmp_ne_u32_e32 vcc, 0, v63
	s_nop 1
	v_cndmask_b32_e32 v63, 36, v63, vcc
; %bb.595:
	s_andn2_saveexec_b64 s[0:1], s[0:1]
	s_cbranch_execz .LBB110_597
; %bb.596:
	v_div_scale_f32 v68, s[2:3], v66, v66, 1.0
	v_rcp_f32_e32 v69, v68
	v_div_scale_f32 v70, vcc, 1.0, v66, 1.0
	v_fma_f32 v71, -v68, v69, 1.0
	v_fmac_f32_e32 v69, v71, v69
	v_mul_f32_e32 v71, v70, v69
	v_fma_f32 v72, -v68, v71, v70
	v_fmac_f32_e32 v71, v72, v69
	v_fma_f32 v68, -v68, v71, v70
	v_div_fmas_f32 v68, v68, v69, v71
	v_div_fixup_f32 v66, v68, v66, 1.0
.LBB110_597:
	s_or_b64 exec, exec, s[0:1]
	v_cmp_ne_u32_e32 vcc, v67, v64
	s_and_saveexec_b64 s[0:1], vcc
	s_xor_b64 s[0:1], exec, s[0:1]
	s_cbranch_execz .LBB110_603
; %bb.598:
	v_cmp_eq_u32_e32 vcc, 35, v67
	s_and_saveexec_b64 s[2:3], vcc
	s_cbranch_execz .LBB110_602
; %bb.599:
	v_cmp_ne_u32_e32 vcc, 35, v64
	s_xor_b64 s[12:13], s[20:21], -1
	s_and_b64 s[14:15], s[12:13], vcc
	s_and_saveexec_b64 s[12:13], s[14:15]
	s_cbranch_execz .LBB110_601
; %bb.600:
	v_ashrrev_i32_e32 v65, 31, v64
	v_lshl_add_u64 v[68:69], v[64:65], 2, v[4:5]
	global_load_dword v65, v[68:69], off
	global_load_dword v67, v[4:5], off offset:140
	s_waitcnt vmcnt(1)
	global_store_dword v[4:5], v65, off offset:140
	s_waitcnt vmcnt(1)
	global_store_dword v[68:69], v67, off
.LBB110_601:
	s_or_b64 exec, exec, s[12:13]
	v_mov_b32_e32 v65, v64
	v_mov_b32_e32 v67, v64
.LBB110_602:
	s_or_b64 exec, exec, s[2:3]
.LBB110_603:
	s_andn2_saveexec_b64 s[0:1], s[0:1]
	s_cbranch_execz .LBB110_605
; %bb.604:
	v_mov_b32_e32 v67, 35
	ds_write2_b32 v61, v22, v23 offset0:36 offset1:37
	ds_write2_b32 v61, v12, v13 offset0:38 offset1:39
	;; [unrolled: 1-line block ×10, first 2 shown]
.LBB110_605:
	s_or_b64 exec, exec, s[0:1]
	v_cmp_lt_i32_e32 vcc, 35, v67
	s_waitcnt lgkmcnt(0)
	s_barrier
	s_and_saveexec_b64 s[0:1], vcc
	s_cbranch_execz .LBB110_607
; %bb.606:
	ds_read2_b32 v[68:69], v61 offset0:36 offset1:37
	ds_read2_b32 v[70:71], v61 offset0:38 offset1:39
	;; [unrolled: 1-line block ×3, first 2 shown]
	v_mul_f32_e32 v64, v66, v31
	ds_read2_b32 v[74:75], v61 offset0:42 offset1:43
	s_waitcnt lgkmcnt(3)
	v_pk_fma_f32 v[22:23], v[64:65], v[68:69], v[22:23] op_sel_hi:[0,1,1] neg_lo:[1,0,0] neg_hi:[1,0,0]
	ds_read2_b32 v[68:69], v61 offset0:44 offset1:45
	s_waitcnt lgkmcnt(3)
	v_pk_fma_f32 v[12:13], v[64:65], v[70:71], v[12:13] op_sel_hi:[0,1,1] neg_lo:[1,0,0] neg_hi:[1,0,0]
	s_waitcnt lgkmcnt(2)
	v_pk_fma_f32 v[32:33], v[64:65], v[72:73], v[32:33] op_sel_hi:[0,1,1] neg_lo:[1,0,0] neg_hi:[1,0,0]
	;; [unrolled: 2-line block ×3, first 2 shown]
	ds_read2_b32 v[70:71], v61 offset0:46 offset1:47
	ds_read2_b32 v[72:73], v61 offset0:48 offset1:49
	ds_read2_b32 v[74:75], v61 offset0:50 offset1:51
	s_waitcnt lgkmcnt(3)
	v_pk_fma_f32 v[18:19], v[64:65], v[68:69], v[18:19] op_sel_hi:[0,1,1] neg_lo:[1,0,0] neg_hi:[1,0,0]
	ds_read2_b32 v[68:69], v61 offset0:52 offset1:53
	ds_read2_b32 v[76:77], v61 offset0:54 offset1:55
	s_waitcnt lgkmcnt(4)
	v_pk_fma_f32 v[0:1], v[64:65], v[70:71], v[0:1] op_sel_hi:[0,1,1] neg_lo:[1,0,0] neg_hi:[1,0,0]
	s_waitcnt lgkmcnt(3)
	v_pk_fma_f32 v[14:15], v[64:65], v[72:73], v[14:15] op_sel_hi:[0,1,1] neg_lo:[1,0,0] neg_hi:[1,0,0]
	;; [unrolled: 2-line block ×5, first 2 shown]
	v_mov_b32_e32 v31, v64
.LBB110_607:
	s_or_b64 exec, exec, s[0:1]
	v_lshl_add_u32 v64, v67, 2, v61
	s_barrier
	ds_write_b32 v64, v22
	s_waitcnt lgkmcnt(0)
	s_barrier
	ds_read_b32 v66, v61 offset:144
	s_cmp_lt_i32 s22, 38
	v_mov_b32_e32 v64, 36
	s_cbranch_scc1 .LBB110_610
; %bb.608:
	v_add_u32_e32 v68, 0x94, v61
	v_mov_b32_e32 v64, 36
	s_mov_b32 s0, 37
.LBB110_609:                            ; =>This Inner Loop Header: Depth=1
	ds_read_b32 v69, v68
	v_mov_b32_e32 v70, s0
	s_add_i32 s0, s0, 1
	v_add_u32_e32 v68, 4, v68
	s_cmp_lg_u32 s22, s0
	s_waitcnt lgkmcnt(0)
	v_cmp_lt_f32_e64 vcc, |v66|, |v69|
	s_nop 1
	v_cndmask_b32_e32 v66, v66, v69, vcc
	v_cndmask_b32_e32 v64, v64, v70, vcc
	s_cbranch_scc1 .LBB110_609
.LBB110_610:
	s_waitcnt lgkmcnt(0)
	v_cmp_eq_f32_e32 vcc, 0, v66
	s_and_saveexec_b64 s[0:1], vcc
	s_xor_b64 s[0:1], exec, s[0:1]
; %bb.611:
	v_cmp_ne_u32_e32 vcc, 0, v63
	s_nop 1
	v_cndmask_b32_e32 v63, 37, v63, vcc
; %bb.612:
	s_andn2_saveexec_b64 s[0:1], s[0:1]
	s_cbranch_execz .LBB110_614
; %bb.613:
	v_div_scale_f32 v68, s[2:3], v66, v66, 1.0
	v_rcp_f32_e32 v69, v68
	v_div_scale_f32 v70, vcc, 1.0, v66, 1.0
	v_fma_f32 v71, -v68, v69, 1.0
	v_fmac_f32_e32 v69, v71, v69
	v_mul_f32_e32 v71, v70, v69
	v_fma_f32 v72, -v68, v71, v70
	v_fmac_f32_e32 v71, v72, v69
	v_fma_f32 v68, -v68, v71, v70
	v_div_fmas_f32 v68, v68, v69, v71
	v_div_fixup_f32 v66, v68, v66, 1.0
.LBB110_614:
	s_or_b64 exec, exec, s[0:1]
	v_cmp_ne_u32_e32 vcc, v67, v64
	s_and_saveexec_b64 s[0:1], vcc
	s_xor_b64 s[0:1], exec, s[0:1]
	s_cbranch_execz .LBB110_620
; %bb.615:
	v_cmp_eq_u32_e32 vcc, 36, v67
	s_and_saveexec_b64 s[2:3], vcc
	s_cbranch_execz .LBB110_619
; %bb.616:
	v_cmp_ne_u32_e32 vcc, 36, v64
	s_xor_b64 s[12:13], s[20:21], -1
	s_and_b64 s[14:15], s[12:13], vcc
	s_and_saveexec_b64 s[12:13], s[14:15]
	s_cbranch_execz .LBB110_618
; %bb.617:
	v_ashrrev_i32_e32 v65, 31, v64
	v_lshl_add_u64 v[68:69], v[64:65], 2, v[4:5]
	global_load_dword v65, v[68:69], off
	global_load_dword v67, v[4:5], off offset:144
	s_waitcnt vmcnt(1)
	global_store_dword v[4:5], v65, off offset:144
	s_waitcnt vmcnt(1)
	global_store_dword v[68:69], v67, off
.LBB110_618:
	s_or_b64 exec, exec, s[12:13]
	v_mov_b32_e32 v65, v64
	v_mov_b32_e32 v67, v64
.LBB110_619:
	s_or_b64 exec, exec, s[2:3]
.LBB110_620:
	s_andn2_saveexec_b64 s[0:1], s[0:1]
	s_cbranch_execz .LBB110_622
; %bb.621:
	v_pk_mov_b32 v[68:69], v[22:23], v[12:13] op_sel:[1,0]
	ds_write2_b32 v61, v68, v69 offset0:37 offset1:38
	v_pk_mov_b32 v[68:69], v[12:13], v[32:33] op_sel:[1,0]
	ds_write2_b32 v61, v68, v69 offset0:39 offset1:40
	;; [unrolled: 2-line block ×8, first 2 shown]
	v_pk_mov_b32 v[68:69], v[16:17], v[10:11] op_sel:[1,0]
	v_mov_b32_e32 v67, 36
	ds_write2_b32 v61, v68, v69 offset0:53 offset1:54
	ds_write_b32 v61, v11 offset:220
.LBB110_622:
	s_or_b64 exec, exec, s[0:1]
	v_cmp_lt_i32_e32 vcc, 36, v67
	s_waitcnt lgkmcnt(0)
	s_barrier
	s_and_saveexec_b64 s[0:1], vcc
	s_cbranch_execz .LBB110_624
; %bb.623:
	ds_read_b32 v64, v61 offset:148
	ds_read2_b32 v[68:69], v61 offset0:38 offset1:39
	ds_read2_b32 v[70:71], v61 offset0:40 offset1:41
	v_mul_f32_e32 v22, v66, v22
	ds_read2_b32 v[72:73], v61 offset0:42 offset1:43
	s_waitcnt lgkmcnt(3)
	v_fma_f32 v23, -v22, v64, v23
	s_waitcnt lgkmcnt(2)
	v_pk_fma_f32 v[12:13], v[22:23], v[68:69], v[12:13] op_sel_hi:[0,1,1] neg_lo:[1,0,0] neg_hi:[1,0,0]
	ds_read2_b32 v[68:69], v61 offset0:44 offset1:45
	s_waitcnt lgkmcnt(2)
	v_pk_fma_f32 v[32:33], v[22:23], v[70:71], v[32:33] op_sel_hi:[0,1,1] neg_lo:[1,0,0] neg_hi:[1,0,0]
	s_waitcnt lgkmcnt(1)
	v_pk_fma_f32 v[24:25], v[22:23], v[72:73], v[24:25] op_sel_hi:[0,1,1] neg_lo:[1,0,0] neg_hi:[1,0,0]
	ds_read2_b32 v[70:71], v61 offset0:46 offset1:47
	ds_read2_b32 v[72:73], v61 offset0:48 offset1:49
	;; [unrolled: 1-line block ×3, first 2 shown]
	s_waitcnt lgkmcnt(3)
	v_pk_fma_f32 v[18:19], v[22:23], v[68:69], v[18:19] op_sel_hi:[0,1,1] neg_lo:[1,0,0] neg_hi:[1,0,0]
	ds_read2_b32 v[68:69], v61 offset0:52 offset1:53
	ds_read2_b32 v[76:77], v61 offset0:54 offset1:55
	s_waitcnt lgkmcnt(4)
	v_pk_fma_f32 v[0:1], v[22:23], v[70:71], v[0:1] op_sel_hi:[0,1,1] neg_lo:[1,0,0] neg_hi:[1,0,0]
	s_waitcnt lgkmcnt(3)
	v_pk_fma_f32 v[14:15], v[22:23], v[72:73], v[14:15] op_sel_hi:[0,1,1] neg_lo:[1,0,0] neg_hi:[1,0,0]
	;; [unrolled: 2-line block ×5, first 2 shown]
.LBB110_624:
	s_or_b64 exec, exec, s[0:1]
	v_lshl_add_u32 v64, v67, 2, v61
	s_barrier
	ds_write_b32 v64, v23
	s_waitcnt lgkmcnt(0)
	s_barrier
	ds_read_b32 v66, v61 offset:148
	s_cmp_lt_i32 s22, 39
	v_mov_b32_e32 v64, 37
	s_cbranch_scc1 .LBB110_627
; %bb.625:
	v_add_u32_e32 v68, 0x98, v61
	v_mov_b32_e32 v64, 37
	s_mov_b32 s0, 38
.LBB110_626:                            ; =>This Inner Loop Header: Depth=1
	ds_read_b32 v69, v68
	v_mov_b32_e32 v70, s0
	s_add_i32 s0, s0, 1
	v_add_u32_e32 v68, 4, v68
	s_cmp_lg_u32 s22, s0
	s_waitcnt lgkmcnt(0)
	v_cmp_lt_f32_e64 vcc, |v66|, |v69|
	s_nop 1
	v_cndmask_b32_e32 v66, v66, v69, vcc
	v_cndmask_b32_e32 v64, v64, v70, vcc
	s_cbranch_scc1 .LBB110_626
.LBB110_627:
	s_waitcnt lgkmcnt(0)
	v_cmp_eq_f32_e32 vcc, 0, v66
	s_and_saveexec_b64 s[0:1], vcc
	s_xor_b64 s[0:1], exec, s[0:1]
; %bb.628:
	v_cmp_ne_u32_e32 vcc, 0, v63
	s_nop 1
	v_cndmask_b32_e32 v63, 38, v63, vcc
; %bb.629:
	s_andn2_saveexec_b64 s[0:1], s[0:1]
	s_cbranch_execz .LBB110_631
; %bb.630:
	v_div_scale_f32 v68, s[2:3], v66, v66, 1.0
	v_rcp_f32_e32 v69, v68
	v_div_scale_f32 v70, vcc, 1.0, v66, 1.0
	v_fma_f32 v71, -v68, v69, 1.0
	v_fmac_f32_e32 v69, v71, v69
	v_mul_f32_e32 v71, v70, v69
	v_fma_f32 v72, -v68, v71, v70
	v_fmac_f32_e32 v71, v72, v69
	v_fma_f32 v68, -v68, v71, v70
	v_div_fmas_f32 v68, v68, v69, v71
	v_div_fixup_f32 v66, v68, v66, 1.0
.LBB110_631:
	s_or_b64 exec, exec, s[0:1]
	v_cmp_ne_u32_e32 vcc, v67, v64
	s_and_saveexec_b64 s[0:1], vcc
	s_xor_b64 s[0:1], exec, s[0:1]
	s_cbranch_execz .LBB110_637
; %bb.632:
	v_cmp_eq_u32_e32 vcc, 37, v67
	s_and_saveexec_b64 s[2:3], vcc
	s_cbranch_execz .LBB110_636
; %bb.633:
	v_cmp_ne_u32_e32 vcc, 37, v64
	s_xor_b64 s[12:13], s[20:21], -1
	s_and_b64 s[14:15], s[12:13], vcc
	s_and_saveexec_b64 s[12:13], s[14:15]
	s_cbranch_execz .LBB110_635
; %bb.634:
	v_ashrrev_i32_e32 v65, 31, v64
	v_lshl_add_u64 v[68:69], v[64:65], 2, v[4:5]
	global_load_dword v65, v[68:69], off
	global_load_dword v67, v[4:5], off offset:148
	s_waitcnt vmcnt(1)
	global_store_dword v[4:5], v65, off offset:148
	s_waitcnt vmcnt(1)
	global_store_dword v[68:69], v67, off
.LBB110_635:
	s_or_b64 exec, exec, s[12:13]
	v_mov_b32_e32 v65, v64
	v_mov_b32_e32 v67, v64
.LBB110_636:
	s_or_b64 exec, exec, s[2:3]
.LBB110_637:
	s_andn2_saveexec_b64 s[0:1], s[0:1]
	s_cbranch_execz .LBB110_639
; %bb.638:
	v_mov_b32_e32 v67, 37
	ds_write2_b32 v61, v12, v13 offset0:38 offset1:39
	ds_write2_b32 v61, v32, v33 offset0:40 offset1:41
	;; [unrolled: 1-line block ×9, first 2 shown]
.LBB110_639:
	s_or_b64 exec, exec, s[0:1]
	v_cmp_lt_i32_e32 vcc, 37, v67
	s_waitcnt lgkmcnt(0)
	s_barrier
	s_and_saveexec_b64 s[0:1], vcc
	s_cbranch_execz .LBB110_641
; %bb.640:
	ds_read2_b32 v[68:69], v61 offset0:38 offset1:39
	ds_read2_b32 v[70:71], v61 offset0:40 offset1:41
	;; [unrolled: 1-line block ×4, first 2 shown]
	v_mul_f32_e32 v64, v66, v23
	s_waitcnt lgkmcnt(3)
	v_pk_fma_f32 v[12:13], v[64:65], v[68:69], v[12:13] op_sel_hi:[0,1,1] neg_lo:[1,0,0] neg_hi:[1,0,0]
	s_waitcnt lgkmcnt(2)
	v_pk_fma_f32 v[32:33], v[64:65], v[70:71], v[32:33] op_sel_hi:[0,1,1] neg_lo:[1,0,0] neg_hi:[1,0,0]
	;; [unrolled: 2-line block ×4, first 2 shown]
	ds_read2_b32 v[68:69], v61 offset0:46 offset1:47
	ds_read2_b32 v[70:71], v61 offset0:48 offset1:49
	;; [unrolled: 1-line block ×5, first 2 shown]
	s_waitcnt lgkmcnt(4)
	v_pk_fma_f32 v[0:1], v[64:65], v[68:69], v[0:1] op_sel_hi:[0,1,1] neg_lo:[1,0,0] neg_hi:[1,0,0]
	s_waitcnt lgkmcnt(3)
	v_pk_fma_f32 v[14:15], v[64:65], v[70:71], v[14:15] op_sel_hi:[0,1,1] neg_lo:[1,0,0] neg_hi:[1,0,0]
	s_waitcnt lgkmcnt(2)
	v_pk_fma_f32 v[8:9], v[64:65], v[72:73], v[8:9] op_sel_hi:[0,1,1] neg_lo:[1,0,0] neg_hi:[1,0,0]
	s_waitcnt lgkmcnt(1)
	v_pk_fma_f32 v[16:17], v[64:65], v[74:75], v[16:17] op_sel_hi:[0,1,1] neg_lo:[1,0,0] neg_hi:[1,0,0]
	s_waitcnt lgkmcnt(0)
	v_pk_fma_f32 v[10:11], v[64:65], v[76:77], v[10:11] op_sel_hi:[0,1,1] neg_lo:[1,0,0] neg_hi:[1,0,0]
	v_mov_b32_e32 v23, v64
.LBB110_641:
	s_or_b64 exec, exec, s[0:1]
	v_lshl_add_u32 v64, v67, 2, v61
	s_barrier
	ds_write_b32 v64, v12
	s_waitcnt lgkmcnt(0)
	s_barrier
	ds_read_b32 v66, v61 offset:152
	s_cmp_lt_i32 s22, 40
	v_mov_b32_e32 v64, 38
	s_cbranch_scc1 .LBB110_644
; %bb.642:
	v_add_u32_e32 v68, 0x9c, v61
	v_mov_b32_e32 v64, 38
	s_mov_b32 s0, 39
.LBB110_643:                            ; =>This Inner Loop Header: Depth=1
	ds_read_b32 v69, v68
	v_mov_b32_e32 v70, s0
	s_add_i32 s0, s0, 1
	v_add_u32_e32 v68, 4, v68
	s_cmp_lg_u32 s22, s0
	s_waitcnt lgkmcnt(0)
	v_cmp_lt_f32_e64 vcc, |v66|, |v69|
	s_nop 1
	v_cndmask_b32_e32 v66, v66, v69, vcc
	v_cndmask_b32_e32 v64, v64, v70, vcc
	s_cbranch_scc1 .LBB110_643
.LBB110_644:
	s_waitcnt lgkmcnt(0)
	v_cmp_eq_f32_e32 vcc, 0, v66
	s_and_saveexec_b64 s[0:1], vcc
	s_xor_b64 s[0:1], exec, s[0:1]
; %bb.645:
	v_cmp_ne_u32_e32 vcc, 0, v63
	s_nop 1
	v_cndmask_b32_e32 v63, 39, v63, vcc
; %bb.646:
	s_andn2_saveexec_b64 s[0:1], s[0:1]
	s_cbranch_execz .LBB110_648
; %bb.647:
	v_div_scale_f32 v68, s[2:3], v66, v66, 1.0
	v_rcp_f32_e32 v69, v68
	v_div_scale_f32 v70, vcc, 1.0, v66, 1.0
	v_fma_f32 v71, -v68, v69, 1.0
	v_fmac_f32_e32 v69, v71, v69
	v_mul_f32_e32 v71, v70, v69
	v_fma_f32 v72, -v68, v71, v70
	v_fmac_f32_e32 v71, v72, v69
	v_fma_f32 v68, -v68, v71, v70
	v_div_fmas_f32 v68, v68, v69, v71
	v_div_fixup_f32 v66, v68, v66, 1.0
.LBB110_648:
	s_or_b64 exec, exec, s[0:1]
	v_cmp_ne_u32_e32 vcc, v67, v64
	s_and_saveexec_b64 s[0:1], vcc
	s_xor_b64 s[0:1], exec, s[0:1]
	s_cbranch_execz .LBB110_654
; %bb.649:
	v_cmp_eq_u32_e32 vcc, 38, v67
	s_and_saveexec_b64 s[2:3], vcc
	s_cbranch_execz .LBB110_653
; %bb.650:
	v_cmp_ne_u32_e32 vcc, 38, v64
	s_xor_b64 s[12:13], s[20:21], -1
	s_and_b64 s[14:15], s[12:13], vcc
	s_and_saveexec_b64 s[12:13], s[14:15]
	s_cbranch_execz .LBB110_652
; %bb.651:
	v_ashrrev_i32_e32 v65, 31, v64
	v_lshl_add_u64 v[68:69], v[64:65], 2, v[4:5]
	global_load_dword v65, v[68:69], off
	global_load_dword v67, v[4:5], off offset:152
	s_waitcnt vmcnt(1)
	global_store_dword v[4:5], v65, off offset:152
	s_waitcnt vmcnt(1)
	global_store_dword v[68:69], v67, off
.LBB110_652:
	s_or_b64 exec, exec, s[12:13]
	v_mov_b32_e32 v65, v64
	v_mov_b32_e32 v67, v64
.LBB110_653:
	s_or_b64 exec, exec, s[2:3]
.LBB110_654:
	s_andn2_saveexec_b64 s[0:1], s[0:1]
	s_cbranch_execz .LBB110_656
; %bb.655:
	v_pk_mov_b32 v[68:69], v[12:13], v[32:33] op_sel:[1,0]
	ds_write2_b32 v61, v68, v69 offset0:39 offset1:40
	v_pk_mov_b32 v[68:69], v[32:33], v[24:25] op_sel:[1,0]
	ds_write2_b32 v61, v68, v69 offset0:41 offset1:42
	;; [unrolled: 2-line block ×7, first 2 shown]
	v_pk_mov_b32 v[68:69], v[16:17], v[10:11] op_sel:[1,0]
	v_mov_b32_e32 v67, 38
	ds_write2_b32 v61, v68, v69 offset0:53 offset1:54
	ds_write_b32 v61, v11 offset:220
.LBB110_656:
	s_or_b64 exec, exec, s[0:1]
	v_cmp_lt_i32_e32 vcc, 38, v67
	s_waitcnt lgkmcnt(0)
	s_barrier
	s_and_saveexec_b64 s[0:1], vcc
	s_cbranch_execz .LBB110_658
; %bb.657:
	ds_read_b32 v64, v61 offset:156
	ds_read2_b32 v[68:69], v61 offset0:40 offset1:41
	ds_read2_b32 v[70:71], v61 offset0:42 offset1:43
	;; [unrolled: 1-line block ×3, first 2 shown]
	v_mul_f32_e32 v12, v66, v12
	s_waitcnt lgkmcnt(3)
	v_fma_f32 v13, -v12, v64, v13
	s_waitcnt lgkmcnt(2)
	v_pk_fma_f32 v[32:33], v[12:13], v[68:69], v[32:33] op_sel_hi:[0,1,1] neg_lo:[1,0,0] neg_hi:[1,0,0]
	s_waitcnt lgkmcnt(1)
	v_pk_fma_f32 v[24:25], v[12:13], v[70:71], v[24:25] op_sel_hi:[0,1,1] neg_lo:[1,0,0] neg_hi:[1,0,0]
	s_waitcnt lgkmcnt(0)
	v_pk_fma_f32 v[18:19], v[12:13], v[72:73], v[18:19] op_sel_hi:[0,1,1] neg_lo:[1,0,0] neg_hi:[1,0,0]
	ds_read2_b32 v[68:69], v61 offset0:46 offset1:47
	ds_read2_b32 v[70:71], v61 offset0:48 offset1:49
	;; [unrolled: 1-line block ×5, first 2 shown]
	s_waitcnt lgkmcnt(4)
	v_pk_fma_f32 v[0:1], v[12:13], v[68:69], v[0:1] op_sel_hi:[0,1,1] neg_lo:[1,0,0] neg_hi:[1,0,0]
	s_waitcnt lgkmcnt(3)
	v_pk_fma_f32 v[14:15], v[12:13], v[70:71], v[14:15] op_sel_hi:[0,1,1] neg_lo:[1,0,0] neg_hi:[1,0,0]
	;; [unrolled: 2-line block ×5, first 2 shown]
.LBB110_658:
	s_or_b64 exec, exec, s[0:1]
	v_lshl_add_u32 v64, v67, 2, v61
	s_barrier
	ds_write_b32 v64, v13
	s_waitcnt lgkmcnt(0)
	s_barrier
	ds_read_b32 v66, v61 offset:156
	s_cmp_lt_i32 s22, 41
	v_mov_b32_e32 v64, 39
	s_cbranch_scc1 .LBB110_661
; %bb.659:
	v_add_u32_e32 v68, 0xa0, v61
	v_mov_b32_e32 v64, 39
	s_mov_b32 s0, 40
.LBB110_660:                            ; =>This Inner Loop Header: Depth=1
	ds_read_b32 v69, v68
	v_mov_b32_e32 v70, s0
	s_add_i32 s0, s0, 1
	v_add_u32_e32 v68, 4, v68
	s_cmp_lg_u32 s22, s0
	s_waitcnt lgkmcnt(0)
	v_cmp_lt_f32_e64 vcc, |v66|, |v69|
	s_nop 1
	v_cndmask_b32_e32 v66, v66, v69, vcc
	v_cndmask_b32_e32 v64, v64, v70, vcc
	s_cbranch_scc1 .LBB110_660
.LBB110_661:
	s_waitcnt lgkmcnt(0)
	v_cmp_eq_f32_e32 vcc, 0, v66
	s_and_saveexec_b64 s[0:1], vcc
	s_xor_b64 s[0:1], exec, s[0:1]
; %bb.662:
	v_cmp_ne_u32_e32 vcc, 0, v63
	s_nop 1
	v_cndmask_b32_e32 v63, 40, v63, vcc
; %bb.663:
	s_andn2_saveexec_b64 s[0:1], s[0:1]
	s_cbranch_execz .LBB110_665
; %bb.664:
	v_div_scale_f32 v68, s[2:3], v66, v66, 1.0
	v_rcp_f32_e32 v69, v68
	v_div_scale_f32 v70, vcc, 1.0, v66, 1.0
	v_fma_f32 v71, -v68, v69, 1.0
	v_fmac_f32_e32 v69, v71, v69
	v_mul_f32_e32 v71, v70, v69
	v_fma_f32 v72, -v68, v71, v70
	v_fmac_f32_e32 v71, v72, v69
	v_fma_f32 v68, -v68, v71, v70
	v_div_fmas_f32 v68, v68, v69, v71
	v_div_fixup_f32 v66, v68, v66, 1.0
.LBB110_665:
	s_or_b64 exec, exec, s[0:1]
	v_cmp_ne_u32_e32 vcc, v67, v64
	s_and_saveexec_b64 s[0:1], vcc
	s_xor_b64 s[0:1], exec, s[0:1]
	s_cbranch_execz .LBB110_671
; %bb.666:
	v_cmp_eq_u32_e32 vcc, 39, v67
	s_and_saveexec_b64 s[2:3], vcc
	s_cbranch_execz .LBB110_670
; %bb.667:
	v_cmp_ne_u32_e32 vcc, 39, v64
	s_xor_b64 s[12:13], s[20:21], -1
	s_and_b64 s[14:15], s[12:13], vcc
	s_and_saveexec_b64 s[12:13], s[14:15]
	s_cbranch_execz .LBB110_669
; %bb.668:
	v_ashrrev_i32_e32 v65, 31, v64
	v_lshl_add_u64 v[68:69], v[64:65], 2, v[4:5]
	global_load_dword v65, v[68:69], off
	global_load_dword v67, v[4:5], off offset:156
	s_waitcnt vmcnt(1)
	global_store_dword v[4:5], v65, off offset:156
	s_waitcnt vmcnt(1)
	global_store_dword v[68:69], v67, off
.LBB110_669:
	s_or_b64 exec, exec, s[12:13]
	v_mov_b32_e32 v65, v64
	v_mov_b32_e32 v67, v64
.LBB110_670:
	s_or_b64 exec, exec, s[2:3]
.LBB110_671:
	s_andn2_saveexec_b64 s[0:1], s[0:1]
	s_cbranch_execz .LBB110_673
; %bb.672:
	v_mov_b32_e32 v67, 39
	ds_write2_b32 v61, v32, v33 offset0:40 offset1:41
	ds_write2_b32 v61, v24, v25 offset0:42 offset1:43
	;; [unrolled: 1-line block ×8, first 2 shown]
.LBB110_673:
	s_or_b64 exec, exec, s[0:1]
	v_cmp_lt_i32_e32 vcc, 39, v67
	s_waitcnt lgkmcnt(0)
	s_barrier
	s_and_saveexec_b64 s[0:1], vcc
	s_cbranch_execz .LBB110_675
; %bb.674:
	ds_read2_b32 v[68:69], v61 offset0:40 offset1:41
	ds_read2_b32 v[70:71], v61 offset0:42 offset1:43
	;; [unrolled: 1-line block ×3, first 2 shown]
	v_mul_f32_e32 v64, v66, v13
	ds_read2_b32 v[74:75], v61 offset0:46 offset1:47
	s_waitcnt lgkmcnt(3)
	v_pk_fma_f32 v[32:33], v[64:65], v[68:69], v[32:33] op_sel_hi:[0,1,1] neg_lo:[1,0,0] neg_hi:[1,0,0]
	s_waitcnt lgkmcnt(2)
	v_pk_fma_f32 v[24:25], v[64:65], v[70:71], v[24:25] op_sel_hi:[0,1,1] neg_lo:[1,0,0] neg_hi:[1,0,0]
	;; [unrolled: 2-line block ×3, first 2 shown]
	ds_read2_b32 v[68:69], v61 offset0:48 offset1:49
	ds_read2_b32 v[70:71], v61 offset0:50 offset1:51
	;; [unrolled: 1-line block ×4, first 2 shown]
	s_waitcnt lgkmcnt(4)
	v_pk_fma_f32 v[0:1], v[64:65], v[74:75], v[0:1] op_sel_hi:[0,1,1] neg_lo:[1,0,0] neg_hi:[1,0,0]
	s_waitcnt lgkmcnt(3)
	v_pk_fma_f32 v[14:15], v[64:65], v[68:69], v[14:15] op_sel_hi:[0,1,1] neg_lo:[1,0,0] neg_hi:[1,0,0]
	;; [unrolled: 2-line block ×5, first 2 shown]
	v_mov_b32_e32 v13, v64
.LBB110_675:
	s_or_b64 exec, exec, s[0:1]
	v_lshl_add_u32 v64, v67, 2, v61
	s_barrier
	ds_write_b32 v64, v32
	s_waitcnt lgkmcnt(0)
	s_barrier
	ds_read_b32 v66, v61 offset:160
	s_cmp_lt_i32 s22, 42
	v_mov_b32_e32 v64, 40
	s_cbranch_scc1 .LBB110_678
; %bb.676:
	v_add_u32_e32 v68, 0xa4, v61
	v_mov_b32_e32 v64, 40
	s_mov_b32 s0, 41
.LBB110_677:                            ; =>This Inner Loop Header: Depth=1
	ds_read_b32 v69, v68
	v_mov_b32_e32 v70, s0
	s_add_i32 s0, s0, 1
	v_add_u32_e32 v68, 4, v68
	s_cmp_lg_u32 s22, s0
	s_waitcnt lgkmcnt(0)
	v_cmp_lt_f32_e64 vcc, |v66|, |v69|
	s_nop 1
	v_cndmask_b32_e32 v66, v66, v69, vcc
	v_cndmask_b32_e32 v64, v64, v70, vcc
	s_cbranch_scc1 .LBB110_677
.LBB110_678:
	s_waitcnt lgkmcnt(0)
	v_cmp_eq_f32_e32 vcc, 0, v66
	s_and_saveexec_b64 s[0:1], vcc
	s_xor_b64 s[0:1], exec, s[0:1]
; %bb.679:
	v_cmp_ne_u32_e32 vcc, 0, v63
	s_nop 1
	v_cndmask_b32_e32 v63, 41, v63, vcc
; %bb.680:
	s_andn2_saveexec_b64 s[0:1], s[0:1]
	s_cbranch_execz .LBB110_682
; %bb.681:
	v_div_scale_f32 v68, s[2:3], v66, v66, 1.0
	v_rcp_f32_e32 v69, v68
	v_div_scale_f32 v70, vcc, 1.0, v66, 1.0
	v_fma_f32 v71, -v68, v69, 1.0
	v_fmac_f32_e32 v69, v71, v69
	v_mul_f32_e32 v71, v70, v69
	v_fma_f32 v72, -v68, v71, v70
	v_fmac_f32_e32 v71, v72, v69
	v_fma_f32 v68, -v68, v71, v70
	v_div_fmas_f32 v68, v68, v69, v71
	v_div_fixup_f32 v66, v68, v66, 1.0
.LBB110_682:
	s_or_b64 exec, exec, s[0:1]
	v_cmp_ne_u32_e32 vcc, v67, v64
	s_and_saveexec_b64 s[0:1], vcc
	s_xor_b64 s[0:1], exec, s[0:1]
	s_cbranch_execz .LBB110_688
; %bb.683:
	v_cmp_eq_u32_e32 vcc, 40, v67
	s_and_saveexec_b64 s[2:3], vcc
	s_cbranch_execz .LBB110_687
; %bb.684:
	v_cmp_ne_u32_e32 vcc, 40, v64
	s_xor_b64 s[12:13], s[20:21], -1
	s_and_b64 s[14:15], s[12:13], vcc
	s_and_saveexec_b64 s[12:13], s[14:15]
	s_cbranch_execz .LBB110_686
; %bb.685:
	v_ashrrev_i32_e32 v65, 31, v64
	v_lshl_add_u64 v[68:69], v[64:65], 2, v[4:5]
	global_load_dword v65, v[68:69], off
	global_load_dword v67, v[4:5], off offset:160
	s_waitcnt vmcnt(1)
	global_store_dword v[4:5], v65, off offset:160
	s_waitcnt vmcnt(1)
	global_store_dword v[68:69], v67, off
.LBB110_686:
	s_or_b64 exec, exec, s[12:13]
	v_mov_b32_e32 v65, v64
	v_mov_b32_e32 v67, v64
.LBB110_687:
	s_or_b64 exec, exec, s[2:3]
.LBB110_688:
	s_andn2_saveexec_b64 s[0:1], s[0:1]
	s_cbranch_execz .LBB110_690
; %bb.689:
	v_pk_mov_b32 v[68:69], v[32:33], v[24:25] op_sel:[1,0]
	ds_write2_b32 v61, v68, v69 offset0:41 offset1:42
	v_pk_mov_b32 v[68:69], v[24:25], v[18:19] op_sel:[1,0]
	ds_write2_b32 v61, v68, v69 offset0:43 offset1:44
	;; [unrolled: 2-line block ×6, first 2 shown]
	v_pk_mov_b32 v[68:69], v[16:17], v[10:11] op_sel:[1,0]
	v_mov_b32_e32 v67, 40
	ds_write2_b32 v61, v68, v69 offset0:53 offset1:54
	ds_write_b32 v61, v11 offset:220
.LBB110_690:
	s_or_b64 exec, exec, s[0:1]
	v_cmp_lt_i32_e32 vcc, 40, v67
	s_waitcnt lgkmcnt(0)
	s_barrier
	s_and_saveexec_b64 s[0:1], vcc
	s_cbranch_execz .LBB110_692
; %bb.691:
	ds_read_b32 v64, v61 offset:164
	ds_read2_b32 v[68:69], v61 offset0:42 offset1:43
	ds_read2_b32 v[70:71], v61 offset0:44 offset1:45
	v_mul_f32_e32 v32, v66, v32
	ds_read2_b32 v[72:73], v61 offset0:46 offset1:47
	s_waitcnt lgkmcnt(3)
	v_fma_f32 v33, -v32, v64, v33
	s_waitcnt lgkmcnt(2)
	v_pk_fma_f32 v[24:25], v[32:33], v[68:69], v[24:25] op_sel_hi:[0,1,1] neg_lo:[1,0,0] neg_hi:[1,0,0]
	s_waitcnt lgkmcnt(1)
	v_pk_fma_f32 v[18:19], v[32:33], v[70:71], v[18:19] op_sel_hi:[0,1,1] neg_lo:[1,0,0] neg_hi:[1,0,0]
	ds_read2_b32 v[68:69], v61 offset0:48 offset1:49
	ds_read2_b32 v[70:71], v61 offset0:50 offset1:51
	;; [unrolled: 1-line block ×4, first 2 shown]
	s_waitcnt lgkmcnt(4)
	v_pk_fma_f32 v[0:1], v[32:33], v[72:73], v[0:1] op_sel_hi:[0,1,1] neg_lo:[1,0,0] neg_hi:[1,0,0]
	s_waitcnt lgkmcnt(3)
	v_pk_fma_f32 v[14:15], v[32:33], v[68:69], v[14:15] op_sel_hi:[0,1,1] neg_lo:[1,0,0] neg_hi:[1,0,0]
	;; [unrolled: 2-line block ×5, first 2 shown]
.LBB110_692:
	s_or_b64 exec, exec, s[0:1]
	v_lshl_add_u32 v64, v67, 2, v61
	s_barrier
	ds_write_b32 v64, v33
	s_waitcnt lgkmcnt(0)
	s_barrier
	ds_read_b32 v66, v61 offset:164
	s_cmp_lt_i32 s22, 43
	v_mov_b32_e32 v64, 41
	s_cbranch_scc1 .LBB110_695
; %bb.693:
	v_add_u32_e32 v68, 0xa8, v61
	v_mov_b32_e32 v64, 41
	s_mov_b32 s0, 42
.LBB110_694:                            ; =>This Inner Loop Header: Depth=1
	ds_read_b32 v69, v68
	v_mov_b32_e32 v70, s0
	s_add_i32 s0, s0, 1
	v_add_u32_e32 v68, 4, v68
	s_cmp_lg_u32 s22, s0
	s_waitcnt lgkmcnt(0)
	v_cmp_lt_f32_e64 vcc, |v66|, |v69|
	s_nop 1
	v_cndmask_b32_e32 v66, v66, v69, vcc
	v_cndmask_b32_e32 v64, v64, v70, vcc
	s_cbranch_scc1 .LBB110_694
.LBB110_695:
	s_waitcnt lgkmcnt(0)
	v_cmp_eq_f32_e32 vcc, 0, v66
	s_and_saveexec_b64 s[0:1], vcc
	s_xor_b64 s[0:1], exec, s[0:1]
; %bb.696:
	v_cmp_ne_u32_e32 vcc, 0, v63
	s_nop 1
	v_cndmask_b32_e32 v63, 42, v63, vcc
; %bb.697:
	s_andn2_saveexec_b64 s[0:1], s[0:1]
	s_cbranch_execz .LBB110_699
; %bb.698:
	v_div_scale_f32 v68, s[2:3], v66, v66, 1.0
	v_rcp_f32_e32 v69, v68
	v_div_scale_f32 v70, vcc, 1.0, v66, 1.0
	v_fma_f32 v71, -v68, v69, 1.0
	v_fmac_f32_e32 v69, v71, v69
	v_mul_f32_e32 v71, v70, v69
	v_fma_f32 v72, -v68, v71, v70
	v_fmac_f32_e32 v71, v72, v69
	v_fma_f32 v68, -v68, v71, v70
	v_div_fmas_f32 v68, v68, v69, v71
	v_div_fixup_f32 v66, v68, v66, 1.0
.LBB110_699:
	s_or_b64 exec, exec, s[0:1]
	v_cmp_ne_u32_e32 vcc, v67, v64
	s_and_saveexec_b64 s[0:1], vcc
	s_xor_b64 s[0:1], exec, s[0:1]
	s_cbranch_execz .LBB110_705
; %bb.700:
	v_cmp_eq_u32_e32 vcc, 41, v67
	s_and_saveexec_b64 s[2:3], vcc
	s_cbranch_execz .LBB110_704
; %bb.701:
	v_cmp_ne_u32_e32 vcc, 41, v64
	s_xor_b64 s[12:13], s[20:21], -1
	s_and_b64 s[14:15], s[12:13], vcc
	s_and_saveexec_b64 s[12:13], s[14:15]
	s_cbranch_execz .LBB110_703
; %bb.702:
	v_ashrrev_i32_e32 v65, 31, v64
	v_lshl_add_u64 v[68:69], v[64:65], 2, v[4:5]
	global_load_dword v65, v[68:69], off
	global_load_dword v67, v[4:5], off offset:164
	s_waitcnt vmcnt(1)
	global_store_dword v[4:5], v65, off offset:164
	s_waitcnt vmcnt(1)
	global_store_dword v[68:69], v67, off
.LBB110_703:
	s_or_b64 exec, exec, s[12:13]
	v_mov_b32_e32 v65, v64
	v_mov_b32_e32 v67, v64
.LBB110_704:
	s_or_b64 exec, exec, s[2:3]
.LBB110_705:
	s_andn2_saveexec_b64 s[0:1], s[0:1]
	s_cbranch_execz .LBB110_707
; %bb.706:
	v_mov_b32_e32 v67, 41
	ds_write2_b32 v61, v24, v25 offset0:42 offset1:43
	ds_write2_b32 v61, v18, v19 offset0:44 offset1:45
	;; [unrolled: 1-line block ×7, first 2 shown]
.LBB110_707:
	s_or_b64 exec, exec, s[0:1]
	v_cmp_lt_i32_e32 vcc, 41, v67
	s_waitcnt lgkmcnt(0)
	s_barrier
	s_and_saveexec_b64 s[0:1], vcc
	s_cbranch_execz .LBB110_709
; %bb.708:
	ds_read2_b32 v[68:69], v61 offset0:42 offset1:43
	ds_read2_b32 v[70:71], v61 offset0:44 offset1:45
	v_mul_f32_e32 v64, v66, v33
	ds_read2_b32 v[72:73], v61 offset0:46 offset1:47
	ds_read2_b32 v[74:75], v61 offset0:48 offset1:49
	v_mov_b32_e32 v33, v64
	s_waitcnt lgkmcnt(3)
	v_pk_fma_f32 v[24:25], v[64:65], v[68:69], v[24:25] op_sel_hi:[0,1,1] neg_lo:[1,0,0] neg_hi:[1,0,0]
	s_waitcnt lgkmcnt(2)
	v_pk_fma_f32 v[18:19], v[64:65], v[70:71], v[18:19] op_sel_hi:[0,1,1] neg_lo:[1,0,0] neg_hi:[1,0,0]
	ds_read2_b32 v[68:69], v61 offset0:50 offset1:51
	ds_read2_b32 v[70:71], v61 offset0:52 offset1:53
	;; [unrolled: 1-line block ×3, first 2 shown]
	s_waitcnt lgkmcnt(4)
	v_pk_fma_f32 v[0:1], v[64:65], v[72:73], v[0:1] op_sel_hi:[0,1,1] neg_lo:[1,0,0] neg_hi:[1,0,0]
	s_waitcnt lgkmcnt(3)
	v_pk_fma_f32 v[14:15], v[64:65], v[74:75], v[14:15] op_sel_hi:[0,1,1] neg_lo:[1,0,0] neg_hi:[1,0,0]
	;; [unrolled: 2-line block ×5, first 2 shown]
.LBB110_709:
	s_or_b64 exec, exec, s[0:1]
	v_lshl_add_u32 v64, v67, 2, v61
	s_barrier
	ds_write_b32 v64, v24
	s_waitcnt lgkmcnt(0)
	s_barrier
	ds_read_b32 v66, v61 offset:168
	s_cmp_lt_i32 s22, 44
	v_mov_b32_e32 v64, 42
	s_cbranch_scc1 .LBB110_712
; %bb.710:
	v_add_u32_e32 v68, 0xac, v61
	v_mov_b32_e32 v64, 42
	s_mov_b32 s0, 43
.LBB110_711:                            ; =>This Inner Loop Header: Depth=1
	ds_read_b32 v69, v68
	v_mov_b32_e32 v70, s0
	s_add_i32 s0, s0, 1
	v_add_u32_e32 v68, 4, v68
	s_cmp_lg_u32 s22, s0
	s_waitcnt lgkmcnt(0)
	v_cmp_lt_f32_e64 vcc, |v66|, |v69|
	s_nop 1
	v_cndmask_b32_e32 v66, v66, v69, vcc
	v_cndmask_b32_e32 v64, v64, v70, vcc
	s_cbranch_scc1 .LBB110_711
.LBB110_712:
	s_waitcnt lgkmcnt(0)
	v_cmp_eq_f32_e32 vcc, 0, v66
	s_and_saveexec_b64 s[0:1], vcc
	s_xor_b64 s[0:1], exec, s[0:1]
; %bb.713:
	v_cmp_ne_u32_e32 vcc, 0, v63
	s_nop 1
	v_cndmask_b32_e32 v63, 43, v63, vcc
; %bb.714:
	s_andn2_saveexec_b64 s[0:1], s[0:1]
	s_cbranch_execz .LBB110_716
; %bb.715:
	v_div_scale_f32 v68, s[2:3], v66, v66, 1.0
	v_rcp_f32_e32 v69, v68
	v_div_scale_f32 v70, vcc, 1.0, v66, 1.0
	v_fma_f32 v71, -v68, v69, 1.0
	v_fmac_f32_e32 v69, v71, v69
	v_mul_f32_e32 v71, v70, v69
	v_fma_f32 v72, -v68, v71, v70
	v_fmac_f32_e32 v71, v72, v69
	v_fma_f32 v68, -v68, v71, v70
	v_div_fmas_f32 v68, v68, v69, v71
	v_div_fixup_f32 v66, v68, v66, 1.0
.LBB110_716:
	s_or_b64 exec, exec, s[0:1]
	v_cmp_ne_u32_e32 vcc, v67, v64
	s_and_saveexec_b64 s[0:1], vcc
	s_xor_b64 s[0:1], exec, s[0:1]
	s_cbranch_execz .LBB110_722
; %bb.717:
	v_cmp_eq_u32_e32 vcc, 42, v67
	s_and_saveexec_b64 s[2:3], vcc
	s_cbranch_execz .LBB110_721
; %bb.718:
	v_cmp_ne_u32_e32 vcc, 42, v64
	s_xor_b64 s[12:13], s[20:21], -1
	s_and_b64 s[14:15], s[12:13], vcc
	s_and_saveexec_b64 s[12:13], s[14:15]
	s_cbranch_execz .LBB110_720
; %bb.719:
	v_ashrrev_i32_e32 v65, 31, v64
	v_lshl_add_u64 v[68:69], v[64:65], 2, v[4:5]
	global_load_dword v65, v[68:69], off
	global_load_dword v67, v[4:5], off offset:168
	s_waitcnt vmcnt(1)
	global_store_dword v[4:5], v65, off offset:168
	s_waitcnt vmcnt(1)
	global_store_dword v[68:69], v67, off
.LBB110_720:
	s_or_b64 exec, exec, s[12:13]
	v_mov_b32_e32 v65, v64
	v_mov_b32_e32 v67, v64
.LBB110_721:
	s_or_b64 exec, exec, s[2:3]
.LBB110_722:
	s_andn2_saveexec_b64 s[0:1], s[0:1]
	s_cbranch_execz .LBB110_724
; %bb.723:
	v_pk_mov_b32 v[68:69], v[24:25], v[18:19] op_sel:[1,0]
	ds_write2_b32 v61, v68, v69 offset0:43 offset1:44
	v_pk_mov_b32 v[68:69], v[18:19], v[0:1] op_sel:[1,0]
	ds_write2_b32 v61, v68, v69 offset0:45 offset1:46
	;; [unrolled: 2-line block ×5, first 2 shown]
	v_pk_mov_b32 v[68:69], v[16:17], v[10:11] op_sel:[1,0]
	v_mov_b32_e32 v67, 42
	ds_write2_b32 v61, v68, v69 offset0:53 offset1:54
	ds_write_b32 v61, v11 offset:220
.LBB110_724:
	s_or_b64 exec, exec, s[0:1]
	v_cmp_lt_i32_e32 vcc, 42, v67
	s_waitcnt lgkmcnt(0)
	s_barrier
	s_and_saveexec_b64 s[0:1], vcc
	s_cbranch_execz .LBB110_726
; %bb.725:
	ds_read_b32 v64, v61 offset:172
	ds_read2_b32 v[68:69], v61 offset0:44 offset1:45
	v_mul_f32_e32 v24, v66, v24
	ds_read2_b32 v[70:71], v61 offset0:46 offset1:47
	ds_read2_b32 v[72:73], v61 offset0:48 offset1:49
	s_waitcnt lgkmcnt(3)
	v_fma_f32 v25, -v24, v64, v25
	s_waitcnt lgkmcnt(2)
	v_pk_fma_f32 v[18:19], v[24:25], v[68:69], v[18:19] op_sel_hi:[0,1,1] neg_lo:[1,0,0] neg_hi:[1,0,0]
	ds_read2_b32 v[68:69], v61 offset0:50 offset1:51
	ds_read2_b32 v[74:75], v61 offset0:52 offset1:53
	;; [unrolled: 1-line block ×3, first 2 shown]
	s_waitcnt lgkmcnt(4)
	v_pk_fma_f32 v[0:1], v[24:25], v[70:71], v[0:1] op_sel_hi:[0,1,1] neg_lo:[1,0,0] neg_hi:[1,0,0]
	s_waitcnt lgkmcnt(3)
	v_pk_fma_f32 v[14:15], v[24:25], v[72:73], v[14:15] op_sel_hi:[0,1,1] neg_lo:[1,0,0] neg_hi:[1,0,0]
	;; [unrolled: 2-line block ×5, first 2 shown]
.LBB110_726:
	s_or_b64 exec, exec, s[0:1]
	v_lshl_add_u32 v64, v67, 2, v61
	s_barrier
	ds_write_b32 v64, v25
	s_waitcnt lgkmcnt(0)
	s_barrier
	ds_read_b32 v66, v61 offset:172
	s_cmp_lt_i32 s22, 45
	v_mov_b32_e32 v64, 43
	s_cbranch_scc1 .LBB110_729
; %bb.727:
	v_add_u32_e32 v68, 0xb0, v61
	v_mov_b32_e32 v64, 43
	s_mov_b32 s0, 44
.LBB110_728:                            ; =>This Inner Loop Header: Depth=1
	ds_read_b32 v69, v68
	v_mov_b32_e32 v70, s0
	s_add_i32 s0, s0, 1
	v_add_u32_e32 v68, 4, v68
	s_cmp_lg_u32 s22, s0
	s_waitcnt lgkmcnt(0)
	v_cmp_lt_f32_e64 vcc, |v66|, |v69|
	s_nop 1
	v_cndmask_b32_e32 v66, v66, v69, vcc
	v_cndmask_b32_e32 v64, v64, v70, vcc
	s_cbranch_scc1 .LBB110_728
.LBB110_729:
	s_waitcnt lgkmcnt(0)
	v_cmp_eq_f32_e32 vcc, 0, v66
	s_and_saveexec_b64 s[0:1], vcc
	s_xor_b64 s[0:1], exec, s[0:1]
; %bb.730:
	v_cmp_ne_u32_e32 vcc, 0, v63
	s_nop 1
	v_cndmask_b32_e32 v63, 44, v63, vcc
; %bb.731:
	s_andn2_saveexec_b64 s[0:1], s[0:1]
	s_cbranch_execz .LBB110_733
; %bb.732:
	v_div_scale_f32 v68, s[2:3], v66, v66, 1.0
	v_rcp_f32_e32 v69, v68
	v_div_scale_f32 v70, vcc, 1.0, v66, 1.0
	v_fma_f32 v71, -v68, v69, 1.0
	v_fmac_f32_e32 v69, v71, v69
	v_mul_f32_e32 v71, v70, v69
	v_fma_f32 v72, -v68, v71, v70
	v_fmac_f32_e32 v71, v72, v69
	v_fma_f32 v68, -v68, v71, v70
	v_div_fmas_f32 v68, v68, v69, v71
	v_div_fixup_f32 v66, v68, v66, 1.0
.LBB110_733:
	s_or_b64 exec, exec, s[0:1]
	v_cmp_ne_u32_e32 vcc, v67, v64
	s_and_saveexec_b64 s[0:1], vcc
	s_xor_b64 s[0:1], exec, s[0:1]
	s_cbranch_execz .LBB110_739
; %bb.734:
	v_cmp_eq_u32_e32 vcc, 43, v67
	s_and_saveexec_b64 s[2:3], vcc
	s_cbranch_execz .LBB110_738
; %bb.735:
	v_cmp_ne_u32_e32 vcc, 43, v64
	s_xor_b64 s[12:13], s[20:21], -1
	s_and_b64 s[14:15], s[12:13], vcc
	s_and_saveexec_b64 s[12:13], s[14:15]
	s_cbranch_execz .LBB110_737
; %bb.736:
	v_ashrrev_i32_e32 v65, 31, v64
	v_lshl_add_u64 v[68:69], v[64:65], 2, v[4:5]
	global_load_dword v65, v[68:69], off
	global_load_dword v67, v[4:5], off offset:172
	s_waitcnt vmcnt(1)
	global_store_dword v[4:5], v65, off offset:172
	s_waitcnt vmcnt(1)
	global_store_dword v[68:69], v67, off
.LBB110_737:
	s_or_b64 exec, exec, s[12:13]
	v_mov_b32_e32 v65, v64
	v_mov_b32_e32 v67, v64
.LBB110_738:
	s_or_b64 exec, exec, s[2:3]
.LBB110_739:
	s_andn2_saveexec_b64 s[0:1], s[0:1]
	s_cbranch_execz .LBB110_741
; %bb.740:
	v_mov_b32_e32 v67, 43
	ds_write2_b32 v61, v18, v19 offset0:44 offset1:45
	ds_write2_b32 v61, v0, v1 offset0:46 offset1:47
	;; [unrolled: 1-line block ×6, first 2 shown]
.LBB110_741:
	s_or_b64 exec, exec, s[0:1]
	v_cmp_lt_i32_e32 vcc, 43, v67
	s_waitcnt lgkmcnt(0)
	s_barrier
	s_and_saveexec_b64 s[0:1], vcc
	s_cbranch_execz .LBB110_743
; %bb.742:
	ds_read2_b32 v[68:69], v61 offset0:44 offset1:45
	v_mul_f32_e32 v64, v66, v25
	ds_read2_b32 v[70:71], v61 offset0:46 offset1:47
	ds_read2_b32 v[72:73], v61 offset0:48 offset1:49
	;; [unrolled: 1-line block ×3, first 2 shown]
	v_mov_b32_e32 v25, v64
	s_waitcnt lgkmcnt(2)
	v_pk_fma_f32 v[0:1], v[64:65], v[70:71], v[0:1] op_sel_hi:[0,1,1] neg_lo:[1,0,0] neg_hi:[1,0,0]
	v_pk_fma_f32 v[18:19], v[64:65], v[68:69], v[18:19] op_sel_hi:[0,1,1] neg_lo:[1,0,0] neg_hi:[1,0,0]
	ds_read2_b32 v[68:69], v61 offset0:52 offset1:53
	ds_read2_b32 v[76:77], v61 offset0:54 offset1:55
	s_waitcnt lgkmcnt(3)
	v_pk_fma_f32 v[14:15], v[64:65], v[72:73], v[14:15] op_sel_hi:[0,1,1] neg_lo:[1,0,0] neg_hi:[1,0,0]
	s_waitcnt lgkmcnt(2)
	v_pk_fma_f32 v[8:9], v[64:65], v[74:75], v[8:9] op_sel_hi:[0,1,1] neg_lo:[1,0,0] neg_hi:[1,0,0]
	;; [unrolled: 2-line block ×4, first 2 shown]
.LBB110_743:
	s_or_b64 exec, exec, s[0:1]
	v_lshl_add_u32 v64, v67, 2, v61
	s_barrier
	ds_write_b32 v64, v18
	s_waitcnt lgkmcnt(0)
	s_barrier
	ds_read_b32 v66, v61 offset:176
	s_cmp_lt_i32 s22, 46
	v_mov_b32_e32 v64, 44
	s_cbranch_scc1 .LBB110_746
; %bb.744:
	v_add_u32_e32 v68, 0xb4, v61
	v_mov_b32_e32 v64, 44
	s_mov_b32 s0, 45
.LBB110_745:                            ; =>This Inner Loop Header: Depth=1
	ds_read_b32 v69, v68
	v_mov_b32_e32 v70, s0
	s_add_i32 s0, s0, 1
	v_add_u32_e32 v68, 4, v68
	s_cmp_lg_u32 s22, s0
	s_waitcnt lgkmcnt(0)
	v_cmp_lt_f32_e64 vcc, |v66|, |v69|
	s_nop 1
	v_cndmask_b32_e32 v66, v66, v69, vcc
	v_cndmask_b32_e32 v64, v64, v70, vcc
	s_cbranch_scc1 .LBB110_745
.LBB110_746:
	s_waitcnt lgkmcnt(0)
	v_cmp_eq_f32_e32 vcc, 0, v66
	s_and_saveexec_b64 s[0:1], vcc
	s_xor_b64 s[0:1], exec, s[0:1]
; %bb.747:
	v_cmp_ne_u32_e32 vcc, 0, v63
	s_nop 1
	v_cndmask_b32_e32 v63, 45, v63, vcc
; %bb.748:
	s_andn2_saveexec_b64 s[0:1], s[0:1]
	s_cbranch_execz .LBB110_750
; %bb.749:
	v_div_scale_f32 v68, s[2:3], v66, v66, 1.0
	v_rcp_f32_e32 v69, v68
	v_div_scale_f32 v70, vcc, 1.0, v66, 1.0
	v_fma_f32 v71, -v68, v69, 1.0
	v_fmac_f32_e32 v69, v71, v69
	v_mul_f32_e32 v71, v70, v69
	v_fma_f32 v72, -v68, v71, v70
	v_fmac_f32_e32 v71, v72, v69
	v_fma_f32 v68, -v68, v71, v70
	v_div_fmas_f32 v68, v68, v69, v71
	v_div_fixup_f32 v66, v68, v66, 1.0
.LBB110_750:
	s_or_b64 exec, exec, s[0:1]
	v_cmp_ne_u32_e32 vcc, v67, v64
	s_and_saveexec_b64 s[0:1], vcc
	s_xor_b64 s[0:1], exec, s[0:1]
	s_cbranch_execz .LBB110_756
; %bb.751:
	v_cmp_eq_u32_e32 vcc, 44, v67
	s_and_saveexec_b64 s[2:3], vcc
	s_cbranch_execz .LBB110_755
; %bb.752:
	v_cmp_ne_u32_e32 vcc, 44, v64
	s_xor_b64 s[12:13], s[20:21], -1
	s_and_b64 s[14:15], s[12:13], vcc
	s_and_saveexec_b64 s[12:13], s[14:15]
	s_cbranch_execz .LBB110_754
; %bb.753:
	v_ashrrev_i32_e32 v65, 31, v64
	v_lshl_add_u64 v[68:69], v[64:65], 2, v[4:5]
	global_load_dword v65, v[68:69], off
	global_load_dword v67, v[4:5], off offset:176
	s_waitcnt vmcnt(1)
	global_store_dword v[4:5], v65, off offset:176
	s_waitcnt vmcnt(1)
	global_store_dword v[68:69], v67, off
.LBB110_754:
	s_or_b64 exec, exec, s[12:13]
	v_mov_b32_e32 v65, v64
	v_mov_b32_e32 v67, v64
.LBB110_755:
	s_or_b64 exec, exec, s[2:3]
.LBB110_756:
	s_andn2_saveexec_b64 s[0:1], s[0:1]
	s_cbranch_execz .LBB110_758
; %bb.757:
	v_pk_mov_b32 v[68:69], v[18:19], v[0:1] op_sel:[1,0]
	ds_write2_b32 v61, v68, v69 offset0:45 offset1:46
	v_pk_mov_b32 v[68:69], v[0:1], v[14:15] op_sel:[1,0]
	ds_write2_b32 v61, v68, v69 offset0:47 offset1:48
	;; [unrolled: 2-line block ×4, first 2 shown]
	v_pk_mov_b32 v[68:69], v[16:17], v[10:11] op_sel:[1,0]
	v_mov_b32_e32 v67, 44
	ds_write2_b32 v61, v68, v69 offset0:53 offset1:54
	ds_write_b32 v61, v11 offset:220
.LBB110_758:
	s_or_b64 exec, exec, s[0:1]
	v_cmp_lt_i32_e32 vcc, 44, v67
	s_waitcnt lgkmcnt(0)
	s_barrier
	s_and_saveexec_b64 s[0:1], vcc
	s_cbranch_execz .LBB110_760
; %bb.759:
	ds_read_b32 v64, v61 offset:180
	ds_read2_b32 v[68:69], v61 offset0:46 offset1:47
	ds_read2_b32 v[70:71], v61 offset0:48 offset1:49
	;; [unrolled: 1-line block ×5, first 2 shown]
	v_mul_f32_e32 v18, v66, v18
	s_waitcnt lgkmcnt(5)
	v_fma_f32 v19, -v18, v64, v19
	s_waitcnt lgkmcnt(4)
	v_pk_fma_f32 v[0:1], v[18:19], v[68:69], v[0:1] op_sel_hi:[0,1,1] neg_lo:[1,0,0] neg_hi:[1,0,0]
	s_waitcnt lgkmcnt(3)
	v_pk_fma_f32 v[14:15], v[18:19], v[70:71], v[14:15] op_sel_hi:[0,1,1] neg_lo:[1,0,0] neg_hi:[1,0,0]
	;; [unrolled: 2-line block ×5, first 2 shown]
.LBB110_760:
	s_or_b64 exec, exec, s[0:1]
	v_lshl_add_u32 v64, v67, 2, v61
	s_barrier
	ds_write_b32 v64, v19
	s_waitcnt lgkmcnt(0)
	s_barrier
	ds_read_b32 v66, v61 offset:180
	s_cmp_lt_i32 s22, 47
	v_mov_b32_e32 v64, 45
	s_cbranch_scc1 .LBB110_763
; %bb.761:
	v_add_u32_e32 v68, 0xb8, v61
	v_mov_b32_e32 v64, 45
	s_mov_b32 s0, 46
.LBB110_762:                            ; =>This Inner Loop Header: Depth=1
	ds_read_b32 v69, v68
	v_mov_b32_e32 v70, s0
	s_add_i32 s0, s0, 1
	v_add_u32_e32 v68, 4, v68
	s_cmp_lg_u32 s22, s0
	s_waitcnt lgkmcnt(0)
	v_cmp_lt_f32_e64 vcc, |v66|, |v69|
	s_nop 1
	v_cndmask_b32_e32 v66, v66, v69, vcc
	v_cndmask_b32_e32 v64, v64, v70, vcc
	s_cbranch_scc1 .LBB110_762
.LBB110_763:
	s_waitcnt lgkmcnt(0)
	v_cmp_eq_f32_e32 vcc, 0, v66
	s_and_saveexec_b64 s[0:1], vcc
	s_xor_b64 s[0:1], exec, s[0:1]
; %bb.764:
	v_cmp_ne_u32_e32 vcc, 0, v63
	s_nop 1
	v_cndmask_b32_e32 v63, 46, v63, vcc
; %bb.765:
	s_andn2_saveexec_b64 s[0:1], s[0:1]
	s_cbranch_execz .LBB110_767
; %bb.766:
	v_div_scale_f32 v68, s[2:3], v66, v66, 1.0
	v_rcp_f32_e32 v69, v68
	v_div_scale_f32 v70, vcc, 1.0, v66, 1.0
	v_fma_f32 v71, -v68, v69, 1.0
	v_fmac_f32_e32 v69, v71, v69
	v_mul_f32_e32 v71, v70, v69
	v_fma_f32 v72, -v68, v71, v70
	v_fmac_f32_e32 v71, v72, v69
	v_fma_f32 v68, -v68, v71, v70
	v_div_fmas_f32 v68, v68, v69, v71
	v_div_fixup_f32 v66, v68, v66, 1.0
.LBB110_767:
	s_or_b64 exec, exec, s[0:1]
	v_cmp_ne_u32_e32 vcc, v67, v64
	s_and_saveexec_b64 s[0:1], vcc
	s_xor_b64 s[0:1], exec, s[0:1]
	s_cbranch_execz .LBB110_773
; %bb.768:
	v_cmp_eq_u32_e32 vcc, 45, v67
	s_and_saveexec_b64 s[2:3], vcc
	s_cbranch_execz .LBB110_772
; %bb.769:
	v_cmp_ne_u32_e32 vcc, 45, v64
	s_xor_b64 s[12:13], s[20:21], -1
	s_and_b64 s[14:15], s[12:13], vcc
	s_and_saveexec_b64 s[12:13], s[14:15]
	s_cbranch_execz .LBB110_771
; %bb.770:
	v_ashrrev_i32_e32 v65, 31, v64
	v_lshl_add_u64 v[68:69], v[64:65], 2, v[4:5]
	global_load_dword v65, v[68:69], off
	global_load_dword v67, v[4:5], off offset:180
	s_waitcnt vmcnt(1)
	global_store_dword v[4:5], v65, off offset:180
	s_waitcnt vmcnt(1)
	global_store_dword v[68:69], v67, off
.LBB110_771:
	s_or_b64 exec, exec, s[12:13]
	v_mov_b32_e32 v65, v64
	v_mov_b32_e32 v67, v64
.LBB110_772:
	s_or_b64 exec, exec, s[2:3]
.LBB110_773:
	s_andn2_saveexec_b64 s[0:1], s[0:1]
	s_cbranch_execz .LBB110_775
; %bb.774:
	v_mov_b32_e32 v67, 45
	ds_write2_b32 v61, v0, v1 offset0:46 offset1:47
	ds_write2_b32 v61, v14, v15 offset0:48 offset1:49
	;; [unrolled: 1-line block ×5, first 2 shown]
.LBB110_775:
	s_or_b64 exec, exec, s[0:1]
	v_cmp_lt_i32_e32 vcc, 45, v67
	s_waitcnt lgkmcnt(0)
	s_barrier
	s_and_saveexec_b64 s[0:1], vcc
	s_cbranch_execz .LBB110_777
; %bb.776:
	ds_read2_b32 v[68:69], v61 offset0:46 offset1:47
	ds_read2_b32 v[70:71], v61 offset0:48 offset1:49
	;; [unrolled: 1-line block ×5, first 2 shown]
	v_mul_f32_e32 v64, v66, v19
	s_waitcnt lgkmcnt(4)
	v_pk_fma_f32 v[0:1], v[64:65], v[68:69], v[0:1] op_sel_hi:[0,1,1] neg_lo:[1,0,0] neg_hi:[1,0,0]
	s_waitcnt lgkmcnt(3)
	v_pk_fma_f32 v[14:15], v[64:65], v[70:71], v[14:15] op_sel_hi:[0,1,1] neg_lo:[1,0,0] neg_hi:[1,0,0]
	;; [unrolled: 2-line block ×5, first 2 shown]
	v_mov_b32_e32 v19, v64
.LBB110_777:
	s_or_b64 exec, exec, s[0:1]
	v_lshl_add_u32 v64, v67, 2, v61
	s_barrier
	ds_write_b32 v64, v0
	s_waitcnt lgkmcnt(0)
	s_barrier
	ds_read_b32 v66, v61 offset:184
	s_cmp_lt_i32 s22, 48
	v_mov_b32_e32 v64, 46
	s_cbranch_scc1 .LBB110_780
; %bb.778:
	v_add_u32_e32 v68, 0xbc, v61
	v_mov_b32_e32 v64, 46
	s_mov_b32 s0, 47
.LBB110_779:                            ; =>This Inner Loop Header: Depth=1
	ds_read_b32 v69, v68
	v_mov_b32_e32 v70, s0
	s_add_i32 s0, s0, 1
	v_add_u32_e32 v68, 4, v68
	s_cmp_lg_u32 s22, s0
	s_waitcnt lgkmcnt(0)
	v_cmp_lt_f32_e64 vcc, |v66|, |v69|
	s_nop 1
	v_cndmask_b32_e32 v66, v66, v69, vcc
	v_cndmask_b32_e32 v64, v64, v70, vcc
	s_cbranch_scc1 .LBB110_779
.LBB110_780:
	s_waitcnt lgkmcnt(0)
	v_cmp_eq_f32_e32 vcc, 0, v66
	s_and_saveexec_b64 s[0:1], vcc
	s_xor_b64 s[0:1], exec, s[0:1]
; %bb.781:
	v_cmp_ne_u32_e32 vcc, 0, v63
	s_nop 1
	v_cndmask_b32_e32 v63, 47, v63, vcc
; %bb.782:
	s_andn2_saveexec_b64 s[0:1], s[0:1]
	s_cbranch_execz .LBB110_784
; %bb.783:
	v_div_scale_f32 v68, s[2:3], v66, v66, 1.0
	v_rcp_f32_e32 v69, v68
	v_div_scale_f32 v70, vcc, 1.0, v66, 1.0
	v_fma_f32 v71, -v68, v69, 1.0
	v_fmac_f32_e32 v69, v71, v69
	v_mul_f32_e32 v71, v70, v69
	v_fma_f32 v72, -v68, v71, v70
	v_fmac_f32_e32 v71, v72, v69
	v_fma_f32 v68, -v68, v71, v70
	v_div_fmas_f32 v68, v68, v69, v71
	v_div_fixup_f32 v66, v68, v66, 1.0
.LBB110_784:
	s_or_b64 exec, exec, s[0:1]
	v_cmp_ne_u32_e32 vcc, v67, v64
	s_and_saveexec_b64 s[0:1], vcc
	s_xor_b64 s[0:1], exec, s[0:1]
	s_cbranch_execz .LBB110_790
; %bb.785:
	v_cmp_eq_u32_e32 vcc, 46, v67
	s_and_saveexec_b64 s[2:3], vcc
	s_cbranch_execz .LBB110_789
; %bb.786:
	v_cmp_ne_u32_e32 vcc, 46, v64
	s_xor_b64 s[12:13], s[20:21], -1
	s_and_b64 s[14:15], s[12:13], vcc
	s_and_saveexec_b64 s[12:13], s[14:15]
	s_cbranch_execz .LBB110_788
; %bb.787:
	v_ashrrev_i32_e32 v65, 31, v64
	v_lshl_add_u64 v[68:69], v[64:65], 2, v[4:5]
	global_load_dword v65, v[68:69], off
	global_load_dword v67, v[4:5], off offset:184
	s_waitcnt vmcnt(1)
	global_store_dword v[4:5], v65, off offset:184
	s_waitcnt vmcnt(1)
	global_store_dword v[68:69], v67, off
.LBB110_788:
	s_or_b64 exec, exec, s[12:13]
	v_mov_b32_e32 v65, v64
	v_mov_b32_e32 v67, v64
.LBB110_789:
	s_or_b64 exec, exec, s[2:3]
.LBB110_790:
	s_andn2_saveexec_b64 s[0:1], s[0:1]
	s_cbranch_execz .LBB110_792
; %bb.791:
	v_pk_mov_b32 v[68:69], v[0:1], v[14:15] op_sel:[1,0]
	ds_write2_b32 v61, v68, v69 offset0:47 offset1:48
	v_pk_mov_b32 v[68:69], v[14:15], v[8:9] op_sel:[1,0]
	ds_write2_b32 v61, v68, v69 offset0:49 offset1:50
	;; [unrolled: 2-line block ×3, first 2 shown]
	v_pk_mov_b32 v[68:69], v[16:17], v[10:11] op_sel:[1,0]
	v_mov_b32_e32 v67, 46
	ds_write2_b32 v61, v68, v69 offset0:53 offset1:54
	ds_write_b32 v61, v11 offset:220
.LBB110_792:
	s_or_b64 exec, exec, s[0:1]
	v_cmp_lt_i32_e32 vcc, 46, v67
	s_waitcnt lgkmcnt(0)
	s_barrier
	s_and_saveexec_b64 s[0:1], vcc
	s_cbranch_execz .LBB110_794
; %bb.793:
	ds_read_b32 v64, v61 offset:188
	ds_read2_b32 v[68:69], v61 offset0:48 offset1:49
	ds_read2_b32 v[70:71], v61 offset0:50 offset1:51
	;; [unrolled: 1-line block ×4, first 2 shown]
	v_mul_f32_e32 v0, v66, v0
	s_waitcnt lgkmcnt(4)
	v_fma_f32 v1, -v0, v64, v1
	s_waitcnt lgkmcnt(3)
	v_pk_fma_f32 v[14:15], v[0:1], v[68:69], v[14:15] op_sel_hi:[0,1,1] neg_lo:[1,0,0] neg_hi:[1,0,0]
	s_waitcnt lgkmcnt(2)
	v_pk_fma_f32 v[8:9], v[0:1], v[70:71], v[8:9] op_sel_hi:[0,1,1] neg_lo:[1,0,0] neg_hi:[1,0,0]
	;; [unrolled: 2-line block ×4, first 2 shown]
.LBB110_794:
	s_or_b64 exec, exec, s[0:1]
	v_lshl_add_u32 v64, v67, 2, v61
	s_barrier
	ds_write_b32 v64, v1
	s_waitcnt lgkmcnt(0)
	s_barrier
	ds_read_b32 v66, v61 offset:188
	s_cmp_lt_i32 s22, 49
	v_mov_b32_e32 v64, 47
	s_cbranch_scc1 .LBB110_797
; %bb.795:
	v_add_u32_e32 v68, 0xc0, v61
	v_mov_b32_e32 v64, 47
	s_mov_b32 s0, 48
.LBB110_796:                            ; =>This Inner Loop Header: Depth=1
	ds_read_b32 v69, v68
	v_mov_b32_e32 v70, s0
	s_add_i32 s0, s0, 1
	v_add_u32_e32 v68, 4, v68
	s_cmp_lg_u32 s22, s0
	s_waitcnt lgkmcnt(0)
	v_cmp_lt_f32_e64 vcc, |v66|, |v69|
	s_nop 1
	v_cndmask_b32_e32 v66, v66, v69, vcc
	v_cndmask_b32_e32 v64, v64, v70, vcc
	s_cbranch_scc1 .LBB110_796
.LBB110_797:
	s_waitcnt lgkmcnt(0)
	v_cmp_eq_f32_e32 vcc, 0, v66
	s_and_saveexec_b64 s[0:1], vcc
	s_xor_b64 s[0:1], exec, s[0:1]
; %bb.798:
	v_cmp_ne_u32_e32 vcc, 0, v63
	s_nop 1
	v_cndmask_b32_e32 v63, 48, v63, vcc
; %bb.799:
	s_andn2_saveexec_b64 s[0:1], s[0:1]
	s_cbranch_execz .LBB110_801
; %bb.800:
	v_div_scale_f32 v68, s[2:3], v66, v66, 1.0
	v_rcp_f32_e32 v69, v68
	v_div_scale_f32 v70, vcc, 1.0, v66, 1.0
	v_fma_f32 v71, -v68, v69, 1.0
	v_fmac_f32_e32 v69, v71, v69
	v_mul_f32_e32 v71, v70, v69
	v_fma_f32 v72, -v68, v71, v70
	v_fmac_f32_e32 v71, v72, v69
	v_fma_f32 v68, -v68, v71, v70
	v_div_fmas_f32 v68, v68, v69, v71
	v_div_fixup_f32 v66, v68, v66, 1.0
.LBB110_801:
	s_or_b64 exec, exec, s[0:1]
	v_cmp_ne_u32_e32 vcc, v67, v64
	s_and_saveexec_b64 s[0:1], vcc
	s_xor_b64 s[0:1], exec, s[0:1]
	s_cbranch_execz .LBB110_807
; %bb.802:
	v_cmp_eq_u32_e32 vcc, 47, v67
	s_and_saveexec_b64 s[2:3], vcc
	s_cbranch_execz .LBB110_806
; %bb.803:
	v_cmp_ne_u32_e32 vcc, 47, v64
	s_xor_b64 s[12:13], s[20:21], -1
	s_and_b64 s[14:15], s[12:13], vcc
	s_and_saveexec_b64 s[12:13], s[14:15]
	s_cbranch_execz .LBB110_805
; %bb.804:
	v_ashrrev_i32_e32 v65, 31, v64
	v_lshl_add_u64 v[68:69], v[64:65], 2, v[4:5]
	global_load_dword v65, v[68:69], off
	global_load_dword v67, v[4:5], off offset:188
	s_waitcnt vmcnt(1)
	global_store_dword v[4:5], v65, off offset:188
	s_waitcnt vmcnt(1)
	global_store_dword v[68:69], v67, off
.LBB110_805:
	s_or_b64 exec, exec, s[12:13]
	v_mov_b32_e32 v65, v64
	v_mov_b32_e32 v67, v64
.LBB110_806:
	s_or_b64 exec, exec, s[2:3]
.LBB110_807:
	s_andn2_saveexec_b64 s[0:1], s[0:1]
	s_cbranch_execz .LBB110_809
; %bb.808:
	v_mov_b32_e32 v67, 47
	ds_write2_b32 v61, v14, v15 offset0:48 offset1:49
	ds_write2_b32 v61, v8, v9 offset0:50 offset1:51
	ds_write2_b32 v61, v16, v17 offset0:52 offset1:53
	ds_write2_b32 v61, v10, v11 offset0:54 offset1:55
.LBB110_809:
	s_or_b64 exec, exec, s[0:1]
	v_cmp_lt_i32_e32 vcc, 47, v67
	s_waitcnt lgkmcnt(0)
	s_barrier
	s_and_saveexec_b64 s[0:1], vcc
	s_cbranch_execz .LBB110_811
; %bb.810:
	ds_read2_b32 v[68:69], v61 offset0:48 offset1:49
	ds_read2_b32 v[70:71], v61 offset0:50 offset1:51
	;; [unrolled: 1-line block ×4, first 2 shown]
	v_mul_f32_e32 v64, v66, v1
	s_waitcnt lgkmcnt(3)
	v_pk_fma_f32 v[14:15], v[64:65], v[68:69], v[14:15] op_sel_hi:[0,1,1] neg_lo:[1,0,0] neg_hi:[1,0,0]
	s_waitcnt lgkmcnt(2)
	v_pk_fma_f32 v[8:9], v[64:65], v[70:71], v[8:9] op_sel_hi:[0,1,1] neg_lo:[1,0,0] neg_hi:[1,0,0]
	;; [unrolled: 2-line block ×4, first 2 shown]
	v_mov_b32_e32 v1, v64
.LBB110_811:
	s_or_b64 exec, exec, s[0:1]
	v_lshl_add_u32 v64, v67, 2, v61
	s_barrier
	ds_write_b32 v64, v14
	s_waitcnt lgkmcnt(0)
	s_barrier
	ds_read_b32 v66, v61 offset:192
	s_cmp_lt_i32 s22, 50
	v_mov_b32_e32 v64, 48
	s_cbranch_scc1 .LBB110_814
; %bb.812:
	v_add_u32_e32 v68, 0xc4, v61
	v_mov_b32_e32 v64, 48
	s_mov_b32 s0, 49
.LBB110_813:                            ; =>This Inner Loop Header: Depth=1
	ds_read_b32 v69, v68
	v_mov_b32_e32 v70, s0
	s_add_i32 s0, s0, 1
	v_add_u32_e32 v68, 4, v68
	s_cmp_lg_u32 s22, s0
	s_waitcnt lgkmcnt(0)
	v_cmp_lt_f32_e64 vcc, |v66|, |v69|
	s_nop 1
	v_cndmask_b32_e32 v66, v66, v69, vcc
	v_cndmask_b32_e32 v64, v64, v70, vcc
	s_cbranch_scc1 .LBB110_813
.LBB110_814:
	s_waitcnt lgkmcnt(0)
	v_cmp_eq_f32_e32 vcc, 0, v66
	s_and_saveexec_b64 s[0:1], vcc
	s_xor_b64 s[0:1], exec, s[0:1]
; %bb.815:
	v_cmp_ne_u32_e32 vcc, 0, v63
	s_nop 1
	v_cndmask_b32_e32 v63, 49, v63, vcc
; %bb.816:
	s_andn2_saveexec_b64 s[0:1], s[0:1]
	s_cbranch_execz .LBB110_818
; %bb.817:
	v_div_scale_f32 v68, s[2:3], v66, v66, 1.0
	v_rcp_f32_e32 v69, v68
	v_div_scale_f32 v70, vcc, 1.0, v66, 1.0
	v_fma_f32 v71, -v68, v69, 1.0
	v_fmac_f32_e32 v69, v71, v69
	v_mul_f32_e32 v71, v70, v69
	v_fma_f32 v72, -v68, v71, v70
	v_fmac_f32_e32 v71, v72, v69
	v_fma_f32 v68, -v68, v71, v70
	v_div_fmas_f32 v68, v68, v69, v71
	v_div_fixup_f32 v66, v68, v66, 1.0
.LBB110_818:
	s_or_b64 exec, exec, s[0:1]
	v_cmp_ne_u32_e32 vcc, v67, v64
	s_and_saveexec_b64 s[0:1], vcc
	s_xor_b64 s[0:1], exec, s[0:1]
	s_cbranch_execz .LBB110_824
; %bb.819:
	v_cmp_eq_u32_e32 vcc, 48, v67
	s_and_saveexec_b64 s[2:3], vcc
	s_cbranch_execz .LBB110_823
; %bb.820:
	v_cmp_ne_u32_e32 vcc, 48, v64
	s_xor_b64 s[12:13], s[20:21], -1
	s_and_b64 s[14:15], s[12:13], vcc
	s_and_saveexec_b64 s[12:13], s[14:15]
	s_cbranch_execz .LBB110_822
; %bb.821:
	v_ashrrev_i32_e32 v65, 31, v64
	v_lshl_add_u64 v[68:69], v[64:65], 2, v[4:5]
	global_load_dword v65, v[68:69], off
	global_load_dword v67, v[4:5], off offset:192
	s_waitcnt vmcnt(1)
	global_store_dword v[4:5], v65, off offset:192
	s_waitcnt vmcnt(1)
	global_store_dword v[68:69], v67, off
.LBB110_822:
	s_or_b64 exec, exec, s[12:13]
	v_mov_b32_e32 v65, v64
	v_mov_b32_e32 v67, v64
.LBB110_823:
	s_or_b64 exec, exec, s[2:3]
.LBB110_824:
	s_andn2_saveexec_b64 s[0:1], s[0:1]
	s_cbranch_execz .LBB110_826
; %bb.825:
	v_pk_mov_b32 v[68:69], v[14:15], v[8:9] op_sel:[1,0]
	ds_write2_b32 v61, v68, v69 offset0:49 offset1:50
	v_pk_mov_b32 v[68:69], v[8:9], v[16:17] op_sel:[1,0]
	ds_write2_b32 v61, v68, v69 offset0:51 offset1:52
	v_pk_mov_b32 v[68:69], v[16:17], v[10:11] op_sel:[1,0]
	v_mov_b32_e32 v67, 48
	ds_write2_b32 v61, v68, v69 offset0:53 offset1:54
	ds_write_b32 v61, v11 offset:220
.LBB110_826:
	s_or_b64 exec, exec, s[0:1]
	v_cmp_lt_i32_e32 vcc, 48, v67
	s_waitcnt lgkmcnt(0)
	s_barrier
	s_and_saveexec_b64 s[0:1], vcc
	s_cbranch_execz .LBB110_828
; %bb.827:
	ds_read_b32 v64, v61 offset:196
	ds_read2_b32 v[68:69], v61 offset0:50 offset1:51
	ds_read2_b32 v[70:71], v61 offset0:52 offset1:53
	;; [unrolled: 1-line block ×3, first 2 shown]
	v_mul_f32_e32 v14, v66, v14
	s_waitcnt lgkmcnt(3)
	v_fma_f32 v15, -v14, v64, v15
	s_waitcnt lgkmcnt(2)
	v_pk_fma_f32 v[8:9], v[14:15], v[68:69], v[8:9] op_sel_hi:[0,1,1] neg_lo:[1,0,0] neg_hi:[1,0,0]
	s_waitcnt lgkmcnt(1)
	v_pk_fma_f32 v[16:17], v[14:15], v[70:71], v[16:17] op_sel_hi:[0,1,1] neg_lo:[1,0,0] neg_hi:[1,0,0]
	;; [unrolled: 2-line block ×3, first 2 shown]
.LBB110_828:
	s_or_b64 exec, exec, s[0:1]
	v_lshl_add_u32 v64, v67, 2, v61
	s_barrier
	ds_write_b32 v64, v15
	s_waitcnt lgkmcnt(0)
	s_barrier
	ds_read_b32 v66, v61 offset:196
	s_cmp_lt_i32 s22, 51
	v_mov_b32_e32 v64, 49
	s_cbranch_scc1 .LBB110_831
; %bb.829:
	v_add_u32_e32 v68, 0xc8, v61
	v_mov_b32_e32 v64, 49
	s_mov_b32 s0, 50
.LBB110_830:                            ; =>This Inner Loop Header: Depth=1
	ds_read_b32 v69, v68
	v_mov_b32_e32 v70, s0
	s_add_i32 s0, s0, 1
	v_add_u32_e32 v68, 4, v68
	s_cmp_lg_u32 s22, s0
	s_waitcnt lgkmcnt(0)
	v_cmp_lt_f32_e64 vcc, |v66|, |v69|
	s_nop 1
	v_cndmask_b32_e32 v66, v66, v69, vcc
	v_cndmask_b32_e32 v64, v64, v70, vcc
	s_cbranch_scc1 .LBB110_830
.LBB110_831:
	s_waitcnt lgkmcnt(0)
	v_cmp_eq_f32_e32 vcc, 0, v66
	s_and_saveexec_b64 s[0:1], vcc
	s_xor_b64 s[0:1], exec, s[0:1]
; %bb.832:
	v_cmp_ne_u32_e32 vcc, 0, v63
	s_nop 1
	v_cndmask_b32_e32 v63, 50, v63, vcc
; %bb.833:
	s_andn2_saveexec_b64 s[0:1], s[0:1]
	s_cbranch_execz .LBB110_835
; %bb.834:
	v_div_scale_f32 v68, s[2:3], v66, v66, 1.0
	v_rcp_f32_e32 v69, v68
	v_div_scale_f32 v70, vcc, 1.0, v66, 1.0
	v_fma_f32 v71, -v68, v69, 1.0
	v_fmac_f32_e32 v69, v71, v69
	v_mul_f32_e32 v71, v70, v69
	v_fma_f32 v72, -v68, v71, v70
	v_fmac_f32_e32 v71, v72, v69
	v_fma_f32 v68, -v68, v71, v70
	v_div_fmas_f32 v68, v68, v69, v71
	v_div_fixup_f32 v66, v68, v66, 1.0
.LBB110_835:
	s_or_b64 exec, exec, s[0:1]
	v_cmp_ne_u32_e32 vcc, v67, v64
	s_and_saveexec_b64 s[0:1], vcc
	s_xor_b64 s[0:1], exec, s[0:1]
	s_cbranch_execz .LBB110_841
; %bb.836:
	v_cmp_eq_u32_e32 vcc, 49, v67
	s_and_saveexec_b64 s[2:3], vcc
	s_cbranch_execz .LBB110_840
; %bb.837:
	v_cmp_ne_u32_e32 vcc, 49, v64
	s_xor_b64 s[12:13], s[20:21], -1
	s_and_b64 s[14:15], s[12:13], vcc
	s_and_saveexec_b64 s[12:13], s[14:15]
	s_cbranch_execz .LBB110_839
; %bb.838:
	v_ashrrev_i32_e32 v65, 31, v64
	v_lshl_add_u64 v[68:69], v[64:65], 2, v[4:5]
	global_load_dword v65, v[68:69], off
	global_load_dword v67, v[4:5], off offset:196
	s_waitcnt vmcnt(1)
	global_store_dword v[4:5], v65, off offset:196
	s_waitcnt vmcnt(1)
	global_store_dword v[68:69], v67, off
.LBB110_839:
	s_or_b64 exec, exec, s[12:13]
	v_mov_b32_e32 v65, v64
	v_mov_b32_e32 v67, v64
.LBB110_840:
	s_or_b64 exec, exec, s[2:3]
.LBB110_841:
	s_andn2_saveexec_b64 s[0:1], s[0:1]
	s_cbranch_execz .LBB110_843
; %bb.842:
	v_mov_b32_e32 v67, 49
	ds_write2_b32 v61, v8, v9 offset0:50 offset1:51
	ds_write2_b32 v61, v16, v17 offset0:52 offset1:53
	;; [unrolled: 1-line block ×3, first 2 shown]
.LBB110_843:
	s_or_b64 exec, exec, s[0:1]
	v_cmp_lt_i32_e32 vcc, 49, v67
	s_waitcnt lgkmcnt(0)
	s_barrier
	s_and_saveexec_b64 s[0:1], vcc
	s_cbranch_execz .LBB110_845
; %bb.844:
	ds_read2_b32 v[68:69], v61 offset0:50 offset1:51
	ds_read2_b32 v[70:71], v61 offset0:52 offset1:53
	;; [unrolled: 1-line block ×3, first 2 shown]
	v_mul_f32_e32 v64, v66, v15
	v_mov_b32_e32 v15, v64
	s_waitcnt lgkmcnt(2)
	v_pk_fma_f32 v[8:9], v[64:65], v[68:69], v[8:9] op_sel_hi:[0,1,1] neg_lo:[1,0,0] neg_hi:[1,0,0]
	s_waitcnt lgkmcnt(1)
	v_pk_fma_f32 v[16:17], v[64:65], v[70:71], v[16:17] op_sel_hi:[0,1,1] neg_lo:[1,0,0] neg_hi:[1,0,0]
	;; [unrolled: 2-line block ×3, first 2 shown]
.LBB110_845:
	s_or_b64 exec, exec, s[0:1]
	v_lshl_add_u32 v64, v67, 2, v61
	s_barrier
	ds_write_b32 v64, v8
	s_waitcnt lgkmcnt(0)
	s_barrier
	ds_read_b32 v66, v61 offset:200
	s_cmp_lt_i32 s22, 52
	v_mov_b32_e32 v64, 50
	s_cbranch_scc1 .LBB110_848
; %bb.846:
	v_add_u32_e32 v68, 0xcc, v61
	v_mov_b32_e32 v64, 50
	s_mov_b32 s0, 51
.LBB110_847:                            ; =>This Inner Loop Header: Depth=1
	ds_read_b32 v69, v68
	v_mov_b32_e32 v70, s0
	s_add_i32 s0, s0, 1
	v_add_u32_e32 v68, 4, v68
	s_cmp_lg_u32 s22, s0
	s_waitcnt lgkmcnt(0)
	v_cmp_lt_f32_e64 vcc, |v66|, |v69|
	s_nop 1
	v_cndmask_b32_e32 v66, v66, v69, vcc
	v_cndmask_b32_e32 v64, v64, v70, vcc
	s_cbranch_scc1 .LBB110_847
.LBB110_848:
	s_waitcnt lgkmcnt(0)
	v_cmp_eq_f32_e32 vcc, 0, v66
	s_and_saveexec_b64 s[0:1], vcc
	s_xor_b64 s[0:1], exec, s[0:1]
; %bb.849:
	v_cmp_ne_u32_e32 vcc, 0, v63
	s_nop 1
	v_cndmask_b32_e32 v63, 51, v63, vcc
; %bb.850:
	s_andn2_saveexec_b64 s[0:1], s[0:1]
	s_cbranch_execz .LBB110_852
; %bb.851:
	v_div_scale_f32 v68, s[2:3], v66, v66, 1.0
	v_rcp_f32_e32 v69, v68
	v_div_scale_f32 v70, vcc, 1.0, v66, 1.0
	v_fma_f32 v71, -v68, v69, 1.0
	v_fmac_f32_e32 v69, v71, v69
	v_mul_f32_e32 v71, v70, v69
	v_fma_f32 v72, -v68, v71, v70
	v_fmac_f32_e32 v71, v72, v69
	v_fma_f32 v68, -v68, v71, v70
	v_div_fmas_f32 v68, v68, v69, v71
	v_div_fixup_f32 v66, v68, v66, 1.0
.LBB110_852:
	s_or_b64 exec, exec, s[0:1]
	v_cmp_ne_u32_e32 vcc, v67, v64
	s_and_saveexec_b64 s[0:1], vcc
	s_xor_b64 s[0:1], exec, s[0:1]
	s_cbranch_execz .LBB110_858
; %bb.853:
	v_cmp_eq_u32_e32 vcc, 50, v67
	s_and_saveexec_b64 s[2:3], vcc
	s_cbranch_execz .LBB110_857
; %bb.854:
	v_cmp_ne_u32_e32 vcc, 50, v64
	s_xor_b64 s[12:13], s[20:21], -1
	s_and_b64 s[14:15], s[12:13], vcc
	s_and_saveexec_b64 s[12:13], s[14:15]
	s_cbranch_execz .LBB110_856
; %bb.855:
	v_ashrrev_i32_e32 v65, 31, v64
	v_lshl_add_u64 v[68:69], v[64:65], 2, v[4:5]
	global_load_dword v65, v[68:69], off
	global_load_dword v67, v[4:5], off offset:200
	s_waitcnt vmcnt(1)
	global_store_dword v[4:5], v65, off offset:200
	s_waitcnt vmcnt(1)
	global_store_dword v[68:69], v67, off
.LBB110_856:
	s_or_b64 exec, exec, s[12:13]
	v_mov_b32_e32 v65, v64
	v_mov_b32_e32 v67, v64
.LBB110_857:
	s_or_b64 exec, exec, s[2:3]
.LBB110_858:
	s_andn2_saveexec_b64 s[0:1], s[0:1]
	s_cbranch_execz .LBB110_860
; %bb.859:
	v_pk_mov_b32 v[68:69], v[8:9], v[16:17] op_sel:[1,0]
	ds_write2_b32 v61, v68, v69 offset0:51 offset1:52
	v_pk_mov_b32 v[68:69], v[16:17], v[10:11] op_sel:[1,0]
	v_mov_b32_e32 v67, 50
	ds_write2_b32 v61, v68, v69 offset0:53 offset1:54
	ds_write_b32 v61, v11 offset:220
.LBB110_860:
	s_or_b64 exec, exec, s[0:1]
	v_cmp_lt_i32_e32 vcc, 50, v67
	s_waitcnt lgkmcnt(0)
	s_barrier
	s_and_saveexec_b64 s[0:1], vcc
	s_cbranch_execz .LBB110_862
; %bb.861:
	ds_read_b32 v64, v61 offset:204
	ds_read2_b32 v[68:69], v61 offset0:52 offset1:53
	ds_read2_b32 v[70:71], v61 offset0:54 offset1:55
	v_mul_f32_e32 v8, v66, v8
	s_waitcnt lgkmcnt(2)
	v_fma_f32 v9, -v8, v64, v9
	s_waitcnt lgkmcnt(1)
	v_pk_fma_f32 v[16:17], v[8:9], v[68:69], v[16:17] op_sel_hi:[0,1,1] neg_lo:[1,0,0] neg_hi:[1,0,0]
	s_waitcnt lgkmcnt(0)
	v_pk_fma_f32 v[10:11], v[8:9], v[70:71], v[10:11] op_sel_hi:[0,1,1] neg_lo:[1,0,0] neg_hi:[1,0,0]
.LBB110_862:
	s_or_b64 exec, exec, s[0:1]
	v_lshl_add_u32 v64, v67, 2, v61
	s_barrier
	ds_write_b32 v64, v9
	s_waitcnt lgkmcnt(0)
	s_barrier
	ds_read_b32 v66, v61 offset:204
	s_cmp_lt_i32 s22, 53
	v_mov_b32_e32 v64, 51
	s_cbranch_scc1 .LBB110_865
; %bb.863:
	v_add_u32_e32 v68, 0xd0, v61
	v_mov_b32_e32 v64, 51
	s_mov_b32 s0, 52
.LBB110_864:                            ; =>This Inner Loop Header: Depth=1
	ds_read_b32 v69, v68
	v_mov_b32_e32 v70, s0
	s_add_i32 s0, s0, 1
	v_add_u32_e32 v68, 4, v68
	s_cmp_lg_u32 s22, s0
	s_waitcnt lgkmcnt(0)
	v_cmp_lt_f32_e64 vcc, |v66|, |v69|
	s_nop 1
	v_cndmask_b32_e32 v66, v66, v69, vcc
	v_cndmask_b32_e32 v64, v64, v70, vcc
	s_cbranch_scc1 .LBB110_864
.LBB110_865:
	s_waitcnt lgkmcnt(0)
	v_cmp_eq_f32_e32 vcc, 0, v66
	s_and_saveexec_b64 s[0:1], vcc
	s_xor_b64 s[0:1], exec, s[0:1]
; %bb.866:
	v_cmp_ne_u32_e32 vcc, 0, v63
	s_nop 1
	v_cndmask_b32_e32 v63, 52, v63, vcc
; %bb.867:
	s_andn2_saveexec_b64 s[0:1], s[0:1]
	s_cbranch_execz .LBB110_869
; %bb.868:
	v_div_scale_f32 v68, s[2:3], v66, v66, 1.0
	v_rcp_f32_e32 v69, v68
	v_div_scale_f32 v70, vcc, 1.0, v66, 1.0
	v_fma_f32 v71, -v68, v69, 1.0
	v_fmac_f32_e32 v69, v71, v69
	v_mul_f32_e32 v71, v70, v69
	v_fma_f32 v72, -v68, v71, v70
	v_fmac_f32_e32 v71, v72, v69
	v_fma_f32 v68, -v68, v71, v70
	v_div_fmas_f32 v68, v68, v69, v71
	v_div_fixup_f32 v66, v68, v66, 1.0
.LBB110_869:
	s_or_b64 exec, exec, s[0:1]
	v_cmp_ne_u32_e32 vcc, v67, v64
	s_and_saveexec_b64 s[0:1], vcc
	s_xor_b64 s[0:1], exec, s[0:1]
	s_cbranch_execz .LBB110_875
; %bb.870:
	v_cmp_eq_u32_e32 vcc, 51, v67
	s_and_saveexec_b64 s[2:3], vcc
	s_cbranch_execz .LBB110_874
; %bb.871:
	v_cmp_ne_u32_e32 vcc, 51, v64
	s_xor_b64 s[12:13], s[20:21], -1
	s_and_b64 s[14:15], s[12:13], vcc
	s_and_saveexec_b64 s[12:13], s[14:15]
	s_cbranch_execz .LBB110_873
; %bb.872:
	v_ashrrev_i32_e32 v65, 31, v64
	v_lshl_add_u64 v[68:69], v[64:65], 2, v[4:5]
	global_load_dword v65, v[68:69], off
	global_load_dword v67, v[4:5], off offset:204
	s_waitcnt vmcnt(1)
	global_store_dword v[4:5], v65, off offset:204
	s_waitcnt vmcnt(1)
	global_store_dword v[68:69], v67, off
.LBB110_873:
	s_or_b64 exec, exec, s[12:13]
	v_mov_b32_e32 v65, v64
	v_mov_b32_e32 v67, v64
.LBB110_874:
	s_or_b64 exec, exec, s[2:3]
.LBB110_875:
	s_andn2_saveexec_b64 s[0:1], s[0:1]
	s_cbranch_execz .LBB110_877
; %bb.876:
	v_mov_b32_e32 v67, 51
	ds_write2_b32 v61, v16, v17 offset0:52 offset1:53
	ds_write2_b32 v61, v10, v11 offset0:54 offset1:55
.LBB110_877:
	s_or_b64 exec, exec, s[0:1]
	v_cmp_lt_i32_e32 vcc, 51, v67
	s_waitcnt lgkmcnt(0)
	s_barrier
	s_and_saveexec_b64 s[0:1], vcc
	s_cbranch_execz .LBB110_879
; %bb.878:
	ds_read2_b32 v[68:69], v61 offset0:52 offset1:53
	ds_read2_b32 v[70:71], v61 offset0:54 offset1:55
	v_mul_f32_e32 v64, v66, v9
	v_mov_b32_e32 v9, v64
	s_waitcnt lgkmcnt(1)
	v_pk_fma_f32 v[16:17], v[64:65], v[68:69], v[16:17] op_sel_hi:[0,1,1] neg_lo:[1,0,0] neg_hi:[1,0,0]
	s_waitcnt lgkmcnt(0)
	v_pk_fma_f32 v[10:11], v[64:65], v[70:71], v[10:11] op_sel_hi:[0,1,1] neg_lo:[1,0,0] neg_hi:[1,0,0]
.LBB110_879:
	s_or_b64 exec, exec, s[0:1]
	v_lshl_add_u32 v64, v67, 2, v61
	s_barrier
	ds_write_b32 v64, v16
	s_waitcnt lgkmcnt(0)
	s_barrier
	ds_read_b32 v66, v61 offset:208
	s_cmp_lt_i32 s22, 54
	v_mov_b32_e32 v64, 52
	s_cbranch_scc1 .LBB110_882
; %bb.880:
	v_add_u32_e32 v68, 0xd4, v61
	v_mov_b32_e32 v64, 52
	s_mov_b32 s0, 53
.LBB110_881:                            ; =>This Inner Loop Header: Depth=1
	ds_read_b32 v69, v68
	v_mov_b32_e32 v70, s0
	s_add_i32 s0, s0, 1
	v_add_u32_e32 v68, 4, v68
	s_cmp_lg_u32 s22, s0
	s_waitcnt lgkmcnt(0)
	v_cmp_lt_f32_e64 vcc, |v66|, |v69|
	s_nop 1
	v_cndmask_b32_e32 v66, v66, v69, vcc
	v_cndmask_b32_e32 v64, v64, v70, vcc
	s_cbranch_scc1 .LBB110_881
.LBB110_882:
	s_waitcnt lgkmcnt(0)
	v_cmp_eq_f32_e32 vcc, 0, v66
	s_and_saveexec_b64 s[0:1], vcc
	s_xor_b64 s[0:1], exec, s[0:1]
; %bb.883:
	v_cmp_ne_u32_e32 vcc, 0, v63
	s_nop 1
	v_cndmask_b32_e32 v63, 53, v63, vcc
; %bb.884:
	s_andn2_saveexec_b64 s[0:1], s[0:1]
	s_cbranch_execz .LBB110_886
; %bb.885:
	v_div_scale_f32 v68, s[2:3], v66, v66, 1.0
	v_rcp_f32_e32 v69, v68
	v_div_scale_f32 v70, vcc, 1.0, v66, 1.0
	v_fma_f32 v71, -v68, v69, 1.0
	v_fmac_f32_e32 v69, v71, v69
	v_mul_f32_e32 v71, v70, v69
	v_fma_f32 v72, -v68, v71, v70
	v_fmac_f32_e32 v71, v72, v69
	v_fma_f32 v68, -v68, v71, v70
	v_div_fmas_f32 v68, v68, v69, v71
	v_div_fixup_f32 v66, v68, v66, 1.0
.LBB110_886:
	s_or_b64 exec, exec, s[0:1]
	v_cmp_ne_u32_e32 vcc, v67, v64
	s_and_saveexec_b64 s[0:1], vcc
	s_xor_b64 s[0:1], exec, s[0:1]
	s_cbranch_execz .LBB110_892
; %bb.887:
	v_cmp_eq_u32_e32 vcc, 52, v67
	s_and_saveexec_b64 s[2:3], vcc
	s_cbranch_execz .LBB110_891
; %bb.888:
	v_cmp_ne_u32_e32 vcc, 52, v64
	s_xor_b64 s[12:13], s[20:21], -1
	s_and_b64 s[14:15], s[12:13], vcc
	s_and_saveexec_b64 s[12:13], s[14:15]
	s_cbranch_execz .LBB110_890
; %bb.889:
	v_ashrrev_i32_e32 v65, 31, v64
	v_lshl_add_u64 v[68:69], v[64:65], 2, v[4:5]
	global_load_dword v65, v[68:69], off
	global_load_dword v67, v[4:5], off offset:208
	s_waitcnt vmcnt(1)
	global_store_dword v[4:5], v65, off offset:208
	s_waitcnt vmcnt(1)
	global_store_dword v[68:69], v67, off
.LBB110_890:
	s_or_b64 exec, exec, s[12:13]
	v_mov_b32_e32 v65, v64
	v_mov_b32_e32 v67, v64
.LBB110_891:
	s_or_b64 exec, exec, s[2:3]
.LBB110_892:
	s_andn2_saveexec_b64 s[0:1], s[0:1]
	s_cbranch_execz .LBB110_894
; %bb.893:
	v_pk_mov_b32 v[68:69], v[16:17], v[10:11] op_sel:[1,0]
	v_mov_b32_e32 v67, 52
	ds_write2_b32 v61, v68, v69 offset0:53 offset1:54
	ds_write_b32 v61, v11 offset:220
.LBB110_894:
	s_or_b64 exec, exec, s[0:1]
	v_cmp_lt_i32_e32 vcc, 52, v67
	s_waitcnt lgkmcnt(0)
	s_barrier
	s_and_saveexec_b64 s[0:1], vcc
	s_cbranch_execz .LBB110_896
; %bb.895:
	ds_read_b32 v64, v61 offset:212
	ds_read2_b32 v[68:69], v61 offset0:54 offset1:55
	v_mul_f32_e32 v16, v66, v16
	s_waitcnt lgkmcnt(1)
	v_fma_f32 v17, -v16, v64, v17
	s_waitcnt lgkmcnt(0)
	v_pk_fma_f32 v[10:11], v[16:17], v[68:69], v[10:11] op_sel_hi:[0,1,1] neg_lo:[1,0,0] neg_hi:[1,0,0]
.LBB110_896:
	s_or_b64 exec, exec, s[0:1]
	v_lshl_add_u32 v64, v67, 2, v61
	s_barrier
	ds_write_b32 v64, v17
	s_waitcnt lgkmcnt(0)
	s_barrier
	ds_read_b32 v66, v61 offset:212
	s_cmp_lt_i32 s22, 55
	v_mov_b32_e32 v64, 53
	s_cbranch_scc1 .LBB110_899
; %bb.897:
	v_add_u32_e32 v68, 0xd8, v61
	v_mov_b32_e32 v64, 53
	s_mov_b32 s0, 54
.LBB110_898:                            ; =>This Inner Loop Header: Depth=1
	ds_read_b32 v69, v68
	v_mov_b32_e32 v70, s0
	s_add_i32 s0, s0, 1
	v_add_u32_e32 v68, 4, v68
	s_cmp_lg_u32 s22, s0
	s_waitcnt lgkmcnt(0)
	v_cmp_lt_f32_e64 vcc, |v66|, |v69|
	s_nop 1
	v_cndmask_b32_e32 v66, v66, v69, vcc
	v_cndmask_b32_e32 v64, v64, v70, vcc
	s_cbranch_scc1 .LBB110_898
.LBB110_899:
	s_waitcnt lgkmcnt(0)
	v_cmp_eq_f32_e32 vcc, 0, v66
	s_and_saveexec_b64 s[0:1], vcc
	s_xor_b64 s[0:1], exec, s[0:1]
; %bb.900:
	v_cmp_ne_u32_e32 vcc, 0, v63
	s_nop 1
	v_cndmask_b32_e32 v63, 54, v63, vcc
; %bb.901:
	s_andn2_saveexec_b64 s[0:1], s[0:1]
	s_cbranch_execz .LBB110_903
; %bb.902:
	v_div_scale_f32 v68, s[2:3], v66, v66, 1.0
	v_rcp_f32_e32 v69, v68
	v_div_scale_f32 v70, vcc, 1.0, v66, 1.0
	v_fma_f32 v71, -v68, v69, 1.0
	v_fmac_f32_e32 v69, v71, v69
	v_mul_f32_e32 v71, v70, v69
	v_fma_f32 v72, -v68, v71, v70
	v_fmac_f32_e32 v71, v72, v69
	v_fma_f32 v68, -v68, v71, v70
	v_div_fmas_f32 v68, v68, v69, v71
	v_div_fixup_f32 v66, v68, v66, 1.0
.LBB110_903:
	s_or_b64 exec, exec, s[0:1]
	v_cmp_ne_u32_e32 vcc, v67, v64
	s_and_saveexec_b64 s[0:1], vcc
	s_xor_b64 s[0:1], exec, s[0:1]
	s_cbranch_execz .LBB110_909
; %bb.904:
	v_cmp_eq_u32_e32 vcc, 53, v67
	s_and_saveexec_b64 s[2:3], vcc
	s_cbranch_execz .LBB110_908
; %bb.905:
	v_cmp_ne_u32_e32 vcc, 53, v64
	s_xor_b64 s[12:13], s[20:21], -1
	s_and_b64 s[14:15], s[12:13], vcc
	s_and_saveexec_b64 s[12:13], s[14:15]
	s_cbranch_execz .LBB110_907
; %bb.906:
	v_ashrrev_i32_e32 v65, 31, v64
	v_lshl_add_u64 v[68:69], v[64:65], 2, v[4:5]
	global_load_dword v65, v[68:69], off
	global_load_dword v67, v[4:5], off offset:212
	s_waitcnt vmcnt(1)
	global_store_dword v[4:5], v65, off offset:212
	s_waitcnt vmcnt(1)
	global_store_dword v[68:69], v67, off
.LBB110_907:
	s_or_b64 exec, exec, s[12:13]
	v_mov_b32_e32 v65, v64
	v_mov_b32_e32 v67, v64
.LBB110_908:
	s_or_b64 exec, exec, s[2:3]
.LBB110_909:
	s_andn2_saveexec_b64 s[0:1], s[0:1]
; %bb.910:
	v_mov_b32_e32 v67, 53
	ds_write2_b32 v61, v10, v11 offset0:54 offset1:55
; %bb.911:
	s_or_b64 exec, exec, s[0:1]
	v_cmp_lt_i32_e32 vcc, 53, v67
	s_waitcnt lgkmcnt(0)
	s_barrier
	s_and_saveexec_b64 s[0:1], vcc
	s_cbranch_execz .LBB110_913
; %bb.912:
	ds_read2_b32 v[68:69], v61 offset0:54 offset1:55
	v_mul_f32_e32 v64, v66, v17
	v_mov_b32_e32 v17, v64
	s_waitcnt lgkmcnt(0)
	v_pk_fma_f32 v[10:11], v[64:65], v[68:69], v[10:11] op_sel_hi:[0,1,1] neg_lo:[1,0,0] neg_hi:[1,0,0]
.LBB110_913:
	s_or_b64 exec, exec, s[0:1]
	v_lshl_add_u32 v64, v67, 2, v61
	s_barrier
	ds_write_b32 v64, v10
	s_waitcnt lgkmcnt(0)
	s_barrier
	ds_read_b32 v66, v61 offset:216
	s_cmp_lt_i32 s22, 56
	v_mov_b32_e32 v64, 54
	s_cbranch_scc1 .LBB110_916
; %bb.914:
	v_add_u32_e32 v68, 0xdc, v61
	v_mov_b32_e32 v64, 54
	s_mov_b32 s0, 55
.LBB110_915:                            ; =>This Inner Loop Header: Depth=1
	ds_read_b32 v69, v68
	v_mov_b32_e32 v70, s0
	s_add_i32 s0, s0, 1
	v_add_u32_e32 v68, 4, v68
	s_cmp_lg_u32 s22, s0
	s_waitcnt lgkmcnt(0)
	v_cmp_lt_f32_e64 vcc, |v66|, |v69|
	s_nop 1
	v_cndmask_b32_e32 v66, v66, v69, vcc
	v_cndmask_b32_e32 v64, v64, v70, vcc
	s_cbranch_scc1 .LBB110_915
.LBB110_916:
	s_waitcnt lgkmcnt(0)
	v_cmp_eq_f32_e32 vcc, 0, v66
	s_and_saveexec_b64 s[0:1], vcc
	s_xor_b64 s[0:1], exec, s[0:1]
; %bb.917:
	v_cmp_ne_u32_e32 vcc, 0, v63
	s_nop 1
	v_cndmask_b32_e32 v63, 55, v63, vcc
; %bb.918:
	s_andn2_saveexec_b64 s[0:1], s[0:1]
	s_cbranch_execz .LBB110_920
; %bb.919:
	v_div_scale_f32 v68, s[2:3], v66, v66, 1.0
	v_rcp_f32_e32 v69, v68
	v_div_scale_f32 v70, vcc, 1.0, v66, 1.0
	v_fma_f32 v71, -v68, v69, 1.0
	v_fmac_f32_e32 v69, v71, v69
	v_mul_f32_e32 v71, v70, v69
	v_fma_f32 v72, -v68, v71, v70
	v_fmac_f32_e32 v71, v72, v69
	v_fma_f32 v68, -v68, v71, v70
	v_div_fmas_f32 v68, v68, v69, v71
	v_div_fixup_f32 v66, v68, v66, 1.0
.LBB110_920:
	s_or_b64 exec, exec, s[0:1]
	v_cmp_ne_u32_e32 vcc, v67, v64
	s_and_saveexec_b64 s[0:1], vcc
	s_xor_b64 s[0:1], exec, s[0:1]
	s_cbranch_execz .LBB110_926
; %bb.921:
	v_cmp_eq_u32_e32 vcc, 54, v67
	s_and_saveexec_b64 s[2:3], vcc
	s_cbranch_execz .LBB110_925
; %bb.922:
	v_cmp_ne_u32_e32 vcc, 54, v64
	s_xor_b64 s[12:13], s[20:21], -1
	s_and_b64 s[14:15], s[12:13], vcc
	s_and_saveexec_b64 s[12:13], s[14:15]
	s_cbranch_execz .LBB110_924
; %bb.923:
	v_ashrrev_i32_e32 v65, 31, v64
	v_lshl_add_u64 v[68:69], v[64:65], 2, v[4:5]
	global_load_dword v65, v[68:69], off
	global_load_dword v67, v[4:5], off offset:216
	s_waitcnt vmcnt(1)
	global_store_dword v[4:5], v65, off offset:216
	s_waitcnt vmcnt(1)
	global_store_dword v[68:69], v67, off
.LBB110_924:
	s_or_b64 exec, exec, s[12:13]
	v_mov_b32_e32 v65, v64
	v_mov_b32_e32 v67, v64
.LBB110_925:
	s_or_b64 exec, exec, s[2:3]
.LBB110_926:
	s_andn2_saveexec_b64 s[0:1], s[0:1]
; %bb.927:
	v_mov_b32_e32 v67, 54
	ds_write_b32 v61, v11 offset:220
; %bb.928:
	s_or_b64 exec, exec, s[0:1]
	v_cmp_lt_i32_e32 vcc, 54, v67
	s_waitcnt lgkmcnt(0)
	s_barrier
	s_and_saveexec_b64 s[0:1], vcc
	s_cbranch_execz .LBB110_930
; %bb.929:
	ds_read_b32 v64, v61 offset:220
	v_mul_f32_e32 v10, v66, v10
	s_waitcnt lgkmcnt(0)
	v_fma_f32 v11, -v10, v64, v11
.LBB110_930:
	s_or_b64 exec, exec, s[0:1]
	v_lshl_add_u32 v64, v67, 2, v61
	s_barrier
	ds_write_b32 v64, v11
	s_waitcnt lgkmcnt(0)
	s_barrier
	ds_read_b32 v68, v61 offset:220
	s_cmp_lt_i32 s22, 57
	v_mov_b32_e32 v64, 55
	s_cbranch_scc1 .LBB110_933
; %bb.931:
	v_add_u32_e32 v61, 0xe0, v61
	v_mov_b32_e32 v64, 55
	s_mov_b32 s0, 56
.LBB110_932:                            ; =>This Inner Loop Header: Depth=1
	ds_read_b32 v66, v61
	v_mov_b32_e32 v69, s0
	s_add_i32 s0, s0, 1
	v_add_u32_e32 v61, 4, v61
	s_cmp_lg_u32 s22, s0
	s_waitcnt lgkmcnt(0)
	v_cmp_lt_f32_e64 vcc, |v68|, |v66|
	s_nop 1
	v_cndmask_b32_e32 v68, v68, v66, vcc
	v_cndmask_b32_e32 v64, v64, v69, vcc
	s_cbranch_scc1 .LBB110_932
.LBB110_933:
	s_waitcnt lgkmcnt(0)
	v_cmp_eq_f32_e32 vcc, 0, v68
	s_and_saveexec_b64 s[0:1], vcc
	s_xor_b64 s[0:1], exec, s[0:1]
; %bb.934:
	v_cmp_ne_u32_e32 vcc, 0, v63
	s_nop 1
	v_cndmask_b32_e32 v63, 56, v63, vcc
; %bb.935:
	s_andn2_saveexec_b64 s[0:1], s[0:1]
	s_cbranch_execz .LBB110_937
; %bb.936:
	v_div_scale_f32 v61, s[2:3], v68, v68, 1.0
	v_rcp_f32_e32 v66, v61
	v_div_scale_f32 v69, vcc, 1.0, v68, 1.0
	v_fma_f32 v70, -v61, v66, 1.0
	v_fmac_f32_e32 v66, v70, v66
	v_mul_f32_e32 v70, v69, v66
	v_fma_f32 v71, -v61, v70, v69
	v_fmac_f32_e32 v70, v71, v66
	v_fma_f32 v61, -v61, v70, v69
	v_div_fmas_f32 v61, v61, v66, v70
	v_div_fixup_f32 v68, v61, v68, 1.0
.LBB110_937:
	s_or_b64 exec, exec, s[0:1]
	v_cmp_ne_u32_e32 vcc, v67, v64
	v_mov_b32_e32 v66, 55
	s_and_saveexec_b64 s[0:1], vcc
	s_cbranch_execz .LBB110_943
; %bb.938:
	v_cmp_eq_u32_e32 vcc, 55, v67
	s_and_saveexec_b64 s[2:3], vcc
	s_cbranch_execz .LBB110_942
; %bb.939:
	v_cmp_ne_u32_e32 vcc, 55, v64
	s_xor_b64 s[12:13], s[20:21], -1
	s_and_b64 s[14:15], s[12:13], vcc
	s_and_saveexec_b64 s[12:13], s[14:15]
	s_cbranch_execz .LBB110_941
; %bb.940:
	v_ashrrev_i32_e32 v65, 31, v64
	v_lshl_add_u64 v[66:67], v[64:65], 2, v[4:5]
	global_load_dword v61, v[66:67], off
	global_load_dword v65, v[4:5], off offset:220
	s_waitcnt vmcnt(1)
	global_store_dword v[4:5], v61, off offset:220
	s_waitcnt vmcnt(1)
	global_store_dword v[66:67], v65, off
.LBB110_941:
	s_or_b64 exec, exec, s[12:13]
	v_mov_b32_e32 v65, v64
	v_mov_b32_e32 v67, v64
.LBB110_942:
	s_or_b64 exec, exec, s[2:3]
	v_mov_b32_e32 v66, v67
.LBB110_943:
	s_or_b64 exec, exec, s[0:1]
	v_cmp_gt_i32_e32 vcc, 56, v66
	v_ashrrev_i32_e32 v67, 31, v66
	s_barrier
	s_barrier
	s_and_saveexec_b64 s[0:1], vcc
	s_cbranch_execz .LBB110_945
; %bb.944:
	v_mul_lo_u32 v61, s11, v2
	v_mul_lo_u32 v64, s10, v3
	v_mad_u64_u32 v[70:71], s[2:3], s10, v2, 0
	v_mov_b32_e32 v4, s6
	v_mov_b32_e32 v5, s7
	v_add3_u32 v71, v71, v64, v61
	v_lshl_add_u64 v[4:5], v[70:71], 2, v[4:5]
	v_lshl_add_u64 v[4:5], s[8:9], 2, v[4:5]
	;; [unrolled: 1-line block ×3, first 2 shown]
	v_add3_u32 v61, v65, s19, 1
	global_store_dword v[4:5], v61, off
.LBB110_945:
	s_or_b64 exec, exec, s[0:1]
	v_cmp_eq_u32_e32 vcc, 0, v66
	s_and_saveexec_b64 s[2:3], vcc
	s_cbranch_execz .LBB110_948
; %bb.946:
	v_mov_b32_e32 v4, s4
	v_mov_b32_e32 v5, s5
	v_lshl_add_u64 v[2:3], v[2:3], 2, v[4:5]
	global_load_dword v4, v[2:3], off
	v_cmp_ne_u32_e64 s[0:1], 0, v63
	s_waitcnt vmcnt(0)
	v_cmp_eq_u32_e32 vcc, 0, v4
	s_and_b64 s[0:1], vcc, s[0:1]
	s_and_b64 exec, exec, s[0:1]
	s_cbranch_execz .LBB110_948
; %bb.947:
	v_add_u32_e32 v4, s19, v63
	global_store_dword v[2:3], v4, off
.LBB110_948:
	s_or_b64 exec, exec, s[2:3]
	v_mul_f32_e32 v2, v68, v11
	v_cmp_lt_i32_e32 vcc, 55, v66
	s_nop 1
	v_cndmask_b32_e32 v11, v11, v2, vcc
	v_lshl_add_u64 v[2:3], v[66:67], 2, v[6:7]
	global_store_dword v[2:3], v60, off
	v_lshl_add_u64 v[2:3], s[16:17], 2, v[2:3]
	global_store_dword v[2:3], v62, off
	v_add_u32_e32 v2, s18, v66
	v_ashrrev_i32_e32 v3, 31, v2
	v_lshl_add_u64 v[4:5], v[2:3], 2, v[6:7]
	v_add_u32_e32 v2, s16, v2
	v_ashrrev_i32_e32 v3, 31, v2
	global_store_dword v[4:5], v58, off
	v_lshl_add_u64 v[4:5], v[2:3], 2, v[6:7]
	v_add_u32_e32 v2, s16, v2
	v_ashrrev_i32_e32 v3, 31, v2
	global_store_dword v[4:5], v59, off
	;; [unrolled: 4-line block ×45, first 2 shown]
	v_lshl_add_u64 v[4:5], v[2:3], 2, v[6:7]
	v_add_u32_e32 v0, s16, v2
	global_store_dword v[4:5], v1, off
	v_ashrrev_i32_e32 v1, 31, v0
	v_lshl_add_u64 v[2:3], v[0:1], 2, v[6:7]
	v_add_u32_e32 v0, s16, v0
	v_ashrrev_i32_e32 v1, 31, v0
	global_store_dword v[2:3], v14, off
	v_lshl_add_u64 v[2:3], v[0:1], 2, v[6:7]
	v_add_u32_e32 v0, s16, v0
	v_ashrrev_i32_e32 v1, 31, v0
	global_store_dword v[2:3], v15, off
	;; [unrolled: 4-line block ×6, first 2 shown]
	v_lshl_add_u64 v[2:3], v[0:1], 2, v[6:7]
	v_add_u32_e32 v0, s16, v0
	v_ashrrev_i32_e32 v1, 31, v0
	v_lshl_add_u64 v[0:1], v[0:1], 2, v[6:7]
	global_store_dword v[2:3], v10, off
	global_store_dword v[0:1], v11, off
.LBB110_949:
	s_endpgm
	.section	.rodata,"a",@progbits
	.p2align	6, 0x0
	.amdhsa_kernel _ZN9rocsolver6v33100L18getf2_small_kernelILi56EfiiPfEEvT1_T3_lS3_lPS3_llPT2_S3_S3_S5_l
		.amdhsa_group_segment_fixed_size 0
		.amdhsa_private_segment_fixed_size 0
		.amdhsa_kernarg_size 352
		.amdhsa_user_sgpr_count 2
		.amdhsa_user_sgpr_dispatch_ptr 0
		.amdhsa_user_sgpr_queue_ptr 0
		.amdhsa_user_sgpr_kernarg_segment_ptr 1
		.amdhsa_user_sgpr_dispatch_id 0
		.amdhsa_user_sgpr_kernarg_preload_length 0
		.amdhsa_user_sgpr_kernarg_preload_offset 0
		.amdhsa_user_sgpr_private_segment_size 0
		.amdhsa_uses_dynamic_stack 0
		.amdhsa_enable_private_segment 0
		.amdhsa_system_sgpr_workgroup_id_x 1
		.amdhsa_system_sgpr_workgroup_id_y 1
		.amdhsa_system_sgpr_workgroup_id_z 0
		.amdhsa_system_sgpr_workgroup_info 0
		.amdhsa_system_vgpr_workitem_id 1
		.amdhsa_next_free_vgpr 82
		.amdhsa_next_free_sgpr 26
		.amdhsa_accum_offset 84
		.amdhsa_reserve_vcc 1
		.amdhsa_float_round_mode_32 0
		.amdhsa_float_round_mode_16_64 0
		.amdhsa_float_denorm_mode_32 3
		.amdhsa_float_denorm_mode_16_64 3
		.amdhsa_dx10_clamp 1
		.amdhsa_ieee_mode 1
		.amdhsa_fp16_overflow 0
		.amdhsa_tg_split 0
		.amdhsa_exception_fp_ieee_invalid_op 0
		.amdhsa_exception_fp_denorm_src 0
		.amdhsa_exception_fp_ieee_div_zero 0
		.amdhsa_exception_fp_ieee_overflow 0
		.amdhsa_exception_fp_ieee_underflow 0
		.amdhsa_exception_fp_ieee_inexact 0
		.amdhsa_exception_int_div_zero 0
	.end_amdhsa_kernel
	.section	.text._ZN9rocsolver6v33100L18getf2_small_kernelILi56EfiiPfEEvT1_T3_lS3_lPS3_llPT2_S3_S3_S5_l,"axG",@progbits,_ZN9rocsolver6v33100L18getf2_small_kernelILi56EfiiPfEEvT1_T3_lS3_lPS3_llPT2_S3_S3_S5_l,comdat
.Lfunc_end110:
	.size	_ZN9rocsolver6v33100L18getf2_small_kernelILi56EfiiPfEEvT1_T3_lS3_lPS3_llPT2_S3_S3_S5_l, .Lfunc_end110-_ZN9rocsolver6v33100L18getf2_small_kernelILi56EfiiPfEEvT1_T3_lS3_lPS3_llPT2_S3_S3_S5_l
                                        ; -- End function
	.set _ZN9rocsolver6v33100L18getf2_small_kernelILi56EfiiPfEEvT1_T3_lS3_lPS3_llPT2_S3_S3_S5_l.num_vgpr, 82
	.set _ZN9rocsolver6v33100L18getf2_small_kernelILi56EfiiPfEEvT1_T3_lS3_lPS3_llPT2_S3_S3_S5_l.num_agpr, 0
	.set _ZN9rocsolver6v33100L18getf2_small_kernelILi56EfiiPfEEvT1_T3_lS3_lPS3_llPT2_S3_S3_S5_l.numbered_sgpr, 26
	.set _ZN9rocsolver6v33100L18getf2_small_kernelILi56EfiiPfEEvT1_T3_lS3_lPS3_llPT2_S3_S3_S5_l.num_named_barrier, 0
	.set _ZN9rocsolver6v33100L18getf2_small_kernelILi56EfiiPfEEvT1_T3_lS3_lPS3_llPT2_S3_S3_S5_l.private_seg_size, 0
	.set _ZN9rocsolver6v33100L18getf2_small_kernelILi56EfiiPfEEvT1_T3_lS3_lPS3_llPT2_S3_S3_S5_l.uses_vcc, 1
	.set _ZN9rocsolver6v33100L18getf2_small_kernelILi56EfiiPfEEvT1_T3_lS3_lPS3_llPT2_S3_S3_S5_l.uses_flat_scratch, 0
	.set _ZN9rocsolver6v33100L18getf2_small_kernelILi56EfiiPfEEvT1_T3_lS3_lPS3_llPT2_S3_S3_S5_l.has_dyn_sized_stack, 0
	.set _ZN9rocsolver6v33100L18getf2_small_kernelILi56EfiiPfEEvT1_T3_lS3_lPS3_llPT2_S3_S3_S5_l.has_recursion, 0
	.set _ZN9rocsolver6v33100L18getf2_small_kernelILi56EfiiPfEEvT1_T3_lS3_lPS3_llPT2_S3_S3_S5_l.has_indirect_call, 0
	.section	.AMDGPU.csdata,"",@progbits
; Kernel info:
; codeLenInByte = 49676
; TotalNumSgprs: 32
; NumVgprs: 82
; NumAgprs: 0
; TotalNumVgprs: 82
; ScratchSize: 0
; MemoryBound: 0
; FloatMode: 240
; IeeeMode: 1
; LDSByteSize: 0 bytes/workgroup (compile time only)
; SGPRBlocks: 3
; VGPRBlocks: 10
; NumSGPRsForWavesPerEU: 32
; NumVGPRsForWavesPerEU: 82
; AccumOffset: 84
; Occupancy: 5
; WaveLimiterHint : 0
; COMPUTE_PGM_RSRC2:SCRATCH_EN: 0
; COMPUTE_PGM_RSRC2:USER_SGPR: 2
; COMPUTE_PGM_RSRC2:TRAP_HANDLER: 0
; COMPUTE_PGM_RSRC2:TGID_X_EN: 1
; COMPUTE_PGM_RSRC2:TGID_Y_EN: 1
; COMPUTE_PGM_RSRC2:TGID_Z_EN: 0
; COMPUTE_PGM_RSRC2:TIDIG_COMP_CNT: 1
; COMPUTE_PGM_RSRC3_GFX90A:ACCUM_OFFSET: 20
; COMPUTE_PGM_RSRC3_GFX90A:TG_SPLIT: 0
	.section	.text._ZN9rocsolver6v33100L23getf2_npvt_small_kernelILi56EfiiPfEEvT1_T3_lS3_lPT2_S3_S3_,"axG",@progbits,_ZN9rocsolver6v33100L23getf2_npvt_small_kernelILi56EfiiPfEEvT1_T3_lS3_lPT2_S3_S3_,comdat
	.globl	_ZN9rocsolver6v33100L23getf2_npvt_small_kernelILi56EfiiPfEEvT1_T3_lS3_lPT2_S3_S3_ ; -- Begin function _ZN9rocsolver6v33100L23getf2_npvt_small_kernelILi56EfiiPfEEvT1_T3_lS3_lPT2_S3_S3_
	.p2align	8
	.type	_ZN9rocsolver6v33100L23getf2_npvt_small_kernelILi56EfiiPfEEvT1_T3_lS3_lPT2_S3_S3_,@function
_ZN9rocsolver6v33100L23getf2_npvt_small_kernelILi56EfiiPfEEvT1_T3_lS3_lPT2_S3_S3_: ; @_ZN9rocsolver6v33100L23getf2_npvt_small_kernelILi56EfiiPfEEvT1_T3_lS3_lPT2_S3_S3_
; %bb.0:
	s_load_dword s2, s[0:1], 0x44
	s_load_dwordx2 s[8:9], s[0:1], 0x30
	v_bfe_u32 v171, v0, 10, 10
	s_waitcnt lgkmcnt(0)
	s_lshr_b32 s10, s2, 16
	s_mul_i32 s3, s3, s10
	v_add_u32_e32 v24, s3, v171
	v_cmp_gt_i32_e32 vcc, s8, v24
	s_and_saveexec_b64 s[2:3], vcc
	s_cbranch_execz .LBB111_309
; %bb.1:
	s_load_dwordx4 s[12:15], s[0:1], 0x8
	s_load_dword s2, s[0:1], 0x18
	s_load_dwordx4 s[4:7], s[0:1], 0x20
	v_ashrrev_i32_e32 v25, 31, v24
	v_and_b32_e32 v169, 0x3ff, v0
	s_waitcnt lgkmcnt(0)
	v_mov_b32_e32 v0, s12
	v_mov_b32_e32 v1, s13
	v_mad_u64_u32 v[2:3], s[0:1], s4, v24, 0
	v_mul_lo_u32 v4, s5, v24
	v_mul_lo_u32 v5, s4, v25
	s_add_i32 s0, s2, s2
	v_add3_u32 v3, v3, v5, v4
	v_add_u32_e32 v4, s0, v169
	v_add_u32_e32 v6, s2, v4
	;; [unrolled: 1-line block ×52, first 2 shown]
	v_lshl_add_u64 v[0:1], v[2:3], 2, v[0:1]
	v_add_u32_e32 v112, s2, v108
	v_lshl_add_u64 v[110:111], s[14:15], 2, v[0:1]
	v_ashrrev_i32_e32 v5, 31, v4
	v_ashrrev_i32_e32 v7, 31, v6
	;; [unrolled: 1-line block ×53, first 2 shown]
	v_lshl_add_u64 v[2:3], v[4:5], 2, v[110:111]
	v_lshl_add_u64 v[4:5], v[6:7], 2, v[110:111]
	;; [unrolled: 1-line block ×53, first 2 shown]
	v_add_u32_e32 v112, s2, v112
	v_lshlrev_b32_e32 v0, 2, v169
	v_mov_b32_e32 v1, 0
	v_ashrrev_i32_e32 v113, 31, v112
	v_lshl_add_u64 v[0:1], v[110:111], 0, v[0:1]
	v_lshl_add_u64 v[110:111], v[112:113], 2, v[110:111]
	global_load_dword v156, v[14:15], off
	global_load_dword v157, v[16:17], off
	;; [unrolled: 1-line block ×48, first 2 shown]
	s_ashr_i32 s3, s2, 31
	v_lshl_add_u64 v[166:167], s[2:3], 2, v[0:1]
	global_load_dword v162, v[2:3], off
	global_load_dword v163, v[4:5], off
	;; [unrolled: 1-line block ×8, first 2 shown]
	s_mulk_i32 s10, 0xe0
	s_movk_i32 s0, 0xe0
	s_add_i32 s1, s10, 0
	v_mad_u32_u24 v173, v171, s0, 0
	v_lshl_add_u32 v171, v171, 2, s1
	v_cmp_ne_u32_e64 s[2:3], 0, v169
	v_cmp_eq_u32_e64 s[0:1], 0, v169
	s_and_saveexec_b64 s[4:5], s[0:1]
	s_cbranch_execz .LBB111_4
; %bb.2:
	s_waitcnt vmcnt(1)
	ds_write_b32 v171, v168
	s_waitcnt vmcnt(0)
	ds_write2_b32 v173, v170, v162 offset0:1 offset1:2
	ds_write2_b32 v173, v163, v164 offset0:3 offset1:4
	;; [unrolled: 1-line block ×27, first 2 shown]
	ds_write_b32 v173, v159 offset:220
	ds_read_b32 v172, v171
	s_waitcnt lgkmcnt(0)
	v_cmp_neq_f32_e32 vcc, 0, v172
	s_and_b64 exec, exec, vcc
	s_cbranch_execz .LBB111_4
; %bb.3:
	v_div_scale_f32 v174, s[10:11], v172, v172, 1.0
	v_rcp_f32_e32 v175, v174
	v_div_scale_f32 v176, vcc, 1.0, v172, 1.0
	v_fma_f32 v177, -v174, v175, 1.0
	v_fmac_f32_e32 v175, v177, v175
	v_mul_f32_e32 v177, v176, v175
	v_fma_f32 v178, -v174, v177, v176
	v_fmac_f32_e32 v177, v178, v175
	v_fma_f32 v174, -v174, v177, v176
	v_div_fmas_f32 v174, v174, v175, v177
	v_div_fixup_f32 v172, v174, v172, 1.0
	ds_write_b32 v171, v172
.LBB111_4:
	s_or_b64 exec, exec, s[4:5]
	s_waitcnt lgkmcnt(0)
	s_barrier
	ds_read_b32 v172, v171
	s_and_saveexec_b64 s[4:5], s[2:3]
	s_cbranch_execz .LBB111_6
; %bb.5:
	ds_read_b32 v182, v173 offset:4
	ds_read2_b64 v[174:177], v173 offset0:1 offset1:2
	ds_read2_b64 v[178:181], v173 offset0:3 offset1:4
	s_waitcnt vmcnt(1) lgkmcnt(3)
	v_mul_f32_e32 v168, v172, v168
	s_waitcnt vmcnt(0) lgkmcnt(2)
	v_fma_f32 v170, -v168, v182, v170
	s_waitcnt lgkmcnt(1)
	v_pk_fma_f32 v[162:163], v[168:169], v[174:175], v[162:163] op_sel_hi:[0,1,1] neg_lo:[1,0,0] neg_hi:[1,0,0]
	ds_read2_b64 v[182:185], v173 offset0:5 offset1:6
	v_pk_fma_f32 v[164:165], v[168:169], v[176:177], v[164:165] op_sel_hi:[0,1,1] neg_lo:[1,0,0] neg_hi:[1,0,0]
	s_waitcnt lgkmcnt(1)
	v_pk_fma_f32 v[160:161], v[168:169], v[178:179], v[160:161] op_sel_hi:[0,1,1] neg_lo:[1,0,0] neg_hi:[1,0,0]
	ds_read2_b64 v[174:177], v173 offset0:7 offset1:8
	v_pk_fma_f32 v[156:157], v[168:169], v[180:181], v[156:157] op_sel_hi:[0,1,1] neg_lo:[1,0,0] neg_hi:[1,0,0]
	ds_read2_b64 v[178:181], v173 offset0:9 offset1:10
	s_waitcnt lgkmcnt(2)
	v_pk_fma_f32 v[132:133], v[168:169], v[182:183], v[132:133] op_sel_hi:[0,1,1] neg_lo:[1,0,0] neg_hi:[1,0,0]
	v_pk_fma_f32 v[154:155], v[168:169], v[184:185], v[154:155] op_sel_hi:[0,1,1] neg_lo:[1,0,0] neg_hi:[1,0,0]
	s_waitcnt lgkmcnt(1)
	v_pk_fma_f32 v[130:131], v[168:169], v[174:175], v[130:131] op_sel_hi:[0,1,1] neg_lo:[1,0,0] neg_hi:[1,0,0]
	ds_read2_b64 v[182:185], v173 offset0:11 offset1:12
	v_pk_fma_f32 v[152:153], v[168:169], v[176:177], v[152:153] op_sel_hi:[0,1,1] neg_lo:[1,0,0] neg_hi:[1,0,0]
	s_waitcnt lgkmcnt(1)
	v_pk_fma_f32 v[128:129], v[168:169], v[178:179], v[128:129] op_sel_hi:[0,1,1] neg_lo:[1,0,0] neg_hi:[1,0,0]
	ds_read2_b64 v[174:177], v173 offset0:13 offset1:14
	v_pk_fma_f32 v[150:151], v[168:169], v[180:181], v[150:151] op_sel_hi:[0,1,1] neg_lo:[1,0,0] neg_hi:[1,0,0]
	ds_read2_b64 v[178:181], v173 offset0:15 offset1:16
	s_waitcnt lgkmcnt(2)
	v_pk_fma_f32 v[126:127], v[168:169], v[182:183], v[126:127] op_sel_hi:[0,1,1] neg_lo:[1,0,0] neg_hi:[1,0,0]
	v_pk_fma_f32 v[148:149], v[168:169], v[184:185], v[148:149] op_sel_hi:[0,1,1] neg_lo:[1,0,0] neg_hi:[1,0,0]
	;; [unrolled: 12-line block ×3, first 2 shown]
	s_waitcnt lgkmcnt(1)
	v_pk_fma_f32 v[118:119], v[168:169], v[174:175], v[118:119] op_sel_hi:[0,1,1] neg_lo:[1,0,0] neg_hi:[1,0,0]
	v_pk_fma_f32 v[140:141], v[168:169], v[176:177], v[140:141] op_sel_hi:[0,1,1] neg_lo:[1,0,0] neg_hi:[1,0,0]
	ds_read2_b64 v[174:177], v173 offset0:23 offset1:24
	ds_read2_b64 v[182:185], v173 offset0:25 offset1:26
	s_waitcnt lgkmcnt(2)
	v_pk_fma_f32 v[116:117], v[168:169], v[178:179], v[116:117] op_sel_hi:[0,1,1] neg_lo:[1,0,0] neg_hi:[1,0,0]
	ds_read_b64 v[178:179], v173 offset:216
	v_pk_fma_f32 v[138:139], v[168:169], v[180:181], v[138:139] op_sel_hi:[0,1,1] neg_lo:[1,0,0] neg_hi:[1,0,0]
	s_waitcnt lgkmcnt(2)
	v_pk_fma_f32 v[114:115], v[168:169], v[174:175], v[114:115] op_sel_hi:[0,1,1] neg_lo:[1,0,0] neg_hi:[1,0,0]
	v_pk_fma_f32 v[136:137], v[168:169], v[176:177], v[136:137] op_sel_hi:[0,1,1] neg_lo:[1,0,0] neg_hi:[1,0,0]
	s_waitcnt lgkmcnt(1)
	v_pk_fma_f32 v[112:113], v[168:169], v[182:183], v[112:113] op_sel_hi:[0,1,1] neg_lo:[1,0,0] neg_hi:[1,0,0]
	;; [unrolled: 3-line block ×3, first 2 shown]
.LBB111_6:
	s_or_b64 exec, exec, s[4:5]
	v_cmp_eq_u32_e32 vcc, 1, v169
	s_waitcnt lgkmcnt(0)
	s_barrier
	s_and_saveexec_b64 s[2:3], vcc
	s_cbranch_execz .LBB111_9
; %bb.7:
	s_waitcnt vmcnt(0)
	ds_write_b32 v171, v170
	ds_write2_b64 v173, v[162:163], v[164:165] offset0:1 offset1:2
	ds_write2_b64 v173, v[160:161], v[156:157] offset0:3 offset1:4
	;; [unrolled: 1-line block ×13, first 2 shown]
	ds_write_b64 v173, v[158:159] offset:216
	ds_read_b32 v174, v171
	s_waitcnt lgkmcnt(0)
	v_cmp_neq_f32_e32 vcc, 0, v174
	s_and_b64 exec, exec, vcc
	s_cbranch_execz .LBB111_9
; %bb.8:
	v_div_scale_f32 v175, s[4:5], v174, v174, 1.0
	v_rcp_f32_e32 v176, v175
	v_div_scale_f32 v177, vcc, 1.0, v174, 1.0
	v_fma_f32 v178, -v175, v176, 1.0
	v_fmac_f32_e32 v176, v178, v176
	v_mul_f32_e32 v178, v177, v176
	v_fma_f32 v179, -v175, v178, v177
	v_fmac_f32_e32 v178, v179, v176
	v_fma_f32 v175, -v175, v178, v177
	v_div_fmas_f32 v175, v175, v176, v178
	v_div_fixup_f32 v174, v175, v174, 1.0
	ds_write_b32 v171, v174
.LBB111_9:
	s_or_b64 exec, exec, s[2:3]
	s_waitcnt lgkmcnt(0)
	s_barrier
	ds_read_b32 v174, v171
	v_cmp_lt_u32_e32 vcc, 1, v169
	s_and_saveexec_b64 s[2:3], vcc
	s_cbranch_execz .LBB111_11
; %bb.10:
	ds_read2_b64 v[176:179], v173 offset0:1 offset1:2
	ds_read2_b64 v[180:183], v173 offset0:3 offset1:4
	s_waitcnt vmcnt(0) lgkmcnt(2)
	v_mul_f32_e32 v170, v174, v170
	ds_read2_b64 v[184:187], v173 offset0:5 offset1:6
	s_waitcnt lgkmcnt(2)
	v_pk_fma_f32 v[162:163], v[170:171], v[176:177], v[162:163] op_sel_hi:[0,1,1] neg_lo:[1,0,0] neg_hi:[1,0,0]
	v_pk_fma_f32 v[164:165], v[170:171], v[178:179], v[164:165] op_sel_hi:[0,1,1] neg_lo:[1,0,0] neg_hi:[1,0,0]
	s_waitcnt lgkmcnt(1)
	v_pk_fma_f32 v[160:161], v[170:171], v[180:181], v[160:161] op_sel_hi:[0,1,1] neg_lo:[1,0,0] neg_hi:[1,0,0]
	ds_read2_b64 v[176:179], v173 offset0:7 offset1:8
	v_pk_fma_f32 v[156:157], v[170:171], v[182:183], v[156:157] op_sel_hi:[0,1,1] neg_lo:[1,0,0] neg_hi:[1,0,0]
	ds_read2_b64 v[180:183], v173 offset0:9 offset1:10
	s_waitcnt lgkmcnt(2)
	v_pk_fma_f32 v[132:133], v[170:171], v[184:185], v[132:133] op_sel_hi:[0,1,1] neg_lo:[1,0,0] neg_hi:[1,0,0]
	v_pk_fma_f32 v[154:155], v[170:171], v[186:187], v[154:155] op_sel_hi:[0,1,1] neg_lo:[1,0,0] neg_hi:[1,0,0]
	s_waitcnt lgkmcnt(1)
	v_pk_fma_f32 v[130:131], v[170:171], v[176:177], v[130:131] op_sel_hi:[0,1,1] neg_lo:[1,0,0] neg_hi:[1,0,0]
	ds_read2_b64 v[184:187], v173 offset0:11 offset1:12
	v_pk_fma_f32 v[152:153], v[170:171], v[178:179], v[152:153] op_sel_hi:[0,1,1] neg_lo:[1,0,0] neg_hi:[1,0,0]
	s_waitcnt lgkmcnt(1)
	v_pk_fma_f32 v[128:129], v[170:171], v[180:181], v[128:129] op_sel_hi:[0,1,1] neg_lo:[1,0,0] neg_hi:[1,0,0]
	ds_read2_b64 v[176:179], v173 offset0:13 offset1:14
	v_pk_fma_f32 v[150:151], v[170:171], v[182:183], v[150:151] op_sel_hi:[0,1,1] neg_lo:[1,0,0] neg_hi:[1,0,0]
	ds_read2_b64 v[180:183], v173 offset0:15 offset1:16
	s_waitcnt lgkmcnt(2)
	v_pk_fma_f32 v[126:127], v[170:171], v[184:185], v[126:127] op_sel_hi:[0,1,1] neg_lo:[1,0,0] neg_hi:[1,0,0]
	v_pk_fma_f32 v[148:149], v[170:171], v[186:187], v[148:149] op_sel_hi:[0,1,1] neg_lo:[1,0,0] neg_hi:[1,0,0]
	s_waitcnt lgkmcnt(1)
	v_pk_fma_f32 v[124:125], v[170:171], v[176:177], v[124:125] op_sel_hi:[0,1,1] neg_lo:[1,0,0] neg_hi:[1,0,0]
	ds_read2_b64 v[184:187], v173 offset0:17 offset1:18
	v_pk_fma_f32 v[146:147], v[170:171], v[178:179], v[146:147] op_sel_hi:[0,1,1] neg_lo:[1,0,0] neg_hi:[1,0,0]
	s_waitcnt lgkmcnt(1)
	v_pk_fma_f32 v[122:123], v[170:171], v[180:181], v[122:123] op_sel_hi:[0,1,1] neg_lo:[1,0,0] neg_hi:[1,0,0]
	ds_read2_b64 v[176:179], v173 offset0:19 offset1:20
	v_pk_fma_f32 v[144:145], v[170:171], v[182:183], v[144:145] op_sel_hi:[0,1,1] neg_lo:[1,0,0] neg_hi:[1,0,0]
	ds_read2_b64 v[180:183], v173 offset0:21 offset1:22
	s_waitcnt lgkmcnt(2)
	v_pk_fma_f32 v[120:121], v[170:171], v[184:185], v[120:121] op_sel_hi:[0,1,1] neg_lo:[1,0,0] neg_hi:[1,0,0]
	v_pk_fma_f32 v[142:143], v[170:171], v[186:187], v[142:143] op_sel_hi:[0,1,1] neg_lo:[1,0,0] neg_hi:[1,0,0]
	s_waitcnt lgkmcnt(1)
	v_pk_fma_f32 v[118:119], v[170:171], v[176:177], v[118:119] op_sel_hi:[0,1,1] neg_lo:[1,0,0] neg_hi:[1,0,0]
	v_pk_fma_f32 v[140:141], v[170:171], v[178:179], v[140:141] op_sel_hi:[0,1,1] neg_lo:[1,0,0] neg_hi:[1,0,0]
	ds_read2_b64 v[176:179], v173 offset0:23 offset1:24
	s_waitcnt lgkmcnt(1)
	v_pk_fma_f32 v[116:117], v[170:171], v[180:181], v[116:117] op_sel_hi:[0,1,1] neg_lo:[1,0,0] neg_hi:[1,0,0]
	ds_read2_b64 v[184:187], v173 offset0:25 offset1:26
	ds_read_b64 v[180:181], v173 offset:216
	v_pk_fma_f32 v[138:139], v[170:171], v[182:183], v[138:139] op_sel_hi:[0,1,1] neg_lo:[1,0,0] neg_hi:[1,0,0]
	s_waitcnt lgkmcnt(2)
	v_pk_fma_f32 v[114:115], v[170:171], v[176:177], v[114:115] op_sel_hi:[0,1,1] neg_lo:[1,0,0] neg_hi:[1,0,0]
	v_pk_fma_f32 v[136:137], v[170:171], v[178:179], v[136:137] op_sel_hi:[0,1,1] neg_lo:[1,0,0] neg_hi:[1,0,0]
	s_waitcnt lgkmcnt(1)
	v_pk_fma_f32 v[112:113], v[170:171], v[184:185], v[112:113] op_sel_hi:[0,1,1] neg_lo:[1,0,0] neg_hi:[1,0,0]
	;; [unrolled: 3-line block ×3, first 2 shown]
.LBB111_11:
	s_or_b64 exec, exec, s[2:3]
	v_cmp_eq_u32_e32 vcc, 2, v169
	s_waitcnt lgkmcnt(0)
	s_barrier
	s_and_saveexec_b64 s[2:3], vcc
	s_cbranch_execz .LBB111_14
; %bb.12:
	s_waitcnt vmcnt(4)
	v_pk_mov_b32 v[176:177], v[162:163], v[164:165] op_sel:[1,0]
	ds_write_b32 v171, v162
	ds_write2_b32 v173, v176, v177 offset0:3 offset1:4
	s_waitcnt vmcnt(2)
	v_pk_mov_b32 v[176:177], v[164:165], v[160:161] op_sel:[1,0]
	ds_write2_b32 v173, v176, v177 offset0:5 offset1:6
	v_pk_mov_b32 v[176:177], v[160:161], v[156:157] op_sel:[1,0]
	ds_write2_b32 v173, v176, v177 offset0:7 offset1:8
	;; [unrolled: 2-line block ×25, first 2 shown]
	ds_write_b32 v173, v159 offset:220
	ds_read_b32 v175, v171
	s_waitcnt lgkmcnt(0)
	v_cmp_neq_f32_e32 vcc, 0, v175
	s_and_b64 exec, exec, vcc
	s_cbranch_execz .LBB111_14
; %bb.13:
	v_div_scale_f32 v176, s[4:5], v175, v175, 1.0
	v_rcp_f32_e32 v177, v176
	v_div_scale_f32 v178, vcc, 1.0, v175, 1.0
	v_fma_f32 v179, -v176, v177, 1.0
	v_fmac_f32_e32 v177, v179, v177
	v_mul_f32_e32 v179, v178, v177
	v_fma_f32 v180, -v176, v179, v178
	v_fmac_f32_e32 v179, v180, v177
	v_fma_f32 v176, -v176, v179, v178
	v_div_fmas_f32 v176, v176, v177, v179
	v_div_fixup_f32 v175, v176, v175, 1.0
	ds_write_b32 v171, v175
.LBB111_14:
	s_or_b64 exec, exec, s[2:3]
	s_waitcnt lgkmcnt(0)
	s_barrier
	ds_read_b32 v175, v171
	v_cmp_lt_u32_e32 vcc, 2, v169
	s_and_saveexec_b64 s[2:3], vcc
	s_cbranch_execz .LBB111_16
; %bb.15:
	ds_read_b32 v188, v173 offset:12
	ds_read2_b64 v[176:179], v173 offset0:2 offset1:3
	s_waitcnt vmcnt(7) lgkmcnt(2)
	v_mul_f32_e32 v162, v175, v162
	ds_read2_b64 v[180:183], v173 offset0:4 offset1:5
	ds_read2_b64 v[184:187], v173 offset0:6 offset1:7
	s_waitcnt vmcnt(6) lgkmcnt(3)
	v_fma_f32 v163, -v162, v188, v163
	s_waitcnt vmcnt(4) lgkmcnt(2)
	v_pk_fma_f32 v[164:165], v[162:163], v[176:177], v[164:165] op_sel_hi:[0,1,1] neg_lo:[1,0,0] neg_hi:[1,0,0]
	s_waitcnt vmcnt(2)
	v_pk_fma_f32 v[160:161], v[162:163], v[178:179], v[160:161] op_sel_hi:[0,1,1] neg_lo:[1,0,0] neg_hi:[1,0,0]
	ds_read2_b64 v[176:179], v173 offset0:8 offset1:9
	s_waitcnt lgkmcnt(2)
	v_pk_fma_f32 v[156:157], v[162:163], v[180:181], v[156:157] op_sel_hi:[0,1,1] neg_lo:[1,0,0] neg_hi:[1,0,0]
	v_pk_fma_f32 v[132:133], v[162:163], v[182:183], v[132:133] op_sel_hi:[0,1,1] neg_lo:[1,0,0] neg_hi:[1,0,0]
	s_waitcnt lgkmcnt(1)
	v_pk_fma_f32 v[154:155], v[162:163], v[184:185], v[154:155] op_sel_hi:[0,1,1] neg_lo:[1,0,0] neg_hi:[1,0,0]
	ds_read2_b64 v[180:183], v173 offset0:10 offset1:11
	v_pk_fma_f32 v[130:131], v[162:163], v[186:187], v[130:131] op_sel_hi:[0,1,1] neg_lo:[1,0,0] neg_hi:[1,0,0]
	s_waitcnt lgkmcnt(1)
	v_pk_fma_f32 v[152:153], v[162:163], v[176:177], v[152:153] op_sel_hi:[0,1,1] neg_lo:[1,0,0] neg_hi:[1,0,0]
	ds_read2_b64 v[184:187], v173 offset0:12 offset1:13
	v_pk_fma_f32 v[128:129], v[162:163], v[178:179], v[128:129] op_sel_hi:[0,1,1] neg_lo:[1,0,0] neg_hi:[1,0,0]
	ds_read2_b64 v[176:179], v173 offset0:14 offset1:15
	s_waitcnt lgkmcnt(2)
	v_pk_fma_f32 v[150:151], v[162:163], v[180:181], v[150:151] op_sel_hi:[0,1,1] neg_lo:[1,0,0] neg_hi:[1,0,0]
	v_pk_fma_f32 v[126:127], v[162:163], v[182:183], v[126:127] op_sel_hi:[0,1,1] neg_lo:[1,0,0] neg_hi:[1,0,0]
	s_waitcnt lgkmcnt(1)
	v_pk_fma_f32 v[148:149], v[162:163], v[184:185], v[148:149] op_sel_hi:[0,1,1] neg_lo:[1,0,0] neg_hi:[1,0,0]
	ds_read2_b64 v[180:183], v173 offset0:16 offset1:17
	v_pk_fma_f32 v[124:125], v[162:163], v[186:187], v[124:125] op_sel_hi:[0,1,1] neg_lo:[1,0,0] neg_hi:[1,0,0]
	s_waitcnt lgkmcnt(1)
	v_pk_fma_f32 v[146:147], v[162:163], v[176:177], v[146:147] op_sel_hi:[0,1,1] neg_lo:[1,0,0] neg_hi:[1,0,0]
	ds_read2_b64 v[184:187], v173 offset0:18 offset1:19
	v_pk_fma_f32 v[122:123], v[162:163], v[178:179], v[122:123] op_sel_hi:[0,1,1] neg_lo:[1,0,0] neg_hi:[1,0,0]
	ds_read2_b64 v[176:179], v173 offset0:20 offset1:21
	s_waitcnt lgkmcnt(2)
	v_pk_fma_f32 v[144:145], v[162:163], v[180:181], v[144:145] op_sel_hi:[0,1,1] neg_lo:[1,0,0] neg_hi:[1,0,0]
	v_pk_fma_f32 v[120:121], v[162:163], v[182:183], v[120:121] op_sel_hi:[0,1,1] neg_lo:[1,0,0] neg_hi:[1,0,0]
	s_waitcnt lgkmcnt(1)
	v_pk_fma_f32 v[142:143], v[162:163], v[184:185], v[142:143] op_sel_hi:[0,1,1] neg_lo:[1,0,0] neg_hi:[1,0,0]
	v_pk_fma_f32 v[118:119], v[162:163], v[186:187], v[118:119] op_sel_hi:[0,1,1] neg_lo:[1,0,0] neg_hi:[1,0,0]
	ds_read2_b64 v[180:183], v173 offset0:22 offset1:23
	s_waitcnt lgkmcnt(1)
	v_pk_fma_f32 v[140:141], v[162:163], v[176:177], v[140:141] op_sel_hi:[0,1,1] neg_lo:[1,0,0] neg_hi:[1,0,0]
	ds_read2_b64 v[184:187], v173 offset0:24 offset1:25
	v_pk_fma_f32 v[116:117], v[162:163], v[178:179], v[116:117] op_sel_hi:[0,1,1] neg_lo:[1,0,0] neg_hi:[1,0,0]
	ds_read2_b64 v[176:179], v173 offset0:26 offset1:27
	s_waitcnt lgkmcnt(2)
	v_pk_fma_f32 v[138:139], v[162:163], v[180:181], v[138:139] op_sel_hi:[0,1,1] neg_lo:[1,0,0] neg_hi:[1,0,0]
	v_pk_fma_f32 v[114:115], v[162:163], v[182:183], v[114:115] op_sel_hi:[0,1,1] neg_lo:[1,0,0] neg_hi:[1,0,0]
	s_waitcnt lgkmcnt(1)
	v_pk_fma_f32 v[136:137], v[162:163], v[184:185], v[136:137] op_sel_hi:[0,1,1] neg_lo:[1,0,0] neg_hi:[1,0,0]
	v_pk_fma_f32 v[112:113], v[162:163], v[186:187], v[112:113] op_sel_hi:[0,1,1] neg_lo:[1,0,0] neg_hi:[1,0,0]
	;; [unrolled: 3-line block ×3, first 2 shown]
.LBB111_16:
	s_or_b64 exec, exec, s[2:3]
	v_cmp_eq_u32_e32 vcc, 3, v169
	s_waitcnt lgkmcnt(0)
	s_barrier
	s_and_saveexec_b64 s[2:3], vcc
	s_cbranch_execz .LBB111_19
; %bb.17:
	s_waitcnt vmcnt(5)
	v_mov_b32_e32 v176, v164
	s_waitcnt vmcnt(4)
	v_mov_b32_e32 v177, v165
	;; [unrolled: 2-line block ×4, first 2 shown]
	ds_write_b32 v171, v163
	ds_write2_b64 v173, v[176:177], v[178:179] offset0:2 offset1:3
	v_mov_b32_e32 v176, v156
	v_mov_b32_e32 v177, v157
	v_mov_b32_e32 v178, v132
	v_mov_b32_e32 v179, v133
	ds_write2_b64 v173, v[176:177], v[178:179] offset0:4 offset1:5
	v_mov_b32_e32 v176, v154
	v_mov_b32_e32 v177, v155
	v_mov_b32_e32 v178, v130
	v_mov_b32_e32 v179, v131
	;; [unrolled: 5-line block ×11, first 2 shown]
	ds_write2_b64 v173, v[176:177], v[178:179] offset0:24 offset1:25
	v_mov_b32_e32 v176, v134
	v_mov_b32_e32 v177, v135
	ds_write2_b64 v173, v[176:177], v[158:159] offset0:26 offset1:27
	ds_read_b32 v176, v171
	s_waitcnt lgkmcnt(0)
	v_cmp_neq_f32_e32 vcc, 0, v176
	s_and_b64 exec, exec, vcc
	s_cbranch_execz .LBB111_19
; %bb.18:
	v_div_scale_f32 v177, s[4:5], v176, v176, 1.0
	v_rcp_f32_e32 v178, v177
	v_div_scale_f32 v179, vcc, 1.0, v176, 1.0
	v_fma_f32 v180, -v177, v178, 1.0
	v_fmac_f32_e32 v178, v180, v178
	v_mul_f32_e32 v180, v179, v178
	v_fma_f32 v181, -v177, v180, v179
	v_fmac_f32_e32 v180, v181, v178
	v_fma_f32 v177, -v177, v180, v179
	v_div_fmas_f32 v177, v177, v178, v180
	v_div_fixup_f32 v176, v177, v176, 1.0
	ds_write_b32 v171, v176
.LBB111_19:
	s_or_b64 exec, exec, s[2:3]
	s_waitcnt lgkmcnt(0)
	s_barrier
	ds_read_b32 v176, v171
	v_cmp_lt_u32_e32 vcc, 3, v169
	s_and_saveexec_b64 s[2:3], vcc
	s_cbranch_execz .LBB111_21
; %bb.20:
	ds_read2_b64 v[178:181], v173 offset0:2 offset1:3
	ds_read2_b64 v[182:185], v173 offset0:4 offset1:5
	s_waitcnt vmcnt(6) lgkmcnt(2)
	v_mul_f32_e32 v190, v176, v163
	ds_read2_b64 v[186:189], v173 offset0:6 offset1:7
	v_mov_b32_e32 v163, v190
	s_waitcnt vmcnt(4) lgkmcnt(2)
	v_pk_fma_f32 v[164:165], v[190:191], v[178:179], v[164:165] op_sel_hi:[0,1,1] neg_lo:[1,0,0] neg_hi:[1,0,0]
	s_waitcnt vmcnt(2)
	v_pk_fma_f32 v[160:161], v[190:191], v[180:181], v[160:161] op_sel_hi:[0,1,1] neg_lo:[1,0,0] neg_hi:[1,0,0]
	ds_read2_b64 v[178:181], v173 offset0:8 offset1:9
	s_waitcnt lgkmcnt(2)
	v_pk_fma_f32 v[156:157], v[190:191], v[182:183], v[156:157] op_sel_hi:[0,1,1] neg_lo:[1,0,0] neg_hi:[1,0,0]
	v_pk_fma_f32 v[132:133], v[190:191], v[184:185], v[132:133] op_sel_hi:[0,1,1] neg_lo:[1,0,0] neg_hi:[1,0,0]
	s_waitcnt lgkmcnt(1)
	v_pk_fma_f32 v[154:155], v[190:191], v[186:187], v[154:155] op_sel_hi:[0,1,1] neg_lo:[1,0,0] neg_hi:[1,0,0]
	ds_read2_b64 v[182:185], v173 offset0:10 offset1:11
	v_pk_fma_f32 v[130:131], v[190:191], v[188:189], v[130:131] op_sel_hi:[0,1,1] neg_lo:[1,0,0] neg_hi:[1,0,0]
	s_waitcnt lgkmcnt(1)
	v_pk_fma_f32 v[152:153], v[190:191], v[178:179], v[152:153] op_sel_hi:[0,1,1] neg_lo:[1,0,0] neg_hi:[1,0,0]
	ds_read2_b64 v[186:189], v173 offset0:12 offset1:13
	v_pk_fma_f32 v[128:129], v[190:191], v[180:181], v[128:129] op_sel_hi:[0,1,1] neg_lo:[1,0,0] neg_hi:[1,0,0]
	ds_read2_b64 v[178:181], v173 offset0:14 offset1:15
	s_waitcnt lgkmcnt(2)
	v_pk_fma_f32 v[150:151], v[190:191], v[182:183], v[150:151] op_sel_hi:[0,1,1] neg_lo:[1,0,0] neg_hi:[1,0,0]
	v_pk_fma_f32 v[126:127], v[190:191], v[184:185], v[126:127] op_sel_hi:[0,1,1] neg_lo:[1,0,0] neg_hi:[1,0,0]
	s_waitcnt lgkmcnt(1)
	v_pk_fma_f32 v[148:149], v[190:191], v[186:187], v[148:149] op_sel_hi:[0,1,1] neg_lo:[1,0,0] neg_hi:[1,0,0]
	ds_read2_b64 v[182:185], v173 offset0:16 offset1:17
	v_pk_fma_f32 v[124:125], v[190:191], v[188:189], v[124:125] op_sel_hi:[0,1,1] neg_lo:[1,0,0] neg_hi:[1,0,0]
	s_waitcnt lgkmcnt(1)
	v_pk_fma_f32 v[146:147], v[190:191], v[178:179], v[146:147] op_sel_hi:[0,1,1] neg_lo:[1,0,0] neg_hi:[1,0,0]
	ds_read2_b64 v[186:189], v173 offset0:18 offset1:19
	v_pk_fma_f32 v[122:123], v[190:191], v[180:181], v[122:123] op_sel_hi:[0,1,1] neg_lo:[1,0,0] neg_hi:[1,0,0]
	ds_read2_b64 v[178:181], v173 offset0:20 offset1:21
	s_waitcnt lgkmcnt(2)
	v_pk_fma_f32 v[144:145], v[190:191], v[182:183], v[144:145] op_sel_hi:[0,1,1] neg_lo:[1,0,0] neg_hi:[1,0,0]
	v_pk_fma_f32 v[120:121], v[190:191], v[184:185], v[120:121] op_sel_hi:[0,1,1] neg_lo:[1,0,0] neg_hi:[1,0,0]
	s_waitcnt lgkmcnt(1)
	v_pk_fma_f32 v[142:143], v[190:191], v[186:187], v[142:143] op_sel_hi:[0,1,1] neg_lo:[1,0,0] neg_hi:[1,0,0]
	v_pk_fma_f32 v[118:119], v[190:191], v[188:189], v[118:119] op_sel_hi:[0,1,1] neg_lo:[1,0,0] neg_hi:[1,0,0]
	ds_read2_b64 v[182:185], v173 offset0:22 offset1:23
	ds_read2_b64 v[186:189], v173 offset0:24 offset1:25
	s_waitcnt lgkmcnt(2)
	v_pk_fma_f32 v[140:141], v[190:191], v[178:179], v[140:141] op_sel_hi:[0,1,1] neg_lo:[1,0,0] neg_hi:[1,0,0]
	v_pk_fma_f32 v[116:117], v[190:191], v[180:181], v[116:117] op_sel_hi:[0,1,1] neg_lo:[1,0,0] neg_hi:[1,0,0]
	ds_read2_b64 v[178:181], v173 offset0:26 offset1:27
	s_waitcnt lgkmcnt(2)
	v_pk_fma_f32 v[138:139], v[190:191], v[182:183], v[138:139] op_sel_hi:[0,1,1] neg_lo:[1,0,0] neg_hi:[1,0,0]
	v_pk_fma_f32 v[114:115], v[190:191], v[184:185], v[114:115] op_sel_hi:[0,1,1] neg_lo:[1,0,0] neg_hi:[1,0,0]
	s_waitcnt lgkmcnt(1)
	v_pk_fma_f32 v[136:137], v[190:191], v[186:187], v[136:137] op_sel_hi:[0,1,1] neg_lo:[1,0,0] neg_hi:[1,0,0]
	v_pk_fma_f32 v[112:113], v[190:191], v[188:189], v[112:113] op_sel_hi:[0,1,1] neg_lo:[1,0,0] neg_hi:[1,0,0]
	;; [unrolled: 3-line block ×3, first 2 shown]
.LBB111_21:
	s_or_b64 exec, exec, s[2:3]
	v_cmp_eq_u32_e32 vcc, 4, v169
	s_waitcnt lgkmcnt(0)
	s_barrier
	s_and_saveexec_b64 s[2:3], vcc
	s_cbranch_execz .LBB111_24
; %bb.22:
	s_waitcnt vmcnt(2)
	v_pk_mov_b32 v[178:179], v[164:165], v[160:161] op_sel:[1,0]
	ds_write_b32 v171, v164
	ds_write2_b32 v173, v178, v179 offset0:5 offset1:6
	v_pk_mov_b32 v[178:179], v[160:161], v[156:157] op_sel:[1,0]
	ds_write2_b32 v173, v178, v179 offset0:7 offset1:8
	v_pk_mov_b32 v[178:179], v[156:157], v[132:133] op_sel:[1,0]
	;; [unrolled: 2-line block ×24, first 2 shown]
	ds_write2_b32 v173, v178, v179 offset0:53 offset1:54
	ds_write_b32 v173, v159 offset:220
	ds_read_b32 v177, v171
	s_waitcnt lgkmcnt(0)
	v_cmp_neq_f32_e32 vcc, 0, v177
	s_and_b64 exec, exec, vcc
	s_cbranch_execz .LBB111_24
; %bb.23:
	v_div_scale_f32 v178, s[4:5], v177, v177, 1.0
	v_rcp_f32_e32 v179, v178
	v_div_scale_f32 v180, vcc, 1.0, v177, 1.0
	v_fma_f32 v181, -v178, v179, 1.0
	v_fmac_f32_e32 v179, v181, v179
	v_mul_f32_e32 v181, v180, v179
	v_fma_f32 v182, -v178, v181, v180
	v_fmac_f32_e32 v181, v182, v179
	v_fma_f32 v178, -v178, v181, v180
	v_div_fmas_f32 v178, v178, v179, v181
	v_div_fixup_f32 v177, v178, v177, 1.0
	ds_write_b32 v171, v177
.LBB111_24:
	s_or_b64 exec, exec, s[2:3]
	s_waitcnt lgkmcnt(0)
	s_barrier
	ds_read_b32 v177, v171
	v_cmp_lt_u32_e32 vcc, 4, v169
	s_and_saveexec_b64 s[2:3], vcc
	s_cbranch_execz .LBB111_26
; %bb.25:
	ds_read_b32 v190, v173 offset:20
	ds_read2_b64 v[178:181], v173 offset0:3 offset1:4
	s_waitcnt vmcnt(5) lgkmcnt(2)
	v_mul_f32_e32 v164, v177, v164
	ds_read2_b64 v[182:185], v173 offset0:5 offset1:6
	ds_read2_b64 v[186:189], v173 offset0:7 offset1:8
	s_waitcnt vmcnt(4) lgkmcnt(3)
	v_fma_f32 v165, -v164, v190, v165
	s_waitcnt vmcnt(2) lgkmcnt(2)
	v_pk_fma_f32 v[160:161], v[164:165], v[178:179], v[160:161] op_sel_hi:[0,1,1] neg_lo:[1,0,0] neg_hi:[1,0,0]
	v_pk_fma_f32 v[156:157], v[164:165], v[180:181], v[156:157] op_sel_hi:[0,1,1] neg_lo:[1,0,0] neg_hi:[1,0,0]
	ds_read2_b64 v[178:181], v173 offset0:9 offset1:10
	s_waitcnt lgkmcnt(2)
	v_pk_fma_f32 v[132:133], v[164:165], v[182:183], v[132:133] op_sel_hi:[0,1,1] neg_lo:[1,0,0] neg_hi:[1,0,0]
	v_pk_fma_f32 v[154:155], v[164:165], v[184:185], v[154:155] op_sel_hi:[0,1,1] neg_lo:[1,0,0] neg_hi:[1,0,0]
	s_waitcnt lgkmcnt(1)
	v_pk_fma_f32 v[130:131], v[164:165], v[186:187], v[130:131] op_sel_hi:[0,1,1] neg_lo:[1,0,0] neg_hi:[1,0,0]
	ds_read2_b64 v[182:185], v173 offset0:11 offset1:12
	v_pk_fma_f32 v[152:153], v[164:165], v[188:189], v[152:153] op_sel_hi:[0,1,1] neg_lo:[1,0,0] neg_hi:[1,0,0]
	s_waitcnt lgkmcnt(1)
	v_pk_fma_f32 v[128:129], v[164:165], v[178:179], v[128:129] op_sel_hi:[0,1,1] neg_lo:[1,0,0] neg_hi:[1,0,0]
	ds_read2_b64 v[186:189], v173 offset0:13 offset1:14
	v_pk_fma_f32 v[150:151], v[164:165], v[180:181], v[150:151] op_sel_hi:[0,1,1] neg_lo:[1,0,0] neg_hi:[1,0,0]
	ds_read2_b64 v[178:181], v173 offset0:15 offset1:16
	s_waitcnt lgkmcnt(2)
	v_pk_fma_f32 v[126:127], v[164:165], v[182:183], v[126:127] op_sel_hi:[0,1,1] neg_lo:[1,0,0] neg_hi:[1,0,0]
	v_pk_fma_f32 v[148:149], v[164:165], v[184:185], v[148:149] op_sel_hi:[0,1,1] neg_lo:[1,0,0] neg_hi:[1,0,0]
	s_waitcnt lgkmcnt(1)
	v_pk_fma_f32 v[124:125], v[164:165], v[186:187], v[124:125] op_sel_hi:[0,1,1] neg_lo:[1,0,0] neg_hi:[1,0,0]
	ds_read2_b64 v[182:185], v173 offset0:17 offset1:18
	v_pk_fma_f32 v[146:147], v[164:165], v[188:189], v[146:147] op_sel_hi:[0,1,1] neg_lo:[1,0,0] neg_hi:[1,0,0]
	s_waitcnt lgkmcnt(1)
	v_pk_fma_f32 v[122:123], v[164:165], v[178:179], v[122:123] op_sel_hi:[0,1,1] neg_lo:[1,0,0] neg_hi:[1,0,0]
	ds_read2_b64 v[186:189], v173 offset0:19 offset1:20
	v_pk_fma_f32 v[144:145], v[164:165], v[180:181], v[144:145] op_sel_hi:[0,1,1] neg_lo:[1,0,0] neg_hi:[1,0,0]
	ds_read2_b64 v[178:181], v173 offset0:21 offset1:22
	s_waitcnt lgkmcnt(2)
	v_pk_fma_f32 v[120:121], v[164:165], v[182:183], v[120:121] op_sel_hi:[0,1,1] neg_lo:[1,0,0] neg_hi:[1,0,0]
	v_pk_fma_f32 v[142:143], v[164:165], v[184:185], v[142:143] op_sel_hi:[0,1,1] neg_lo:[1,0,0] neg_hi:[1,0,0]
	s_waitcnt lgkmcnt(1)
	v_pk_fma_f32 v[118:119], v[164:165], v[186:187], v[118:119] op_sel_hi:[0,1,1] neg_lo:[1,0,0] neg_hi:[1,0,0]
	v_pk_fma_f32 v[140:141], v[164:165], v[188:189], v[140:141] op_sel_hi:[0,1,1] neg_lo:[1,0,0] neg_hi:[1,0,0]
	ds_read2_b64 v[182:185], v173 offset0:23 offset1:24
	s_waitcnt lgkmcnt(1)
	v_pk_fma_f32 v[116:117], v[164:165], v[178:179], v[116:117] op_sel_hi:[0,1,1] neg_lo:[1,0,0] neg_hi:[1,0,0]
	ds_read2_b64 v[186:189], v173 offset0:25 offset1:26
	ds_read_b64 v[178:179], v173 offset:216
	v_pk_fma_f32 v[138:139], v[164:165], v[180:181], v[138:139] op_sel_hi:[0,1,1] neg_lo:[1,0,0] neg_hi:[1,0,0]
	s_waitcnt lgkmcnt(2)
	v_pk_fma_f32 v[114:115], v[164:165], v[182:183], v[114:115] op_sel_hi:[0,1,1] neg_lo:[1,0,0] neg_hi:[1,0,0]
	v_pk_fma_f32 v[136:137], v[164:165], v[184:185], v[136:137] op_sel_hi:[0,1,1] neg_lo:[1,0,0] neg_hi:[1,0,0]
	s_waitcnt lgkmcnt(1)
	v_pk_fma_f32 v[112:113], v[164:165], v[186:187], v[112:113] op_sel_hi:[0,1,1] neg_lo:[1,0,0] neg_hi:[1,0,0]
	;; [unrolled: 3-line block ×3, first 2 shown]
.LBB111_26:
	s_or_b64 exec, exec, s[2:3]
	v_cmp_ne_u32_e32 vcc, 5, v169
	s_waitcnt lgkmcnt(0)
	s_barrier
	s_and_saveexec_b64 s[2:3], vcc
	s_xor_b64 s[2:3], exec, s[2:3]
	s_andn2_saveexec_b64 s[2:3], s[2:3]
	s_cbranch_execz .LBB111_30
; %bb.27:
	s_waitcnt vmcnt(4)
	ds_write_b32 v171, v165
	s_waitcnt vmcnt(2)
	ds_write2_b64 v173, v[160:161], v[156:157] offset0:3 offset1:4
	ds_write2_b64 v173, v[132:133], v[154:155] offset0:5 offset1:6
	;; [unrolled: 1-line block ×12, first 2 shown]
	ds_write_b64 v173, v[158:159] offset:216
	ds_read_b32 v178, v171
	s_waitcnt lgkmcnt(0)
	v_cmp_neq_f32_e32 vcc, 0, v178
	s_and_saveexec_b64 s[4:5], vcc
	s_cbranch_execz .LBB111_29
; %bb.28:
	v_div_scale_f32 v179, s[10:11], v178, v178, 1.0
	v_rcp_f32_e32 v180, v179
	v_div_scale_f32 v181, vcc, 1.0, v178, 1.0
	v_fma_f32 v182, -v179, v180, 1.0
	v_fmac_f32_e32 v180, v182, v180
	v_mul_f32_e32 v182, v181, v180
	v_fma_f32 v183, -v179, v182, v181
	v_fmac_f32_e32 v182, v183, v180
	v_fma_f32 v179, -v179, v182, v181
	v_div_fmas_f32 v179, v179, v180, v182
	v_div_fixup_f32 v178, v179, v178, 1.0
	ds_write_b32 v171, v178
.LBB111_29:
	s_or_b64 exec, exec, s[4:5]
.LBB111_30:
	s_or_b64 exec, exec, s[2:3]
	s_waitcnt lgkmcnt(0)
	s_barrier
	ds_read_b32 v178, v171
	v_cmp_lt_u32_e32 vcc, 5, v169
	s_and_saveexec_b64 s[2:3], vcc
	s_cbranch_execz .LBB111_32
; %bb.31:
	ds_read2_b64 v[180:183], v173 offset0:3 offset1:4
	ds_read2_b64 v[184:187], v173 offset0:5 offset1:6
	s_waitcnt vmcnt(4) lgkmcnt(2)
	v_mul_f32_e32 v192, v178, v165
	ds_read2_b64 v[188:191], v173 offset0:7 offset1:8
	v_mov_b32_e32 v165, v192
	s_waitcnt vmcnt(2) lgkmcnt(2)
	v_pk_fma_f32 v[160:161], v[192:193], v[180:181], v[160:161] op_sel_hi:[0,1,1] neg_lo:[1,0,0] neg_hi:[1,0,0]
	v_pk_fma_f32 v[156:157], v[192:193], v[182:183], v[156:157] op_sel_hi:[0,1,1] neg_lo:[1,0,0] neg_hi:[1,0,0]
	ds_read2_b64 v[180:183], v173 offset0:9 offset1:10
	s_waitcnt lgkmcnt(2)
	v_pk_fma_f32 v[132:133], v[192:193], v[184:185], v[132:133] op_sel_hi:[0,1,1] neg_lo:[1,0,0] neg_hi:[1,0,0]
	v_pk_fma_f32 v[154:155], v[192:193], v[186:187], v[154:155] op_sel_hi:[0,1,1] neg_lo:[1,0,0] neg_hi:[1,0,0]
	s_waitcnt lgkmcnt(1)
	v_pk_fma_f32 v[130:131], v[192:193], v[188:189], v[130:131] op_sel_hi:[0,1,1] neg_lo:[1,0,0] neg_hi:[1,0,0]
	ds_read2_b64 v[184:187], v173 offset0:11 offset1:12
	v_pk_fma_f32 v[152:153], v[192:193], v[190:191], v[152:153] op_sel_hi:[0,1,1] neg_lo:[1,0,0] neg_hi:[1,0,0]
	s_waitcnt lgkmcnt(1)
	v_pk_fma_f32 v[128:129], v[192:193], v[180:181], v[128:129] op_sel_hi:[0,1,1] neg_lo:[1,0,0] neg_hi:[1,0,0]
	ds_read2_b64 v[188:191], v173 offset0:13 offset1:14
	v_pk_fma_f32 v[150:151], v[192:193], v[182:183], v[150:151] op_sel_hi:[0,1,1] neg_lo:[1,0,0] neg_hi:[1,0,0]
	ds_read2_b64 v[180:183], v173 offset0:15 offset1:16
	s_waitcnt lgkmcnt(2)
	v_pk_fma_f32 v[126:127], v[192:193], v[184:185], v[126:127] op_sel_hi:[0,1,1] neg_lo:[1,0,0] neg_hi:[1,0,0]
	v_pk_fma_f32 v[148:149], v[192:193], v[186:187], v[148:149] op_sel_hi:[0,1,1] neg_lo:[1,0,0] neg_hi:[1,0,0]
	s_waitcnt lgkmcnt(1)
	v_pk_fma_f32 v[124:125], v[192:193], v[188:189], v[124:125] op_sel_hi:[0,1,1] neg_lo:[1,0,0] neg_hi:[1,0,0]
	ds_read2_b64 v[184:187], v173 offset0:17 offset1:18
	v_pk_fma_f32 v[146:147], v[192:193], v[190:191], v[146:147] op_sel_hi:[0,1,1] neg_lo:[1,0,0] neg_hi:[1,0,0]
	s_waitcnt lgkmcnt(1)
	v_pk_fma_f32 v[122:123], v[192:193], v[180:181], v[122:123] op_sel_hi:[0,1,1] neg_lo:[1,0,0] neg_hi:[1,0,0]
	ds_read2_b64 v[188:191], v173 offset0:19 offset1:20
	v_pk_fma_f32 v[144:145], v[192:193], v[182:183], v[144:145] op_sel_hi:[0,1,1] neg_lo:[1,0,0] neg_hi:[1,0,0]
	ds_read2_b64 v[180:183], v173 offset0:21 offset1:22
	s_waitcnt lgkmcnt(2)
	v_pk_fma_f32 v[120:121], v[192:193], v[184:185], v[120:121] op_sel_hi:[0,1,1] neg_lo:[1,0,0] neg_hi:[1,0,0]
	v_pk_fma_f32 v[142:143], v[192:193], v[186:187], v[142:143] op_sel_hi:[0,1,1] neg_lo:[1,0,0] neg_hi:[1,0,0]
	s_waitcnt lgkmcnt(1)
	v_pk_fma_f32 v[118:119], v[192:193], v[188:189], v[118:119] op_sel_hi:[0,1,1] neg_lo:[1,0,0] neg_hi:[1,0,0]
	v_pk_fma_f32 v[140:141], v[192:193], v[190:191], v[140:141] op_sel_hi:[0,1,1] neg_lo:[1,0,0] neg_hi:[1,0,0]
	ds_read2_b64 v[184:187], v173 offset0:23 offset1:24
	ds_read2_b64 v[188:191], v173 offset0:25 offset1:26
	s_waitcnt lgkmcnt(2)
	v_pk_fma_f32 v[116:117], v[192:193], v[180:181], v[116:117] op_sel_hi:[0,1,1] neg_lo:[1,0,0] neg_hi:[1,0,0]
	ds_read_b64 v[180:181], v173 offset:216
	v_pk_fma_f32 v[138:139], v[192:193], v[182:183], v[138:139] op_sel_hi:[0,1,1] neg_lo:[1,0,0] neg_hi:[1,0,0]
	s_waitcnt lgkmcnt(2)
	v_pk_fma_f32 v[114:115], v[192:193], v[184:185], v[114:115] op_sel_hi:[0,1,1] neg_lo:[1,0,0] neg_hi:[1,0,0]
	v_pk_fma_f32 v[136:137], v[192:193], v[186:187], v[136:137] op_sel_hi:[0,1,1] neg_lo:[1,0,0] neg_hi:[1,0,0]
	s_waitcnt lgkmcnt(1)
	v_pk_fma_f32 v[112:113], v[192:193], v[188:189], v[112:113] op_sel_hi:[0,1,1] neg_lo:[1,0,0] neg_hi:[1,0,0]
	;; [unrolled: 3-line block ×3, first 2 shown]
.LBB111_32:
	s_or_b64 exec, exec, s[2:3]
	v_cmp_eq_u32_e32 vcc, 6, v169
	s_waitcnt lgkmcnt(0)
	s_barrier
	s_and_saveexec_b64 s[2:3], vcc
	s_cbranch_execz .LBB111_35
; %bb.33:
	s_waitcnt vmcnt(2)
	v_pk_mov_b32 v[180:181], v[160:161], v[156:157] op_sel:[1,0]
	ds_write_b32 v171, v160
	ds_write2_b32 v173, v180, v181 offset0:7 offset1:8
	v_pk_mov_b32 v[180:181], v[156:157], v[132:133] op_sel:[1,0]
	ds_write2_b32 v173, v180, v181 offset0:9 offset1:10
	v_pk_mov_b32 v[180:181], v[132:133], v[154:155] op_sel:[1,0]
	;; [unrolled: 2-line block ×23, first 2 shown]
	ds_write2_b32 v173, v180, v181 offset0:53 offset1:54
	ds_write_b32 v173, v159 offset:220
	ds_read_b32 v179, v171
	s_waitcnt lgkmcnt(0)
	v_cmp_neq_f32_e32 vcc, 0, v179
	s_and_b64 exec, exec, vcc
	s_cbranch_execz .LBB111_35
; %bb.34:
	v_div_scale_f32 v180, s[4:5], v179, v179, 1.0
	v_rcp_f32_e32 v181, v180
	v_div_scale_f32 v182, vcc, 1.0, v179, 1.0
	v_fma_f32 v183, -v180, v181, 1.0
	v_fmac_f32_e32 v181, v183, v181
	v_mul_f32_e32 v183, v182, v181
	v_fma_f32 v184, -v180, v183, v182
	v_fmac_f32_e32 v183, v184, v181
	v_fma_f32 v180, -v180, v183, v182
	v_div_fmas_f32 v180, v180, v181, v183
	v_div_fixup_f32 v179, v180, v179, 1.0
	ds_write_b32 v171, v179
.LBB111_35:
	s_or_b64 exec, exec, s[2:3]
	s_waitcnt lgkmcnt(0)
	s_barrier
	ds_read_b32 v179, v171
	v_cmp_lt_u32_e32 vcc, 6, v169
	s_and_saveexec_b64 s[2:3], vcc
	s_cbranch_execz .LBB111_37
; %bb.36:
	ds_read_b32 v192, v173 offset:28
	ds_read2_b64 v[180:183], v173 offset0:4 offset1:5
	ds_read2_b64 v[184:187], v173 offset0:6 offset1:7
	;; [unrolled: 1-line block ×3, first 2 shown]
	s_waitcnt vmcnt(3) lgkmcnt(4)
	v_mul_f32_e32 v160, v179, v160
	s_waitcnt vmcnt(2) lgkmcnt(3)
	v_fma_f32 v161, -v160, v192, v161
	s_waitcnt lgkmcnt(2)
	v_pk_fma_f32 v[156:157], v[160:161], v[180:181], v[156:157] op_sel_hi:[0,1,1] neg_lo:[1,0,0] neg_hi:[1,0,0]
	v_pk_fma_f32 v[132:133], v[160:161], v[182:183], v[132:133] op_sel_hi:[0,1,1] neg_lo:[1,0,0] neg_hi:[1,0,0]
	s_waitcnt lgkmcnt(1)
	v_pk_fma_f32 v[154:155], v[160:161], v[184:185], v[154:155] op_sel_hi:[0,1,1] neg_lo:[1,0,0] neg_hi:[1,0,0]
	ds_read2_b64 v[180:183], v173 offset0:10 offset1:11
	v_pk_fma_f32 v[130:131], v[160:161], v[186:187], v[130:131] op_sel_hi:[0,1,1] neg_lo:[1,0,0] neg_hi:[1,0,0]
	s_waitcnt lgkmcnt(1)
	v_pk_fma_f32 v[152:153], v[160:161], v[188:189], v[152:153] op_sel_hi:[0,1,1] neg_lo:[1,0,0] neg_hi:[1,0,0]
	ds_read2_b64 v[184:187], v173 offset0:12 offset1:13
	v_pk_fma_f32 v[128:129], v[160:161], v[190:191], v[128:129] op_sel_hi:[0,1,1] neg_lo:[1,0,0] neg_hi:[1,0,0]
	ds_read2_b64 v[188:191], v173 offset0:14 offset1:15
	s_waitcnt lgkmcnt(2)
	v_pk_fma_f32 v[150:151], v[160:161], v[180:181], v[150:151] op_sel_hi:[0,1,1] neg_lo:[1,0,0] neg_hi:[1,0,0]
	v_pk_fma_f32 v[126:127], v[160:161], v[182:183], v[126:127] op_sel_hi:[0,1,1] neg_lo:[1,0,0] neg_hi:[1,0,0]
	s_waitcnt lgkmcnt(1)
	v_pk_fma_f32 v[148:149], v[160:161], v[184:185], v[148:149] op_sel_hi:[0,1,1] neg_lo:[1,0,0] neg_hi:[1,0,0]
	ds_read2_b64 v[180:183], v173 offset0:16 offset1:17
	v_pk_fma_f32 v[124:125], v[160:161], v[186:187], v[124:125] op_sel_hi:[0,1,1] neg_lo:[1,0,0] neg_hi:[1,0,0]
	s_waitcnt lgkmcnt(1)
	v_pk_fma_f32 v[146:147], v[160:161], v[188:189], v[146:147] op_sel_hi:[0,1,1] neg_lo:[1,0,0] neg_hi:[1,0,0]
	ds_read2_b64 v[184:187], v173 offset0:18 offset1:19
	v_pk_fma_f32 v[122:123], v[160:161], v[190:191], v[122:123] op_sel_hi:[0,1,1] neg_lo:[1,0,0] neg_hi:[1,0,0]
	ds_read2_b64 v[188:191], v173 offset0:20 offset1:21
	s_waitcnt lgkmcnt(2)
	v_pk_fma_f32 v[144:145], v[160:161], v[180:181], v[144:145] op_sel_hi:[0,1,1] neg_lo:[1,0,0] neg_hi:[1,0,0]
	v_pk_fma_f32 v[120:121], v[160:161], v[182:183], v[120:121] op_sel_hi:[0,1,1] neg_lo:[1,0,0] neg_hi:[1,0,0]
	s_waitcnt lgkmcnt(1)
	v_pk_fma_f32 v[142:143], v[160:161], v[184:185], v[142:143] op_sel_hi:[0,1,1] neg_lo:[1,0,0] neg_hi:[1,0,0]
	v_pk_fma_f32 v[118:119], v[160:161], v[186:187], v[118:119] op_sel_hi:[0,1,1] neg_lo:[1,0,0] neg_hi:[1,0,0]
	ds_read2_b64 v[180:183], v173 offset0:22 offset1:23
	ds_read2_b64 v[184:187], v173 offset0:24 offset1:25
	s_waitcnt lgkmcnt(2)
	v_pk_fma_f32 v[140:141], v[160:161], v[188:189], v[140:141] op_sel_hi:[0,1,1] neg_lo:[1,0,0] neg_hi:[1,0,0]
	v_pk_fma_f32 v[116:117], v[160:161], v[190:191], v[116:117] op_sel_hi:[0,1,1] neg_lo:[1,0,0] neg_hi:[1,0,0]
	ds_read2_b64 v[188:191], v173 offset0:26 offset1:27
	s_waitcnt lgkmcnt(2)
	v_pk_fma_f32 v[138:139], v[160:161], v[180:181], v[138:139] op_sel_hi:[0,1,1] neg_lo:[1,0,0] neg_hi:[1,0,0]
	v_pk_fma_f32 v[114:115], v[160:161], v[182:183], v[114:115] op_sel_hi:[0,1,1] neg_lo:[1,0,0] neg_hi:[1,0,0]
	s_waitcnt lgkmcnt(1)
	v_pk_fma_f32 v[136:137], v[160:161], v[184:185], v[136:137] op_sel_hi:[0,1,1] neg_lo:[1,0,0] neg_hi:[1,0,0]
	v_pk_fma_f32 v[112:113], v[160:161], v[186:187], v[112:113] op_sel_hi:[0,1,1] neg_lo:[1,0,0] neg_hi:[1,0,0]
	;; [unrolled: 3-line block ×3, first 2 shown]
.LBB111_37:
	s_or_b64 exec, exec, s[2:3]
	v_cmp_ne_u32_e32 vcc, 7, v169
	s_waitcnt lgkmcnt(0)
	s_barrier
	s_and_saveexec_b64 s[2:3], vcc
	s_xor_b64 s[2:3], exec, s[2:3]
	s_andn2_saveexec_b64 s[2:3], s[2:3]
	s_cbranch_execz .LBB111_41
; %bb.38:
	s_waitcnt vmcnt(55)
	v_mov_b32_e32 v180, v156
	s_waitcnt vmcnt(54)
	v_mov_b32_e32 v181, v157
	s_waitcnt vmcnt(53)
	v_mov_b32_e32 v182, v132
	s_waitcnt vmcnt(52)
	v_mov_b32_e32 v183, v133
	s_waitcnt vmcnt(2)
	ds_write_b32 v171, v161
	ds_write2_b64 v173, v[180:181], v[182:183] offset0:4 offset1:5
	v_mov_b32_e32 v180, v154
	v_mov_b32_e32 v181, v155
	v_mov_b32_e32 v182, v130
	v_mov_b32_e32 v183, v131
	ds_write2_b64 v173, v[180:181], v[182:183] offset0:6 offset1:7
	v_mov_b32_e32 v180, v152
	v_mov_b32_e32 v181, v153
	v_mov_b32_e32 v182, v128
	v_mov_b32_e32 v183, v129
	;; [unrolled: 5-line block ×10, first 2 shown]
	ds_write2_b64 v173, v[180:181], v[182:183] offset0:24 offset1:25
	v_mov_b32_e32 v180, v134
	v_mov_b32_e32 v181, v135
	ds_write2_b64 v173, v[180:181], v[158:159] offset0:26 offset1:27
	ds_read_b32 v180, v171
	s_waitcnt lgkmcnt(0)
	v_cmp_neq_f32_e32 vcc, 0, v180
	s_and_saveexec_b64 s[4:5], vcc
	s_cbranch_execz .LBB111_40
; %bb.39:
	v_div_scale_f32 v181, s[10:11], v180, v180, 1.0
	v_rcp_f32_e32 v182, v181
	v_div_scale_f32 v183, vcc, 1.0, v180, 1.0
	v_fma_f32 v184, -v181, v182, 1.0
	v_fmac_f32_e32 v182, v184, v182
	v_mul_f32_e32 v184, v183, v182
	v_fma_f32 v185, -v181, v184, v183
	v_fmac_f32_e32 v184, v185, v182
	v_fma_f32 v181, -v181, v184, v183
	v_div_fmas_f32 v181, v181, v182, v184
	v_div_fixup_f32 v180, v181, v180, 1.0
	ds_write_b32 v171, v180
.LBB111_40:
	s_or_b64 exec, exec, s[4:5]
.LBB111_41:
	s_or_b64 exec, exec, s[2:3]
	s_waitcnt lgkmcnt(0)
	s_barrier
	ds_read_b32 v180, v171
	v_cmp_lt_u32_e32 vcc, 7, v169
	s_and_saveexec_b64 s[2:3], vcc
	s_cbranch_execz .LBB111_43
; %bb.42:
	ds_read2_b64 v[182:185], v173 offset0:4 offset1:5
	ds_read2_b64 v[186:189], v173 offset0:6 offset1:7
	ds_read2_b64 v[190:193], v173 offset0:8 offset1:9
	s_waitcnt vmcnt(2) lgkmcnt(3)
	v_mul_f32_e32 v194, v180, v161
	v_mov_b32_e32 v161, v194
	s_waitcnt lgkmcnt(2)
	v_pk_fma_f32 v[156:157], v[194:195], v[182:183], v[156:157] op_sel_hi:[0,1,1] neg_lo:[1,0,0] neg_hi:[1,0,0]
	v_pk_fma_f32 v[132:133], v[194:195], v[184:185], v[132:133] op_sel_hi:[0,1,1] neg_lo:[1,0,0] neg_hi:[1,0,0]
	s_waitcnt lgkmcnt(1)
	v_pk_fma_f32 v[154:155], v[194:195], v[186:187], v[154:155] op_sel_hi:[0,1,1] neg_lo:[1,0,0] neg_hi:[1,0,0]
	ds_read2_b64 v[182:185], v173 offset0:10 offset1:11
	v_pk_fma_f32 v[130:131], v[194:195], v[188:189], v[130:131] op_sel_hi:[0,1,1] neg_lo:[1,0,0] neg_hi:[1,0,0]
	s_waitcnt lgkmcnt(1)
	v_pk_fma_f32 v[152:153], v[194:195], v[190:191], v[152:153] op_sel_hi:[0,1,1] neg_lo:[1,0,0] neg_hi:[1,0,0]
	ds_read2_b64 v[186:189], v173 offset0:12 offset1:13
	v_pk_fma_f32 v[128:129], v[194:195], v[192:193], v[128:129] op_sel_hi:[0,1,1] neg_lo:[1,0,0] neg_hi:[1,0,0]
	ds_read2_b64 v[190:193], v173 offset0:14 offset1:15
	s_waitcnt lgkmcnt(2)
	v_pk_fma_f32 v[150:151], v[194:195], v[182:183], v[150:151] op_sel_hi:[0,1,1] neg_lo:[1,0,0] neg_hi:[1,0,0]
	v_pk_fma_f32 v[126:127], v[194:195], v[184:185], v[126:127] op_sel_hi:[0,1,1] neg_lo:[1,0,0] neg_hi:[1,0,0]
	s_waitcnt lgkmcnt(1)
	v_pk_fma_f32 v[148:149], v[194:195], v[186:187], v[148:149] op_sel_hi:[0,1,1] neg_lo:[1,0,0] neg_hi:[1,0,0]
	ds_read2_b64 v[182:185], v173 offset0:16 offset1:17
	v_pk_fma_f32 v[124:125], v[194:195], v[188:189], v[124:125] op_sel_hi:[0,1,1] neg_lo:[1,0,0] neg_hi:[1,0,0]
	s_waitcnt lgkmcnt(1)
	v_pk_fma_f32 v[146:147], v[194:195], v[190:191], v[146:147] op_sel_hi:[0,1,1] neg_lo:[1,0,0] neg_hi:[1,0,0]
	ds_read2_b64 v[186:189], v173 offset0:18 offset1:19
	v_pk_fma_f32 v[122:123], v[194:195], v[192:193], v[122:123] op_sel_hi:[0,1,1] neg_lo:[1,0,0] neg_hi:[1,0,0]
	ds_read2_b64 v[190:193], v173 offset0:20 offset1:21
	s_waitcnt lgkmcnt(2)
	v_pk_fma_f32 v[144:145], v[194:195], v[182:183], v[144:145] op_sel_hi:[0,1,1] neg_lo:[1,0,0] neg_hi:[1,0,0]
	v_pk_fma_f32 v[120:121], v[194:195], v[184:185], v[120:121] op_sel_hi:[0,1,1] neg_lo:[1,0,0] neg_hi:[1,0,0]
	s_waitcnt lgkmcnt(1)
	v_pk_fma_f32 v[142:143], v[194:195], v[186:187], v[142:143] op_sel_hi:[0,1,1] neg_lo:[1,0,0] neg_hi:[1,0,0]
	v_pk_fma_f32 v[118:119], v[194:195], v[188:189], v[118:119] op_sel_hi:[0,1,1] neg_lo:[1,0,0] neg_hi:[1,0,0]
	ds_read2_b64 v[182:185], v173 offset0:22 offset1:23
	s_waitcnt lgkmcnt(1)
	v_pk_fma_f32 v[140:141], v[194:195], v[190:191], v[140:141] op_sel_hi:[0,1,1] neg_lo:[1,0,0] neg_hi:[1,0,0]
	ds_read2_b64 v[186:189], v173 offset0:24 offset1:25
	v_pk_fma_f32 v[116:117], v[194:195], v[192:193], v[116:117] op_sel_hi:[0,1,1] neg_lo:[1,0,0] neg_hi:[1,0,0]
	ds_read2_b64 v[190:193], v173 offset0:26 offset1:27
	s_waitcnt lgkmcnt(2)
	v_pk_fma_f32 v[138:139], v[194:195], v[182:183], v[138:139] op_sel_hi:[0,1,1] neg_lo:[1,0,0] neg_hi:[1,0,0]
	v_pk_fma_f32 v[114:115], v[194:195], v[184:185], v[114:115] op_sel_hi:[0,1,1] neg_lo:[1,0,0] neg_hi:[1,0,0]
	s_waitcnt lgkmcnt(1)
	v_pk_fma_f32 v[136:137], v[194:195], v[186:187], v[136:137] op_sel_hi:[0,1,1] neg_lo:[1,0,0] neg_hi:[1,0,0]
	v_pk_fma_f32 v[112:113], v[194:195], v[188:189], v[112:113] op_sel_hi:[0,1,1] neg_lo:[1,0,0] neg_hi:[1,0,0]
	;; [unrolled: 3-line block ×3, first 2 shown]
.LBB111_43:
	s_or_b64 exec, exec, s[2:3]
	v_cmp_eq_u32_e32 vcc, 8, v169
	s_waitcnt lgkmcnt(0)
	s_barrier
	s_and_saveexec_b64 s[2:3], vcc
	s_cbranch_execz .LBB111_46
; %bb.44:
	s_waitcnt vmcnt(52)
	v_pk_mov_b32 v[182:183], v[156:157], v[132:133] op_sel:[1,0]
	ds_write_b32 v171, v156
	ds_write2_b32 v173, v182, v183 offset0:9 offset1:10
	s_waitcnt vmcnt(50)
	v_pk_mov_b32 v[182:183], v[132:133], v[154:155] op_sel:[1,0]
	ds_write2_b32 v173, v182, v183 offset0:11 offset1:12
	s_waitcnt vmcnt(48)
	v_pk_mov_b32 v[182:183], v[154:155], v[130:131] op_sel:[1,0]
	ds_write2_b32 v173, v182, v183 offset0:13 offset1:14
	s_waitcnt vmcnt(46)
	v_pk_mov_b32 v[182:183], v[130:131], v[152:153] op_sel:[1,0]
	ds_write2_b32 v173, v182, v183 offset0:15 offset1:16
	s_waitcnt vmcnt(44)
	v_pk_mov_b32 v[182:183], v[152:153], v[128:129] op_sel:[1,0]
	ds_write2_b32 v173, v182, v183 offset0:17 offset1:18
	s_waitcnt vmcnt(42)
	v_pk_mov_b32 v[182:183], v[128:129], v[150:151] op_sel:[1,0]
	ds_write2_b32 v173, v182, v183 offset0:19 offset1:20
	s_waitcnt vmcnt(40)
	v_pk_mov_b32 v[182:183], v[150:151], v[126:127] op_sel:[1,0]
	ds_write2_b32 v173, v182, v183 offset0:21 offset1:22
	s_waitcnt vmcnt(38)
	v_pk_mov_b32 v[182:183], v[126:127], v[148:149] op_sel:[1,0]
	ds_write2_b32 v173, v182, v183 offset0:23 offset1:24
	s_waitcnt vmcnt(36)
	v_pk_mov_b32 v[182:183], v[148:149], v[124:125] op_sel:[1,0]
	ds_write2_b32 v173, v182, v183 offset0:25 offset1:26
	s_waitcnt vmcnt(34)
	v_pk_mov_b32 v[182:183], v[124:125], v[146:147] op_sel:[1,0]
	ds_write2_b32 v173, v182, v183 offset0:27 offset1:28
	s_waitcnt vmcnt(32)
	v_pk_mov_b32 v[182:183], v[146:147], v[122:123] op_sel:[1,0]
	ds_write2_b32 v173, v182, v183 offset0:29 offset1:30
	s_waitcnt vmcnt(30)
	v_pk_mov_b32 v[182:183], v[122:123], v[144:145] op_sel:[1,0]
	ds_write2_b32 v173, v182, v183 offset0:31 offset1:32
	s_waitcnt vmcnt(28)
	v_pk_mov_b32 v[182:183], v[144:145], v[120:121] op_sel:[1,0]
	ds_write2_b32 v173, v182, v183 offset0:33 offset1:34
	s_waitcnt vmcnt(26)
	v_pk_mov_b32 v[182:183], v[120:121], v[142:143] op_sel:[1,0]
	ds_write2_b32 v173, v182, v183 offset0:35 offset1:36
	s_waitcnt vmcnt(24)
	v_pk_mov_b32 v[182:183], v[142:143], v[118:119] op_sel:[1,0]
	ds_write2_b32 v173, v182, v183 offset0:37 offset1:38
	s_waitcnt vmcnt(22)
	v_pk_mov_b32 v[182:183], v[118:119], v[140:141] op_sel:[1,0]
	ds_write2_b32 v173, v182, v183 offset0:39 offset1:40
	s_waitcnt vmcnt(20)
	v_pk_mov_b32 v[182:183], v[140:141], v[116:117] op_sel:[1,0]
	ds_write2_b32 v173, v182, v183 offset0:41 offset1:42
	s_waitcnt vmcnt(18)
	v_pk_mov_b32 v[182:183], v[116:117], v[138:139] op_sel:[1,0]
	ds_write2_b32 v173, v182, v183 offset0:43 offset1:44
	s_waitcnt vmcnt(16)
	v_pk_mov_b32 v[182:183], v[138:139], v[114:115] op_sel:[1,0]
	ds_write2_b32 v173, v182, v183 offset0:45 offset1:46
	s_waitcnt vmcnt(14)
	v_pk_mov_b32 v[182:183], v[114:115], v[136:137] op_sel:[1,0]
	ds_write2_b32 v173, v182, v183 offset0:47 offset1:48
	s_waitcnt vmcnt(12)
	v_pk_mov_b32 v[182:183], v[136:137], v[112:113] op_sel:[1,0]
	ds_write2_b32 v173, v182, v183 offset0:49 offset1:50
	s_waitcnt vmcnt(10)
	v_pk_mov_b32 v[182:183], v[112:113], v[134:135] op_sel:[1,0]
	ds_write2_b32 v173, v182, v183 offset0:51 offset1:52
	s_waitcnt vmcnt(8)
	v_pk_mov_b32 v[182:183], v[134:135], v[158:159] op_sel:[1,0]
	ds_write2_b32 v173, v182, v183 offset0:53 offset1:54
	ds_write_b32 v173, v159 offset:220
	ds_read_b32 v181, v171
	s_waitcnt lgkmcnt(0)
	v_cmp_neq_f32_e32 vcc, 0, v181
	s_and_b64 exec, exec, vcc
	s_cbranch_execz .LBB111_46
; %bb.45:
	v_div_scale_f32 v182, s[4:5], v181, v181, 1.0
	v_rcp_f32_e32 v183, v182
	v_div_scale_f32 v184, vcc, 1.0, v181, 1.0
	v_fma_f32 v185, -v182, v183, 1.0
	v_fmac_f32_e32 v183, v185, v183
	v_mul_f32_e32 v185, v184, v183
	v_fma_f32 v186, -v182, v185, v184
	v_fmac_f32_e32 v185, v186, v183
	v_fma_f32 v182, -v182, v185, v184
	v_div_fmas_f32 v182, v182, v183, v185
	v_div_fixup_f32 v181, v182, v181, 1.0
	ds_write_b32 v171, v181
.LBB111_46:
	s_or_b64 exec, exec, s[2:3]
	s_waitcnt lgkmcnt(0)
	s_barrier
	ds_read_b32 v181, v171
	v_cmp_lt_u32_e32 vcc, 8, v169
	s_and_saveexec_b64 s[2:3], vcc
	s_cbranch_execz .LBB111_48
; %bb.47:
	ds_read_b32 v194, v173 offset:36
	ds_read2_b64 v[182:185], v173 offset0:5 offset1:6
	ds_read2_b64 v[186:189], v173 offset0:7 offset1:8
	;; [unrolled: 1-line block ×3, first 2 shown]
	s_waitcnt vmcnt(55) lgkmcnt(4)
	v_mul_f32_e32 v156, v181, v156
	s_waitcnt vmcnt(54) lgkmcnt(3)
	v_fma_f32 v157, -v156, v194, v157
	s_waitcnt vmcnt(52) lgkmcnt(2)
	v_pk_fma_f32 v[132:133], v[156:157], v[182:183], v[132:133] op_sel_hi:[0,1,1] neg_lo:[1,0,0] neg_hi:[1,0,0]
	s_waitcnt vmcnt(50)
	v_pk_fma_f32 v[154:155], v[156:157], v[184:185], v[154:155] op_sel_hi:[0,1,1] neg_lo:[1,0,0] neg_hi:[1,0,0]
	s_waitcnt vmcnt(48) lgkmcnt(1)
	v_pk_fma_f32 v[130:131], v[156:157], v[186:187], v[130:131] op_sel_hi:[0,1,1] neg_lo:[1,0,0] neg_hi:[1,0,0]
	ds_read2_b64 v[182:185], v173 offset0:11 offset1:12
	s_waitcnt vmcnt(46)
	v_pk_fma_f32 v[152:153], v[156:157], v[188:189], v[152:153] op_sel_hi:[0,1,1] neg_lo:[1,0,0] neg_hi:[1,0,0]
	s_waitcnt vmcnt(44) lgkmcnt(1)
	v_pk_fma_f32 v[128:129], v[156:157], v[190:191], v[128:129] op_sel_hi:[0,1,1] neg_lo:[1,0,0] neg_hi:[1,0,0]
	ds_read2_b64 v[186:189], v173 offset0:13 offset1:14
	s_waitcnt vmcnt(42)
	v_pk_fma_f32 v[150:151], v[156:157], v[192:193], v[150:151] op_sel_hi:[0,1,1] neg_lo:[1,0,0] neg_hi:[1,0,0]
	ds_read2_b64 v[190:193], v173 offset0:15 offset1:16
	s_waitcnt vmcnt(40) lgkmcnt(2)
	v_pk_fma_f32 v[126:127], v[156:157], v[182:183], v[126:127] op_sel_hi:[0,1,1] neg_lo:[1,0,0] neg_hi:[1,0,0]
	s_waitcnt vmcnt(38)
	v_pk_fma_f32 v[148:149], v[156:157], v[184:185], v[148:149] op_sel_hi:[0,1,1] neg_lo:[1,0,0] neg_hi:[1,0,0]
	s_waitcnt vmcnt(36) lgkmcnt(1)
	v_pk_fma_f32 v[124:125], v[156:157], v[186:187], v[124:125] op_sel_hi:[0,1,1] neg_lo:[1,0,0] neg_hi:[1,0,0]
	ds_read2_b64 v[182:185], v173 offset0:17 offset1:18
	s_waitcnt vmcnt(34)
	v_pk_fma_f32 v[146:147], v[156:157], v[188:189], v[146:147] op_sel_hi:[0,1,1] neg_lo:[1,0,0] neg_hi:[1,0,0]
	s_waitcnt vmcnt(32) lgkmcnt(1)
	v_pk_fma_f32 v[122:123], v[156:157], v[190:191], v[122:123] op_sel_hi:[0,1,1] neg_lo:[1,0,0] neg_hi:[1,0,0]
	ds_read2_b64 v[186:189], v173 offset0:19 offset1:20
	s_waitcnt vmcnt(30)
	v_pk_fma_f32 v[144:145], v[156:157], v[192:193], v[144:145] op_sel_hi:[0,1,1] neg_lo:[1,0,0] neg_hi:[1,0,0]
	ds_read2_b64 v[190:193], v173 offset0:21 offset1:22
	s_waitcnt vmcnt(28) lgkmcnt(2)
	v_pk_fma_f32 v[120:121], v[156:157], v[182:183], v[120:121] op_sel_hi:[0,1,1] neg_lo:[1,0,0] neg_hi:[1,0,0]
	s_waitcnt vmcnt(26)
	v_pk_fma_f32 v[142:143], v[156:157], v[184:185], v[142:143] op_sel_hi:[0,1,1] neg_lo:[1,0,0] neg_hi:[1,0,0]
	s_waitcnt vmcnt(24) lgkmcnt(1)
	v_pk_fma_f32 v[118:119], v[156:157], v[186:187], v[118:119] op_sel_hi:[0,1,1] neg_lo:[1,0,0] neg_hi:[1,0,0]
	s_waitcnt vmcnt(22)
	v_pk_fma_f32 v[140:141], v[156:157], v[188:189], v[140:141] op_sel_hi:[0,1,1] neg_lo:[1,0,0] neg_hi:[1,0,0]
	ds_read2_b64 v[182:185], v173 offset0:23 offset1:24
	ds_read2_b64 v[186:189], v173 offset0:25 offset1:26
	s_waitcnt vmcnt(20) lgkmcnt(2)
	v_pk_fma_f32 v[116:117], v[156:157], v[190:191], v[116:117] op_sel_hi:[0,1,1] neg_lo:[1,0,0] neg_hi:[1,0,0]
	ds_read_b64 v[190:191], v173 offset:216
	s_waitcnt vmcnt(18)
	v_pk_fma_f32 v[138:139], v[156:157], v[192:193], v[138:139] op_sel_hi:[0,1,1] neg_lo:[1,0,0] neg_hi:[1,0,0]
	s_waitcnt vmcnt(16) lgkmcnt(2)
	v_pk_fma_f32 v[114:115], v[156:157], v[182:183], v[114:115] op_sel_hi:[0,1,1] neg_lo:[1,0,0] neg_hi:[1,0,0]
	s_waitcnt vmcnt(14)
	v_pk_fma_f32 v[136:137], v[156:157], v[184:185], v[136:137] op_sel_hi:[0,1,1] neg_lo:[1,0,0] neg_hi:[1,0,0]
	s_waitcnt vmcnt(12) lgkmcnt(1)
	v_pk_fma_f32 v[112:113], v[156:157], v[186:187], v[112:113] op_sel_hi:[0,1,1] neg_lo:[1,0,0] neg_hi:[1,0,0]
	;; [unrolled: 4-line block ×3, first 2 shown]
.LBB111_48:
	s_or_b64 exec, exec, s[2:3]
	v_cmp_ne_u32_e32 vcc, 9, v169
	s_waitcnt lgkmcnt(0)
	s_barrier
	s_and_saveexec_b64 s[2:3], vcc
	s_xor_b64 s[2:3], exec, s[2:3]
	s_andn2_saveexec_b64 s[2:3], s[2:3]
	s_cbranch_execz .LBB111_52
; %bb.49:
	s_waitcnt vmcnt(54)
	ds_write_b32 v171, v157
	s_waitcnt vmcnt(50)
	ds_write2_b64 v173, v[132:133], v[154:155] offset0:5 offset1:6
	s_waitcnt vmcnt(46)
	ds_write2_b64 v173, v[130:131], v[152:153] offset0:7 offset1:8
	;; [unrolled: 2-line block ×11, first 2 shown]
	s_waitcnt vmcnt(8)
	ds_write_b64 v173, v[158:159] offset:216
	ds_read_b32 v182, v171
	s_waitcnt lgkmcnt(0)
	v_cmp_neq_f32_e32 vcc, 0, v182
	s_and_saveexec_b64 s[4:5], vcc
	s_cbranch_execz .LBB111_51
; %bb.50:
	v_div_scale_f32 v183, s[10:11], v182, v182, 1.0
	v_rcp_f32_e32 v184, v183
	v_div_scale_f32 v185, vcc, 1.0, v182, 1.0
	v_fma_f32 v186, -v183, v184, 1.0
	v_fmac_f32_e32 v184, v186, v184
	v_mul_f32_e32 v186, v185, v184
	v_fma_f32 v187, -v183, v186, v185
	v_fmac_f32_e32 v186, v187, v184
	v_fma_f32 v183, -v183, v186, v185
	v_div_fmas_f32 v183, v183, v184, v186
	v_div_fixup_f32 v182, v183, v182, 1.0
	ds_write_b32 v171, v182
.LBB111_51:
	s_or_b64 exec, exec, s[4:5]
.LBB111_52:
	s_or_b64 exec, exec, s[2:3]
	s_waitcnt lgkmcnt(0)
	s_barrier
	ds_read_b32 v182, v171
	v_cmp_lt_u32_e32 vcc, 9, v169
	s_and_saveexec_b64 s[2:3], vcc
	s_cbranch_execz .LBB111_54
; %bb.53:
	ds_read2_b64 v[184:187], v173 offset0:5 offset1:6
	ds_read2_b64 v[188:191], v173 offset0:7 offset1:8
	;; [unrolled: 1-line block ×3, first 2 shown]
	s_waitcnt vmcnt(54) lgkmcnt(3)
	v_mul_f32_e32 v196, v182, v157
	v_mov_b32_e32 v157, v196
	s_waitcnt vmcnt(52) lgkmcnt(2)
	v_pk_fma_f32 v[132:133], v[196:197], v[184:185], v[132:133] op_sel_hi:[0,1,1] neg_lo:[1,0,0] neg_hi:[1,0,0]
	s_waitcnt vmcnt(50)
	v_pk_fma_f32 v[154:155], v[196:197], v[186:187], v[154:155] op_sel_hi:[0,1,1] neg_lo:[1,0,0] neg_hi:[1,0,0]
	s_waitcnt vmcnt(48) lgkmcnt(1)
	v_pk_fma_f32 v[130:131], v[196:197], v[188:189], v[130:131] op_sel_hi:[0,1,1] neg_lo:[1,0,0] neg_hi:[1,0,0]
	ds_read2_b64 v[184:187], v173 offset0:11 offset1:12
	s_waitcnt vmcnt(46)
	v_pk_fma_f32 v[152:153], v[196:197], v[190:191], v[152:153] op_sel_hi:[0,1,1] neg_lo:[1,0,0] neg_hi:[1,0,0]
	s_waitcnt vmcnt(44) lgkmcnt(1)
	v_pk_fma_f32 v[128:129], v[196:197], v[192:193], v[128:129] op_sel_hi:[0,1,1] neg_lo:[1,0,0] neg_hi:[1,0,0]
	ds_read2_b64 v[188:191], v173 offset0:13 offset1:14
	s_waitcnt vmcnt(42)
	v_pk_fma_f32 v[150:151], v[196:197], v[194:195], v[150:151] op_sel_hi:[0,1,1] neg_lo:[1,0,0] neg_hi:[1,0,0]
	ds_read2_b64 v[192:195], v173 offset0:15 offset1:16
	s_waitcnt vmcnt(40) lgkmcnt(2)
	v_pk_fma_f32 v[126:127], v[196:197], v[184:185], v[126:127] op_sel_hi:[0,1,1] neg_lo:[1,0,0] neg_hi:[1,0,0]
	s_waitcnt vmcnt(38)
	v_pk_fma_f32 v[148:149], v[196:197], v[186:187], v[148:149] op_sel_hi:[0,1,1] neg_lo:[1,0,0] neg_hi:[1,0,0]
	s_waitcnt vmcnt(36) lgkmcnt(1)
	v_pk_fma_f32 v[124:125], v[196:197], v[188:189], v[124:125] op_sel_hi:[0,1,1] neg_lo:[1,0,0] neg_hi:[1,0,0]
	ds_read2_b64 v[184:187], v173 offset0:17 offset1:18
	s_waitcnt vmcnt(34)
	v_pk_fma_f32 v[146:147], v[196:197], v[190:191], v[146:147] op_sel_hi:[0,1,1] neg_lo:[1,0,0] neg_hi:[1,0,0]
	s_waitcnt vmcnt(32) lgkmcnt(1)
	v_pk_fma_f32 v[122:123], v[196:197], v[192:193], v[122:123] op_sel_hi:[0,1,1] neg_lo:[1,0,0] neg_hi:[1,0,0]
	ds_read2_b64 v[188:191], v173 offset0:19 offset1:20
	s_waitcnt vmcnt(30)
	v_pk_fma_f32 v[144:145], v[196:197], v[194:195], v[144:145] op_sel_hi:[0,1,1] neg_lo:[1,0,0] neg_hi:[1,0,0]
	ds_read2_b64 v[192:195], v173 offset0:21 offset1:22
	s_waitcnt vmcnt(28) lgkmcnt(2)
	v_pk_fma_f32 v[120:121], v[196:197], v[184:185], v[120:121] op_sel_hi:[0,1,1] neg_lo:[1,0,0] neg_hi:[1,0,0]
	s_waitcnt vmcnt(26)
	v_pk_fma_f32 v[142:143], v[196:197], v[186:187], v[142:143] op_sel_hi:[0,1,1] neg_lo:[1,0,0] neg_hi:[1,0,0]
	s_waitcnt vmcnt(24) lgkmcnt(1)
	v_pk_fma_f32 v[118:119], v[196:197], v[188:189], v[118:119] op_sel_hi:[0,1,1] neg_lo:[1,0,0] neg_hi:[1,0,0]
	s_waitcnt vmcnt(22)
	v_pk_fma_f32 v[140:141], v[196:197], v[190:191], v[140:141] op_sel_hi:[0,1,1] neg_lo:[1,0,0] neg_hi:[1,0,0]
	ds_read2_b64 v[184:187], v173 offset0:23 offset1:24
	s_waitcnt vmcnt(20) lgkmcnt(1)
	v_pk_fma_f32 v[116:117], v[196:197], v[192:193], v[116:117] op_sel_hi:[0,1,1] neg_lo:[1,0,0] neg_hi:[1,0,0]
	ds_read2_b64 v[188:191], v173 offset0:25 offset1:26
	ds_read_b64 v[192:193], v173 offset:216
	s_waitcnt vmcnt(18)
	v_pk_fma_f32 v[138:139], v[196:197], v[194:195], v[138:139] op_sel_hi:[0,1,1] neg_lo:[1,0,0] neg_hi:[1,0,0]
	s_waitcnt vmcnt(16) lgkmcnt(2)
	v_pk_fma_f32 v[114:115], v[196:197], v[184:185], v[114:115] op_sel_hi:[0,1,1] neg_lo:[1,0,0] neg_hi:[1,0,0]
	s_waitcnt vmcnt(14)
	v_pk_fma_f32 v[136:137], v[196:197], v[186:187], v[136:137] op_sel_hi:[0,1,1] neg_lo:[1,0,0] neg_hi:[1,0,0]
	s_waitcnt vmcnt(12) lgkmcnt(1)
	v_pk_fma_f32 v[112:113], v[196:197], v[188:189], v[112:113] op_sel_hi:[0,1,1] neg_lo:[1,0,0] neg_hi:[1,0,0]
	;; [unrolled: 4-line block ×3, first 2 shown]
.LBB111_54:
	s_or_b64 exec, exec, s[2:3]
	v_cmp_eq_u32_e32 vcc, 10, v169
	s_waitcnt lgkmcnt(0)
	s_barrier
	s_and_saveexec_b64 s[2:3], vcc
	s_cbranch_execz .LBB111_57
; %bb.55:
	s_waitcnt vmcnt(50)
	v_pk_mov_b32 v[184:185], v[132:133], v[154:155] op_sel:[1,0]
	ds_write_b32 v171, v132
	ds_write2_b32 v173, v184, v185 offset0:11 offset1:12
	s_waitcnt vmcnt(48)
	v_pk_mov_b32 v[184:185], v[154:155], v[130:131] op_sel:[1,0]
	ds_write2_b32 v173, v184, v185 offset0:13 offset1:14
	s_waitcnt vmcnt(46)
	v_pk_mov_b32 v[184:185], v[130:131], v[152:153] op_sel:[1,0]
	;; [unrolled: 3-line block ×21, first 2 shown]
	ds_write2_b32 v173, v184, v185 offset0:53 offset1:54
	ds_write_b32 v173, v159 offset:220
	ds_read_b32 v183, v171
	s_waitcnt lgkmcnt(0)
	v_cmp_neq_f32_e32 vcc, 0, v183
	s_and_b64 exec, exec, vcc
	s_cbranch_execz .LBB111_57
; %bb.56:
	v_div_scale_f32 v184, s[4:5], v183, v183, 1.0
	v_rcp_f32_e32 v185, v184
	v_div_scale_f32 v186, vcc, 1.0, v183, 1.0
	v_fma_f32 v187, -v184, v185, 1.0
	v_fmac_f32_e32 v185, v187, v185
	v_mul_f32_e32 v187, v186, v185
	v_fma_f32 v188, -v184, v187, v186
	v_fmac_f32_e32 v187, v188, v185
	v_fma_f32 v184, -v184, v187, v186
	v_div_fmas_f32 v184, v184, v185, v187
	v_div_fixup_f32 v183, v184, v183, 1.0
	ds_write_b32 v171, v183
.LBB111_57:
	s_or_b64 exec, exec, s[2:3]
	s_waitcnt lgkmcnt(0)
	s_barrier
	ds_read_b32 v183, v171
	v_cmp_lt_u32_e32 vcc, 10, v169
	s_and_saveexec_b64 s[2:3], vcc
	s_cbranch_execz .LBB111_59
; %bb.58:
	ds_read_b32 v196, v173 offset:44
	ds_read2_b64 v[184:187], v173 offset0:6 offset1:7
	ds_read2_b64 v[188:191], v173 offset0:8 offset1:9
	;; [unrolled: 1-line block ×3, first 2 shown]
	s_waitcnt vmcnt(53) lgkmcnt(4)
	v_mul_f32_e32 v132, v183, v132
	s_waitcnt vmcnt(52) lgkmcnt(3)
	v_fma_f32 v133, -v132, v196, v133
	s_waitcnt vmcnt(50) lgkmcnt(2)
	v_pk_fma_f32 v[154:155], v[132:133], v[184:185], v[154:155] op_sel_hi:[0,1,1] neg_lo:[1,0,0] neg_hi:[1,0,0]
	s_waitcnt vmcnt(48)
	v_pk_fma_f32 v[130:131], v[132:133], v[186:187], v[130:131] op_sel_hi:[0,1,1] neg_lo:[1,0,0] neg_hi:[1,0,0]
	s_waitcnt vmcnt(46) lgkmcnt(1)
	v_pk_fma_f32 v[152:153], v[132:133], v[188:189], v[152:153] op_sel_hi:[0,1,1] neg_lo:[1,0,0] neg_hi:[1,0,0]
	ds_read2_b64 v[184:187], v173 offset0:12 offset1:13
	s_waitcnt vmcnt(44)
	v_pk_fma_f32 v[128:129], v[132:133], v[190:191], v[128:129] op_sel_hi:[0,1,1] neg_lo:[1,0,0] neg_hi:[1,0,0]
	ds_read2_b64 v[188:191], v173 offset0:14 offset1:15
	s_waitcnt vmcnt(42) lgkmcnt(2)
	v_pk_fma_f32 v[150:151], v[132:133], v[192:193], v[150:151] op_sel_hi:[0,1,1] neg_lo:[1,0,0] neg_hi:[1,0,0]
	s_waitcnt vmcnt(40)
	v_pk_fma_f32 v[126:127], v[132:133], v[194:195], v[126:127] op_sel_hi:[0,1,1] neg_lo:[1,0,0] neg_hi:[1,0,0]
	s_waitcnt vmcnt(38) lgkmcnt(1)
	v_pk_fma_f32 v[148:149], v[132:133], v[184:185], v[148:149] op_sel_hi:[0,1,1] neg_lo:[1,0,0] neg_hi:[1,0,0]
	ds_read2_b64 v[192:195], v173 offset0:16 offset1:17
	s_waitcnt vmcnt(36)
	v_pk_fma_f32 v[124:125], v[132:133], v[186:187], v[124:125] op_sel_hi:[0,1,1] neg_lo:[1,0,0] neg_hi:[1,0,0]
	s_waitcnt vmcnt(34) lgkmcnt(1)
	v_pk_fma_f32 v[146:147], v[132:133], v[188:189], v[146:147] op_sel_hi:[0,1,1] neg_lo:[1,0,0] neg_hi:[1,0,0]
	ds_read2_b64 v[184:187], v173 offset0:18 offset1:19
	s_waitcnt vmcnt(32)
	v_pk_fma_f32 v[122:123], v[132:133], v[190:191], v[122:123] op_sel_hi:[0,1,1] neg_lo:[1,0,0] neg_hi:[1,0,0]
	ds_read2_b64 v[188:191], v173 offset0:20 offset1:21
	s_waitcnt vmcnt(30) lgkmcnt(2)
	v_pk_fma_f32 v[144:145], v[132:133], v[192:193], v[144:145] op_sel_hi:[0,1,1] neg_lo:[1,0,0] neg_hi:[1,0,0]
	s_waitcnt vmcnt(28)
	v_pk_fma_f32 v[120:121], v[132:133], v[194:195], v[120:121] op_sel_hi:[0,1,1] neg_lo:[1,0,0] neg_hi:[1,0,0]
	s_waitcnt vmcnt(26) lgkmcnt(1)
	v_pk_fma_f32 v[142:143], v[132:133], v[184:185], v[142:143] op_sel_hi:[0,1,1] neg_lo:[1,0,0] neg_hi:[1,0,0]
	s_waitcnt vmcnt(24)
	v_pk_fma_f32 v[118:119], v[132:133], v[186:187], v[118:119] op_sel_hi:[0,1,1] neg_lo:[1,0,0] neg_hi:[1,0,0]
	ds_read2_b64 v[184:187], v173 offset0:22 offset1:23
	s_waitcnt vmcnt(22) lgkmcnt(1)
	v_pk_fma_f32 v[140:141], v[132:133], v[188:189], v[140:141] op_sel_hi:[0,1,1] neg_lo:[1,0,0] neg_hi:[1,0,0]
	ds_read2_b64 v[192:195], v173 offset0:24 offset1:25
	s_waitcnt vmcnt(20)
	v_pk_fma_f32 v[116:117], v[132:133], v[190:191], v[116:117] op_sel_hi:[0,1,1] neg_lo:[1,0,0] neg_hi:[1,0,0]
	ds_read2_b64 v[188:191], v173 offset0:26 offset1:27
	s_waitcnt vmcnt(18) lgkmcnt(2)
	v_pk_fma_f32 v[138:139], v[132:133], v[184:185], v[138:139] op_sel_hi:[0,1,1] neg_lo:[1,0,0] neg_hi:[1,0,0]
	s_waitcnt vmcnt(16)
	v_pk_fma_f32 v[114:115], v[132:133], v[186:187], v[114:115] op_sel_hi:[0,1,1] neg_lo:[1,0,0] neg_hi:[1,0,0]
	s_waitcnt vmcnt(14) lgkmcnt(1)
	v_pk_fma_f32 v[136:137], v[132:133], v[192:193], v[136:137] op_sel_hi:[0,1,1] neg_lo:[1,0,0] neg_hi:[1,0,0]
	s_waitcnt vmcnt(12)
	v_pk_fma_f32 v[112:113], v[132:133], v[194:195], v[112:113] op_sel_hi:[0,1,1] neg_lo:[1,0,0] neg_hi:[1,0,0]
	;; [unrolled: 4-line block ×3, first 2 shown]
.LBB111_59:
	s_or_b64 exec, exec, s[2:3]
	v_cmp_ne_u32_e32 vcc, 11, v169
	s_waitcnt lgkmcnt(0)
	s_barrier
	s_and_saveexec_b64 s[2:3], vcc
	s_xor_b64 s[2:3], exec, s[2:3]
	s_andn2_saveexec_b64 s[2:3], s[2:3]
	s_cbranch_execz .LBB111_63
; %bb.60:
	s_waitcnt vmcnt(51)
	v_mov_b32_e32 v184, v154
	s_waitcnt vmcnt(50)
	v_mov_b32_e32 v185, v155
	;; [unrolled: 2-line block ×4, first 2 shown]
	ds_write_b32 v171, v133
	ds_write2_b64 v173, v[184:185], v[186:187] offset0:6 offset1:7
	s_waitcnt vmcnt(47)
	v_mov_b32_e32 v184, v152
	s_waitcnt vmcnt(46)
	v_mov_b32_e32 v185, v153
	s_waitcnt vmcnt(45)
	v_mov_b32_e32 v186, v128
	s_waitcnt vmcnt(44)
	v_mov_b32_e32 v187, v129
	ds_write2_b64 v173, v[184:185], v[186:187] offset0:8 offset1:9
	s_waitcnt vmcnt(43)
	v_mov_b32_e32 v184, v150
	s_waitcnt vmcnt(42)
	v_mov_b32_e32 v185, v151
	s_waitcnt vmcnt(41)
	v_mov_b32_e32 v186, v126
	s_waitcnt vmcnt(40)
	v_mov_b32_e32 v187, v127
	;; [unrolled: 9-line block ×9, first 2 shown]
	ds_write2_b64 v173, v[184:185], v[186:187] offset0:24 offset1:25
	s_waitcnt vmcnt(11)
	v_mov_b32_e32 v184, v134
	s_waitcnt vmcnt(10)
	v_mov_b32_e32 v185, v135
	s_waitcnt vmcnt(8)
	ds_write2_b64 v173, v[184:185], v[158:159] offset0:26 offset1:27
	ds_read_b32 v184, v171
	s_waitcnt lgkmcnt(0)
	v_cmp_neq_f32_e32 vcc, 0, v184
	s_and_saveexec_b64 s[4:5], vcc
	s_cbranch_execz .LBB111_62
; %bb.61:
	v_div_scale_f32 v185, s[10:11], v184, v184, 1.0
	v_rcp_f32_e32 v186, v185
	v_div_scale_f32 v187, vcc, 1.0, v184, 1.0
	v_fma_f32 v188, -v185, v186, 1.0
	v_fmac_f32_e32 v186, v188, v186
	v_mul_f32_e32 v188, v187, v186
	v_fma_f32 v189, -v185, v188, v187
	v_fmac_f32_e32 v188, v189, v186
	v_fma_f32 v185, -v185, v188, v187
	v_div_fmas_f32 v185, v185, v186, v188
	v_div_fixup_f32 v184, v185, v184, 1.0
	ds_write_b32 v171, v184
.LBB111_62:
	s_or_b64 exec, exec, s[4:5]
.LBB111_63:
	s_or_b64 exec, exec, s[2:3]
	s_waitcnt lgkmcnt(0)
	s_barrier
	ds_read_b32 v184, v171
	v_cmp_lt_u32_e32 vcc, 11, v169
	s_and_saveexec_b64 s[2:3], vcc
	s_cbranch_execz .LBB111_65
; %bb.64:
	ds_read2_b64 v[186:189], v173 offset0:6 offset1:7
	ds_read2_b64 v[190:193], v173 offset0:8 offset1:9
	s_waitcnt vmcnt(52) lgkmcnt(2)
	v_mul_f32_e32 v198, v184, v133
	ds_read2_b64 v[194:197], v173 offset0:10 offset1:11
	v_mov_b32_e32 v133, v198
	s_waitcnt vmcnt(50) lgkmcnt(2)
	v_pk_fma_f32 v[154:155], v[198:199], v[186:187], v[154:155] op_sel_hi:[0,1,1] neg_lo:[1,0,0] neg_hi:[1,0,0]
	s_waitcnt vmcnt(48)
	v_pk_fma_f32 v[130:131], v[198:199], v[188:189], v[130:131] op_sel_hi:[0,1,1] neg_lo:[1,0,0] neg_hi:[1,0,0]
	s_waitcnt vmcnt(46) lgkmcnt(1)
	v_pk_fma_f32 v[152:153], v[198:199], v[190:191], v[152:153] op_sel_hi:[0,1,1] neg_lo:[1,0,0] neg_hi:[1,0,0]
	ds_read2_b64 v[186:189], v173 offset0:12 offset1:13
	s_waitcnt vmcnt(44)
	v_pk_fma_f32 v[128:129], v[198:199], v[192:193], v[128:129] op_sel_hi:[0,1,1] neg_lo:[1,0,0] neg_hi:[1,0,0]
	ds_read2_b64 v[190:193], v173 offset0:14 offset1:15
	s_waitcnt vmcnt(42) lgkmcnt(2)
	v_pk_fma_f32 v[150:151], v[198:199], v[194:195], v[150:151] op_sel_hi:[0,1,1] neg_lo:[1,0,0] neg_hi:[1,0,0]
	s_waitcnt vmcnt(40)
	v_pk_fma_f32 v[126:127], v[198:199], v[196:197], v[126:127] op_sel_hi:[0,1,1] neg_lo:[1,0,0] neg_hi:[1,0,0]
	s_waitcnt vmcnt(38) lgkmcnt(1)
	v_pk_fma_f32 v[148:149], v[198:199], v[186:187], v[148:149] op_sel_hi:[0,1,1] neg_lo:[1,0,0] neg_hi:[1,0,0]
	ds_read2_b64 v[194:197], v173 offset0:16 offset1:17
	s_waitcnt vmcnt(36)
	v_pk_fma_f32 v[124:125], v[198:199], v[188:189], v[124:125] op_sel_hi:[0,1,1] neg_lo:[1,0,0] neg_hi:[1,0,0]
	s_waitcnt vmcnt(34) lgkmcnt(1)
	v_pk_fma_f32 v[146:147], v[198:199], v[190:191], v[146:147] op_sel_hi:[0,1,1] neg_lo:[1,0,0] neg_hi:[1,0,0]
	ds_read2_b64 v[186:189], v173 offset0:18 offset1:19
	s_waitcnt vmcnt(32)
	v_pk_fma_f32 v[122:123], v[198:199], v[192:193], v[122:123] op_sel_hi:[0,1,1] neg_lo:[1,0,0] neg_hi:[1,0,0]
	ds_read2_b64 v[190:193], v173 offset0:20 offset1:21
	s_waitcnt vmcnt(30) lgkmcnt(2)
	v_pk_fma_f32 v[144:145], v[198:199], v[194:195], v[144:145] op_sel_hi:[0,1,1] neg_lo:[1,0,0] neg_hi:[1,0,0]
	s_waitcnt vmcnt(28)
	v_pk_fma_f32 v[120:121], v[198:199], v[196:197], v[120:121] op_sel_hi:[0,1,1] neg_lo:[1,0,0] neg_hi:[1,0,0]
	s_waitcnt vmcnt(26) lgkmcnt(1)
	v_pk_fma_f32 v[142:143], v[198:199], v[186:187], v[142:143] op_sel_hi:[0,1,1] neg_lo:[1,0,0] neg_hi:[1,0,0]
	s_waitcnt vmcnt(24)
	v_pk_fma_f32 v[118:119], v[198:199], v[188:189], v[118:119] op_sel_hi:[0,1,1] neg_lo:[1,0,0] neg_hi:[1,0,0]
	ds_read2_b64 v[186:189], v173 offset0:22 offset1:23
	ds_read2_b64 v[194:197], v173 offset0:24 offset1:25
	s_waitcnt vmcnt(22) lgkmcnt(2)
	v_pk_fma_f32 v[140:141], v[198:199], v[190:191], v[140:141] op_sel_hi:[0,1,1] neg_lo:[1,0,0] neg_hi:[1,0,0]
	s_waitcnt vmcnt(20)
	v_pk_fma_f32 v[116:117], v[198:199], v[192:193], v[116:117] op_sel_hi:[0,1,1] neg_lo:[1,0,0] neg_hi:[1,0,0]
	ds_read2_b64 v[190:193], v173 offset0:26 offset1:27
	s_waitcnt vmcnt(18) lgkmcnt(2)
	v_pk_fma_f32 v[138:139], v[198:199], v[186:187], v[138:139] op_sel_hi:[0,1,1] neg_lo:[1,0,0] neg_hi:[1,0,0]
	s_waitcnt vmcnt(16)
	v_pk_fma_f32 v[114:115], v[198:199], v[188:189], v[114:115] op_sel_hi:[0,1,1] neg_lo:[1,0,0] neg_hi:[1,0,0]
	s_waitcnt vmcnt(14) lgkmcnt(1)
	v_pk_fma_f32 v[136:137], v[198:199], v[194:195], v[136:137] op_sel_hi:[0,1,1] neg_lo:[1,0,0] neg_hi:[1,0,0]
	s_waitcnt vmcnt(12)
	v_pk_fma_f32 v[112:113], v[198:199], v[196:197], v[112:113] op_sel_hi:[0,1,1] neg_lo:[1,0,0] neg_hi:[1,0,0]
	;; [unrolled: 4-line block ×3, first 2 shown]
.LBB111_65:
	s_or_b64 exec, exec, s[2:3]
	v_cmp_eq_u32_e32 vcc, 12, v169
	s_waitcnt lgkmcnt(0)
	s_barrier
	s_and_saveexec_b64 s[2:3], vcc
	s_cbranch_execz .LBB111_68
; %bb.66:
	s_waitcnt vmcnt(48)
	v_pk_mov_b32 v[186:187], v[154:155], v[130:131] op_sel:[1,0]
	ds_write_b32 v171, v154
	ds_write2_b32 v173, v186, v187 offset0:13 offset1:14
	s_waitcnt vmcnt(46)
	v_pk_mov_b32 v[186:187], v[130:131], v[152:153] op_sel:[1,0]
	ds_write2_b32 v173, v186, v187 offset0:15 offset1:16
	s_waitcnt vmcnt(44)
	v_pk_mov_b32 v[186:187], v[152:153], v[128:129] op_sel:[1,0]
	;; [unrolled: 3-line block ×20, first 2 shown]
	ds_write2_b32 v173, v186, v187 offset0:53 offset1:54
	ds_write_b32 v173, v159 offset:220
	ds_read_b32 v185, v171
	s_waitcnt lgkmcnt(0)
	v_cmp_neq_f32_e32 vcc, 0, v185
	s_and_b64 exec, exec, vcc
	s_cbranch_execz .LBB111_68
; %bb.67:
	v_div_scale_f32 v186, s[4:5], v185, v185, 1.0
	v_rcp_f32_e32 v187, v186
	v_div_scale_f32 v188, vcc, 1.0, v185, 1.0
	v_fma_f32 v189, -v186, v187, 1.0
	v_fmac_f32_e32 v187, v189, v187
	v_mul_f32_e32 v189, v188, v187
	v_fma_f32 v190, -v186, v189, v188
	v_fmac_f32_e32 v189, v190, v187
	v_fma_f32 v186, -v186, v189, v188
	v_div_fmas_f32 v186, v186, v187, v189
	v_div_fixup_f32 v185, v186, v185, 1.0
	ds_write_b32 v171, v185
.LBB111_68:
	s_or_b64 exec, exec, s[2:3]
	s_waitcnt lgkmcnt(0)
	s_barrier
	ds_read_b32 v185, v171
	v_cmp_lt_u32_e32 vcc, 12, v169
	s_and_saveexec_b64 s[2:3], vcc
	s_cbranch_execz .LBB111_70
; %bb.69:
	ds_read_b32 v198, v173 offset:52
	ds_read2_b64 v[186:189], v173 offset0:7 offset1:8
	ds_read2_b64 v[190:193], v173 offset0:9 offset1:10
	;; [unrolled: 1-line block ×3, first 2 shown]
	s_waitcnt vmcnt(51) lgkmcnt(4)
	v_mul_f32_e32 v154, v185, v154
	s_waitcnt vmcnt(50) lgkmcnt(3)
	v_fma_f32 v155, -v154, v198, v155
	s_waitcnt vmcnt(48) lgkmcnt(2)
	v_pk_fma_f32 v[130:131], v[154:155], v[186:187], v[130:131] op_sel_hi:[0,1,1] neg_lo:[1,0,0] neg_hi:[1,0,0]
	s_waitcnt vmcnt(46)
	v_pk_fma_f32 v[152:153], v[154:155], v[188:189], v[152:153] op_sel_hi:[0,1,1] neg_lo:[1,0,0] neg_hi:[1,0,0]
	s_waitcnt vmcnt(44) lgkmcnt(1)
	v_pk_fma_f32 v[128:129], v[154:155], v[190:191], v[128:129] op_sel_hi:[0,1,1] neg_lo:[1,0,0] neg_hi:[1,0,0]
	ds_read2_b64 v[186:189], v173 offset0:13 offset1:14
	s_waitcnt vmcnt(42)
	v_pk_fma_f32 v[150:151], v[154:155], v[192:193], v[150:151] op_sel_hi:[0,1,1] neg_lo:[1,0,0] neg_hi:[1,0,0]
	ds_read2_b64 v[190:193], v173 offset0:15 offset1:16
	s_waitcnt vmcnt(40) lgkmcnt(2)
	v_pk_fma_f32 v[126:127], v[154:155], v[194:195], v[126:127] op_sel_hi:[0,1,1] neg_lo:[1,0,0] neg_hi:[1,0,0]
	s_waitcnt vmcnt(38)
	v_pk_fma_f32 v[148:149], v[154:155], v[196:197], v[148:149] op_sel_hi:[0,1,1] neg_lo:[1,0,0] neg_hi:[1,0,0]
	s_waitcnt vmcnt(36) lgkmcnt(1)
	v_pk_fma_f32 v[124:125], v[154:155], v[186:187], v[124:125] op_sel_hi:[0,1,1] neg_lo:[1,0,0] neg_hi:[1,0,0]
	ds_read2_b64 v[194:197], v173 offset0:17 offset1:18
	s_waitcnt vmcnt(34)
	v_pk_fma_f32 v[146:147], v[154:155], v[188:189], v[146:147] op_sel_hi:[0,1,1] neg_lo:[1,0,0] neg_hi:[1,0,0]
	s_waitcnt vmcnt(32) lgkmcnt(1)
	v_pk_fma_f32 v[122:123], v[154:155], v[190:191], v[122:123] op_sel_hi:[0,1,1] neg_lo:[1,0,0] neg_hi:[1,0,0]
	ds_read2_b64 v[186:189], v173 offset0:19 offset1:20
	s_waitcnt vmcnt(30)
	v_pk_fma_f32 v[144:145], v[154:155], v[192:193], v[144:145] op_sel_hi:[0,1,1] neg_lo:[1,0,0] neg_hi:[1,0,0]
	ds_read2_b64 v[190:193], v173 offset0:21 offset1:22
	s_waitcnt vmcnt(28) lgkmcnt(2)
	v_pk_fma_f32 v[120:121], v[154:155], v[194:195], v[120:121] op_sel_hi:[0,1,1] neg_lo:[1,0,0] neg_hi:[1,0,0]
	s_waitcnt vmcnt(26)
	v_pk_fma_f32 v[142:143], v[154:155], v[196:197], v[142:143] op_sel_hi:[0,1,1] neg_lo:[1,0,0] neg_hi:[1,0,0]
	s_waitcnt vmcnt(24) lgkmcnt(1)
	v_pk_fma_f32 v[118:119], v[154:155], v[186:187], v[118:119] op_sel_hi:[0,1,1] neg_lo:[1,0,0] neg_hi:[1,0,0]
	s_waitcnt vmcnt(22)
	v_pk_fma_f32 v[140:141], v[154:155], v[188:189], v[140:141] op_sel_hi:[0,1,1] neg_lo:[1,0,0] neg_hi:[1,0,0]
	ds_read2_b64 v[186:189], v173 offset0:23 offset1:24
	s_waitcnt vmcnt(20) lgkmcnt(1)
	v_pk_fma_f32 v[116:117], v[154:155], v[190:191], v[116:117] op_sel_hi:[0,1,1] neg_lo:[1,0,0] neg_hi:[1,0,0]
	ds_read2_b64 v[194:197], v173 offset0:25 offset1:26
	ds_read_b64 v[190:191], v173 offset:216
	s_waitcnt vmcnt(18)
	v_pk_fma_f32 v[138:139], v[154:155], v[192:193], v[138:139] op_sel_hi:[0,1,1] neg_lo:[1,0,0] neg_hi:[1,0,0]
	s_waitcnt vmcnt(16) lgkmcnt(2)
	v_pk_fma_f32 v[114:115], v[154:155], v[186:187], v[114:115] op_sel_hi:[0,1,1] neg_lo:[1,0,0] neg_hi:[1,0,0]
	s_waitcnt vmcnt(14)
	v_pk_fma_f32 v[136:137], v[154:155], v[188:189], v[136:137] op_sel_hi:[0,1,1] neg_lo:[1,0,0] neg_hi:[1,0,0]
	s_waitcnt vmcnt(12) lgkmcnt(1)
	v_pk_fma_f32 v[112:113], v[154:155], v[194:195], v[112:113] op_sel_hi:[0,1,1] neg_lo:[1,0,0] neg_hi:[1,0,0]
	;; [unrolled: 4-line block ×3, first 2 shown]
.LBB111_70:
	s_or_b64 exec, exec, s[2:3]
	v_cmp_ne_u32_e32 vcc, 13, v169
	s_waitcnt lgkmcnt(0)
	s_barrier
	s_and_saveexec_b64 s[2:3], vcc
	s_xor_b64 s[2:3], exec, s[2:3]
	s_andn2_saveexec_b64 s[2:3], s[2:3]
	s_cbranch_execz .LBB111_74
; %bb.71:
	s_waitcnt vmcnt(50)
	ds_write_b32 v171, v155
	s_waitcnt vmcnt(46)
	ds_write2_b64 v173, v[130:131], v[152:153] offset0:7 offset1:8
	s_waitcnt vmcnt(42)
	ds_write2_b64 v173, v[128:129], v[150:151] offset0:9 offset1:10
	s_waitcnt vmcnt(38)
	ds_write2_b64 v173, v[126:127], v[148:149] offset0:11 offset1:12
	s_waitcnt vmcnt(34)
	ds_write2_b64 v173, v[124:125], v[146:147] offset0:13 offset1:14
	s_waitcnt vmcnt(30)
	ds_write2_b64 v173, v[122:123], v[144:145] offset0:15 offset1:16
	s_waitcnt vmcnt(26)
	ds_write2_b64 v173, v[120:121], v[142:143] offset0:17 offset1:18
	s_waitcnt vmcnt(22)
	ds_write2_b64 v173, v[118:119], v[140:141] offset0:19 offset1:20
	s_waitcnt vmcnt(18)
	ds_write2_b64 v173, v[116:117], v[138:139] offset0:21 offset1:22
	s_waitcnt vmcnt(14)
	ds_write2_b64 v173, v[114:115], v[136:137] offset0:23 offset1:24
	s_waitcnt vmcnt(10)
	ds_write2_b64 v173, v[112:113], v[134:135] offset0:25 offset1:26
	s_waitcnt vmcnt(8)
	ds_write_b64 v173, v[158:159] offset:216
	ds_read_b32 v186, v171
	s_waitcnt lgkmcnt(0)
	v_cmp_neq_f32_e32 vcc, 0, v186
	s_and_saveexec_b64 s[4:5], vcc
	s_cbranch_execz .LBB111_73
; %bb.72:
	v_div_scale_f32 v187, s[10:11], v186, v186, 1.0
	v_rcp_f32_e32 v188, v187
	v_div_scale_f32 v189, vcc, 1.0, v186, 1.0
	v_fma_f32 v190, -v187, v188, 1.0
	v_fmac_f32_e32 v188, v190, v188
	v_mul_f32_e32 v190, v189, v188
	v_fma_f32 v191, -v187, v190, v189
	v_fmac_f32_e32 v190, v191, v188
	v_fma_f32 v187, -v187, v190, v189
	v_div_fmas_f32 v187, v187, v188, v190
	v_div_fixup_f32 v186, v187, v186, 1.0
	ds_write_b32 v171, v186
.LBB111_73:
	s_or_b64 exec, exec, s[4:5]
.LBB111_74:
	s_or_b64 exec, exec, s[2:3]
	s_waitcnt lgkmcnt(0)
	s_barrier
	ds_read_b32 v186, v171
	v_cmp_lt_u32_e32 vcc, 13, v169
	s_and_saveexec_b64 s[2:3], vcc
	s_cbranch_execz .LBB111_76
; %bb.75:
	ds_read2_b64 v[188:191], v173 offset0:7 offset1:8
	ds_read2_b64 v[192:195], v173 offset0:9 offset1:10
	s_waitcnt vmcnt(50) lgkmcnt(2)
	v_mul_f32_e32 v200, v186, v155
	ds_read2_b64 v[196:199], v173 offset0:11 offset1:12
	v_mov_b32_e32 v155, v200
	s_waitcnt vmcnt(48) lgkmcnt(2)
	v_pk_fma_f32 v[130:131], v[200:201], v[188:189], v[130:131] op_sel_hi:[0,1,1] neg_lo:[1,0,0] neg_hi:[1,0,0]
	s_waitcnt vmcnt(46)
	v_pk_fma_f32 v[152:153], v[200:201], v[190:191], v[152:153] op_sel_hi:[0,1,1] neg_lo:[1,0,0] neg_hi:[1,0,0]
	s_waitcnt vmcnt(44) lgkmcnt(1)
	v_pk_fma_f32 v[128:129], v[200:201], v[192:193], v[128:129] op_sel_hi:[0,1,1] neg_lo:[1,0,0] neg_hi:[1,0,0]
	ds_read2_b64 v[188:191], v173 offset0:13 offset1:14
	s_waitcnt vmcnt(42)
	v_pk_fma_f32 v[150:151], v[200:201], v[194:195], v[150:151] op_sel_hi:[0,1,1] neg_lo:[1,0,0] neg_hi:[1,0,0]
	ds_read2_b64 v[192:195], v173 offset0:15 offset1:16
	s_waitcnt vmcnt(40) lgkmcnt(2)
	v_pk_fma_f32 v[126:127], v[200:201], v[196:197], v[126:127] op_sel_hi:[0,1,1] neg_lo:[1,0,0] neg_hi:[1,0,0]
	s_waitcnt vmcnt(38)
	v_pk_fma_f32 v[148:149], v[200:201], v[198:199], v[148:149] op_sel_hi:[0,1,1] neg_lo:[1,0,0] neg_hi:[1,0,0]
	s_waitcnt vmcnt(36) lgkmcnt(1)
	v_pk_fma_f32 v[124:125], v[200:201], v[188:189], v[124:125] op_sel_hi:[0,1,1] neg_lo:[1,0,0] neg_hi:[1,0,0]
	ds_read2_b64 v[196:199], v173 offset0:17 offset1:18
	s_waitcnt vmcnt(34)
	v_pk_fma_f32 v[146:147], v[200:201], v[190:191], v[146:147] op_sel_hi:[0,1,1] neg_lo:[1,0,0] neg_hi:[1,0,0]
	s_waitcnt vmcnt(32) lgkmcnt(1)
	v_pk_fma_f32 v[122:123], v[200:201], v[192:193], v[122:123] op_sel_hi:[0,1,1] neg_lo:[1,0,0] neg_hi:[1,0,0]
	ds_read2_b64 v[188:191], v173 offset0:19 offset1:20
	s_waitcnt vmcnt(30)
	v_pk_fma_f32 v[144:145], v[200:201], v[194:195], v[144:145] op_sel_hi:[0,1,1] neg_lo:[1,0,0] neg_hi:[1,0,0]
	ds_read2_b64 v[192:195], v173 offset0:21 offset1:22
	s_waitcnt vmcnt(28) lgkmcnt(2)
	v_pk_fma_f32 v[120:121], v[200:201], v[196:197], v[120:121] op_sel_hi:[0,1,1] neg_lo:[1,0,0] neg_hi:[1,0,0]
	s_waitcnt vmcnt(26)
	v_pk_fma_f32 v[142:143], v[200:201], v[198:199], v[142:143] op_sel_hi:[0,1,1] neg_lo:[1,0,0] neg_hi:[1,0,0]
	s_waitcnt vmcnt(24) lgkmcnt(1)
	v_pk_fma_f32 v[118:119], v[200:201], v[188:189], v[118:119] op_sel_hi:[0,1,1] neg_lo:[1,0,0] neg_hi:[1,0,0]
	s_waitcnt vmcnt(22)
	v_pk_fma_f32 v[140:141], v[200:201], v[190:191], v[140:141] op_sel_hi:[0,1,1] neg_lo:[1,0,0] neg_hi:[1,0,0]
	ds_read2_b64 v[188:191], v173 offset0:23 offset1:24
	ds_read2_b64 v[196:199], v173 offset0:25 offset1:26
	s_waitcnt vmcnt(20) lgkmcnt(2)
	v_pk_fma_f32 v[116:117], v[200:201], v[192:193], v[116:117] op_sel_hi:[0,1,1] neg_lo:[1,0,0] neg_hi:[1,0,0]
	ds_read_b64 v[192:193], v173 offset:216
	s_waitcnt vmcnt(18)
	v_pk_fma_f32 v[138:139], v[200:201], v[194:195], v[138:139] op_sel_hi:[0,1,1] neg_lo:[1,0,0] neg_hi:[1,0,0]
	s_waitcnt vmcnt(16) lgkmcnt(2)
	v_pk_fma_f32 v[114:115], v[200:201], v[188:189], v[114:115] op_sel_hi:[0,1,1] neg_lo:[1,0,0] neg_hi:[1,0,0]
	s_waitcnt vmcnt(14)
	v_pk_fma_f32 v[136:137], v[200:201], v[190:191], v[136:137] op_sel_hi:[0,1,1] neg_lo:[1,0,0] neg_hi:[1,0,0]
	s_waitcnt vmcnt(12) lgkmcnt(1)
	v_pk_fma_f32 v[112:113], v[200:201], v[196:197], v[112:113] op_sel_hi:[0,1,1] neg_lo:[1,0,0] neg_hi:[1,0,0]
	;; [unrolled: 4-line block ×3, first 2 shown]
.LBB111_76:
	s_or_b64 exec, exec, s[2:3]
	v_cmp_eq_u32_e32 vcc, 14, v169
	s_waitcnt lgkmcnt(0)
	s_barrier
	s_and_saveexec_b64 s[2:3], vcc
	s_cbranch_execz .LBB111_79
; %bb.77:
	s_waitcnt vmcnt(46)
	v_pk_mov_b32 v[188:189], v[130:131], v[152:153] op_sel:[1,0]
	ds_write_b32 v171, v130
	ds_write2_b32 v173, v188, v189 offset0:15 offset1:16
	s_waitcnt vmcnt(44)
	v_pk_mov_b32 v[188:189], v[152:153], v[128:129] op_sel:[1,0]
	ds_write2_b32 v173, v188, v189 offset0:17 offset1:18
	s_waitcnt vmcnt(42)
	v_pk_mov_b32 v[188:189], v[128:129], v[150:151] op_sel:[1,0]
	;; [unrolled: 3-line block ×19, first 2 shown]
	ds_write2_b32 v173, v188, v189 offset0:53 offset1:54
	ds_write_b32 v173, v159 offset:220
	ds_read_b32 v187, v171
	s_waitcnt lgkmcnt(0)
	v_cmp_neq_f32_e32 vcc, 0, v187
	s_and_b64 exec, exec, vcc
	s_cbranch_execz .LBB111_79
; %bb.78:
	v_div_scale_f32 v188, s[4:5], v187, v187, 1.0
	v_rcp_f32_e32 v189, v188
	v_div_scale_f32 v190, vcc, 1.0, v187, 1.0
	v_fma_f32 v191, -v188, v189, 1.0
	v_fmac_f32_e32 v189, v191, v189
	v_mul_f32_e32 v191, v190, v189
	v_fma_f32 v192, -v188, v191, v190
	v_fmac_f32_e32 v191, v192, v189
	v_fma_f32 v188, -v188, v191, v190
	v_div_fmas_f32 v188, v188, v189, v191
	v_div_fixup_f32 v187, v188, v187, 1.0
	ds_write_b32 v171, v187
.LBB111_79:
	s_or_b64 exec, exec, s[2:3]
	s_waitcnt lgkmcnt(0)
	s_barrier
	ds_read_b32 v187, v171
	v_cmp_lt_u32_e32 vcc, 14, v169
	s_and_saveexec_b64 s[2:3], vcc
	s_cbranch_execz .LBB111_81
; %bb.80:
	ds_read_b32 v200, v173 offset:60
	ds_read2_b64 v[188:191], v173 offset0:8 offset1:9
	s_waitcnt vmcnt(49) lgkmcnt(2)
	v_mul_f32_e32 v130, v187, v130
	ds_read2_b64 v[192:195], v173 offset0:10 offset1:11
	ds_read2_b64 v[196:199], v173 offset0:12 offset1:13
	s_waitcnt vmcnt(48) lgkmcnt(3)
	v_fma_f32 v131, -v130, v200, v131
	s_waitcnt vmcnt(46) lgkmcnt(2)
	v_pk_fma_f32 v[152:153], v[130:131], v[188:189], v[152:153] op_sel_hi:[0,1,1] neg_lo:[1,0,0] neg_hi:[1,0,0]
	s_waitcnt vmcnt(44)
	v_pk_fma_f32 v[128:129], v[130:131], v[190:191], v[128:129] op_sel_hi:[0,1,1] neg_lo:[1,0,0] neg_hi:[1,0,0]
	ds_read2_b64 v[188:191], v173 offset0:14 offset1:15
	s_waitcnt vmcnt(42) lgkmcnt(2)
	v_pk_fma_f32 v[150:151], v[130:131], v[192:193], v[150:151] op_sel_hi:[0,1,1] neg_lo:[1,0,0] neg_hi:[1,0,0]
	s_waitcnt vmcnt(40)
	v_pk_fma_f32 v[126:127], v[130:131], v[194:195], v[126:127] op_sel_hi:[0,1,1] neg_lo:[1,0,0] neg_hi:[1,0,0]
	s_waitcnt vmcnt(38) lgkmcnt(1)
	v_pk_fma_f32 v[148:149], v[130:131], v[196:197], v[148:149] op_sel_hi:[0,1,1] neg_lo:[1,0,0] neg_hi:[1,0,0]
	ds_read2_b64 v[192:195], v173 offset0:16 offset1:17
	s_waitcnt vmcnt(36)
	v_pk_fma_f32 v[124:125], v[130:131], v[198:199], v[124:125] op_sel_hi:[0,1,1] neg_lo:[1,0,0] neg_hi:[1,0,0]
	s_waitcnt vmcnt(34) lgkmcnt(1)
	v_pk_fma_f32 v[146:147], v[130:131], v[188:189], v[146:147] op_sel_hi:[0,1,1] neg_lo:[1,0,0] neg_hi:[1,0,0]
	ds_read2_b64 v[196:199], v173 offset0:18 offset1:19
	s_waitcnt vmcnt(32)
	v_pk_fma_f32 v[122:123], v[130:131], v[190:191], v[122:123] op_sel_hi:[0,1,1] neg_lo:[1,0,0] neg_hi:[1,0,0]
	ds_read2_b64 v[188:191], v173 offset0:20 offset1:21
	s_waitcnt vmcnt(30) lgkmcnt(2)
	v_pk_fma_f32 v[144:145], v[130:131], v[192:193], v[144:145] op_sel_hi:[0,1,1] neg_lo:[1,0,0] neg_hi:[1,0,0]
	s_waitcnt vmcnt(28)
	v_pk_fma_f32 v[120:121], v[130:131], v[194:195], v[120:121] op_sel_hi:[0,1,1] neg_lo:[1,0,0] neg_hi:[1,0,0]
	s_waitcnt vmcnt(26) lgkmcnt(1)
	v_pk_fma_f32 v[142:143], v[130:131], v[196:197], v[142:143] op_sel_hi:[0,1,1] neg_lo:[1,0,0] neg_hi:[1,0,0]
	s_waitcnt vmcnt(24)
	v_pk_fma_f32 v[118:119], v[130:131], v[198:199], v[118:119] op_sel_hi:[0,1,1] neg_lo:[1,0,0] neg_hi:[1,0,0]
	ds_read2_b64 v[192:195], v173 offset0:22 offset1:23
	ds_read2_b64 v[196:199], v173 offset0:24 offset1:25
	s_waitcnt vmcnt(22) lgkmcnt(2)
	v_pk_fma_f32 v[140:141], v[130:131], v[188:189], v[140:141] op_sel_hi:[0,1,1] neg_lo:[1,0,0] neg_hi:[1,0,0]
	s_waitcnt vmcnt(20)
	v_pk_fma_f32 v[116:117], v[130:131], v[190:191], v[116:117] op_sel_hi:[0,1,1] neg_lo:[1,0,0] neg_hi:[1,0,0]
	ds_read2_b64 v[188:191], v173 offset0:26 offset1:27
	s_waitcnt vmcnt(18) lgkmcnt(2)
	v_pk_fma_f32 v[138:139], v[130:131], v[192:193], v[138:139] op_sel_hi:[0,1,1] neg_lo:[1,0,0] neg_hi:[1,0,0]
	s_waitcnt vmcnt(16)
	v_pk_fma_f32 v[114:115], v[130:131], v[194:195], v[114:115] op_sel_hi:[0,1,1] neg_lo:[1,0,0] neg_hi:[1,0,0]
	s_waitcnt vmcnt(14) lgkmcnt(1)
	v_pk_fma_f32 v[136:137], v[130:131], v[196:197], v[136:137] op_sel_hi:[0,1,1] neg_lo:[1,0,0] neg_hi:[1,0,0]
	s_waitcnt vmcnt(12)
	v_pk_fma_f32 v[112:113], v[130:131], v[198:199], v[112:113] op_sel_hi:[0,1,1] neg_lo:[1,0,0] neg_hi:[1,0,0]
	;; [unrolled: 4-line block ×3, first 2 shown]
.LBB111_81:
	s_or_b64 exec, exec, s[2:3]
	v_cmp_ne_u32_e32 vcc, 15, v169
	s_waitcnt lgkmcnt(0)
	s_barrier
	s_and_saveexec_b64 s[2:3], vcc
	s_xor_b64 s[2:3], exec, s[2:3]
	s_andn2_saveexec_b64 s[2:3], s[2:3]
	s_cbranch_execz .LBB111_85
; %bb.82:
	s_waitcnt vmcnt(47)
	v_mov_b32_e32 v188, v152
	s_waitcnt vmcnt(46)
	v_mov_b32_e32 v189, v153
	;; [unrolled: 2-line block ×4, first 2 shown]
	ds_write_b32 v171, v131
	ds_write2_b64 v173, v[188:189], v[190:191] offset0:8 offset1:9
	s_waitcnt vmcnt(43)
	v_mov_b32_e32 v188, v150
	s_waitcnt vmcnt(42)
	v_mov_b32_e32 v189, v151
	s_waitcnt vmcnt(41)
	v_mov_b32_e32 v190, v126
	s_waitcnt vmcnt(40)
	v_mov_b32_e32 v191, v127
	ds_write2_b64 v173, v[188:189], v[190:191] offset0:10 offset1:11
	s_waitcnt vmcnt(39)
	v_mov_b32_e32 v188, v148
	s_waitcnt vmcnt(38)
	v_mov_b32_e32 v189, v149
	s_waitcnt vmcnt(37)
	v_mov_b32_e32 v190, v124
	s_waitcnt vmcnt(36)
	v_mov_b32_e32 v191, v125
	;; [unrolled: 9-line block ×8, first 2 shown]
	ds_write2_b64 v173, v[188:189], v[190:191] offset0:24 offset1:25
	s_waitcnt vmcnt(11)
	v_mov_b32_e32 v188, v134
	s_waitcnt vmcnt(10)
	v_mov_b32_e32 v189, v135
	s_waitcnt vmcnt(8)
	ds_write2_b64 v173, v[188:189], v[158:159] offset0:26 offset1:27
	ds_read_b32 v188, v171
	s_waitcnt lgkmcnt(0)
	v_cmp_neq_f32_e32 vcc, 0, v188
	s_and_saveexec_b64 s[4:5], vcc
	s_cbranch_execz .LBB111_84
; %bb.83:
	v_div_scale_f32 v189, s[10:11], v188, v188, 1.0
	v_rcp_f32_e32 v190, v189
	v_div_scale_f32 v191, vcc, 1.0, v188, 1.0
	v_fma_f32 v192, -v189, v190, 1.0
	v_fmac_f32_e32 v190, v192, v190
	v_mul_f32_e32 v192, v191, v190
	v_fma_f32 v193, -v189, v192, v191
	v_fmac_f32_e32 v192, v193, v190
	v_fma_f32 v189, -v189, v192, v191
	v_div_fmas_f32 v189, v189, v190, v192
	v_div_fixup_f32 v188, v189, v188, 1.0
	ds_write_b32 v171, v188
.LBB111_84:
	s_or_b64 exec, exec, s[4:5]
.LBB111_85:
	s_or_b64 exec, exec, s[2:3]
	s_waitcnt lgkmcnt(0)
	s_barrier
	ds_read_b32 v188, v171
	v_cmp_lt_u32_e32 vcc, 15, v169
	s_and_saveexec_b64 s[2:3], vcc
	s_cbranch_execz .LBB111_87
; %bb.86:
	ds_read2_b64 v[190:193], v173 offset0:8 offset1:9
	ds_read2_b64 v[194:197], v173 offset0:10 offset1:11
	s_waitcnt vmcnt(48) lgkmcnt(2)
	v_mul_f32_e32 v202, v188, v131
	ds_read2_b64 v[198:201], v173 offset0:12 offset1:13
	v_mov_b32_e32 v131, v202
	s_waitcnt vmcnt(46) lgkmcnt(2)
	v_pk_fma_f32 v[152:153], v[202:203], v[190:191], v[152:153] op_sel_hi:[0,1,1] neg_lo:[1,0,0] neg_hi:[1,0,0]
	s_waitcnt vmcnt(44)
	v_pk_fma_f32 v[128:129], v[202:203], v[192:193], v[128:129] op_sel_hi:[0,1,1] neg_lo:[1,0,0] neg_hi:[1,0,0]
	ds_read2_b64 v[190:193], v173 offset0:14 offset1:15
	s_waitcnt vmcnt(42) lgkmcnt(2)
	v_pk_fma_f32 v[150:151], v[202:203], v[194:195], v[150:151] op_sel_hi:[0,1,1] neg_lo:[1,0,0] neg_hi:[1,0,0]
	s_waitcnt vmcnt(40)
	v_pk_fma_f32 v[126:127], v[202:203], v[196:197], v[126:127] op_sel_hi:[0,1,1] neg_lo:[1,0,0] neg_hi:[1,0,0]
	s_waitcnt vmcnt(38) lgkmcnt(1)
	v_pk_fma_f32 v[148:149], v[202:203], v[198:199], v[148:149] op_sel_hi:[0,1,1] neg_lo:[1,0,0] neg_hi:[1,0,0]
	ds_read2_b64 v[194:197], v173 offset0:16 offset1:17
	s_waitcnt vmcnt(36)
	v_pk_fma_f32 v[124:125], v[202:203], v[200:201], v[124:125] op_sel_hi:[0,1,1] neg_lo:[1,0,0] neg_hi:[1,0,0]
	s_waitcnt vmcnt(34) lgkmcnt(1)
	v_pk_fma_f32 v[146:147], v[202:203], v[190:191], v[146:147] op_sel_hi:[0,1,1] neg_lo:[1,0,0] neg_hi:[1,0,0]
	ds_read2_b64 v[198:201], v173 offset0:18 offset1:19
	s_waitcnt vmcnt(32)
	v_pk_fma_f32 v[122:123], v[202:203], v[192:193], v[122:123] op_sel_hi:[0,1,1] neg_lo:[1,0,0] neg_hi:[1,0,0]
	ds_read2_b64 v[190:193], v173 offset0:20 offset1:21
	s_waitcnt vmcnt(30) lgkmcnt(2)
	v_pk_fma_f32 v[144:145], v[202:203], v[194:195], v[144:145] op_sel_hi:[0,1,1] neg_lo:[1,0,0] neg_hi:[1,0,0]
	s_waitcnt vmcnt(28)
	v_pk_fma_f32 v[120:121], v[202:203], v[196:197], v[120:121] op_sel_hi:[0,1,1] neg_lo:[1,0,0] neg_hi:[1,0,0]
	s_waitcnt vmcnt(26) lgkmcnt(1)
	v_pk_fma_f32 v[142:143], v[202:203], v[198:199], v[142:143] op_sel_hi:[0,1,1] neg_lo:[1,0,0] neg_hi:[1,0,0]
	s_waitcnt vmcnt(24)
	v_pk_fma_f32 v[118:119], v[202:203], v[200:201], v[118:119] op_sel_hi:[0,1,1] neg_lo:[1,0,0] neg_hi:[1,0,0]
	ds_read2_b64 v[194:197], v173 offset0:22 offset1:23
	s_waitcnt vmcnt(22) lgkmcnt(1)
	v_pk_fma_f32 v[140:141], v[202:203], v[190:191], v[140:141] op_sel_hi:[0,1,1] neg_lo:[1,0,0] neg_hi:[1,0,0]
	ds_read2_b64 v[198:201], v173 offset0:24 offset1:25
	s_waitcnt vmcnt(20)
	v_pk_fma_f32 v[116:117], v[202:203], v[192:193], v[116:117] op_sel_hi:[0,1,1] neg_lo:[1,0,0] neg_hi:[1,0,0]
	ds_read2_b64 v[190:193], v173 offset0:26 offset1:27
	s_waitcnt vmcnt(18) lgkmcnt(2)
	v_pk_fma_f32 v[138:139], v[202:203], v[194:195], v[138:139] op_sel_hi:[0,1,1] neg_lo:[1,0,0] neg_hi:[1,0,0]
	s_waitcnt vmcnt(16)
	v_pk_fma_f32 v[114:115], v[202:203], v[196:197], v[114:115] op_sel_hi:[0,1,1] neg_lo:[1,0,0] neg_hi:[1,0,0]
	s_waitcnt vmcnt(14) lgkmcnt(1)
	v_pk_fma_f32 v[136:137], v[202:203], v[198:199], v[136:137] op_sel_hi:[0,1,1] neg_lo:[1,0,0] neg_hi:[1,0,0]
	s_waitcnt vmcnt(12)
	v_pk_fma_f32 v[112:113], v[202:203], v[200:201], v[112:113] op_sel_hi:[0,1,1] neg_lo:[1,0,0] neg_hi:[1,0,0]
	s_waitcnt vmcnt(10) lgkmcnt(0)
	v_pk_fma_f32 v[134:135], v[202:203], v[190:191], v[134:135] op_sel_hi:[0,1,1] neg_lo:[1,0,0] neg_hi:[1,0,0]
	s_waitcnt vmcnt(8)
	v_pk_fma_f32 v[158:159], v[202:203], v[192:193], v[158:159] op_sel_hi:[0,1,1] neg_lo:[1,0,0] neg_hi:[1,0,0]
.LBB111_87:
	s_or_b64 exec, exec, s[2:3]
	v_cmp_eq_u32_e32 vcc, 16, v169
	s_waitcnt lgkmcnt(0)
	s_barrier
	s_and_saveexec_b64 s[2:3], vcc
	s_cbranch_execz .LBB111_90
; %bb.88:
	s_waitcnt vmcnt(44)
	v_pk_mov_b32 v[190:191], v[152:153], v[128:129] op_sel:[1,0]
	ds_write_b32 v171, v152
	ds_write2_b32 v173, v190, v191 offset0:17 offset1:18
	s_waitcnt vmcnt(42)
	v_pk_mov_b32 v[190:191], v[128:129], v[150:151] op_sel:[1,0]
	ds_write2_b32 v173, v190, v191 offset0:19 offset1:20
	s_waitcnt vmcnt(40)
	v_pk_mov_b32 v[190:191], v[150:151], v[126:127] op_sel:[1,0]
	;; [unrolled: 3-line block ×18, first 2 shown]
	ds_write2_b32 v173, v190, v191 offset0:53 offset1:54
	ds_write_b32 v173, v159 offset:220
	ds_read_b32 v189, v171
	s_waitcnt lgkmcnt(0)
	v_cmp_neq_f32_e32 vcc, 0, v189
	s_and_b64 exec, exec, vcc
	s_cbranch_execz .LBB111_90
; %bb.89:
	v_div_scale_f32 v190, s[4:5], v189, v189, 1.0
	v_rcp_f32_e32 v191, v190
	v_div_scale_f32 v192, vcc, 1.0, v189, 1.0
	v_fma_f32 v193, -v190, v191, 1.0
	v_fmac_f32_e32 v191, v193, v191
	v_mul_f32_e32 v193, v192, v191
	v_fma_f32 v194, -v190, v193, v192
	v_fmac_f32_e32 v193, v194, v191
	v_fma_f32 v190, -v190, v193, v192
	v_div_fmas_f32 v190, v190, v191, v193
	v_div_fixup_f32 v189, v190, v189, 1.0
	ds_write_b32 v171, v189
.LBB111_90:
	s_or_b64 exec, exec, s[2:3]
	s_waitcnt lgkmcnt(0)
	s_barrier
	ds_read_b32 v189, v171
	v_cmp_lt_u32_e32 vcc, 16, v169
	s_and_saveexec_b64 s[2:3], vcc
	s_cbranch_execz .LBB111_92
; %bb.91:
	ds_read_b32 v202, v173 offset:68
	ds_read2_b64 v[190:193], v173 offset0:9 offset1:10
	s_waitcnt vmcnt(47) lgkmcnt(2)
	v_mul_f32_e32 v152, v189, v152
	ds_read2_b64 v[194:197], v173 offset0:11 offset1:12
	ds_read2_b64 v[198:201], v173 offset0:13 offset1:14
	s_waitcnt vmcnt(46) lgkmcnt(3)
	v_fma_f32 v153, -v152, v202, v153
	s_waitcnt vmcnt(44) lgkmcnt(2)
	v_pk_fma_f32 v[128:129], v[152:153], v[190:191], v[128:129] op_sel_hi:[0,1,1] neg_lo:[1,0,0] neg_hi:[1,0,0]
	s_waitcnt vmcnt(42)
	v_pk_fma_f32 v[150:151], v[152:153], v[192:193], v[150:151] op_sel_hi:[0,1,1] neg_lo:[1,0,0] neg_hi:[1,0,0]
	ds_read2_b64 v[190:193], v173 offset0:15 offset1:16
	s_waitcnt vmcnt(40) lgkmcnt(2)
	v_pk_fma_f32 v[126:127], v[152:153], v[194:195], v[126:127] op_sel_hi:[0,1,1] neg_lo:[1,0,0] neg_hi:[1,0,0]
	s_waitcnt vmcnt(38)
	v_pk_fma_f32 v[148:149], v[152:153], v[196:197], v[148:149] op_sel_hi:[0,1,1] neg_lo:[1,0,0] neg_hi:[1,0,0]
	s_waitcnt vmcnt(36) lgkmcnt(1)
	v_pk_fma_f32 v[124:125], v[152:153], v[198:199], v[124:125] op_sel_hi:[0,1,1] neg_lo:[1,0,0] neg_hi:[1,0,0]
	ds_read2_b64 v[194:197], v173 offset0:17 offset1:18
	s_waitcnt vmcnt(34)
	v_pk_fma_f32 v[146:147], v[152:153], v[200:201], v[146:147] op_sel_hi:[0,1,1] neg_lo:[1,0,0] neg_hi:[1,0,0]
	s_waitcnt vmcnt(32) lgkmcnt(1)
	v_pk_fma_f32 v[122:123], v[152:153], v[190:191], v[122:123] op_sel_hi:[0,1,1] neg_lo:[1,0,0] neg_hi:[1,0,0]
	ds_read2_b64 v[198:201], v173 offset0:19 offset1:20
	s_waitcnt vmcnt(30)
	v_pk_fma_f32 v[144:145], v[152:153], v[192:193], v[144:145] op_sel_hi:[0,1,1] neg_lo:[1,0,0] neg_hi:[1,0,0]
	ds_read2_b64 v[190:193], v173 offset0:21 offset1:22
	s_waitcnt vmcnt(28) lgkmcnt(2)
	v_pk_fma_f32 v[120:121], v[152:153], v[194:195], v[120:121] op_sel_hi:[0,1,1] neg_lo:[1,0,0] neg_hi:[1,0,0]
	s_waitcnt vmcnt(26)
	v_pk_fma_f32 v[142:143], v[152:153], v[196:197], v[142:143] op_sel_hi:[0,1,1] neg_lo:[1,0,0] neg_hi:[1,0,0]
	s_waitcnt vmcnt(24) lgkmcnt(1)
	v_pk_fma_f32 v[118:119], v[152:153], v[198:199], v[118:119] op_sel_hi:[0,1,1] neg_lo:[1,0,0] neg_hi:[1,0,0]
	s_waitcnt vmcnt(22)
	v_pk_fma_f32 v[140:141], v[152:153], v[200:201], v[140:141] op_sel_hi:[0,1,1] neg_lo:[1,0,0] neg_hi:[1,0,0]
	ds_read2_b64 v[194:197], v173 offset0:23 offset1:24
	ds_read2_b64 v[198:201], v173 offset0:25 offset1:26
	s_waitcnt vmcnt(20) lgkmcnt(2)
	v_pk_fma_f32 v[116:117], v[152:153], v[190:191], v[116:117] op_sel_hi:[0,1,1] neg_lo:[1,0,0] neg_hi:[1,0,0]
	ds_read_b64 v[190:191], v173 offset:216
	s_waitcnt vmcnt(18)
	v_pk_fma_f32 v[138:139], v[152:153], v[192:193], v[138:139] op_sel_hi:[0,1,1] neg_lo:[1,0,0] neg_hi:[1,0,0]
	s_waitcnt vmcnt(16) lgkmcnt(2)
	v_pk_fma_f32 v[114:115], v[152:153], v[194:195], v[114:115] op_sel_hi:[0,1,1] neg_lo:[1,0,0] neg_hi:[1,0,0]
	s_waitcnt vmcnt(14)
	v_pk_fma_f32 v[136:137], v[152:153], v[196:197], v[136:137] op_sel_hi:[0,1,1] neg_lo:[1,0,0] neg_hi:[1,0,0]
	s_waitcnt vmcnt(12) lgkmcnt(1)
	v_pk_fma_f32 v[112:113], v[152:153], v[198:199], v[112:113] op_sel_hi:[0,1,1] neg_lo:[1,0,0] neg_hi:[1,0,0]
	;; [unrolled: 4-line block ×3, first 2 shown]
.LBB111_92:
	s_or_b64 exec, exec, s[2:3]
	v_cmp_ne_u32_e32 vcc, 17, v169
	s_waitcnt lgkmcnt(0)
	s_barrier
	s_and_saveexec_b64 s[2:3], vcc
	s_xor_b64 s[2:3], exec, s[2:3]
	s_andn2_saveexec_b64 s[2:3], s[2:3]
	s_cbranch_execz .LBB111_96
; %bb.93:
	s_waitcnt vmcnt(46)
	ds_write_b32 v171, v153
	s_waitcnt vmcnt(42)
	ds_write2_b64 v173, v[128:129], v[150:151] offset0:9 offset1:10
	s_waitcnt vmcnt(38)
	ds_write2_b64 v173, v[126:127], v[148:149] offset0:11 offset1:12
	;; [unrolled: 2-line block ×9, first 2 shown]
	s_waitcnt vmcnt(8)
	ds_write_b64 v173, v[158:159] offset:216
	ds_read_b32 v190, v171
	s_waitcnt lgkmcnt(0)
	v_cmp_neq_f32_e32 vcc, 0, v190
	s_and_saveexec_b64 s[4:5], vcc
	s_cbranch_execz .LBB111_95
; %bb.94:
	v_div_scale_f32 v191, s[10:11], v190, v190, 1.0
	v_rcp_f32_e32 v192, v191
	v_div_scale_f32 v193, vcc, 1.0, v190, 1.0
	v_fma_f32 v194, -v191, v192, 1.0
	v_fmac_f32_e32 v192, v194, v192
	v_mul_f32_e32 v194, v193, v192
	v_fma_f32 v195, -v191, v194, v193
	v_fmac_f32_e32 v194, v195, v192
	v_fma_f32 v191, -v191, v194, v193
	v_div_fmas_f32 v191, v191, v192, v194
	v_div_fixup_f32 v190, v191, v190, 1.0
	ds_write_b32 v171, v190
.LBB111_95:
	s_or_b64 exec, exec, s[4:5]
.LBB111_96:
	s_or_b64 exec, exec, s[2:3]
	s_waitcnt lgkmcnt(0)
	s_barrier
	ds_read_b32 v190, v171
	v_cmp_lt_u32_e32 vcc, 17, v169
	s_and_saveexec_b64 s[2:3], vcc
	s_cbranch_execz .LBB111_98
; %bb.97:
	ds_read2_b64 v[192:195], v173 offset0:9 offset1:10
	ds_read2_b64 v[196:199], v173 offset0:11 offset1:12
	s_waitcnt vmcnt(46) lgkmcnt(2)
	v_mul_f32_e32 v204, v190, v153
	ds_read2_b64 v[200:203], v173 offset0:13 offset1:14
	v_mov_b32_e32 v153, v204
	s_waitcnt vmcnt(44) lgkmcnt(2)
	v_pk_fma_f32 v[128:129], v[204:205], v[192:193], v[128:129] op_sel_hi:[0,1,1] neg_lo:[1,0,0] neg_hi:[1,0,0]
	s_waitcnt vmcnt(42)
	v_pk_fma_f32 v[150:151], v[204:205], v[194:195], v[150:151] op_sel_hi:[0,1,1] neg_lo:[1,0,0] neg_hi:[1,0,0]
	ds_read2_b64 v[192:195], v173 offset0:15 offset1:16
	s_waitcnt vmcnt(40) lgkmcnt(2)
	v_pk_fma_f32 v[126:127], v[204:205], v[196:197], v[126:127] op_sel_hi:[0,1,1] neg_lo:[1,0,0] neg_hi:[1,0,0]
	s_waitcnt vmcnt(38)
	v_pk_fma_f32 v[148:149], v[204:205], v[198:199], v[148:149] op_sel_hi:[0,1,1] neg_lo:[1,0,0] neg_hi:[1,0,0]
	s_waitcnt vmcnt(36) lgkmcnt(1)
	v_pk_fma_f32 v[124:125], v[204:205], v[200:201], v[124:125] op_sel_hi:[0,1,1] neg_lo:[1,0,0] neg_hi:[1,0,0]
	ds_read2_b64 v[196:199], v173 offset0:17 offset1:18
	s_waitcnt vmcnt(34)
	v_pk_fma_f32 v[146:147], v[204:205], v[202:203], v[146:147] op_sel_hi:[0,1,1] neg_lo:[1,0,0] neg_hi:[1,0,0]
	s_waitcnt vmcnt(32) lgkmcnt(1)
	v_pk_fma_f32 v[122:123], v[204:205], v[192:193], v[122:123] op_sel_hi:[0,1,1] neg_lo:[1,0,0] neg_hi:[1,0,0]
	ds_read2_b64 v[200:203], v173 offset0:19 offset1:20
	s_waitcnt vmcnt(30)
	v_pk_fma_f32 v[144:145], v[204:205], v[194:195], v[144:145] op_sel_hi:[0,1,1] neg_lo:[1,0,0] neg_hi:[1,0,0]
	ds_read2_b64 v[192:195], v173 offset0:21 offset1:22
	s_waitcnt vmcnt(28) lgkmcnt(2)
	v_pk_fma_f32 v[120:121], v[204:205], v[196:197], v[120:121] op_sel_hi:[0,1,1] neg_lo:[1,0,0] neg_hi:[1,0,0]
	s_waitcnt vmcnt(26)
	v_pk_fma_f32 v[142:143], v[204:205], v[198:199], v[142:143] op_sel_hi:[0,1,1] neg_lo:[1,0,0] neg_hi:[1,0,0]
	s_waitcnt vmcnt(24) lgkmcnt(1)
	v_pk_fma_f32 v[118:119], v[204:205], v[200:201], v[118:119] op_sel_hi:[0,1,1] neg_lo:[1,0,0] neg_hi:[1,0,0]
	s_waitcnt vmcnt(22)
	v_pk_fma_f32 v[140:141], v[204:205], v[202:203], v[140:141] op_sel_hi:[0,1,1] neg_lo:[1,0,0] neg_hi:[1,0,0]
	ds_read2_b64 v[196:199], v173 offset0:23 offset1:24
	s_waitcnt vmcnt(20) lgkmcnt(1)
	v_pk_fma_f32 v[116:117], v[204:205], v[192:193], v[116:117] op_sel_hi:[0,1,1] neg_lo:[1,0,0] neg_hi:[1,0,0]
	ds_read2_b64 v[200:203], v173 offset0:25 offset1:26
	ds_read_b64 v[192:193], v173 offset:216
	s_waitcnt vmcnt(18)
	v_pk_fma_f32 v[138:139], v[204:205], v[194:195], v[138:139] op_sel_hi:[0,1,1] neg_lo:[1,0,0] neg_hi:[1,0,0]
	s_waitcnt vmcnt(16) lgkmcnt(2)
	v_pk_fma_f32 v[114:115], v[204:205], v[196:197], v[114:115] op_sel_hi:[0,1,1] neg_lo:[1,0,0] neg_hi:[1,0,0]
	s_waitcnt vmcnt(14)
	v_pk_fma_f32 v[136:137], v[204:205], v[198:199], v[136:137] op_sel_hi:[0,1,1] neg_lo:[1,0,0] neg_hi:[1,0,0]
	s_waitcnt vmcnt(12) lgkmcnt(1)
	v_pk_fma_f32 v[112:113], v[204:205], v[200:201], v[112:113] op_sel_hi:[0,1,1] neg_lo:[1,0,0] neg_hi:[1,0,0]
	;; [unrolled: 4-line block ×3, first 2 shown]
.LBB111_98:
	s_or_b64 exec, exec, s[2:3]
	v_cmp_eq_u32_e32 vcc, 18, v169
	s_waitcnt lgkmcnt(0)
	s_barrier
	s_and_saveexec_b64 s[2:3], vcc
	s_cbranch_execz .LBB111_101
; %bb.99:
	s_waitcnt vmcnt(42)
	v_pk_mov_b32 v[192:193], v[128:129], v[150:151] op_sel:[1,0]
	ds_write_b32 v171, v128
	ds_write2_b32 v173, v192, v193 offset0:19 offset1:20
	s_waitcnt vmcnt(40)
	v_pk_mov_b32 v[192:193], v[150:151], v[126:127] op_sel:[1,0]
	ds_write2_b32 v173, v192, v193 offset0:21 offset1:22
	s_waitcnt vmcnt(38)
	v_pk_mov_b32 v[192:193], v[126:127], v[148:149] op_sel:[1,0]
	;; [unrolled: 3-line block ×17, first 2 shown]
	ds_write2_b32 v173, v192, v193 offset0:53 offset1:54
	ds_write_b32 v173, v159 offset:220
	ds_read_b32 v191, v171
	s_waitcnt lgkmcnt(0)
	v_cmp_neq_f32_e32 vcc, 0, v191
	s_and_b64 exec, exec, vcc
	s_cbranch_execz .LBB111_101
; %bb.100:
	v_div_scale_f32 v192, s[4:5], v191, v191, 1.0
	v_rcp_f32_e32 v193, v192
	v_div_scale_f32 v194, vcc, 1.0, v191, 1.0
	v_fma_f32 v195, -v192, v193, 1.0
	v_fmac_f32_e32 v193, v195, v193
	v_mul_f32_e32 v195, v194, v193
	v_fma_f32 v196, -v192, v195, v194
	v_fmac_f32_e32 v195, v196, v193
	v_fma_f32 v192, -v192, v195, v194
	v_div_fmas_f32 v192, v192, v193, v195
	v_div_fixup_f32 v191, v192, v191, 1.0
	ds_write_b32 v171, v191
.LBB111_101:
	s_or_b64 exec, exec, s[2:3]
	s_waitcnt lgkmcnt(0)
	s_barrier
	ds_read_b32 v191, v171
	v_cmp_lt_u32_e32 vcc, 18, v169
	s_and_saveexec_b64 s[2:3], vcc
	s_cbranch_execz .LBB111_103
; %bb.102:
	ds_read_b32 v204, v173 offset:76
	ds_read2_b64 v[192:195], v173 offset0:10 offset1:11
	ds_read2_b64 v[196:199], v173 offset0:12 offset1:13
	;; [unrolled: 1-line block ×3, first 2 shown]
	s_waitcnt vmcnt(45) lgkmcnt(4)
	v_mul_f32_e32 v128, v191, v128
	s_waitcnt vmcnt(44) lgkmcnt(3)
	v_fma_f32 v129, -v128, v204, v129
	s_waitcnt vmcnt(42) lgkmcnt(2)
	v_pk_fma_f32 v[150:151], v[128:129], v[192:193], v[150:151] op_sel_hi:[0,1,1] neg_lo:[1,0,0] neg_hi:[1,0,0]
	s_waitcnt vmcnt(40)
	v_pk_fma_f32 v[126:127], v[128:129], v[194:195], v[126:127] op_sel_hi:[0,1,1] neg_lo:[1,0,0] neg_hi:[1,0,0]
	s_waitcnt vmcnt(38) lgkmcnt(1)
	v_pk_fma_f32 v[148:149], v[128:129], v[196:197], v[148:149] op_sel_hi:[0,1,1] neg_lo:[1,0,0] neg_hi:[1,0,0]
	ds_read2_b64 v[192:195], v173 offset0:16 offset1:17
	s_waitcnt vmcnt(36)
	v_pk_fma_f32 v[124:125], v[128:129], v[198:199], v[124:125] op_sel_hi:[0,1,1] neg_lo:[1,0,0] neg_hi:[1,0,0]
	s_waitcnt vmcnt(34) lgkmcnt(1)
	v_pk_fma_f32 v[146:147], v[128:129], v[200:201], v[146:147] op_sel_hi:[0,1,1] neg_lo:[1,0,0] neg_hi:[1,0,0]
	ds_read2_b64 v[196:199], v173 offset0:18 offset1:19
	s_waitcnt vmcnt(32)
	v_pk_fma_f32 v[122:123], v[128:129], v[202:203], v[122:123] op_sel_hi:[0,1,1] neg_lo:[1,0,0] neg_hi:[1,0,0]
	ds_read2_b64 v[200:203], v173 offset0:20 offset1:21
	s_waitcnt vmcnt(30) lgkmcnt(2)
	v_pk_fma_f32 v[144:145], v[128:129], v[192:193], v[144:145] op_sel_hi:[0,1,1] neg_lo:[1,0,0] neg_hi:[1,0,0]
	s_waitcnt vmcnt(28)
	v_pk_fma_f32 v[120:121], v[128:129], v[194:195], v[120:121] op_sel_hi:[0,1,1] neg_lo:[1,0,0] neg_hi:[1,0,0]
	s_waitcnt vmcnt(26) lgkmcnt(1)
	v_pk_fma_f32 v[142:143], v[128:129], v[196:197], v[142:143] op_sel_hi:[0,1,1] neg_lo:[1,0,0] neg_hi:[1,0,0]
	s_waitcnt vmcnt(24)
	v_pk_fma_f32 v[118:119], v[128:129], v[198:199], v[118:119] op_sel_hi:[0,1,1] neg_lo:[1,0,0] neg_hi:[1,0,0]
	ds_read2_b64 v[192:195], v173 offset0:22 offset1:23
	s_waitcnt vmcnt(22) lgkmcnt(1)
	v_pk_fma_f32 v[140:141], v[128:129], v[200:201], v[140:141] op_sel_hi:[0,1,1] neg_lo:[1,0,0] neg_hi:[1,0,0]
	ds_read2_b64 v[196:199], v173 offset0:24 offset1:25
	s_waitcnt vmcnt(20)
	v_pk_fma_f32 v[116:117], v[128:129], v[202:203], v[116:117] op_sel_hi:[0,1,1] neg_lo:[1,0,0] neg_hi:[1,0,0]
	ds_read2_b64 v[200:203], v173 offset0:26 offset1:27
	s_waitcnt vmcnt(18) lgkmcnt(2)
	v_pk_fma_f32 v[138:139], v[128:129], v[192:193], v[138:139] op_sel_hi:[0,1,1] neg_lo:[1,0,0] neg_hi:[1,0,0]
	s_waitcnt vmcnt(16)
	v_pk_fma_f32 v[114:115], v[128:129], v[194:195], v[114:115] op_sel_hi:[0,1,1] neg_lo:[1,0,0] neg_hi:[1,0,0]
	s_waitcnt vmcnt(14) lgkmcnt(1)
	v_pk_fma_f32 v[136:137], v[128:129], v[196:197], v[136:137] op_sel_hi:[0,1,1] neg_lo:[1,0,0] neg_hi:[1,0,0]
	s_waitcnt vmcnt(12)
	v_pk_fma_f32 v[112:113], v[128:129], v[198:199], v[112:113] op_sel_hi:[0,1,1] neg_lo:[1,0,0] neg_hi:[1,0,0]
	;; [unrolled: 4-line block ×3, first 2 shown]
.LBB111_103:
	s_or_b64 exec, exec, s[2:3]
	v_cmp_ne_u32_e32 vcc, 19, v169
	s_waitcnt lgkmcnt(0)
	s_barrier
	s_and_saveexec_b64 s[2:3], vcc
	s_xor_b64 s[2:3], exec, s[2:3]
	s_andn2_saveexec_b64 s[2:3], s[2:3]
	s_cbranch_execz .LBB111_107
; %bb.104:
	s_waitcnt vmcnt(43)
	v_mov_b32_e32 v192, v150
	s_waitcnt vmcnt(42)
	v_mov_b32_e32 v193, v151
	;; [unrolled: 2-line block ×4, first 2 shown]
	ds_write_b32 v171, v129
	ds_write2_b64 v173, v[192:193], v[194:195] offset0:10 offset1:11
	s_waitcnt vmcnt(39)
	v_mov_b32_e32 v192, v148
	s_waitcnt vmcnt(38)
	v_mov_b32_e32 v193, v149
	s_waitcnt vmcnt(37)
	v_mov_b32_e32 v194, v124
	s_waitcnt vmcnt(36)
	v_mov_b32_e32 v195, v125
	ds_write2_b64 v173, v[192:193], v[194:195] offset0:12 offset1:13
	s_waitcnt vmcnt(35)
	v_mov_b32_e32 v192, v146
	s_waitcnt vmcnt(34)
	v_mov_b32_e32 v193, v147
	s_waitcnt vmcnt(33)
	v_mov_b32_e32 v194, v122
	s_waitcnt vmcnt(32)
	v_mov_b32_e32 v195, v123
	;; [unrolled: 9-line block ×7, first 2 shown]
	ds_write2_b64 v173, v[192:193], v[194:195] offset0:24 offset1:25
	s_waitcnt vmcnt(11)
	v_mov_b32_e32 v192, v134
	s_waitcnt vmcnt(10)
	v_mov_b32_e32 v193, v135
	s_waitcnt vmcnt(8)
	ds_write2_b64 v173, v[192:193], v[158:159] offset0:26 offset1:27
	ds_read_b32 v192, v171
	s_waitcnt lgkmcnt(0)
	v_cmp_neq_f32_e32 vcc, 0, v192
	s_and_saveexec_b64 s[4:5], vcc
	s_cbranch_execz .LBB111_106
; %bb.105:
	v_div_scale_f32 v193, s[10:11], v192, v192, 1.0
	v_rcp_f32_e32 v194, v193
	v_div_scale_f32 v195, vcc, 1.0, v192, 1.0
	v_fma_f32 v196, -v193, v194, 1.0
	v_fmac_f32_e32 v194, v196, v194
	v_mul_f32_e32 v196, v195, v194
	v_fma_f32 v197, -v193, v196, v195
	v_fmac_f32_e32 v196, v197, v194
	v_fma_f32 v193, -v193, v196, v195
	v_div_fmas_f32 v193, v193, v194, v196
	v_div_fixup_f32 v192, v193, v192, 1.0
	ds_write_b32 v171, v192
.LBB111_106:
	s_or_b64 exec, exec, s[4:5]
.LBB111_107:
	s_or_b64 exec, exec, s[2:3]
	s_waitcnt lgkmcnt(0)
	s_barrier
	ds_read_b32 v192, v171
	v_cmp_lt_u32_e32 vcc, 19, v169
	s_and_saveexec_b64 s[2:3], vcc
	s_cbranch_execz .LBB111_109
; %bb.108:
	ds_read2_b64 v[194:197], v173 offset0:10 offset1:11
	ds_read2_b64 v[198:201], v173 offset0:12 offset1:13
	;; [unrolled: 1-line block ×3, first 2 shown]
	s_waitcnt vmcnt(44) lgkmcnt(3)
	v_mul_f32_e32 v206, v192, v129
	v_mov_b32_e32 v129, v206
	s_waitcnt vmcnt(42) lgkmcnt(2)
	v_pk_fma_f32 v[150:151], v[206:207], v[194:195], v[150:151] op_sel_hi:[0,1,1] neg_lo:[1,0,0] neg_hi:[1,0,0]
	s_waitcnt vmcnt(40)
	v_pk_fma_f32 v[126:127], v[206:207], v[196:197], v[126:127] op_sel_hi:[0,1,1] neg_lo:[1,0,0] neg_hi:[1,0,0]
	s_waitcnt vmcnt(38) lgkmcnt(1)
	v_pk_fma_f32 v[148:149], v[206:207], v[198:199], v[148:149] op_sel_hi:[0,1,1] neg_lo:[1,0,0] neg_hi:[1,0,0]
	ds_read2_b64 v[194:197], v173 offset0:16 offset1:17
	s_waitcnt vmcnt(36)
	v_pk_fma_f32 v[124:125], v[206:207], v[200:201], v[124:125] op_sel_hi:[0,1,1] neg_lo:[1,0,0] neg_hi:[1,0,0]
	s_waitcnt vmcnt(34) lgkmcnt(1)
	v_pk_fma_f32 v[146:147], v[206:207], v[202:203], v[146:147] op_sel_hi:[0,1,1] neg_lo:[1,0,0] neg_hi:[1,0,0]
	ds_read2_b64 v[198:201], v173 offset0:18 offset1:19
	s_waitcnt vmcnt(32)
	v_pk_fma_f32 v[122:123], v[206:207], v[204:205], v[122:123] op_sel_hi:[0,1,1] neg_lo:[1,0,0] neg_hi:[1,0,0]
	ds_read2_b64 v[202:205], v173 offset0:20 offset1:21
	s_waitcnt vmcnt(30) lgkmcnt(2)
	v_pk_fma_f32 v[144:145], v[206:207], v[194:195], v[144:145] op_sel_hi:[0,1,1] neg_lo:[1,0,0] neg_hi:[1,0,0]
	s_waitcnt vmcnt(28)
	v_pk_fma_f32 v[120:121], v[206:207], v[196:197], v[120:121] op_sel_hi:[0,1,1] neg_lo:[1,0,0] neg_hi:[1,0,0]
	s_waitcnt vmcnt(26) lgkmcnt(1)
	v_pk_fma_f32 v[142:143], v[206:207], v[198:199], v[142:143] op_sel_hi:[0,1,1] neg_lo:[1,0,0] neg_hi:[1,0,0]
	s_waitcnt vmcnt(24)
	v_pk_fma_f32 v[118:119], v[206:207], v[200:201], v[118:119] op_sel_hi:[0,1,1] neg_lo:[1,0,0] neg_hi:[1,0,0]
	ds_read2_b64 v[194:197], v173 offset0:22 offset1:23
	ds_read2_b64 v[198:201], v173 offset0:24 offset1:25
	s_waitcnt vmcnt(22) lgkmcnt(2)
	v_pk_fma_f32 v[140:141], v[206:207], v[202:203], v[140:141] op_sel_hi:[0,1,1] neg_lo:[1,0,0] neg_hi:[1,0,0]
	s_waitcnt vmcnt(20)
	v_pk_fma_f32 v[116:117], v[206:207], v[204:205], v[116:117] op_sel_hi:[0,1,1] neg_lo:[1,0,0] neg_hi:[1,0,0]
	ds_read2_b64 v[202:205], v173 offset0:26 offset1:27
	s_waitcnt vmcnt(18) lgkmcnt(2)
	v_pk_fma_f32 v[138:139], v[206:207], v[194:195], v[138:139] op_sel_hi:[0,1,1] neg_lo:[1,0,0] neg_hi:[1,0,0]
	s_waitcnt vmcnt(16)
	v_pk_fma_f32 v[114:115], v[206:207], v[196:197], v[114:115] op_sel_hi:[0,1,1] neg_lo:[1,0,0] neg_hi:[1,0,0]
	s_waitcnt vmcnt(14) lgkmcnt(1)
	v_pk_fma_f32 v[136:137], v[206:207], v[198:199], v[136:137] op_sel_hi:[0,1,1] neg_lo:[1,0,0] neg_hi:[1,0,0]
	s_waitcnt vmcnt(12)
	v_pk_fma_f32 v[112:113], v[206:207], v[200:201], v[112:113] op_sel_hi:[0,1,1] neg_lo:[1,0,0] neg_hi:[1,0,0]
	;; [unrolled: 4-line block ×3, first 2 shown]
.LBB111_109:
	s_or_b64 exec, exec, s[2:3]
	v_cmp_eq_u32_e32 vcc, 20, v169
	s_waitcnt lgkmcnt(0)
	s_barrier
	s_and_saveexec_b64 s[2:3], vcc
	s_cbranch_execz .LBB111_112
; %bb.110:
	s_waitcnt vmcnt(40)
	v_pk_mov_b32 v[194:195], v[150:151], v[126:127] op_sel:[1,0]
	ds_write_b32 v171, v150
	ds_write2_b32 v173, v194, v195 offset0:21 offset1:22
	s_waitcnt vmcnt(38)
	v_pk_mov_b32 v[194:195], v[126:127], v[148:149] op_sel:[1,0]
	ds_write2_b32 v173, v194, v195 offset0:23 offset1:24
	s_waitcnt vmcnt(36)
	v_pk_mov_b32 v[194:195], v[148:149], v[124:125] op_sel:[1,0]
	;; [unrolled: 3-line block ×16, first 2 shown]
	ds_write2_b32 v173, v194, v195 offset0:53 offset1:54
	ds_write_b32 v173, v159 offset:220
	ds_read_b32 v193, v171
	s_waitcnt lgkmcnt(0)
	v_cmp_neq_f32_e32 vcc, 0, v193
	s_and_b64 exec, exec, vcc
	s_cbranch_execz .LBB111_112
; %bb.111:
	v_div_scale_f32 v194, s[4:5], v193, v193, 1.0
	v_rcp_f32_e32 v195, v194
	v_div_scale_f32 v196, vcc, 1.0, v193, 1.0
	v_fma_f32 v197, -v194, v195, 1.0
	v_fmac_f32_e32 v195, v197, v195
	v_mul_f32_e32 v197, v196, v195
	v_fma_f32 v198, -v194, v197, v196
	v_fmac_f32_e32 v197, v198, v195
	v_fma_f32 v194, -v194, v197, v196
	v_div_fmas_f32 v194, v194, v195, v197
	v_div_fixup_f32 v193, v194, v193, 1.0
	ds_write_b32 v171, v193
.LBB111_112:
	s_or_b64 exec, exec, s[2:3]
	s_waitcnt lgkmcnt(0)
	s_barrier
	ds_read_b32 v193, v171
	v_cmp_lt_u32_e32 vcc, 20, v169
	s_and_saveexec_b64 s[2:3], vcc
	s_cbranch_execz .LBB111_114
; %bb.113:
	ds_read_b32 v206, v173 offset:84
	ds_read2_b64 v[194:197], v173 offset0:11 offset1:12
	ds_read2_b64 v[198:201], v173 offset0:13 offset1:14
	;; [unrolled: 1-line block ×3, first 2 shown]
	s_waitcnt vmcnt(43) lgkmcnt(4)
	v_mul_f32_e32 v150, v193, v150
	s_waitcnt vmcnt(42) lgkmcnt(3)
	v_fma_f32 v151, -v150, v206, v151
	s_waitcnt vmcnt(40) lgkmcnt(2)
	v_pk_fma_f32 v[126:127], v[150:151], v[194:195], v[126:127] op_sel_hi:[0,1,1] neg_lo:[1,0,0] neg_hi:[1,0,0]
	s_waitcnt vmcnt(38)
	v_pk_fma_f32 v[148:149], v[150:151], v[196:197], v[148:149] op_sel_hi:[0,1,1] neg_lo:[1,0,0] neg_hi:[1,0,0]
	s_waitcnt vmcnt(36) lgkmcnt(1)
	v_pk_fma_f32 v[124:125], v[150:151], v[198:199], v[124:125] op_sel_hi:[0,1,1] neg_lo:[1,0,0] neg_hi:[1,0,0]
	ds_read2_b64 v[194:197], v173 offset0:17 offset1:18
	s_waitcnt vmcnt(34)
	v_pk_fma_f32 v[146:147], v[150:151], v[200:201], v[146:147] op_sel_hi:[0,1,1] neg_lo:[1,0,0] neg_hi:[1,0,0]
	s_waitcnt vmcnt(32) lgkmcnt(1)
	v_pk_fma_f32 v[122:123], v[150:151], v[202:203], v[122:123] op_sel_hi:[0,1,1] neg_lo:[1,0,0] neg_hi:[1,0,0]
	ds_read2_b64 v[198:201], v173 offset0:19 offset1:20
	s_waitcnt vmcnt(30)
	v_pk_fma_f32 v[144:145], v[150:151], v[204:205], v[144:145] op_sel_hi:[0,1,1] neg_lo:[1,0,0] neg_hi:[1,0,0]
	ds_read2_b64 v[202:205], v173 offset0:21 offset1:22
	s_waitcnt vmcnt(28) lgkmcnt(2)
	v_pk_fma_f32 v[120:121], v[150:151], v[194:195], v[120:121] op_sel_hi:[0,1,1] neg_lo:[1,0,0] neg_hi:[1,0,0]
	s_waitcnt vmcnt(26)
	v_pk_fma_f32 v[142:143], v[150:151], v[196:197], v[142:143] op_sel_hi:[0,1,1] neg_lo:[1,0,0] neg_hi:[1,0,0]
	s_waitcnt vmcnt(24) lgkmcnt(1)
	v_pk_fma_f32 v[118:119], v[150:151], v[198:199], v[118:119] op_sel_hi:[0,1,1] neg_lo:[1,0,0] neg_hi:[1,0,0]
	s_waitcnt vmcnt(22)
	v_pk_fma_f32 v[140:141], v[150:151], v[200:201], v[140:141] op_sel_hi:[0,1,1] neg_lo:[1,0,0] neg_hi:[1,0,0]
	ds_read2_b64 v[194:197], v173 offset0:23 offset1:24
	s_waitcnt vmcnt(20) lgkmcnt(1)
	v_pk_fma_f32 v[116:117], v[150:151], v[202:203], v[116:117] op_sel_hi:[0,1,1] neg_lo:[1,0,0] neg_hi:[1,0,0]
	ds_read2_b64 v[198:201], v173 offset0:25 offset1:26
	ds_read_b64 v[202:203], v173 offset:216
	s_waitcnt vmcnt(18)
	v_pk_fma_f32 v[138:139], v[150:151], v[204:205], v[138:139] op_sel_hi:[0,1,1] neg_lo:[1,0,0] neg_hi:[1,0,0]
	s_waitcnt vmcnt(16) lgkmcnt(2)
	v_pk_fma_f32 v[114:115], v[150:151], v[194:195], v[114:115] op_sel_hi:[0,1,1] neg_lo:[1,0,0] neg_hi:[1,0,0]
	s_waitcnt vmcnt(14)
	v_pk_fma_f32 v[136:137], v[150:151], v[196:197], v[136:137] op_sel_hi:[0,1,1] neg_lo:[1,0,0] neg_hi:[1,0,0]
	s_waitcnt vmcnt(12) lgkmcnt(1)
	v_pk_fma_f32 v[112:113], v[150:151], v[198:199], v[112:113] op_sel_hi:[0,1,1] neg_lo:[1,0,0] neg_hi:[1,0,0]
	;; [unrolled: 4-line block ×3, first 2 shown]
.LBB111_114:
	s_or_b64 exec, exec, s[2:3]
	v_cmp_ne_u32_e32 vcc, 21, v169
	s_waitcnt lgkmcnt(0)
	s_barrier
	s_and_saveexec_b64 s[2:3], vcc
	s_xor_b64 s[2:3], exec, s[2:3]
	s_andn2_saveexec_b64 s[2:3], s[2:3]
	s_cbranch_execz .LBB111_118
; %bb.115:
	s_waitcnt vmcnt(42)
	ds_write_b32 v171, v151
	s_waitcnt vmcnt(38)
	ds_write2_b64 v173, v[126:127], v[148:149] offset0:11 offset1:12
	s_waitcnt vmcnt(34)
	ds_write2_b64 v173, v[124:125], v[146:147] offset0:13 offset1:14
	;; [unrolled: 2-line block ×8, first 2 shown]
	s_waitcnt vmcnt(8)
	ds_write_b64 v173, v[158:159] offset:216
	ds_read_b32 v194, v171
	s_waitcnt lgkmcnt(0)
	v_cmp_neq_f32_e32 vcc, 0, v194
	s_and_saveexec_b64 s[4:5], vcc
	s_cbranch_execz .LBB111_117
; %bb.116:
	v_div_scale_f32 v195, s[10:11], v194, v194, 1.0
	v_rcp_f32_e32 v196, v195
	v_div_scale_f32 v197, vcc, 1.0, v194, 1.0
	v_fma_f32 v198, -v195, v196, 1.0
	v_fmac_f32_e32 v196, v198, v196
	v_mul_f32_e32 v198, v197, v196
	v_fma_f32 v199, -v195, v198, v197
	v_fmac_f32_e32 v198, v199, v196
	v_fma_f32 v195, -v195, v198, v197
	v_div_fmas_f32 v195, v195, v196, v198
	v_div_fixup_f32 v194, v195, v194, 1.0
	ds_write_b32 v171, v194
.LBB111_117:
	s_or_b64 exec, exec, s[4:5]
.LBB111_118:
	s_or_b64 exec, exec, s[2:3]
	s_waitcnt lgkmcnt(0)
	s_barrier
	ds_read_b32 v194, v171
	v_cmp_lt_u32_e32 vcc, 21, v169
	s_and_saveexec_b64 s[2:3], vcc
	s_cbranch_execz .LBB111_120
; %bb.119:
	ds_read2_b64 v[196:199], v173 offset0:11 offset1:12
	ds_read2_b64 v[200:203], v173 offset0:13 offset1:14
	;; [unrolled: 1-line block ×3, first 2 shown]
	s_waitcnt vmcnt(42) lgkmcnt(3)
	v_mul_f32_e32 v208, v194, v151
	v_mov_b32_e32 v151, v208
	s_waitcnt vmcnt(40) lgkmcnt(2)
	v_pk_fma_f32 v[126:127], v[208:209], v[196:197], v[126:127] op_sel_hi:[0,1,1] neg_lo:[1,0,0] neg_hi:[1,0,0]
	s_waitcnt vmcnt(38)
	v_pk_fma_f32 v[148:149], v[208:209], v[198:199], v[148:149] op_sel_hi:[0,1,1] neg_lo:[1,0,0] neg_hi:[1,0,0]
	s_waitcnt vmcnt(36) lgkmcnt(1)
	v_pk_fma_f32 v[124:125], v[208:209], v[200:201], v[124:125] op_sel_hi:[0,1,1] neg_lo:[1,0,0] neg_hi:[1,0,0]
	ds_read2_b64 v[196:199], v173 offset0:17 offset1:18
	s_waitcnt vmcnt(34)
	v_pk_fma_f32 v[146:147], v[208:209], v[202:203], v[146:147] op_sel_hi:[0,1,1] neg_lo:[1,0,0] neg_hi:[1,0,0]
	s_waitcnt vmcnt(32) lgkmcnt(1)
	v_pk_fma_f32 v[122:123], v[208:209], v[204:205], v[122:123] op_sel_hi:[0,1,1] neg_lo:[1,0,0] neg_hi:[1,0,0]
	ds_read2_b64 v[200:203], v173 offset0:19 offset1:20
	s_waitcnt vmcnt(30)
	v_pk_fma_f32 v[144:145], v[208:209], v[206:207], v[144:145] op_sel_hi:[0,1,1] neg_lo:[1,0,0] neg_hi:[1,0,0]
	ds_read2_b64 v[204:207], v173 offset0:21 offset1:22
	s_waitcnt vmcnt(28) lgkmcnt(2)
	v_pk_fma_f32 v[120:121], v[208:209], v[196:197], v[120:121] op_sel_hi:[0,1,1] neg_lo:[1,0,0] neg_hi:[1,0,0]
	s_waitcnt vmcnt(26)
	v_pk_fma_f32 v[142:143], v[208:209], v[198:199], v[142:143] op_sel_hi:[0,1,1] neg_lo:[1,0,0] neg_hi:[1,0,0]
	s_waitcnt vmcnt(24) lgkmcnt(1)
	v_pk_fma_f32 v[118:119], v[208:209], v[200:201], v[118:119] op_sel_hi:[0,1,1] neg_lo:[1,0,0] neg_hi:[1,0,0]
	s_waitcnt vmcnt(22)
	v_pk_fma_f32 v[140:141], v[208:209], v[202:203], v[140:141] op_sel_hi:[0,1,1] neg_lo:[1,0,0] neg_hi:[1,0,0]
	ds_read2_b64 v[196:199], v173 offset0:23 offset1:24
	ds_read2_b64 v[200:203], v173 offset0:25 offset1:26
	s_waitcnt vmcnt(20) lgkmcnt(2)
	v_pk_fma_f32 v[116:117], v[208:209], v[204:205], v[116:117] op_sel_hi:[0,1,1] neg_lo:[1,0,0] neg_hi:[1,0,0]
	ds_read_b64 v[204:205], v173 offset:216
	s_waitcnt vmcnt(18)
	v_pk_fma_f32 v[138:139], v[208:209], v[206:207], v[138:139] op_sel_hi:[0,1,1] neg_lo:[1,0,0] neg_hi:[1,0,0]
	s_waitcnt vmcnt(16) lgkmcnt(2)
	v_pk_fma_f32 v[114:115], v[208:209], v[196:197], v[114:115] op_sel_hi:[0,1,1] neg_lo:[1,0,0] neg_hi:[1,0,0]
	s_waitcnt vmcnt(14)
	v_pk_fma_f32 v[136:137], v[208:209], v[198:199], v[136:137] op_sel_hi:[0,1,1] neg_lo:[1,0,0] neg_hi:[1,0,0]
	s_waitcnt vmcnt(12) lgkmcnt(1)
	v_pk_fma_f32 v[112:113], v[208:209], v[200:201], v[112:113] op_sel_hi:[0,1,1] neg_lo:[1,0,0] neg_hi:[1,0,0]
	;; [unrolled: 4-line block ×3, first 2 shown]
.LBB111_120:
	s_or_b64 exec, exec, s[2:3]
	v_cmp_eq_u32_e32 vcc, 22, v169
	s_waitcnt lgkmcnt(0)
	s_barrier
	s_and_saveexec_b64 s[2:3], vcc
	s_cbranch_execz .LBB111_123
; %bb.121:
	s_waitcnt vmcnt(38)
	v_pk_mov_b32 v[196:197], v[126:127], v[148:149] op_sel:[1,0]
	ds_write_b32 v171, v126
	ds_write2_b32 v173, v196, v197 offset0:23 offset1:24
	s_waitcnt vmcnt(36)
	v_pk_mov_b32 v[196:197], v[148:149], v[124:125] op_sel:[1,0]
	ds_write2_b32 v173, v196, v197 offset0:25 offset1:26
	s_waitcnt vmcnt(34)
	v_pk_mov_b32 v[196:197], v[124:125], v[146:147] op_sel:[1,0]
	ds_write2_b32 v173, v196, v197 offset0:27 offset1:28
	s_waitcnt vmcnt(32)
	v_pk_mov_b32 v[196:197], v[146:147], v[122:123] op_sel:[1,0]
	ds_write2_b32 v173, v196, v197 offset0:29 offset1:30
	s_waitcnt vmcnt(30)
	v_pk_mov_b32 v[196:197], v[122:123], v[144:145] op_sel:[1,0]
	ds_write2_b32 v173, v196, v197 offset0:31 offset1:32
	s_waitcnt vmcnt(28)
	v_pk_mov_b32 v[196:197], v[144:145], v[120:121] op_sel:[1,0]
	ds_write2_b32 v173, v196, v197 offset0:33 offset1:34
	s_waitcnt vmcnt(26)
	v_pk_mov_b32 v[196:197], v[120:121], v[142:143] op_sel:[1,0]
	ds_write2_b32 v173, v196, v197 offset0:35 offset1:36
	s_waitcnt vmcnt(24)
	v_pk_mov_b32 v[196:197], v[142:143], v[118:119] op_sel:[1,0]
	ds_write2_b32 v173, v196, v197 offset0:37 offset1:38
	s_waitcnt vmcnt(22)
	v_pk_mov_b32 v[196:197], v[118:119], v[140:141] op_sel:[1,0]
	ds_write2_b32 v173, v196, v197 offset0:39 offset1:40
	s_waitcnt vmcnt(20)
	v_pk_mov_b32 v[196:197], v[140:141], v[116:117] op_sel:[1,0]
	ds_write2_b32 v173, v196, v197 offset0:41 offset1:42
	s_waitcnt vmcnt(18)
	v_pk_mov_b32 v[196:197], v[116:117], v[138:139] op_sel:[1,0]
	ds_write2_b32 v173, v196, v197 offset0:43 offset1:44
	s_waitcnt vmcnt(16)
	v_pk_mov_b32 v[196:197], v[138:139], v[114:115] op_sel:[1,0]
	ds_write2_b32 v173, v196, v197 offset0:45 offset1:46
	s_waitcnt vmcnt(14)
	v_pk_mov_b32 v[196:197], v[114:115], v[136:137] op_sel:[1,0]
	ds_write2_b32 v173, v196, v197 offset0:47 offset1:48
	s_waitcnt vmcnt(12)
	v_pk_mov_b32 v[196:197], v[136:137], v[112:113] op_sel:[1,0]
	ds_write2_b32 v173, v196, v197 offset0:49 offset1:50
	s_waitcnt vmcnt(10)
	v_pk_mov_b32 v[196:197], v[112:113], v[134:135] op_sel:[1,0]
	ds_write2_b32 v173, v196, v197 offset0:51 offset1:52
	s_waitcnt vmcnt(8)
	v_pk_mov_b32 v[196:197], v[134:135], v[158:159] op_sel:[1,0]
	ds_write2_b32 v173, v196, v197 offset0:53 offset1:54
	ds_write_b32 v173, v159 offset:220
	ds_read_b32 v195, v171
	s_waitcnt lgkmcnt(0)
	v_cmp_neq_f32_e32 vcc, 0, v195
	s_and_b64 exec, exec, vcc
	s_cbranch_execz .LBB111_123
; %bb.122:
	v_div_scale_f32 v196, s[4:5], v195, v195, 1.0
	v_rcp_f32_e32 v197, v196
	v_div_scale_f32 v198, vcc, 1.0, v195, 1.0
	v_fma_f32 v199, -v196, v197, 1.0
	v_fmac_f32_e32 v197, v199, v197
	v_mul_f32_e32 v199, v198, v197
	v_fma_f32 v200, -v196, v199, v198
	v_fmac_f32_e32 v199, v200, v197
	v_fma_f32 v196, -v196, v199, v198
	v_div_fmas_f32 v196, v196, v197, v199
	v_div_fixup_f32 v195, v196, v195, 1.0
	ds_write_b32 v171, v195
.LBB111_123:
	s_or_b64 exec, exec, s[2:3]
	s_waitcnt lgkmcnt(0)
	s_barrier
	ds_read_b32 v195, v171
	v_cmp_lt_u32_e32 vcc, 22, v169
	s_and_saveexec_b64 s[2:3], vcc
	s_cbranch_execz .LBB111_125
; %bb.124:
	ds_read_b32 v208, v173 offset:92
	ds_read2_b64 v[196:199], v173 offset0:12 offset1:13
	ds_read2_b64 v[200:203], v173 offset0:14 offset1:15
	;; [unrolled: 1-line block ×3, first 2 shown]
	s_waitcnt vmcnt(41) lgkmcnt(4)
	v_mul_f32_e32 v126, v195, v126
	s_waitcnt vmcnt(40) lgkmcnt(3)
	v_fma_f32 v127, -v126, v208, v127
	s_waitcnt vmcnt(38) lgkmcnt(2)
	v_pk_fma_f32 v[148:149], v[126:127], v[196:197], v[148:149] op_sel_hi:[0,1,1] neg_lo:[1,0,0] neg_hi:[1,0,0]
	s_waitcnt vmcnt(36)
	v_pk_fma_f32 v[124:125], v[126:127], v[198:199], v[124:125] op_sel_hi:[0,1,1] neg_lo:[1,0,0] neg_hi:[1,0,0]
	s_waitcnt vmcnt(34) lgkmcnt(1)
	v_pk_fma_f32 v[146:147], v[126:127], v[200:201], v[146:147] op_sel_hi:[0,1,1] neg_lo:[1,0,0] neg_hi:[1,0,0]
	ds_read2_b64 v[196:199], v173 offset0:18 offset1:19
	s_waitcnt vmcnt(32)
	v_pk_fma_f32 v[122:123], v[126:127], v[202:203], v[122:123] op_sel_hi:[0,1,1] neg_lo:[1,0,0] neg_hi:[1,0,0]
	ds_read2_b64 v[200:203], v173 offset0:20 offset1:21
	s_waitcnt vmcnt(30) lgkmcnt(2)
	v_pk_fma_f32 v[144:145], v[126:127], v[204:205], v[144:145] op_sel_hi:[0,1,1] neg_lo:[1,0,0] neg_hi:[1,0,0]
	s_waitcnt vmcnt(28)
	v_pk_fma_f32 v[120:121], v[126:127], v[206:207], v[120:121] op_sel_hi:[0,1,1] neg_lo:[1,0,0] neg_hi:[1,0,0]
	s_waitcnt vmcnt(26) lgkmcnt(1)
	v_pk_fma_f32 v[142:143], v[126:127], v[196:197], v[142:143] op_sel_hi:[0,1,1] neg_lo:[1,0,0] neg_hi:[1,0,0]
	s_waitcnt vmcnt(24)
	v_pk_fma_f32 v[118:119], v[126:127], v[198:199], v[118:119] op_sel_hi:[0,1,1] neg_lo:[1,0,0] neg_hi:[1,0,0]
	ds_read2_b64 v[196:199], v173 offset0:22 offset1:23
	ds_read2_b64 v[204:207], v173 offset0:24 offset1:25
	s_waitcnt vmcnt(22) lgkmcnt(2)
	v_pk_fma_f32 v[140:141], v[126:127], v[200:201], v[140:141] op_sel_hi:[0,1,1] neg_lo:[1,0,0] neg_hi:[1,0,0]
	s_waitcnt vmcnt(20)
	v_pk_fma_f32 v[116:117], v[126:127], v[202:203], v[116:117] op_sel_hi:[0,1,1] neg_lo:[1,0,0] neg_hi:[1,0,0]
	ds_read2_b64 v[200:203], v173 offset0:26 offset1:27
	s_waitcnt vmcnt(18) lgkmcnt(2)
	v_pk_fma_f32 v[138:139], v[126:127], v[196:197], v[138:139] op_sel_hi:[0,1,1] neg_lo:[1,0,0] neg_hi:[1,0,0]
	s_waitcnt vmcnt(16)
	v_pk_fma_f32 v[114:115], v[126:127], v[198:199], v[114:115] op_sel_hi:[0,1,1] neg_lo:[1,0,0] neg_hi:[1,0,0]
	s_waitcnt vmcnt(14) lgkmcnt(1)
	v_pk_fma_f32 v[136:137], v[126:127], v[204:205], v[136:137] op_sel_hi:[0,1,1] neg_lo:[1,0,0] neg_hi:[1,0,0]
	s_waitcnt vmcnt(12)
	v_pk_fma_f32 v[112:113], v[126:127], v[206:207], v[112:113] op_sel_hi:[0,1,1] neg_lo:[1,0,0] neg_hi:[1,0,0]
	s_waitcnt vmcnt(10) lgkmcnt(0)
	v_pk_fma_f32 v[134:135], v[126:127], v[200:201], v[134:135] op_sel_hi:[0,1,1] neg_lo:[1,0,0] neg_hi:[1,0,0]
	s_waitcnt vmcnt(8)
	v_pk_fma_f32 v[158:159], v[126:127], v[202:203], v[158:159] op_sel_hi:[0,1,1] neg_lo:[1,0,0] neg_hi:[1,0,0]
.LBB111_125:
	s_or_b64 exec, exec, s[2:3]
	v_cmp_ne_u32_e32 vcc, 23, v169
	s_waitcnt lgkmcnt(0)
	s_barrier
	s_and_saveexec_b64 s[2:3], vcc
	s_xor_b64 s[2:3], exec, s[2:3]
	s_andn2_saveexec_b64 s[2:3], s[2:3]
	s_cbranch_execz .LBB111_129
; %bb.126:
	s_waitcnt vmcnt(39)
	v_mov_b32_e32 v196, v148
	s_waitcnt vmcnt(38)
	v_mov_b32_e32 v197, v149
	;; [unrolled: 2-line block ×4, first 2 shown]
	ds_write_b32 v171, v127
	ds_write2_b64 v173, v[196:197], v[198:199] offset0:12 offset1:13
	s_waitcnt vmcnt(35)
	v_mov_b32_e32 v196, v146
	s_waitcnt vmcnt(34)
	v_mov_b32_e32 v197, v147
	s_waitcnt vmcnt(33)
	v_mov_b32_e32 v198, v122
	s_waitcnt vmcnt(32)
	v_mov_b32_e32 v199, v123
	ds_write2_b64 v173, v[196:197], v[198:199] offset0:14 offset1:15
	s_waitcnt vmcnt(31)
	v_mov_b32_e32 v196, v144
	s_waitcnt vmcnt(30)
	v_mov_b32_e32 v197, v145
	s_waitcnt vmcnt(29)
	v_mov_b32_e32 v198, v120
	s_waitcnt vmcnt(28)
	v_mov_b32_e32 v199, v121
	;; [unrolled: 9-line block ×6, first 2 shown]
	ds_write2_b64 v173, v[196:197], v[198:199] offset0:24 offset1:25
	s_waitcnt vmcnt(11)
	v_mov_b32_e32 v196, v134
	s_waitcnt vmcnt(10)
	v_mov_b32_e32 v197, v135
	s_waitcnt vmcnt(8)
	ds_write2_b64 v173, v[196:197], v[158:159] offset0:26 offset1:27
	ds_read_b32 v196, v171
	s_waitcnt lgkmcnt(0)
	v_cmp_neq_f32_e32 vcc, 0, v196
	s_and_saveexec_b64 s[4:5], vcc
	s_cbranch_execz .LBB111_128
; %bb.127:
	v_div_scale_f32 v197, s[10:11], v196, v196, 1.0
	v_rcp_f32_e32 v198, v197
	v_div_scale_f32 v199, vcc, 1.0, v196, 1.0
	v_fma_f32 v200, -v197, v198, 1.0
	v_fmac_f32_e32 v198, v200, v198
	v_mul_f32_e32 v200, v199, v198
	v_fma_f32 v201, -v197, v200, v199
	v_fmac_f32_e32 v200, v201, v198
	v_fma_f32 v197, -v197, v200, v199
	v_div_fmas_f32 v197, v197, v198, v200
	v_div_fixup_f32 v196, v197, v196, 1.0
	ds_write_b32 v171, v196
.LBB111_128:
	s_or_b64 exec, exec, s[4:5]
.LBB111_129:
	s_or_b64 exec, exec, s[2:3]
	s_waitcnt lgkmcnt(0)
	s_barrier
	ds_read_b32 v196, v171
	v_cmp_lt_u32_e32 vcc, 23, v169
	s_and_saveexec_b64 s[2:3], vcc
	s_cbranch_execz .LBB111_131
; %bb.130:
	ds_read2_b64 v[198:201], v173 offset0:12 offset1:13
	ds_read2_b64 v[202:205], v173 offset0:14 offset1:15
	s_waitcnt vmcnt(40) lgkmcnt(2)
	v_mul_f32_e32 v210, v196, v127
	ds_read2_b64 v[206:209], v173 offset0:16 offset1:17
	v_mov_b32_e32 v127, v210
	s_waitcnt vmcnt(38) lgkmcnt(2)
	v_pk_fma_f32 v[148:149], v[210:211], v[198:199], v[148:149] op_sel_hi:[0,1,1] neg_lo:[1,0,0] neg_hi:[1,0,0]
	s_waitcnt vmcnt(36)
	v_pk_fma_f32 v[124:125], v[210:211], v[200:201], v[124:125] op_sel_hi:[0,1,1] neg_lo:[1,0,0] neg_hi:[1,0,0]
	s_waitcnt vmcnt(34) lgkmcnt(1)
	v_pk_fma_f32 v[146:147], v[210:211], v[202:203], v[146:147] op_sel_hi:[0,1,1] neg_lo:[1,0,0] neg_hi:[1,0,0]
	ds_read2_b64 v[198:201], v173 offset0:18 offset1:19
	s_waitcnt vmcnt(32)
	v_pk_fma_f32 v[122:123], v[210:211], v[204:205], v[122:123] op_sel_hi:[0,1,1] neg_lo:[1,0,0] neg_hi:[1,0,0]
	ds_read2_b64 v[202:205], v173 offset0:20 offset1:21
	s_waitcnt vmcnt(30) lgkmcnt(2)
	v_pk_fma_f32 v[144:145], v[210:211], v[206:207], v[144:145] op_sel_hi:[0,1,1] neg_lo:[1,0,0] neg_hi:[1,0,0]
	s_waitcnt vmcnt(28)
	v_pk_fma_f32 v[120:121], v[210:211], v[208:209], v[120:121] op_sel_hi:[0,1,1] neg_lo:[1,0,0] neg_hi:[1,0,0]
	s_waitcnt vmcnt(26) lgkmcnt(1)
	v_pk_fma_f32 v[142:143], v[210:211], v[198:199], v[142:143] op_sel_hi:[0,1,1] neg_lo:[1,0,0] neg_hi:[1,0,0]
	s_waitcnt vmcnt(24)
	v_pk_fma_f32 v[118:119], v[210:211], v[200:201], v[118:119] op_sel_hi:[0,1,1] neg_lo:[1,0,0] neg_hi:[1,0,0]
	ds_read2_b64 v[198:201], v173 offset0:22 offset1:23
	s_waitcnt vmcnt(22) lgkmcnt(1)
	v_pk_fma_f32 v[140:141], v[210:211], v[202:203], v[140:141] op_sel_hi:[0,1,1] neg_lo:[1,0,0] neg_hi:[1,0,0]
	ds_read2_b64 v[206:209], v173 offset0:24 offset1:25
	s_waitcnt vmcnt(20)
	v_pk_fma_f32 v[116:117], v[210:211], v[204:205], v[116:117] op_sel_hi:[0,1,1] neg_lo:[1,0,0] neg_hi:[1,0,0]
	ds_read2_b64 v[202:205], v173 offset0:26 offset1:27
	s_waitcnt vmcnt(18) lgkmcnt(2)
	v_pk_fma_f32 v[138:139], v[210:211], v[198:199], v[138:139] op_sel_hi:[0,1,1] neg_lo:[1,0,0] neg_hi:[1,0,0]
	s_waitcnt vmcnt(16)
	v_pk_fma_f32 v[114:115], v[210:211], v[200:201], v[114:115] op_sel_hi:[0,1,1] neg_lo:[1,0,0] neg_hi:[1,0,0]
	s_waitcnt vmcnt(14) lgkmcnt(1)
	v_pk_fma_f32 v[136:137], v[210:211], v[206:207], v[136:137] op_sel_hi:[0,1,1] neg_lo:[1,0,0] neg_hi:[1,0,0]
	s_waitcnt vmcnt(12)
	v_pk_fma_f32 v[112:113], v[210:211], v[208:209], v[112:113] op_sel_hi:[0,1,1] neg_lo:[1,0,0] neg_hi:[1,0,0]
	;; [unrolled: 4-line block ×3, first 2 shown]
.LBB111_131:
	s_or_b64 exec, exec, s[2:3]
	v_cmp_eq_u32_e32 vcc, 24, v169
	s_waitcnt lgkmcnt(0)
	s_barrier
	s_and_saveexec_b64 s[2:3], vcc
	s_cbranch_execz .LBB111_134
; %bb.132:
	s_waitcnt vmcnt(36)
	v_pk_mov_b32 v[198:199], v[148:149], v[124:125] op_sel:[1,0]
	ds_write_b32 v171, v148
	ds_write2_b32 v173, v198, v199 offset0:25 offset1:26
	s_waitcnt vmcnt(34)
	v_pk_mov_b32 v[198:199], v[124:125], v[146:147] op_sel:[1,0]
	ds_write2_b32 v173, v198, v199 offset0:27 offset1:28
	s_waitcnt vmcnt(32)
	v_pk_mov_b32 v[198:199], v[146:147], v[122:123] op_sel:[1,0]
	;; [unrolled: 3-line block ×14, first 2 shown]
	ds_write2_b32 v173, v198, v199 offset0:53 offset1:54
	ds_write_b32 v173, v159 offset:220
	ds_read_b32 v197, v171
	s_waitcnt lgkmcnt(0)
	v_cmp_neq_f32_e32 vcc, 0, v197
	s_and_b64 exec, exec, vcc
	s_cbranch_execz .LBB111_134
; %bb.133:
	v_div_scale_f32 v198, s[4:5], v197, v197, 1.0
	v_rcp_f32_e32 v199, v198
	v_div_scale_f32 v200, vcc, 1.0, v197, 1.0
	v_fma_f32 v201, -v198, v199, 1.0
	v_fmac_f32_e32 v199, v201, v199
	v_mul_f32_e32 v201, v200, v199
	v_fma_f32 v202, -v198, v201, v200
	v_fmac_f32_e32 v201, v202, v199
	v_fma_f32 v198, -v198, v201, v200
	v_div_fmas_f32 v198, v198, v199, v201
	v_div_fixup_f32 v197, v198, v197, 1.0
	ds_write_b32 v171, v197
.LBB111_134:
	s_or_b64 exec, exec, s[2:3]
	s_waitcnt lgkmcnt(0)
	s_barrier
	ds_read_b32 v197, v171
	v_cmp_lt_u32_e32 vcc, 24, v169
	s_and_saveexec_b64 s[2:3], vcc
	s_cbranch_execz .LBB111_136
; %bb.135:
	ds_read_b32 v210, v173 offset:100
	ds_read2_b64 v[198:201], v173 offset0:13 offset1:14
	ds_read2_b64 v[202:205], v173 offset0:15 offset1:16
	;; [unrolled: 1-line block ×3, first 2 shown]
	s_waitcnt vmcnt(39) lgkmcnt(4)
	v_mul_f32_e32 v148, v197, v148
	s_waitcnt vmcnt(38) lgkmcnt(3)
	v_fma_f32 v149, -v148, v210, v149
	s_waitcnt vmcnt(36) lgkmcnt(2)
	v_pk_fma_f32 v[124:125], v[148:149], v[198:199], v[124:125] op_sel_hi:[0,1,1] neg_lo:[1,0,0] neg_hi:[1,0,0]
	s_waitcnt vmcnt(34)
	v_pk_fma_f32 v[146:147], v[148:149], v[200:201], v[146:147] op_sel_hi:[0,1,1] neg_lo:[1,0,0] neg_hi:[1,0,0]
	s_waitcnt vmcnt(32) lgkmcnt(1)
	v_pk_fma_f32 v[122:123], v[148:149], v[202:203], v[122:123] op_sel_hi:[0,1,1] neg_lo:[1,0,0] neg_hi:[1,0,0]
	ds_read2_b64 v[198:201], v173 offset0:19 offset1:20
	s_waitcnt vmcnt(30)
	v_pk_fma_f32 v[144:145], v[148:149], v[204:205], v[144:145] op_sel_hi:[0,1,1] neg_lo:[1,0,0] neg_hi:[1,0,0]
	ds_read2_b64 v[202:205], v173 offset0:21 offset1:22
	s_waitcnt vmcnt(28) lgkmcnt(2)
	v_pk_fma_f32 v[120:121], v[148:149], v[206:207], v[120:121] op_sel_hi:[0,1,1] neg_lo:[1,0,0] neg_hi:[1,0,0]
	s_waitcnt vmcnt(26)
	v_pk_fma_f32 v[142:143], v[148:149], v[208:209], v[142:143] op_sel_hi:[0,1,1] neg_lo:[1,0,0] neg_hi:[1,0,0]
	s_waitcnt vmcnt(24) lgkmcnt(1)
	v_pk_fma_f32 v[118:119], v[148:149], v[198:199], v[118:119] op_sel_hi:[0,1,1] neg_lo:[1,0,0] neg_hi:[1,0,0]
	s_waitcnt vmcnt(22)
	v_pk_fma_f32 v[140:141], v[148:149], v[200:201], v[140:141] op_sel_hi:[0,1,1] neg_lo:[1,0,0] neg_hi:[1,0,0]
	ds_read2_b64 v[198:201], v173 offset0:23 offset1:24
	ds_read2_b64 v[206:209], v173 offset0:25 offset1:26
	s_waitcnt vmcnt(20) lgkmcnt(2)
	v_pk_fma_f32 v[116:117], v[148:149], v[202:203], v[116:117] op_sel_hi:[0,1,1] neg_lo:[1,0,0] neg_hi:[1,0,0]
	ds_read_b64 v[202:203], v173 offset:216
	s_waitcnt vmcnt(18)
	v_pk_fma_f32 v[138:139], v[148:149], v[204:205], v[138:139] op_sel_hi:[0,1,1] neg_lo:[1,0,0] neg_hi:[1,0,0]
	s_waitcnt vmcnt(16) lgkmcnt(2)
	v_pk_fma_f32 v[114:115], v[148:149], v[198:199], v[114:115] op_sel_hi:[0,1,1] neg_lo:[1,0,0] neg_hi:[1,0,0]
	s_waitcnt vmcnt(14)
	v_pk_fma_f32 v[136:137], v[148:149], v[200:201], v[136:137] op_sel_hi:[0,1,1] neg_lo:[1,0,0] neg_hi:[1,0,0]
	s_waitcnt vmcnt(12) lgkmcnt(1)
	v_pk_fma_f32 v[112:113], v[148:149], v[206:207], v[112:113] op_sel_hi:[0,1,1] neg_lo:[1,0,0] neg_hi:[1,0,0]
	;; [unrolled: 4-line block ×3, first 2 shown]
.LBB111_136:
	s_or_b64 exec, exec, s[2:3]
	v_cmp_ne_u32_e32 vcc, 25, v169
	s_waitcnt lgkmcnt(0)
	s_barrier
	s_and_saveexec_b64 s[2:3], vcc
	s_xor_b64 s[2:3], exec, s[2:3]
	s_andn2_saveexec_b64 s[2:3], s[2:3]
	s_cbranch_execz .LBB111_140
; %bb.137:
	s_waitcnt vmcnt(38)
	ds_write_b32 v171, v149
	s_waitcnt vmcnt(34)
	ds_write2_b64 v173, v[124:125], v[146:147] offset0:13 offset1:14
	s_waitcnt vmcnt(30)
	ds_write2_b64 v173, v[122:123], v[144:145] offset0:15 offset1:16
	;; [unrolled: 2-line block ×7, first 2 shown]
	s_waitcnt vmcnt(8)
	ds_write_b64 v173, v[158:159] offset:216
	ds_read_b32 v198, v171
	s_waitcnt lgkmcnt(0)
	v_cmp_neq_f32_e32 vcc, 0, v198
	s_and_saveexec_b64 s[4:5], vcc
	s_cbranch_execz .LBB111_139
; %bb.138:
	v_div_scale_f32 v199, s[10:11], v198, v198, 1.0
	v_rcp_f32_e32 v200, v199
	v_div_scale_f32 v201, vcc, 1.0, v198, 1.0
	v_fma_f32 v202, -v199, v200, 1.0
	v_fmac_f32_e32 v200, v202, v200
	v_mul_f32_e32 v202, v201, v200
	v_fma_f32 v203, -v199, v202, v201
	v_fmac_f32_e32 v202, v203, v200
	v_fma_f32 v199, -v199, v202, v201
	v_div_fmas_f32 v199, v199, v200, v202
	v_div_fixup_f32 v198, v199, v198, 1.0
	ds_write_b32 v171, v198
.LBB111_139:
	s_or_b64 exec, exec, s[4:5]
.LBB111_140:
	s_or_b64 exec, exec, s[2:3]
	s_waitcnt lgkmcnt(0)
	s_barrier
	ds_read_b32 v198, v171
	v_cmp_lt_u32_e32 vcc, 25, v169
	s_and_saveexec_b64 s[2:3], vcc
	s_cbranch_execz .LBB111_142
; %bb.141:
	ds_read2_b64 v[200:203], v173 offset0:13 offset1:14
	ds_read2_b64 v[204:207], v173 offset0:15 offset1:16
	s_waitcnt vmcnt(38) lgkmcnt(2)
	v_mul_f32_e32 v212, v198, v149
	ds_read2_b64 v[208:211], v173 offset0:17 offset1:18
	v_mov_b32_e32 v149, v212
	s_waitcnt vmcnt(36) lgkmcnt(2)
	v_pk_fma_f32 v[124:125], v[212:213], v[200:201], v[124:125] op_sel_hi:[0,1,1] neg_lo:[1,0,0] neg_hi:[1,0,0]
	s_waitcnt vmcnt(34)
	v_pk_fma_f32 v[146:147], v[212:213], v[202:203], v[146:147] op_sel_hi:[0,1,1] neg_lo:[1,0,0] neg_hi:[1,0,0]
	s_waitcnt vmcnt(32) lgkmcnt(1)
	v_pk_fma_f32 v[122:123], v[212:213], v[204:205], v[122:123] op_sel_hi:[0,1,1] neg_lo:[1,0,0] neg_hi:[1,0,0]
	ds_read2_b64 v[200:203], v173 offset0:19 offset1:20
	s_waitcnt vmcnt(30)
	v_pk_fma_f32 v[144:145], v[212:213], v[206:207], v[144:145] op_sel_hi:[0,1,1] neg_lo:[1,0,0] neg_hi:[1,0,0]
	ds_read2_b64 v[204:207], v173 offset0:21 offset1:22
	s_waitcnt vmcnt(28) lgkmcnt(2)
	v_pk_fma_f32 v[120:121], v[212:213], v[208:209], v[120:121] op_sel_hi:[0,1,1] neg_lo:[1,0,0] neg_hi:[1,0,0]
	s_waitcnt vmcnt(26)
	v_pk_fma_f32 v[142:143], v[212:213], v[210:211], v[142:143] op_sel_hi:[0,1,1] neg_lo:[1,0,0] neg_hi:[1,0,0]
	s_waitcnt vmcnt(24) lgkmcnt(1)
	v_pk_fma_f32 v[118:119], v[212:213], v[200:201], v[118:119] op_sel_hi:[0,1,1] neg_lo:[1,0,0] neg_hi:[1,0,0]
	s_waitcnt vmcnt(22)
	v_pk_fma_f32 v[140:141], v[212:213], v[202:203], v[140:141] op_sel_hi:[0,1,1] neg_lo:[1,0,0] neg_hi:[1,0,0]
	ds_read2_b64 v[200:203], v173 offset0:23 offset1:24
	s_waitcnt vmcnt(20) lgkmcnt(1)
	v_pk_fma_f32 v[116:117], v[212:213], v[204:205], v[116:117] op_sel_hi:[0,1,1] neg_lo:[1,0,0] neg_hi:[1,0,0]
	ds_read2_b64 v[208:211], v173 offset0:25 offset1:26
	ds_read_b64 v[204:205], v173 offset:216
	s_waitcnt vmcnt(18)
	v_pk_fma_f32 v[138:139], v[212:213], v[206:207], v[138:139] op_sel_hi:[0,1,1] neg_lo:[1,0,0] neg_hi:[1,0,0]
	s_waitcnt vmcnt(16) lgkmcnt(2)
	v_pk_fma_f32 v[114:115], v[212:213], v[200:201], v[114:115] op_sel_hi:[0,1,1] neg_lo:[1,0,0] neg_hi:[1,0,0]
	s_waitcnt vmcnt(14)
	v_pk_fma_f32 v[136:137], v[212:213], v[202:203], v[136:137] op_sel_hi:[0,1,1] neg_lo:[1,0,0] neg_hi:[1,0,0]
	s_waitcnt vmcnt(12) lgkmcnt(1)
	v_pk_fma_f32 v[112:113], v[212:213], v[208:209], v[112:113] op_sel_hi:[0,1,1] neg_lo:[1,0,0] neg_hi:[1,0,0]
	;; [unrolled: 4-line block ×3, first 2 shown]
.LBB111_142:
	s_or_b64 exec, exec, s[2:3]
	v_cmp_eq_u32_e32 vcc, 26, v169
	s_waitcnt lgkmcnt(0)
	s_barrier
	s_and_saveexec_b64 s[2:3], vcc
	s_cbranch_execz .LBB111_145
; %bb.143:
	s_waitcnt vmcnt(34)
	v_pk_mov_b32 v[200:201], v[124:125], v[146:147] op_sel:[1,0]
	ds_write_b32 v171, v124
	ds_write2_b32 v173, v200, v201 offset0:27 offset1:28
	s_waitcnt vmcnt(32)
	v_pk_mov_b32 v[200:201], v[146:147], v[122:123] op_sel:[1,0]
	ds_write2_b32 v173, v200, v201 offset0:29 offset1:30
	s_waitcnt vmcnt(30)
	v_pk_mov_b32 v[200:201], v[122:123], v[144:145] op_sel:[1,0]
	;; [unrolled: 3-line block ×13, first 2 shown]
	ds_write2_b32 v173, v200, v201 offset0:53 offset1:54
	ds_write_b32 v173, v159 offset:220
	ds_read_b32 v199, v171
	s_waitcnt lgkmcnt(0)
	v_cmp_neq_f32_e32 vcc, 0, v199
	s_and_b64 exec, exec, vcc
	s_cbranch_execz .LBB111_145
; %bb.144:
	v_div_scale_f32 v200, s[4:5], v199, v199, 1.0
	v_rcp_f32_e32 v201, v200
	v_div_scale_f32 v202, vcc, 1.0, v199, 1.0
	v_fma_f32 v203, -v200, v201, 1.0
	v_fmac_f32_e32 v201, v203, v201
	v_mul_f32_e32 v203, v202, v201
	v_fma_f32 v204, -v200, v203, v202
	v_fmac_f32_e32 v203, v204, v201
	v_fma_f32 v200, -v200, v203, v202
	v_div_fmas_f32 v200, v200, v201, v203
	v_div_fixup_f32 v199, v200, v199, 1.0
	ds_write_b32 v171, v199
.LBB111_145:
	s_or_b64 exec, exec, s[2:3]
	s_waitcnt lgkmcnt(0)
	s_barrier
	ds_read_b32 v199, v171
	v_cmp_lt_u32_e32 vcc, 26, v169
	s_and_saveexec_b64 s[2:3], vcc
	s_cbranch_execz .LBB111_147
; %bb.146:
	ds_read_b32 v212, v173 offset:108
	ds_read2_b64 v[200:203], v173 offset0:14 offset1:15
	s_waitcnt vmcnt(37) lgkmcnt(2)
	v_mul_f32_e32 v124, v199, v124
	ds_read2_b64 v[204:207], v173 offset0:16 offset1:17
	ds_read2_b64 v[208:211], v173 offset0:18 offset1:19
	s_waitcnt vmcnt(36) lgkmcnt(3)
	v_fma_f32 v125, -v124, v212, v125
	s_waitcnt vmcnt(34) lgkmcnt(2)
	v_pk_fma_f32 v[146:147], v[124:125], v[200:201], v[146:147] op_sel_hi:[0,1,1] neg_lo:[1,0,0] neg_hi:[1,0,0]
	s_waitcnt vmcnt(32)
	v_pk_fma_f32 v[122:123], v[124:125], v[202:203], v[122:123] op_sel_hi:[0,1,1] neg_lo:[1,0,0] neg_hi:[1,0,0]
	ds_read2_b64 v[200:203], v173 offset0:20 offset1:21
	s_waitcnt vmcnt(30) lgkmcnt(2)
	v_pk_fma_f32 v[144:145], v[124:125], v[204:205], v[144:145] op_sel_hi:[0,1,1] neg_lo:[1,0,0] neg_hi:[1,0,0]
	s_waitcnt vmcnt(28)
	v_pk_fma_f32 v[120:121], v[124:125], v[206:207], v[120:121] op_sel_hi:[0,1,1] neg_lo:[1,0,0] neg_hi:[1,0,0]
	s_waitcnt vmcnt(26) lgkmcnt(1)
	v_pk_fma_f32 v[142:143], v[124:125], v[208:209], v[142:143] op_sel_hi:[0,1,1] neg_lo:[1,0,0] neg_hi:[1,0,0]
	s_waitcnt vmcnt(24)
	v_pk_fma_f32 v[118:119], v[124:125], v[210:211], v[118:119] op_sel_hi:[0,1,1] neg_lo:[1,0,0] neg_hi:[1,0,0]
	ds_read2_b64 v[204:207], v173 offset0:22 offset1:23
	s_waitcnt vmcnt(22) lgkmcnt(1)
	v_pk_fma_f32 v[140:141], v[124:125], v[200:201], v[140:141] op_sel_hi:[0,1,1] neg_lo:[1,0,0] neg_hi:[1,0,0]
	ds_read2_b64 v[208:211], v173 offset0:24 offset1:25
	s_waitcnt vmcnt(20)
	v_pk_fma_f32 v[116:117], v[124:125], v[202:203], v[116:117] op_sel_hi:[0,1,1] neg_lo:[1,0,0] neg_hi:[1,0,0]
	ds_read2_b64 v[200:203], v173 offset0:26 offset1:27
	s_waitcnt vmcnt(18) lgkmcnt(2)
	v_pk_fma_f32 v[138:139], v[124:125], v[204:205], v[138:139] op_sel_hi:[0,1,1] neg_lo:[1,0,0] neg_hi:[1,0,0]
	s_waitcnt vmcnt(16)
	v_pk_fma_f32 v[114:115], v[124:125], v[206:207], v[114:115] op_sel_hi:[0,1,1] neg_lo:[1,0,0] neg_hi:[1,0,0]
	s_waitcnt vmcnt(14) lgkmcnt(1)
	v_pk_fma_f32 v[136:137], v[124:125], v[208:209], v[136:137] op_sel_hi:[0,1,1] neg_lo:[1,0,0] neg_hi:[1,0,0]
	s_waitcnt vmcnt(12)
	v_pk_fma_f32 v[112:113], v[124:125], v[210:211], v[112:113] op_sel_hi:[0,1,1] neg_lo:[1,0,0] neg_hi:[1,0,0]
	;; [unrolled: 4-line block ×3, first 2 shown]
.LBB111_147:
	s_or_b64 exec, exec, s[2:3]
	v_cmp_ne_u32_e32 vcc, 27, v169
	s_waitcnt lgkmcnt(0)
	s_barrier
	s_and_saveexec_b64 s[2:3], vcc
	s_xor_b64 s[2:3], exec, s[2:3]
	s_andn2_saveexec_b64 s[2:3], s[2:3]
	s_cbranch_execz .LBB111_151
; %bb.148:
	s_waitcnt vmcnt(35)
	v_mov_b32_e32 v200, v146
	s_waitcnt vmcnt(34)
	v_mov_b32_e32 v201, v147
	;; [unrolled: 2-line block ×4, first 2 shown]
	ds_write_b32 v171, v125
	ds_write2_b64 v173, v[200:201], v[202:203] offset0:14 offset1:15
	s_waitcnt vmcnt(31)
	v_mov_b32_e32 v200, v144
	s_waitcnt vmcnt(30)
	v_mov_b32_e32 v201, v145
	s_waitcnt vmcnt(29)
	v_mov_b32_e32 v202, v120
	s_waitcnt vmcnt(28)
	v_mov_b32_e32 v203, v121
	ds_write2_b64 v173, v[200:201], v[202:203] offset0:16 offset1:17
	s_waitcnt vmcnt(27)
	v_mov_b32_e32 v200, v142
	s_waitcnt vmcnt(26)
	v_mov_b32_e32 v201, v143
	s_waitcnt vmcnt(25)
	v_mov_b32_e32 v202, v118
	s_waitcnt vmcnt(24)
	v_mov_b32_e32 v203, v119
	;; [unrolled: 9-line block ×5, first 2 shown]
	ds_write2_b64 v173, v[200:201], v[202:203] offset0:24 offset1:25
	s_waitcnt vmcnt(11)
	v_mov_b32_e32 v200, v134
	s_waitcnt vmcnt(10)
	v_mov_b32_e32 v201, v135
	s_waitcnt vmcnt(8)
	ds_write2_b64 v173, v[200:201], v[158:159] offset0:26 offset1:27
	ds_read_b32 v200, v171
	s_waitcnt lgkmcnt(0)
	v_cmp_neq_f32_e32 vcc, 0, v200
	s_and_saveexec_b64 s[4:5], vcc
	s_cbranch_execz .LBB111_150
; %bb.149:
	v_div_scale_f32 v201, s[10:11], v200, v200, 1.0
	v_rcp_f32_e32 v202, v201
	v_div_scale_f32 v203, vcc, 1.0, v200, 1.0
	v_fma_f32 v204, -v201, v202, 1.0
	v_fmac_f32_e32 v202, v204, v202
	v_mul_f32_e32 v204, v203, v202
	v_fma_f32 v205, -v201, v204, v203
	v_fmac_f32_e32 v204, v205, v202
	v_fma_f32 v201, -v201, v204, v203
	v_div_fmas_f32 v201, v201, v202, v204
	v_div_fixup_f32 v200, v201, v200, 1.0
	ds_write_b32 v171, v200
.LBB111_150:
	s_or_b64 exec, exec, s[4:5]
.LBB111_151:
	s_or_b64 exec, exec, s[2:3]
	s_waitcnt lgkmcnt(0)
	s_barrier
	ds_read_b32 v200, v171
	v_cmp_lt_u32_e32 vcc, 27, v169
	s_and_saveexec_b64 s[2:3], vcc
	s_cbranch_execz .LBB111_153
; %bb.152:
	ds_read2_b64 v[202:205], v173 offset0:14 offset1:15
	ds_read2_b64 v[206:209], v173 offset0:16 offset1:17
	s_waitcnt vmcnt(36) lgkmcnt(2)
	v_mul_f32_e32 v214, v200, v125
	ds_read2_b64 v[210:213], v173 offset0:18 offset1:19
	v_mov_b32_e32 v125, v214
	s_waitcnt vmcnt(34) lgkmcnt(2)
	v_pk_fma_f32 v[146:147], v[214:215], v[202:203], v[146:147] op_sel_hi:[0,1,1] neg_lo:[1,0,0] neg_hi:[1,0,0]
	s_waitcnt vmcnt(32)
	v_pk_fma_f32 v[122:123], v[214:215], v[204:205], v[122:123] op_sel_hi:[0,1,1] neg_lo:[1,0,0] neg_hi:[1,0,0]
	ds_read2_b64 v[202:205], v173 offset0:20 offset1:21
	s_waitcnt vmcnt(30) lgkmcnt(2)
	v_pk_fma_f32 v[144:145], v[214:215], v[206:207], v[144:145] op_sel_hi:[0,1,1] neg_lo:[1,0,0] neg_hi:[1,0,0]
	s_waitcnt vmcnt(28)
	v_pk_fma_f32 v[120:121], v[214:215], v[208:209], v[120:121] op_sel_hi:[0,1,1] neg_lo:[1,0,0] neg_hi:[1,0,0]
	s_waitcnt vmcnt(26) lgkmcnt(1)
	v_pk_fma_f32 v[142:143], v[214:215], v[210:211], v[142:143] op_sel_hi:[0,1,1] neg_lo:[1,0,0] neg_hi:[1,0,0]
	s_waitcnt vmcnt(24)
	v_pk_fma_f32 v[118:119], v[214:215], v[212:213], v[118:119] op_sel_hi:[0,1,1] neg_lo:[1,0,0] neg_hi:[1,0,0]
	ds_read2_b64 v[206:209], v173 offset0:22 offset1:23
	ds_read2_b64 v[210:213], v173 offset0:24 offset1:25
	s_waitcnt vmcnt(22) lgkmcnt(2)
	v_pk_fma_f32 v[140:141], v[214:215], v[202:203], v[140:141] op_sel_hi:[0,1,1] neg_lo:[1,0,0] neg_hi:[1,0,0]
	s_waitcnt vmcnt(20)
	v_pk_fma_f32 v[116:117], v[214:215], v[204:205], v[116:117] op_sel_hi:[0,1,1] neg_lo:[1,0,0] neg_hi:[1,0,0]
	ds_read2_b64 v[202:205], v173 offset0:26 offset1:27
	s_waitcnt vmcnt(18) lgkmcnt(2)
	v_pk_fma_f32 v[138:139], v[214:215], v[206:207], v[138:139] op_sel_hi:[0,1,1] neg_lo:[1,0,0] neg_hi:[1,0,0]
	s_waitcnt vmcnt(16)
	v_pk_fma_f32 v[114:115], v[214:215], v[208:209], v[114:115] op_sel_hi:[0,1,1] neg_lo:[1,0,0] neg_hi:[1,0,0]
	s_waitcnt vmcnt(14) lgkmcnt(1)
	v_pk_fma_f32 v[136:137], v[214:215], v[210:211], v[136:137] op_sel_hi:[0,1,1] neg_lo:[1,0,0] neg_hi:[1,0,0]
	s_waitcnt vmcnt(12)
	v_pk_fma_f32 v[112:113], v[214:215], v[212:213], v[112:113] op_sel_hi:[0,1,1] neg_lo:[1,0,0] neg_hi:[1,0,0]
	;; [unrolled: 4-line block ×3, first 2 shown]
.LBB111_153:
	s_or_b64 exec, exec, s[2:3]
	v_cmp_eq_u32_e32 vcc, 28, v169
	s_waitcnt lgkmcnt(0)
	s_barrier
	s_and_saveexec_b64 s[2:3], vcc
	s_cbranch_execz .LBB111_156
; %bb.154:
	s_waitcnt vmcnt(32)
	v_pk_mov_b32 v[202:203], v[146:147], v[122:123] op_sel:[1,0]
	ds_write_b32 v171, v146
	ds_write2_b32 v173, v202, v203 offset0:29 offset1:30
	s_waitcnt vmcnt(30)
	v_pk_mov_b32 v[202:203], v[122:123], v[144:145] op_sel:[1,0]
	ds_write2_b32 v173, v202, v203 offset0:31 offset1:32
	s_waitcnt vmcnt(28)
	v_pk_mov_b32 v[202:203], v[144:145], v[120:121] op_sel:[1,0]
	;; [unrolled: 3-line block ×12, first 2 shown]
	ds_write2_b32 v173, v202, v203 offset0:53 offset1:54
	ds_write_b32 v173, v159 offset:220
	ds_read_b32 v201, v171
	s_waitcnt lgkmcnt(0)
	v_cmp_neq_f32_e32 vcc, 0, v201
	s_and_b64 exec, exec, vcc
	s_cbranch_execz .LBB111_156
; %bb.155:
	v_div_scale_f32 v202, s[4:5], v201, v201, 1.0
	v_rcp_f32_e32 v203, v202
	v_div_scale_f32 v204, vcc, 1.0, v201, 1.0
	v_fma_f32 v205, -v202, v203, 1.0
	v_fmac_f32_e32 v203, v205, v203
	v_mul_f32_e32 v205, v204, v203
	v_fma_f32 v206, -v202, v205, v204
	v_fmac_f32_e32 v205, v206, v203
	v_fma_f32 v202, -v202, v205, v204
	v_div_fmas_f32 v202, v202, v203, v205
	v_div_fixup_f32 v201, v202, v201, 1.0
	ds_write_b32 v171, v201
.LBB111_156:
	s_or_b64 exec, exec, s[2:3]
	s_waitcnt lgkmcnt(0)
	s_barrier
	ds_read_b32 v201, v171
	v_cmp_lt_u32_e32 vcc, 28, v169
	s_and_saveexec_b64 s[2:3], vcc
	s_cbranch_execz .LBB111_158
; %bb.157:
	ds_read_b32 v214, v173 offset:116
	ds_read2_b64 v[202:205], v173 offset0:15 offset1:16
	s_waitcnt vmcnt(35) lgkmcnt(2)
	v_mul_f32_e32 v146, v201, v146
	ds_read2_b64 v[206:209], v173 offset0:17 offset1:18
	ds_read2_b64 v[210:213], v173 offset0:19 offset1:20
	s_waitcnt vmcnt(34) lgkmcnt(3)
	v_fma_f32 v147, -v146, v214, v147
	s_waitcnt vmcnt(32) lgkmcnt(2)
	v_pk_fma_f32 v[122:123], v[146:147], v[202:203], v[122:123] op_sel_hi:[0,1,1] neg_lo:[1,0,0] neg_hi:[1,0,0]
	s_waitcnt vmcnt(30)
	v_pk_fma_f32 v[144:145], v[146:147], v[204:205], v[144:145] op_sel_hi:[0,1,1] neg_lo:[1,0,0] neg_hi:[1,0,0]
	ds_read2_b64 v[202:205], v173 offset0:21 offset1:22
	s_waitcnt vmcnt(28) lgkmcnt(2)
	v_pk_fma_f32 v[120:121], v[146:147], v[206:207], v[120:121] op_sel_hi:[0,1,1] neg_lo:[1,0,0] neg_hi:[1,0,0]
	s_waitcnt vmcnt(26)
	v_pk_fma_f32 v[142:143], v[146:147], v[208:209], v[142:143] op_sel_hi:[0,1,1] neg_lo:[1,0,0] neg_hi:[1,0,0]
	s_waitcnt vmcnt(24) lgkmcnt(1)
	v_pk_fma_f32 v[118:119], v[146:147], v[210:211], v[118:119] op_sel_hi:[0,1,1] neg_lo:[1,0,0] neg_hi:[1,0,0]
	s_waitcnt vmcnt(22)
	v_pk_fma_f32 v[140:141], v[146:147], v[212:213], v[140:141] op_sel_hi:[0,1,1] neg_lo:[1,0,0] neg_hi:[1,0,0]
	ds_read2_b64 v[206:209], v173 offset0:23 offset1:24
	s_waitcnt vmcnt(20) lgkmcnt(1)
	v_pk_fma_f32 v[116:117], v[146:147], v[202:203], v[116:117] op_sel_hi:[0,1,1] neg_lo:[1,0,0] neg_hi:[1,0,0]
	ds_read2_b64 v[210:213], v173 offset0:25 offset1:26
	ds_read_b64 v[202:203], v173 offset:216
	s_waitcnt vmcnt(18)
	v_pk_fma_f32 v[138:139], v[146:147], v[204:205], v[138:139] op_sel_hi:[0,1,1] neg_lo:[1,0,0] neg_hi:[1,0,0]
	s_waitcnt vmcnt(16) lgkmcnt(2)
	v_pk_fma_f32 v[114:115], v[146:147], v[206:207], v[114:115] op_sel_hi:[0,1,1] neg_lo:[1,0,0] neg_hi:[1,0,0]
	s_waitcnt vmcnt(14)
	v_pk_fma_f32 v[136:137], v[146:147], v[208:209], v[136:137] op_sel_hi:[0,1,1] neg_lo:[1,0,0] neg_hi:[1,0,0]
	s_waitcnt vmcnt(12) lgkmcnt(1)
	v_pk_fma_f32 v[112:113], v[146:147], v[210:211], v[112:113] op_sel_hi:[0,1,1] neg_lo:[1,0,0] neg_hi:[1,0,0]
	;; [unrolled: 4-line block ×3, first 2 shown]
.LBB111_158:
	s_or_b64 exec, exec, s[2:3]
	v_cmp_ne_u32_e32 vcc, 29, v169
	s_waitcnt lgkmcnt(0)
	s_barrier
	s_and_saveexec_b64 s[2:3], vcc
	s_xor_b64 s[2:3], exec, s[2:3]
	s_andn2_saveexec_b64 s[2:3], s[2:3]
	s_cbranch_execz .LBB111_162
; %bb.159:
	s_waitcnt vmcnt(34)
	ds_write_b32 v171, v147
	s_waitcnt vmcnt(30)
	ds_write2_b64 v173, v[122:123], v[144:145] offset0:15 offset1:16
	s_waitcnt vmcnt(26)
	ds_write2_b64 v173, v[120:121], v[142:143] offset0:17 offset1:18
	;; [unrolled: 2-line block ×6, first 2 shown]
	s_waitcnt vmcnt(8)
	ds_write_b64 v173, v[158:159] offset:216
	ds_read_b32 v202, v171
	s_waitcnt lgkmcnt(0)
	v_cmp_neq_f32_e32 vcc, 0, v202
	s_and_saveexec_b64 s[4:5], vcc
	s_cbranch_execz .LBB111_161
; %bb.160:
	v_div_scale_f32 v203, s[10:11], v202, v202, 1.0
	v_rcp_f32_e32 v204, v203
	v_div_scale_f32 v205, vcc, 1.0, v202, 1.0
	v_fma_f32 v206, -v203, v204, 1.0
	v_fmac_f32_e32 v204, v206, v204
	v_mul_f32_e32 v206, v205, v204
	v_fma_f32 v207, -v203, v206, v205
	v_fmac_f32_e32 v206, v207, v204
	v_fma_f32 v203, -v203, v206, v205
	v_div_fmas_f32 v203, v203, v204, v206
	v_div_fixup_f32 v202, v203, v202, 1.0
	ds_write_b32 v171, v202
.LBB111_161:
	s_or_b64 exec, exec, s[4:5]
.LBB111_162:
	s_or_b64 exec, exec, s[2:3]
	s_waitcnt lgkmcnt(0)
	s_barrier
	ds_read_b32 v202, v171
	v_cmp_lt_u32_e32 vcc, 29, v169
	s_and_saveexec_b64 s[2:3], vcc
	s_cbranch_execz .LBB111_164
; %bb.163:
	ds_read2_b64 v[204:207], v173 offset0:15 offset1:16
	ds_read2_b64 v[208:211], v173 offset0:17 offset1:18
	s_waitcnt vmcnt(34) lgkmcnt(2)
	v_mul_f32_e32 v216, v202, v147
	ds_read2_b64 v[212:215], v173 offset0:19 offset1:20
	v_mov_b32_e32 v147, v216
	s_waitcnt vmcnt(32) lgkmcnt(2)
	v_pk_fma_f32 v[122:123], v[216:217], v[204:205], v[122:123] op_sel_hi:[0,1,1] neg_lo:[1,0,0] neg_hi:[1,0,0]
	s_waitcnt vmcnt(30)
	v_pk_fma_f32 v[144:145], v[216:217], v[206:207], v[144:145] op_sel_hi:[0,1,1] neg_lo:[1,0,0] neg_hi:[1,0,0]
	ds_read2_b64 v[204:207], v173 offset0:21 offset1:22
	s_waitcnt vmcnt(28) lgkmcnt(2)
	v_pk_fma_f32 v[120:121], v[216:217], v[208:209], v[120:121] op_sel_hi:[0,1,1] neg_lo:[1,0,0] neg_hi:[1,0,0]
	s_waitcnt vmcnt(26)
	v_pk_fma_f32 v[142:143], v[216:217], v[210:211], v[142:143] op_sel_hi:[0,1,1] neg_lo:[1,0,0] neg_hi:[1,0,0]
	s_waitcnt vmcnt(24) lgkmcnt(1)
	v_pk_fma_f32 v[118:119], v[216:217], v[212:213], v[118:119] op_sel_hi:[0,1,1] neg_lo:[1,0,0] neg_hi:[1,0,0]
	s_waitcnt vmcnt(22)
	v_pk_fma_f32 v[140:141], v[216:217], v[214:215], v[140:141] op_sel_hi:[0,1,1] neg_lo:[1,0,0] neg_hi:[1,0,0]
	ds_read2_b64 v[208:211], v173 offset0:23 offset1:24
	ds_read2_b64 v[212:215], v173 offset0:25 offset1:26
	s_waitcnt vmcnt(20) lgkmcnt(2)
	v_pk_fma_f32 v[116:117], v[216:217], v[204:205], v[116:117] op_sel_hi:[0,1,1] neg_lo:[1,0,0] neg_hi:[1,0,0]
	ds_read_b64 v[204:205], v173 offset:216
	s_waitcnt vmcnt(18)
	v_pk_fma_f32 v[138:139], v[216:217], v[206:207], v[138:139] op_sel_hi:[0,1,1] neg_lo:[1,0,0] neg_hi:[1,0,0]
	s_waitcnt vmcnt(16) lgkmcnt(2)
	v_pk_fma_f32 v[114:115], v[216:217], v[208:209], v[114:115] op_sel_hi:[0,1,1] neg_lo:[1,0,0] neg_hi:[1,0,0]
	s_waitcnt vmcnt(14)
	v_pk_fma_f32 v[136:137], v[216:217], v[210:211], v[136:137] op_sel_hi:[0,1,1] neg_lo:[1,0,0] neg_hi:[1,0,0]
	s_waitcnt vmcnt(12) lgkmcnt(1)
	v_pk_fma_f32 v[112:113], v[216:217], v[212:213], v[112:113] op_sel_hi:[0,1,1] neg_lo:[1,0,0] neg_hi:[1,0,0]
	;; [unrolled: 4-line block ×3, first 2 shown]
.LBB111_164:
	s_or_b64 exec, exec, s[2:3]
	v_cmp_eq_u32_e32 vcc, 30, v169
	s_waitcnt lgkmcnt(0)
	s_barrier
	s_and_saveexec_b64 s[2:3], vcc
	s_cbranch_execz .LBB111_167
; %bb.165:
	s_waitcnt vmcnt(30)
	v_pk_mov_b32 v[204:205], v[122:123], v[144:145] op_sel:[1,0]
	ds_write_b32 v171, v122
	ds_write2_b32 v173, v204, v205 offset0:31 offset1:32
	s_waitcnt vmcnt(28)
	v_pk_mov_b32 v[204:205], v[144:145], v[120:121] op_sel:[1,0]
	ds_write2_b32 v173, v204, v205 offset0:33 offset1:34
	s_waitcnt vmcnt(26)
	v_pk_mov_b32 v[204:205], v[120:121], v[142:143] op_sel:[1,0]
	;; [unrolled: 3-line block ×11, first 2 shown]
	ds_write2_b32 v173, v204, v205 offset0:53 offset1:54
	ds_write_b32 v173, v159 offset:220
	ds_read_b32 v203, v171
	s_waitcnt lgkmcnt(0)
	v_cmp_neq_f32_e32 vcc, 0, v203
	s_and_b64 exec, exec, vcc
	s_cbranch_execz .LBB111_167
; %bb.166:
	v_div_scale_f32 v204, s[4:5], v203, v203, 1.0
	v_rcp_f32_e32 v205, v204
	v_div_scale_f32 v206, vcc, 1.0, v203, 1.0
	v_fma_f32 v207, -v204, v205, 1.0
	v_fmac_f32_e32 v205, v207, v205
	v_mul_f32_e32 v207, v206, v205
	v_fma_f32 v208, -v204, v207, v206
	v_fmac_f32_e32 v207, v208, v205
	v_fma_f32 v204, -v204, v207, v206
	v_div_fmas_f32 v204, v204, v205, v207
	v_div_fixup_f32 v203, v204, v203, 1.0
	ds_write_b32 v171, v203
.LBB111_167:
	s_or_b64 exec, exec, s[2:3]
	s_waitcnt lgkmcnt(0)
	s_barrier
	ds_read_b32 v203, v171
	v_cmp_lt_u32_e32 vcc, 30, v169
	s_and_saveexec_b64 s[2:3], vcc
	s_cbranch_execz .LBB111_169
; %bb.168:
	ds_read_b32 v216, v173 offset:124
	ds_read2_b64 v[204:207], v173 offset0:16 offset1:17
	ds_read2_b64 v[208:211], v173 offset0:18 offset1:19
	;; [unrolled: 1-line block ×3, first 2 shown]
	s_waitcnt vmcnt(33) lgkmcnt(4)
	v_mul_f32_e32 v122, v203, v122
	s_waitcnt vmcnt(32) lgkmcnt(3)
	v_fma_f32 v123, -v122, v216, v123
	s_waitcnt vmcnt(30) lgkmcnt(2)
	v_pk_fma_f32 v[144:145], v[122:123], v[204:205], v[144:145] op_sel_hi:[0,1,1] neg_lo:[1,0,0] neg_hi:[1,0,0]
	s_waitcnt vmcnt(28)
	v_pk_fma_f32 v[120:121], v[122:123], v[206:207], v[120:121] op_sel_hi:[0,1,1] neg_lo:[1,0,0] neg_hi:[1,0,0]
	s_waitcnt vmcnt(26) lgkmcnt(1)
	v_pk_fma_f32 v[142:143], v[122:123], v[208:209], v[142:143] op_sel_hi:[0,1,1] neg_lo:[1,0,0] neg_hi:[1,0,0]
	s_waitcnt vmcnt(24)
	v_pk_fma_f32 v[118:119], v[122:123], v[210:211], v[118:119] op_sel_hi:[0,1,1] neg_lo:[1,0,0] neg_hi:[1,0,0]
	ds_read2_b64 v[204:207], v173 offset0:22 offset1:23
	ds_read2_b64 v[208:211], v173 offset0:24 offset1:25
	s_waitcnt vmcnt(22) lgkmcnt(2)
	v_pk_fma_f32 v[140:141], v[122:123], v[212:213], v[140:141] op_sel_hi:[0,1,1] neg_lo:[1,0,0] neg_hi:[1,0,0]
	s_waitcnt vmcnt(20)
	v_pk_fma_f32 v[116:117], v[122:123], v[214:215], v[116:117] op_sel_hi:[0,1,1] neg_lo:[1,0,0] neg_hi:[1,0,0]
	ds_read2_b64 v[212:215], v173 offset0:26 offset1:27
	s_waitcnt vmcnt(18) lgkmcnt(2)
	v_pk_fma_f32 v[138:139], v[122:123], v[204:205], v[138:139] op_sel_hi:[0,1,1] neg_lo:[1,0,0] neg_hi:[1,0,0]
	s_waitcnt vmcnt(16)
	v_pk_fma_f32 v[114:115], v[122:123], v[206:207], v[114:115] op_sel_hi:[0,1,1] neg_lo:[1,0,0] neg_hi:[1,0,0]
	s_waitcnt vmcnt(14) lgkmcnt(1)
	v_pk_fma_f32 v[136:137], v[122:123], v[208:209], v[136:137] op_sel_hi:[0,1,1] neg_lo:[1,0,0] neg_hi:[1,0,0]
	s_waitcnt vmcnt(12)
	v_pk_fma_f32 v[112:113], v[122:123], v[210:211], v[112:113] op_sel_hi:[0,1,1] neg_lo:[1,0,0] neg_hi:[1,0,0]
	s_waitcnt vmcnt(10) lgkmcnt(0)
	v_pk_fma_f32 v[134:135], v[122:123], v[212:213], v[134:135] op_sel_hi:[0,1,1] neg_lo:[1,0,0] neg_hi:[1,0,0]
	s_waitcnt vmcnt(8)
	v_pk_fma_f32 v[158:159], v[122:123], v[214:215], v[158:159] op_sel_hi:[0,1,1] neg_lo:[1,0,0] neg_hi:[1,0,0]
.LBB111_169:
	s_or_b64 exec, exec, s[2:3]
	v_cmp_ne_u32_e32 vcc, 31, v169
	s_waitcnt lgkmcnt(0)
	s_barrier
	s_and_saveexec_b64 s[2:3], vcc
	s_xor_b64 s[2:3], exec, s[2:3]
	s_andn2_saveexec_b64 s[2:3], s[2:3]
	s_cbranch_execz .LBB111_173
; %bb.170:
	s_waitcnt vmcnt(31)
	v_mov_b32_e32 v204, v144
	s_waitcnt vmcnt(30)
	v_mov_b32_e32 v205, v145
	;; [unrolled: 2-line block ×4, first 2 shown]
	ds_write_b32 v171, v123
	ds_write2_b64 v173, v[204:205], v[206:207] offset0:16 offset1:17
	s_waitcnt vmcnt(27)
	v_mov_b32_e32 v204, v142
	s_waitcnt vmcnt(26)
	v_mov_b32_e32 v205, v143
	s_waitcnt vmcnt(25)
	v_mov_b32_e32 v206, v118
	s_waitcnt vmcnt(24)
	v_mov_b32_e32 v207, v119
	ds_write2_b64 v173, v[204:205], v[206:207] offset0:18 offset1:19
	s_waitcnt vmcnt(23)
	v_mov_b32_e32 v204, v140
	s_waitcnt vmcnt(22)
	v_mov_b32_e32 v205, v141
	s_waitcnt vmcnt(21)
	v_mov_b32_e32 v206, v116
	s_waitcnt vmcnt(20)
	v_mov_b32_e32 v207, v117
	ds_write2_b64 v173, v[204:205], v[206:207] offset0:20 offset1:21
	s_waitcnt vmcnt(19)
	v_mov_b32_e32 v204, v138
	s_waitcnt vmcnt(18)
	v_mov_b32_e32 v205, v139
	s_waitcnt vmcnt(17)
	v_mov_b32_e32 v206, v114
	s_waitcnt vmcnt(16)
	v_mov_b32_e32 v207, v115
	ds_write2_b64 v173, v[204:205], v[206:207] offset0:22 offset1:23
	s_waitcnt vmcnt(15)
	v_mov_b32_e32 v204, v136
	s_waitcnt vmcnt(14)
	v_mov_b32_e32 v205, v137
	s_waitcnt vmcnt(13)
	v_mov_b32_e32 v206, v112
	s_waitcnt vmcnt(12)
	v_mov_b32_e32 v207, v113
	ds_write2_b64 v173, v[204:205], v[206:207] offset0:24 offset1:25
	s_waitcnt vmcnt(11)
	v_mov_b32_e32 v204, v134
	s_waitcnt vmcnt(10)
	v_mov_b32_e32 v205, v135
	s_waitcnt vmcnt(8)
	ds_write2_b64 v173, v[204:205], v[158:159] offset0:26 offset1:27
	ds_read_b32 v204, v171
	s_waitcnt lgkmcnt(0)
	v_cmp_neq_f32_e32 vcc, 0, v204
	s_and_saveexec_b64 s[4:5], vcc
	s_cbranch_execz .LBB111_172
; %bb.171:
	v_div_scale_f32 v205, s[10:11], v204, v204, 1.0
	v_rcp_f32_e32 v206, v205
	v_div_scale_f32 v207, vcc, 1.0, v204, 1.0
	v_fma_f32 v208, -v205, v206, 1.0
	v_fmac_f32_e32 v206, v208, v206
	v_mul_f32_e32 v208, v207, v206
	v_fma_f32 v209, -v205, v208, v207
	v_fmac_f32_e32 v208, v209, v206
	v_fma_f32 v205, -v205, v208, v207
	v_div_fmas_f32 v205, v205, v206, v208
	v_div_fixup_f32 v204, v205, v204, 1.0
	ds_write_b32 v171, v204
.LBB111_172:
	s_or_b64 exec, exec, s[4:5]
.LBB111_173:
	s_or_b64 exec, exec, s[2:3]
	s_waitcnt lgkmcnt(0)
	s_barrier
	ds_read_b32 v204, v171
	v_cmp_lt_u32_e32 vcc, 31, v169
	s_and_saveexec_b64 s[2:3], vcc
	s_cbranch_execz .LBB111_175
; %bb.174:
	ds_read2_b64 v[206:209], v173 offset0:16 offset1:17
	ds_read2_b64 v[210:213], v173 offset0:18 offset1:19
	;; [unrolled: 1-line block ×3, first 2 shown]
	s_waitcnt vmcnt(32) lgkmcnt(3)
	v_mul_f32_e32 v218, v204, v123
	v_mov_b32_e32 v123, v218
	s_waitcnt vmcnt(30) lgkmcnt(2)
	v_pk_fma_f32 v[144:145], v[218:219], v[206:207], v[144:145] op_sel_hi:[0,1,1] neg_lo:[1,0,0] neg_hi:[1,0,0]
	s_waitcnt vmcnt(28)
	v_pk_fma_f32 v[120:121], v[218:219], v[208:209], v[120:121] op_sel_hi:[0,1,1] neg_lo:[1,0,0] neg_hi:[1,0,0]
	s_waitcnt vmcnt(26) lgkmcnt(1)
	v_pk_fma_f32 v[142:143], v[218:219], v[210:211], v[142:143] op_sel_hi:[0,1,1] neg_lo:[1,0,0] neg_hi:[1,0,0]
	s_waitcnt vmcnt(24)
	v_pk_fma_f32 v[118:119], v[218:219], v[212:213], v[118:119] op_sel_hi:[0,1,1] neg_lo:[1,0,0] neg_hi:[1,0,0]
	ds_read2_b64 v[206:209], v173 offset0:22 offset1:23
	s_waitcnt vmcnt(22) lgkmcnt(1)
	v_pk_fma_f32 v[140:141], v[218:219], v[214:215], v[140:141] op_sel_hi:[0,1,1] neg_lo:[1,0,0] neg_hi:[1,0,0]
	ds_read2_b64 v[210:213], v173 offset0:24 offset1:25
	s_waitcnt vmcnt(20)
	v_pk_fma_f32 v[116:117], v[218:219], v[216:217], v[116:117] op_sel_hi:[0,1,1] neg_lo:[1,0,0] neg_hi:[1,0,0]
	ds_read2_b64 v[214:217], v173 offset0:26 offset1:27
	s_waitcnt vmcnt(18) lgkmcnt(2)
	v_pk_fma_f32 v[138:139], v[218:219], v[206:207], v[138:139] op_sel_hi:[0,1,1] neg_lo:[1,0,0] neg_hi:[1,0,0]
	s_waitcnt vmcnt(16)
	v_pk_fma_f32 v[114:115], v[218:219], v[208:209], v[114:115] op_sel_hi:[0,1,1] neg_lo:[1,0,0] neg_hi:[1,0,0]
	s_waitcnt vmcnt(14) lgkmcnt(1)
	v_pk_fma_f32 v[136:137], v[218:219], v[210:211], v[136:137] op_sel_hi:[0,1,1] neg_lo:[1,0,0] neg_hi:[1,0,0]
	s_waitcnt vmcnt(12)
	v_pk_fma_f32 v[112:113], v[218:219], v[212:213], v[112:113] op_sel_hi:[0,1,1] neg_lo:[1,0,0] neg_hi:[1,0,0]
	;; [unrolled: 4-line block ×3, first 2 shown]
.LBB111_175:
	s_or_b64 exec, exec, s[2:3]
	v_cmp_eq_u32_e32 vcc, 32, v169
	s_waitcnt lgkmcnt(0)
	s_barrier
	s_and_saveexec_b64 s[2:3], vcc
	s_cbranch_execz .LBB111_178
; %bb.176:
	s_waitcnt vmcnt(28)
	v_pk_mov_b32 v[206:207], v[144:145], v[120:121] op_sel:[1,0]
	ds_write_b32 v171, v144
	ds_write2_b32 v173, v206, v207 offset0:33 offset1:34
	s_waitcnt vmcnt(26)
	v_pk_mov_b32 v[206:207], v[120:121], v[142:143] op_sel:[1,0]
	ds_write2_b32 v173, v206, v207 offset0:35 offset1:36
	s_waitcnt vmcnt(24)
	v_pk_mov_b32 v[206:207], v[142:143], v[118:119] op_sel:[1,0]
	;; [unrolled: 3-line block ×10, first 2 shown]
	ds_write2_b32 v173, v206, v207 offset0:53 offset1:54
	ds_write_b32 v173, v159 offset:220
	ds_read_b32 v205, v171
	s_waitcnt lgkmcnt(0)
	v_cmp_neq_f32_e32 vcc, 0, v205
	s_and_b64 exec, exec, vcc
	s_cbranch_execz .LBB111_178
; %bb.177:
	v_div_scale_f32 v206, s[4:5], v205, v205, 1.0
	v_rcp_f32_e32 v207, v206
	v_div_scale_f32 v208, vcc, 1.0, v205, 1.0
	v_fma_f32 v209, -v206, v207, 1.0
	v_fmac_f32_e32 v207, v209, v207
	v_mul_f32_e32 v209, v208, v207
	v_fma_f32 v210, -v206, v209, v208
	v_fmac_f32_e32 v209, v210, v207
	v_fma_f32 v206, -v206, v209, v208
	v_div_fmas_f32 v206, v206, v207, v209
	v_div_fixup_f32 v205, v206, v205, 1.0
	ds_write_b32 v171, v205
.LBB111_178:
	s_or_b64 exec, exec, s[2:3]
	s_waitcnt lgkmcnt(0)
	s_barrier
	ds_read_b32 v205, v171
	v_cmp_lt_u32_e32 vcc, 32, v169
	s_and_saveexec_b64 s[2:3], vcc
	s_cbranch_execz .LBB111_180
; %bb.179:
	ds_read_b32 v218, v173 offset:132
	ds_read2_b64 v[206:209], v173 offset0:17 offset1:18
	ds_read2_b64 v[210:213], v173 offset0:19 offset1:20
	;; [unrolled: 1-line block ×3, first 2 shown]
	s_waitcnt vmcnt(31) lgkmcnt(4)
	v_mul_f32_e32 v144, v205, v144
	s_waitcnt vmcnt(30) lgkmcnt(3)
	v_fma_f32 v145, -v144, v218, v145
	s_waitcnt vmcnt(28) lgkmcnt(2)
	v_pk_fma_f32 v[120:121], v[144:145], v[206:207], v[120:121] op_sel_hi:[0,1,1] neg_lo:[1,0,0] neg_hi:[1,0,0]
	s_waitcnt vmcnt(26)
	v_pk_fma_f32 v[142:143], v[144:145], v[208:209], v[142:143] op_sel_hi:[0,1,1] neg_lo:[1,0,0] neg_hi:[1,0,0]
	s_waitcnt vmcnt(24) lgkmcnt(1)
	v_pk_fma_f32 v[118:119], v[144:145], v[210:211], v[118:119] op_sel_hi:[0,1,1] neg_lo:[1,0,0] neg_hi:[1,0,0]
	s_waitcnt vmcnt(22)
	v_pk_fma_f32 v[140:141], v[144:145], v[212:213], v[140:141] op_sel_hi:[0,1,1] neg_lo:[1,0,0] neg_hi:[1,0,0]
	ds_read2_b64 v[206:209], v173 offset0:23 offset1:24
	ds_read2_b64 v[210:213], v173 offset0:25 offset1:26
	s_waitcnt vmcnt(20) lgkmcnt(2)
	v_pk_fma_f32 v[116:117], v[144:145], v[214:215], v[116:117] op_sel_hi:[0,1,1] neg_lo:[1,0,0] neg_hi:[1,0,0]
	ds_read_b64 v[214:215], v173 offset:216
	s_waitcnt vmcnt(18)
	v_pk_fma_f32 v[138:139], v[144:145], v[216:217], v[138:139] op_sel_hi:[0,1,1] neg_lo:[1,0,0] neg_hi:[1,0,0]
	s_waitcnt vmcnt(16) lgkmcnt(2)
	v_pk_fma_f32 v[114:115], v[144:145], v[206:207], v[114:115] op_sel_hi:[0,1,1] neg_lo:[1,0,0] neg_hi:[1,0,0]
	s_waitcnt vmcnt(14)
	v_pk_fma_f32 v[136:137], v[144:145], v[208:209], v[136:137] op_sel_hi:[0,1,1] neg_lo:[1,0,0] neg_hi:[1,0,0]
	s_waitcnt vmcnt(12) lgkmcnt(1)
	v_pk_fma_f32 v[112:113], v[144:145], v[210:211], v[112:113] op_sel_hi:[0,1,1] neg_lo:[1,0,0] neg_hi:[1,0,0]
	;; [unrolled: 4-line block ×3, first 2 shown]
.LBB111_180:
	s_or_b64 exec, exec, s[2:3]
	v_cmp_ne_u32_e32 vcc, 33, v169
	s_waitcnt lgkmcnt(0)
	s_barrier
	s_and_saveexec_b64 s[2:3], vcc
	s_xor_b64 s[2:3], exec, s[2:3]
	s_andn2_saveexec_b64 s[2:3], s[2:3]
	s_cbranch_execz .LBB111_184
; %bb.181:
	s_waitcnt vmcnt(30)
	ds_write_b32 v171, v145
	s_waitcnt vmcnt(26)
	ds_write2_b64 v173, v[120:121], v[142:143] offset0:17 offset1:18
	s_waitcnt vmcnt(22)
	ds_write2_b64 v173, v[118:119], v[140:141] offset0:19 offset1:20
	;; [unrolled: 2-line block ×5, first 2 shown]
	s_waitcnt vmcnt(8)
	ds_write_b64 v173, v[158:159] offset:216
	ds_read_b32 v206, v171
	s_waitcnt lgkmcnt(0)
	v_cmp_neq_f32_e32 vcc, 0, v206
	s_and_saveexec_b64 s[4:5], vcc
	s_cbranch_execz .LBB111_183
; %bb.182:
	v_div_scale_f32 v207, s[10:11], v206, v206, 1.0
	v_rcp_f32_e32 v208, v207
	v_div_scale_f32 v209, vcc, 1.0, v206, 1.0
	v_fma_f32 v210, -v207, v208, 1.0
	v_fmac_f32_e32 v208, v210, v208
	v_mul_f32_e32 v210, v209, v208
	v_fma_f32 v211, -v207, v210, v209
	v_fmac_f32_e32 v210, v211, v208
	v_fma_f32 v207, -v207, v210, v209
	v_div_fmas_f32 v207, v207, v208, v210
	v_div_fixup_f32 v206, v207, v206, 1.0
	ds_write_b32 v171, v206
.LBB111_183:
	s_or_b64 exec, exec, s[4:5]
.LBB111_184:
	s_or_b64 exec, exec, s[2:3]
	s_waitcnt lgkmcnt(0)
	s_barrier
	ds_read_b32 v206, v171
	v_cmp_lt_u32_e32 vcc, 33, v169
	s_and_saveexec_b64 s[2:3], vcc
	s_cbranch_execz .LBB111_186
; %bb.185:
	ds_read2_b64 v[208:211], v173 offset0:17 offset1:18
	ds_read2_b64 v[212:215], v173 offset0:19 offset1:20
	;; [unrolled: 1-line block ×3, first 2 shown]
	s_waitcnt vmcnt(30) lgkmcnt(3)
	v_mul_f32_e32 v220, v206, v145
	v_mov_b32_e32 v145, v220
	s_waitcnt vmcnt(28) lgkmcnt(2)
	v_pk_fma_f32 v[120:121], v[220:221], v[208:209], v[120:121] op_sel_hi:[0,1,1] neg_lo:[1,0,0] neg_hi:[1,0,0]
	s_waitcnt vmcnt(26)
	v_pk_fma_f32 v[142:143], v[220:221], v[210:211], v[142:143] op_sel_hi:[0,1,1] neg_lo:[1,0,0] neg_hi:[1,0,0]
	s_waitcnt vmcnt(24) lgkmcnt(1)
	v_pk_fma_f32 v[118:119], v[220:221], v[212:213], v[118:119] op_sel_hi:[0,1,1] neg_lo:[1,0,0] neg_hi:[1,0,0]
	s_waitcnt vmcnt(22)
	v_pk_fma_f32 v[140:141], v[220:221], v[214:215], v[140:141] op_sel_hi:[0,1,1] neg_lo:[1,0,0] neg_hi:[1,0,0]
	ds_read2_b64 v[208:211], v173 offset0:23 offset1:24
	s_waitcnt vmcnt(20) lgkmcnt(1)
	v_pk_fma_f32 v[116:117], v[220:221], v[216:217], v[116:117] op_sel_hi:[0,1,1] neg_lo:[1,0,0] neg_hi:[1,0,0]
	ds_read2_b64 v[212:215], v173 offset0:25 offset1:26
	ds_read_b64 v[216:217], v173 offset:216
	s_waitcnt vmcnt(18)
	v_pk_fma_f32 v[138:139], v[220:221], v[218:219], v[138:139] op_sel_hi:[0,1,1] neg_lo:[1,0,0] neg_hi:[1,0,0]
	s_waitcnt vmcnt(16) lgkmcnt(2)
	v_pk_fma_f32 v[114:115], v[220:221], v[208:209], v[114:115] op_sel_hi:[0,1,1] neg_lo:[1,0,0] neg_hi:[1,0,0]
	s_waitcnt vmcnt(14)
	v_pk_fma_f32 v[136:137], v[220:221], v[210:211], v[136:137] op_sel_hi:[0,1,1] neg_lo:[1,0,0] neg_hi:[1,0,0]
	s_waitcnt vmcnt(12) lgkmcnt(1)
	v_pk_fma_f32 v[112:113], v[220:221], v[212:213], v[112:113] op_sel_hi:[0,1,1] neg_lo:[1,0,0] neg_hi:[1,0,0]
	;; [unrolled: 4-line block ×3, first 2 shown]
.LBB111_186:
	s_or_b64 exec, exec, s[2:3]
	v_cmp_eq_u32_e32 vcc, 34, v169
	s_waitcnt lgkmcnt(0)
	s_barrier
	s_and_saveexec_b64 s[2:3], vcc
	s_cbranch_execz .LBB111_189
; %bb.187:
	s_waitcnt vmcnt(26)
	v_pk_mov_b32 v[208:209], v[120:121], v[142:143] op_sel:[1,0]
	ds_write_b32 v171, v120
	ds_write2_b32 v173, v208, v209 offset0:35 offset1:36
	s_waitcnt vmcnt(24)
	v_pk_mov_b32 v[208:209], v[142:143], v[118:119] op_sel:[1,0]
	ds_write2_b32 v173, v208, v209 offset0:37 offset1:38
	s_waitcnt vmcnt(22)
	v_pk_mov_b32 v[208:209], v[118:119], v[140:141] op_sel:[1,0]
	;; [unrolled: 3-line block ×9, first 2 shown]
	ds_write2_b32 v173, v208, v209 offset0:53 offset1:54
	ds_write_b32 v173, v159 offset:220
	ds_read_b32 v207, v171
	s_waitcnt lgkmcnt(0)
	v_cmp_neq_f32_e32 vcc, 0, v207
	s_and_b64 exec, exec, vcc
	s_cbranch_execz .LBB111_189
; %bb.188:
	v_div_scale_f32 v208, s[4:5], v207, v207, 1.0
	v_rcp_f32_e32 v209, v208
	v_div_scale_f32 v210, vcc, 1.0, v207, 1.0
	v_fma_f32 v211, -v208, v209, 1.0
	v_fmac_f32_e32 v209, v211, v209
	v_mul_f32_e32 v211, v210, v209
	v_fma_f32 v212, -v208, v211, v210
	v_fmac_f32_e32 v211, v212, v209
	v_fma_f32 v208, -v208, v211, v210
	v_div_fmas_f32 v208, v208, v209, v211
	v_div_fixup_f32 v207, v208, v207, 1.0
	ds_write_b32 v171, v207
.LBB111_189:
	s_or_b64 exec, exec, s[2:3]
	s_waitcnt lgkmcnt(0)
	s_barrier
	ds_read_b32 v207, v171
	v_cmp_lt_u32_e32 vcc, 34, v169
	s_and_saveexec_b64 s[2:3], vcc
	s_cbranch_execz .LBB111_191
; %bb.190:
	ds_read_b32 v216, v173 offset:140
	ds_read2_b64 v[208:211], v173 offset0:18 offset1:19
	ds_read2_b64 v[212:215], v173 offset0:20 offset1:21
	s_waitcnt vmcnt(29) lgkmcnt(3)
	v_mul_f32_e32 v120, v207, v120
	s_waitcnt vmcnt(28) lgkmcnt(2)
	v_fma_f32 v121, -v120, v216, v121
	s_waitcnt vmcnt(26) lgkmcnt(1)
	v_pk_fma_f32 v[142:143], v[120:121], v[208:209], v[142:143] op_sel_hi:[0,1,1] neg_lo:[1,0,0] neg_hi:[1,0,0]
	s_waitcnt vmcnt(24)
	v_pk_fma_f32 v[118:119], v[120:121], v[210:211], v[118:119] op_sel_hi:[0,1,1] neg_lo:[1,0,0] neg_hi:[1,0,0]
	ds_read2_b64 v[208:211], v173 offset0:22 offset1:23
	s_waitcnt vmcnt(22) lgkmcnt(1)
	v_pk_fma_f32 v[140:141], v[120:121], v[212:213], v[140:141] op_sel_hi:[0,1,1] neg_lo:[1,0,0] neg_hi:[1,0,0]
	ds_read2_b64 v[216:219], v173 offset0:24 offset1:25
	s_waitcnt vmcnt(20)
	v_pk_fma_f32 v[116:117], v[120:121], v[214:215], v[116:117] op_sel_hi:[0,1,1] neg_lo:[1,0,0] neg_hi:[1,0,0]
	ds_read2_b64 v[212:215], v173 offset0:26 offset1:27
	s_waitcnt vmcnt(18) lgkmcnt(2)
	v_pk_fma_f32 v[138:139], v[120:121], v[208:209], v[138:139] op_sel_hi:[0,1,1] neg_lo:[1,0,0] neg_hi:[1,0,0]
	s_waitcnt vmcnt(16)
	v_pk_fma_f32 v[114:115], v[120:121], v[210:211], v[114:115] op_sel_hi:[0,1,1] neg_lo:[1,0,0] neg_hi:[1,0,0]
	s_waitcnt vmcnt(14) lgkmcnt(1)
	v_pk_fma_f32 v[136:137], v[120:121], v[216:217], v[136:137] op_sel_hi:[0,1,1] neg_lo:[1,0,0] neg_hi:[1,0,0]
	s_waitcnt vmcnt(12)
	v_pk_fma_f32 v[112:113], v[120:121], v[218:219], v[112:113] op_sel_hi:[0,1,1] neg_lo:[1,0,0] neg_hi:[1,0,0]
	s_waitcnt vmcnt(10) lgkmcnt(0)
	v_pk_fma_f32 v[134:135], v[120:121], v[212:213], v[134:135] op_sel_hi:[0,1,1] neg_lo:[1,0,0] neg_hi:[1,0,0]
	s_waitcnt vmcnt(8)
	v_pk_fma_f32 v[158:159], v[120:121], v[214:215], v[158:159] op_sel_hi:[0,1,1] neg_lo:[1,0,0] neg_hi:[1,0,0]
.LBB111_191:
	s_or_b64 exec, exec, s[2:3]
	v_cmp_ne_u32_e32 vcc, 35, v169
	s_waitcnt lgkmcnt(0)
	s_barrier
	s_and_saveexec_b64 s[2:3], vcc
	s_xor_b64 s[2:3], exec, s[2:3]
	s_andn2_saveexec_b64 s[2:3], s[2:3]
	s_cbranch_execz .LBB111_195
; %bb.192:
	s_waitcnt vmcnt(27)
	v_mov_b32_e32 v208, v142
	s_waitcnt vmcnt(26)
	v_mov_b32_e32 v209, v143
	;; [unrolled: 2-line block ×4, first 2 shown]
	ds_write_b32 v171, v121
	ds_write2_b64 v173, v[208:209], v[210:211] offset0:18 offset1:19
	s_waitcnt vmcnt(23)
	v_mov_b32_e32 v208, v140
	s_waitcnt vmcnt(22)
	v_mov_b32_e32 v209, v141
	s_waitcnt vmcnt(21)
	v_mov_b32_e32 v210, v116
	s_waitcnt vmcnt(20)
	v_mov_b32_e32 v211, v117
	ds_write2_b64 v173, v[208:209], v[210:211] offset0:20 offset1:21
	s_waitcnt vmcnt(19)
	v_mov_b32_e32 v208, v138
	s_waitcnt vmcnt(18)
	v_mov_b32_e32 v209, v139
	s_waitcnt vmcnt(17)
	v_mov_b32_e32 v210, v114
	s_waitcnt vmcnt(16)
	v_mov_b32_e32 v211, v115
	;; [unrolled: 9-line block ×3, first 2 shown]
	ds_write2_b64 v173, v[208:209], v[210:211] offset0:24 offset1:25
	s_waitcnt vmcnt(11)
	v_mov_b32_e32 v208, v134
	s_waitcnt vmcnt(10)
	v_mov_b32_e32 v209, v135
	s_waitcnt vmcnt(8)
	ds_write2_b64 v173, v[208:209], v[158:159] offset0:26 offset1:27
	ds_read_b32 v208, v171
	s_waitcnt lgkmcnt(0)
	v_cmp_neq_f32_e32 vcc, 0, v208
	s_and_saveexec_b64 s[4:5], vcc
	s_cbranch_execz .LBB111_194
; %bb.193:
	v_div_scale_f32 v209, s[10:11], v208, v208, 1.0
	v_rcp_f32_e32 v210, v209
	v_div_scale_f32 v211, vcc, 1.0, v208, 1.0
	v_fma_f32 v212, -v209, v210, 1.0
	v_fmac_f32_e32 v210, v212, v210
	v_mul_f32_e32 v212, v211, v210
	v_fma_f32 v213, -v209, v212, v211
	v_fmac_f32_e32 v212, v213, v210
	v_fma_f32 v209, -v209, v212, v211
	v_div_fmas_f32 v209, v209, v210, v212
	v_div_fixup_f32 v208, v209, v208, 1.0
	ds_write_b32 v171, v208
.LBB111_194:
	s_or_b64 exec, exec, s[4:5]
.LBB111_195:
	s_or_b64 exec, exec, s[2:3]
	s_waitcnt lgkmcnt(0)
	s_barrier
	ds_read_b32 v208, v171
	v_cmp_lt_u32_e32 vcc, 35, v169
	s_and_saveexec_b64 s[2:3], vcc
	s_cbranch_execz .LBB111_197
; %bb.196:
	ds_read2_b64 v[210:213], v173 offset0:18 offset1:19
	ds_read2_b64 v[214:217], v173 offset0:20 offset1:21
	s_waitcnt vmcnt(28) lgkmcnt(2)
	v_mul_f32_e32 v222, v208, v121
	ds_read2_b64 v[218:221], v173 offset0:22 offset1:23
	v_mov_b32_e32 v121, v222
	s_waitcnt vmcnt(26) lgkmcnt(2)
	v_pk_fma_f32 v[142:143], v[222:223], v[210:211], v[142:143] op_sel_hi:[0,1,1] neg_lo:[1,0,0] neg_hi:[1,0,0]
	s_waitcnt vmcnt(24)
	v_pk_fma_f32 v[118:119], v[222:223], v[212:213], v[118:119] op_sel_hi:[0,1,1] neg_lo:[1,0,0] neg_hi:[1,0,0]
	s_waitcnt vmcnt(22) lgkmcnt(1)
	v_pk_fma_f32 v[140:141], v[222:223], v[214:215], v[140:141] op_sel_hi:[0,1,1] neg_lo:[1,0,0] neg_hi:[1,0,0]
	ds_read2_b64 v[210:213], v173 offset0:24 offset1:25
	s_waitcnt vmcnt(20)
	v_pk_fma_f32 v[116:117], v[222:223], v[216:217], v[116:117] op_sel_hi:[0,1,1] neg_lo:[1,0,0] neg_hi:[1,0,0]
	ds_read2_b64 v[214:217], v173 offset0:26 offset1:27
	s_waitcnt vmcnt(18) lgkmcnt(2)
	v_pk_fma_f32 v[138:139], v[222:223], v[218:219], v[138:139] op_sel_hi:[0,1,1] neg_lo:[1,0,0] neg_hi:[1,0,0]
	s_waitcnt vmcnt(16)
	v_pk_fma_f32 v[114:115], v[222:223], v[220:221], v[114:115] op_sel_hi:[0,1,1] neg_lo:[1,0,0] neg_hi:[1,0,0]
	s_waitcnt vmcnt(14) lgkmcnt(1)
	v_pk_fma_f32 v[136:137], v[222:223], v[210:211], v[136:137] op_sel_hi:[0,1,1] neg_lo:[1,0,0] neg_hi:[1,0,0]
	s_waitcnt vmcnt(12)
	v_pk_fma_f32 v[112:113], v[222:223], v[212:213], v[112:113] op_sel_hi:[0,1,1] neg_lo:[1,0,0] neg_hi:[1,0,0]
	;; [unrolled: 4-line block ×3, first 2 shown]
.LBB111_197:
	s_or_b64 exec, exec, s[2:3]
	v_cmp_eq_u32_e32 vcc, 36, v169
	s_waitcnt lgkmcnt(0)
	s_barrier
	s_and_saveexec_b64 s[2:3], vcc
	s_cbranch_execz .LBB111_200
; %bb.198:
	s_waitcnt vmcnt(24)
	v_pk_mov_b32 v[210:211], v[142:143], v[118:119] op_sel:[1,0]
	ds_write_b32 v171, v142
	ds_write2_b32 v173, v210, v211 offset0:37 offset1:38
	s_waitcnt vmcnt(22)
	v_pk_mov_b32 v[210:211], v[118:119], v[140:141] op_sel:[1,0]
	ds_write2_b32 v173, v210, v211 offset0:39 offset1:40
	s_waitcnt vmcnt(20)
	v_pk_mov_b32 v[210:211], v[140:141], v[116:117] op_sel:[1,0]
	;; [unrolled: 3-line block ×8, first 2 shown]
	ds_write2_b32 v173, v210, v211 offset0:53 offset1:54
	ds_write_b32 v173, v159 offset:220
	ds_read_b32 v209, v171
	s_waitcnt lgkmcnt(0)
	v_cmp_neq_f32_e32 vcc, 0, v209
	s_and_b64 exec, exec, vcc
	s_cbranch_execz .LBB111_200
; %bb.199:
	v_div_scale_f32 v210, s[4:5], v209, v209, 1.0
	v_rcp_f32_e32 v211, v210
	v_div_scale_f32 v212, vcc, 1.0, v209, 1.0
	v_fma_f32 v213, -v210, v211, 1.0
	v_fmac_f32_e32 v211, v213, v211
	v_mul_f32_e32 v213, v212, v211
	v_fma_f32 v214, -v210, v213, v212
	v_fmac_f32_e32 v213, v214, v211
	v_fma_f32 v210, -v210, v213, v212
	v_div_fmas_f32 v210, v210, v211, v213
	v_div_fixup_f32 v209, v210, v209, 1.0
	ds_write_b32 v171, v209
.LBB111_200:
	s_or_b64 exec, exec, s[2:3]
	s_waitcnt lgkmcnt(0)
	s_barrier
	ds_read_b32 v209, v171
	v_cmp_lt_u32_e32 vcc, 36, v169
	s_and_saveexec_b64 s[2:3], vcc
	s_cbranch_execz .LBB111_202
; %bb.201:
	ds_read_b32 v218, v173 offset:148
	ds_read2_b64 v[210:213], v173 offset0:19 offset1:20
	ds_read2_b64 v[214:217], v173 offset0:21 offset1:22
	s_waitcnt vmcnt(27) lgkmcnt(3)
	v_mul_f32_e32 v142, v209, v142
	s_waitcnt vmcnt(26) lgkmcnt(2)
	v_fma_f32 v143, -v142, v218, v143
	s_waitcnt vmcnt(24) lgkmcnt(1)
	v_pk_fma_f32 v[118:119], v[142:143], v[210:211], v[118:119] op_sel_hi:[0,1,1] neg_lo:[1,0,0] neg_hi:[1,0,0]
	s_waitcnt vmcnt(22)
	v_pk_fma_f32 v[140:141], v[142:143], v[212:213], v[140:141] op_sel_hi:[0,1,1] neg_lo:[1,0,0] neg_hi:[1,0,0]
	ds_read2_b64 v[210:213], v173 offset0:23 offset1:24
	s_waitcnt vmcnt(20) lgkmcnt(1)
	v_pk_fma_f32 v[116:117], v[142:143], v[214:215], v[116:117] op_sel_hi:[0,1,1] neg_lo:[1,0,0] neg_hi:[1,0,0]
	ds_read2_b64 v[218:221], v173 offset0:25 offset1:26
	ds_read_b64 v[214:215], v173 offset:216
	s_waitcnt vmcnt(18)
	v_pk_fma_f32 v[138:139], v[142:143], v[216:217], v[138:139] op_sel_hi:[0,1,1] neg_lo:[1,0,0] neg_hi:[1,0,0]
	s_waitcnt vmcnt(16) lgkmcnt(2)
	v_pk_fma_f32 v[114:115], v[142:143], v[210:211], v[114:115] op_sel_hi:[0,1,1] neg_lo:[1,0,0] neg_hi:[1,0,0]
	s_waitcnt vmcnt(14)
	v_pk_fma_f32 v[136:137], v[142:143], v[212:213], v[136:137] op_sel_hi:[0,1,1] neg_lo:[1,0,0] neg_hi:[1,0,0]
	s_waitcnt vmcnt(12) lgkmcnt(1)
	v_pk_fma_f32 v[112:113], v[142:143], v[218:219], v[112:113] op_sel_hi:[0,1,1] neg_lo:[1,0,0] neg_hi:[1,0,0]
	;; [unrolled: 4-line block ×3, first 2 shown]
.LBB111_202:
	s_or_b64 exec, exec, s[2:3]
	v_cmp_ne_u32_e32 vcc, 37, v169
	s_waitcnt lgkmcnt(0)
	s_barrier
	s_and_saveexec_b64 s[2:3], vcc
	s_xor_b64 s[2:3], exec, s[2:3]
	s_andn2_saveexec_b64 s[2:3], s[2:3]
	s_cbranch_execz .LBB111_206
; %bb.203:
	s_waitcnt vmcnt(26)
	ds_write_b32 v171, v143
	s_waitcnt vmcnt(22)
	ds_write2_b64 v173, v[118:119], v[140:141] offset0:19 offset1:20
	s_waitcnt vmcnt(18)
	ds_write2_b64 v173, v[116:117], v[138:139] offset0:21 offset1:22
	;; [unrolled: 2-line block ×4, first 2 shown]
	s_waitcnt vmcnt(8)
	ds_write_b64 v173, v[158:159] offset:216
	ds_read_b32 v210, v171
	s_waitcnt lgkmcnt(0)
	v_cmp_neq_f32_e32 vcc, 0, v210
	s_and_saveexec_b64 s[4:5], vcc
	s_cbranch_execz .LBB111_205
; %bb.204:
	v_div_scale_f32 v211, s[10:11], v210, v210, 1.0
	v_rcp_f32_e32 v212, v211
	v_div_scale_f32 v213, vcc, 1.0, v210, 1.0
	v_fma_f32 v214, -v211, v212, 1.0
	v_fmac_f32_e32 v212, v214, v212
	v_mul_f32_e32 v214, v213, v212
	v_fma_f32 v215, -v211, v214, v213
	v_fmac_f32_e32 v214, v215, v212
	v_fma_f32 v211, -v211, v214, v213
	v_div_fmas_f32 v211, v211, v212, v214
	v_div_fixup_f32 v210, v211, v210, 1.0
	ds_write_b32 v171, v210
.LBB111_205:
	s_or_b64 exec, exec, s[4:5]
.LBB111_206:
	s_or_b64 exec, exec, s[2:3]
	s_waitcnt lgkmcnt(0)
	s_barrier
	ds_read_b32 v210, v171
	v_cmp_lt_u32_e32 vcc, 37, v169
	s_and_saveexec_b64 s[2:3], vcc
	s_cbranch_execz .LBB111_208
; %bb.207:
	ds_read2_b64 v[212:215], v173 offset0:19 offset1:20
	ds_read2_b64 v[216:219], v173 offset0:21 offset1:22
	s_waitcnt vmcnt(26) lgkmcnt(2)
	v_mul_f32_e32 v224, v210, v143
	ds_read2_b64 v[220:223], v173 offset0:23 offset1:24
	v_mov_b32_e32 v143, v224
	s_waitcnt vmcnt(24) lgkmcnt(2)
	v_pk_fma_f32 v[118:119], v[224:225], v[212:213], v[118:119] op_sel_hi:[0,1,1] neg_lo:[1,0,0] neg_hi:[1,0,0]
	s_waitcnt vmcnt(22)
	v_pk_fma_f32 v[140:141], v[224:225], v[214:215], v[140:141] op_sel_hi:[0,1,1] neg_lo:[1,0,0] neg_hi:[1,0,0]
	s_waitcnt vmcnt(20) lgkmcnt(1)
	v_pk_fma_f32 v[116:117], v[224:225], v[216:217], v[116:117] op_sel_hi:[0,1,1] neg_lo:[1,0,0] neg_hi:[1,0,0]
	ds_read2_b64 v[212:215], v173 offset0:25 offset1:26
	ds_read_b64 v[216:217], v173 offset:216
	s_waitcnt vmcnt(18)
	v_pk_fma_f32 v[138:139], v[224:225], v[218:219], v[138:139] op_sel_hi:[0,1,1] neg_lo:[1,0,0] neg_hi:[1,0,0]
	s_waitcnt vmcnt(16) lgkmcnt(2)
	v_pk_fma_f32 v[114:115], v[224:225], v[220:221], v[114:115] op_sel_hi:[0,1,1] neg_lo:[1,0,0] neg_hi:[1,0,0]
	s_waitcnt vmcnt(14)
	v_pk_fma_f32 v[136:137], v[224:225], v[222:223], v[136:137] op_sel_hi:[0,1,1] neg_lo:[1,0,0] neg_hi:[1,0,0]
	s_waitcnt vmcnt(12) lgkmcnt(1)
	v_pk_fma_f32 v[112:113], v[224:225], v[212:213], v[112:113] op_sel_hi:[0,1,1] neg_lo:[1,0,0] neg_hi:[1,0,0]
	;; [unrolled: 4-line block ×3, first 2 shown]
.LBB111_208:
	s_or_b64 exec, exec, s[2:3]
	v_cmp_eq_u32_e32 vcc, 38, v169
	s_waitcnt lgkmcnt(0)
	s_barrier
	s_and_saveexec_b64 s[2:3], vcc
	s_cbranch_execz .LBB111_211
; %bb.209:
	s_waitcnt vmcnt(22)
	v_pk_mov_b32 v[212:213], v[118:119], v[140:141] op_sel:[1,0]
	ds_write_b32 v171, v118
	ds_write2_b32 v173, v212, v213 offset0:39 offset1:40
	s_waitcnt vmcnt(20)
	v_pk_mov_b32 v[212:213], v[140:141], v[116:117] op_sel:[1,0]
	ds_write2_b32 v173, v212, v213 offset0:41 offset1:42
	s_waitcnt vmcnt(18)
	v_pk_mov_b32 v[212:213], v[116:117], v[138:139] op_sel:[1,0]
	;; [unrolled: 3-line block ×7, first 2 shown]
	ds_write2_b32 v173, v212, v213 offset0:53 offset1:54
	ds_write_b32 v173, v159 offset:220
	ds_read_b32 v211, v171
	s_waitcnt lgkmcnt(0)
	v_cmp_neq_f32_e32 vcc, 0, v211
	s_and_b64 exec, exec, vcc
	s_cbranch_execz .LBB111_211
; %bb.210:
	v_div_scale_f32 v212, s[4:5], v211, v211, 1.0
	v_rcp_f32_e32 v213, v212
	v_div_scale_f32 v214, vcc, 1.0, v211, 1.0
	v_fma_f32 v215, -v212, v213, 1.0
	v_fmac_f32_e32 v213, v215, v213
	v_mul_f32_e32 v215, v214, v213
	v_fma_f32 v216, -v212, v215, v214
	v_fmac_f32_e32 v215, v216, v213
	v_fma_f32 v212, -v212, v215, v214
	v_div_fmas_f32 v212, v212, v213, v215
	v_div_fixup_f32 v211, v212, v211, 1.0
	ds_write_b32 v171, v211
.LBB111_211:
	s_or_b64 exec, exec, s[2:3]
	s_waitcnt lgkmcnt(0)
	s_barrier
	ds_read_b32 v211, v171
	v_cmp_lt_u32_e32 vcc, 38, v169
	s_and_saveexec_b64 s[2:3], vcc
	s_cbranch_execz .LBB111_213
; %bb.212:
	ds_read_b32 v224, v173 offset:156
	ds_read2_b64 v[212:215], v173 offset0:20 offset1:21
	s_waitcnt vmcnt(25) lgkmcnt(2)
	v_mul_f32_e32 v118, v211, v118
	ds_read2_b64 v[216:219], v173 offset0:22 offset1:23
	ds_read2_b64 v[220:223], v173 offset0:24 offset1:25
	s_waitcnt vmcnt(24) lgkmcnt(3)
	v_fma_f32 v119, -v118, v224, v119
	s_waitcnt vmcnt(22) lgkmcnt(2)
	v_pk_fma_f32 v[140:141], v[118:119], v[212:213], v[140:141] op_sel_hi:[0,1,1] neg_lo:[1,0,0] neg_hi:[1,0,0]
	s_waitcnt vmcnt(20)
	v_pk_fma_f32 v[116:117], v[118:119], v[214:215], v[116:117] op_sel_hi:[0,1,1] neg_lo:[1,0,0] neg_hi:[1,0,0]
	ds_read2_b64 v[212:215], v173 offset0:26 offset1:27
	s_waitcnt vmcnt(18) lgkmcnt(2)
	v_pk_fma_f32 v[138:139], v[118:119], v[216:217], v[138:139] op_sel_hi:[0,1,1] neg_lo:[1,0,0] neg_hi:[1,0,0]
	s_waitcnt vmcnt(16)
	v_pk_fma_f32 v[114:115], v[118:119], v[218:219], v[114:115] op_sel_hi:[0,1,1] neg_lo:[1,0,0] neg_hi:[1,0,0]
	s_waitcnt vmcnt(14) lgkmcnt(1)
	v_pk_fma_f32 v[136:137], v[118:119], v[220:221], v[136:137] op_sel_hi:[0,1,1] neg_lo:[1,0,0] neg_hi:[1,0,0]
	s_waitcnt vmcnt(12)
	v_pk_fma_f32 v[112:113], v[118:119], v[222:223], v[112:113] op_sel_hi:[0,1,1] neg_lo:[1,0,0] neg_hi:[1,0,0]
	;; [unrolled: 4-line block ×3, first 2 shown]
.LBB111_213:
	s_or_b64 exec, exec, s[2:3]
	v_cmp_ne_u32_e32 vcc, 39, v169
	s_waitcnt lgkmcnt(0)
	s_barrier
	s_and_saveexec_b64 s[2:3], vcc
	s_xor_b64 s[2:3], exec, s[2:3]
	s_andn2_saveexec_b64 s[2:3], s[2:3]
	s_cbranch_execz .LBB111_217
; %bb.214:
	s_waitcnt vmcnt(23)
	v_mov_b32_e32 v212, v140
	s_waitcnt vmcnt(22)
	v_mov_b32_e32 v213, v141
	;; [unrolled: 2-line block ×4, first 2 shown]
	ds_write_b32 v171, v119
	ds_write2_b64 v173, v[212:213], v[214:215] offset0:20 offset1:21
	s_waitcnt vmcnt(19)
	v_mov_b32_e32 v212, v138
	s_waitcnt vmcnt(18)
	v_mov_b32_e32 v213, v139
	;; [unrolled: 2-line block ×4, first 2 shown]
	ds_write2_b64 v173, v[212:213], v[214:215] offset0:22 offset1:23
	s_waitcnt vmcnt(15)
	v_mov_b32_e32 v212, v136
	s_waitcnt vmcnt(14)
	v_mov_b32_e32 v213, v137
	;; [unrolled: 2-line block ×4, first 2 shown]
	ds_write2_b64 v173, v[212:213], v[214:215] offset0:24 offset1:25
	s_waitcnt vmcnt(11)
	v_mov_b32_e32 v212, v134
	s_waitcnt vmcnt(10)
	v_mov_b32_e32 v213, v135
	s_waitcnt vmcnt(8)
	ds_write2_b64 v173, v[212:213], v[158:159] offset0:26 offset1:27
	ds_read_b32 v212, v171
	s_waitcnt lgkmcnt(0)
	v_cmp_neq_f32_e32 vcc, 0, v212
	s_and_saveexec_b64 s[4:5], vcc
	s_cbranch_execz .LBB111_216
; %bb.215:
	v_div_scale_f32 v213, s[10:11], v212, v212, 1.0
	v_rcp_f32_e32 v214, v213
	v_div_scale_f32 v215, vcc, 1.0, v212, 1.0
	v_fma_f32 v216, -v213, v214, 1.0
	v_fmac_f32_e32 v214, v216, v214
	v_mul_f32_e32 v216, v215, v214
	v_fma_f32 v217, -v213, v216, v215
	v_fmac_f32_e32 v216, v217, v214
	v_fma_f32 v213, -v213, v216, v215
	v_div_fmas_f32 v213, v213, v214, v216
	v_div_fixup_f32 v212, v213, v212, 1.0
	ds_write_b32 v171, v212
.LBB111_216:
	s_or_b64 exec, exec, s[4:5]
.LBB111_217:
	s_or_b64 exec, exec, s[2:3]
	s_waitcnt lgkmcnt(0)
	s_barrier
	ds_read_b32 v212, v171
	v_cmp_lt_u32_e32 vcc, 39, v169
	s_and_saveexec_b64 s[2:3], vcc
	s_cbranch_execz .LBB111_219
; %bb.218:
	ds_read2_b64 v[214:217], v173 offset0:20 offset1:21
	s_waitcnt vmcnt(24) lgkmcnt(1)
	v_mul_f32_e32 v226, v212, v119
	ds_read2_b64 v[218:221], v173 offset0:22 offset1:23
	ds_read2_b64 v[222:225], v173 offset0:24 offset1:25
	v_mov_b32_e32 v119, v226
	s_waitcnt vmcnt(22) lgkmcnt(2)
	v_pk_fma_f32 v[140:141], v[226:227], v[214:215], v[140:141] op_sel_hi:[0,1,1] neg_lo:[1,0,0] neg_hi:[1,0,0]
	s_waitcnt vmcnt(20)
	v_pk_fma_f32 v[116:117], v[226:227], v[216:217], v[116:117] op_sel_hi:[0,1,1] neg_lo:[1,0,0] neg_hi:[1,0,0]
	ds_read2_b64 v[214:217], v173 offset0:26 offset1:27
	s_waitcnt vmcnt(18) lgkmcnt(2)
	v_pk_fma_f32 v[138:139], v[226:227], v[218:219], v[138:139] op_sel_hi:[0,1,1] neg_lo:[1,0,0] neg_hi:[1,0,0]
	s_waitcnt vmcnt(16)
	v_pk_fma_f32 v[114:115], v[226:227], v[220:221], v[114:115] op_sel_hi:[0,1,1] neg_lo:[1,0,0] neg_hi:[1,0,0]
	s_waitcnt vmcnt(14) lgkmcnt(1)
	v_pk_fma_f32 v[136:137], v[226:227], v[222:223], v[136:137] op_sel_hi:[0,1,1] neg_lo:[1,0,0] neg_hi:[1,0,0]
	s_waitcnt vmcnt(12)
	v_pk_fma_f32 v[112:113], v[226:227], v[224:225], v[112:113] op_sel_hi:[0,1,1] neg_lo:[1,0,0] neg_hi:[1,0,0]
	s_waitcnt vmcnt(10) lgkmcnt(0)
	v_pk_fma_f32 v[134:135], v[226:227], v[214:215], v[134:135] op_sel_hi:[0,1,1] neg_lo:[1,0,0] neg_hi:[1,0,0]
	s_waitcnt vmcnt(8)
	v_pk_fma_f32 v[158:159], v[226:227], v[216:217], v[158:159] op_sel_hi:[0,1,1] neg_lo:[1,0,0] neg_hi:[1,0,0]
.LBB111_219:
	s_or_b64 exec, exec, s[2:3]
	v_cmp_eq_u32_e32 vcc, 40, v169
	s_waitcnt lgkmcnt(0)
	s_barrier
	s_and_saveexec_b64 s[2:3], vcc
	s_cbranch_execz .LBB111_222
; %bb.220:
	s_waitcnt vmcnt(20)
	v_pk_mov_b32 v[214:215], v[140:141], v[116:117] op_sel:[1,0]
	ds_write_b32 v171, v140
	ds_write2_b32 v173, v214, v215 offset0:41 offset1:42
	s_waitcnt vmcnt(18)
	v_pk_mov_b32 v[214:215], v[116:117], v[138:139] op_sel:[1,0]
	ds_write2_b32 v173, v214, v215 offset0:43 offset1:44
	s_waitcnt vmcnt(16)
	v_pk_mov_b32 v[214:215], v[138:139], v[114:115] op_sel:[1,0]
	;; [unrolled: 3-line block ×6, first 2 shown]
	ds_write2_b32 v173, v214, v215 offset0:53 offset1:54
	ds_write_b32 v173, v159 offset:220
	ds_read_b32 v213, v171
	s_waitcnt lgkmcnt(0)
	v_cmp_neq_f32_e32 vcc, 0, v213
	s_and_b64 exec, exec, vcc
	s_cbranch_execz .LBB111_222
; %bb.221:
	v_div_scale_f32 v214, s[4:5], v213, v213, 1.0
	v_rcp_f32_e32 v215, v214
	v_div_scale_f32 v216, vcc, 1.0, v213, 1.0
	v_fma_f32 v217, -v214, v215, 1.0
	v_fmac_f32_e32 v215, v217, v215
	v_mul_f32_e32 v217, v216, v215
	v_fma_f32 v218, -v214, v217, v216
	v_fmac_f32_e32 v217, v218, v215
	v_fma_f32 v214, -v214, v217, v216
	v_div_fmas_f32 v214, v214, v215, v217
	v_div_fixup_f32 v213, v214, v213, 1.0
	ds_write_b32 v171, v213
.LBB111_222:
	s_or_b64 exec, exec, s[2:3]
	s_waitcnt lgkmcnt(0)
	s_barrier
	ds_read_b32 v213, v171
	v_cmp_lt_u32_e32 vcc, 40, v169
	s_and_saveexec_b64 s[2:3], vcc
	s_cbranch_execz .LBB111_224
; %bb.223:
	ds_read_b32 v222, v173 offset:164
	s_waitcnt vmcnt(23) lgkmcnt(1)
	v_mul_f32_e32 v140, v213, v140
	ds_read2_b64 v[214:217], v173 offset0:21 offset1:22
	ds_read_b64 v[226:227], v173 offset:216
	ds_read2_b64 v[218:221], v173 offset0:23 offset1:24
	s_waitcnt vmcnt(22) lgkmcnt(3)
	v_fma_f32 v141, -v140, v222, v141
	ds_read2_b64 v[222:225], v173 offset0:25 offset1:26
	s_waitcnt vmcnt(20) lgkmcnt(3)
	v_pk_fma_f32 v[116:117], v[140:141], v[214:215], v[116:117] op_sel_hi:[0,1,1] neg_lo:[1,0,0] neg_hi:[1,0,0]
	s_waitcnt vmcnt(18)
	v_pk_fma_f32 v[138:139], v[140:141], v[216:217], v[138:139] op_sel_hi:[0,1,1] neg_lo:[1,0,0] neg_hi:[1,0,0]
	s_waitcnt vmcnt(16) lgkmcnt(1)
	v_pk_fma_f32 v[114:115], v[140:141], v[218:219], v[114:115] op_sel_hi:[0,1,1] neg_lo:[1,0,0] neg_hi:[1,0,0]
	s_waitcnt vmcnt(14)
	v_pk_fma_f32 v[136:137], v[140:141], v[220:221], v[136:137] op_sel_hi:[0,1,1] neg_lo:[1,0,0] neg_hi:[1,0,0]
	;; [unrolled: 4-line block ×3, first 2 shown]
	s_waitcnt vmcnt(8)
	v_pk_fma_f32 v[158:159], v[140:141], v[226:227], v[158:159] op_sel_hi:[0,1,1] neg_lo:[1,0,0] neg_hi:[1,0,0]
.LBB111_224:
	s_or_b64 exec, exec, s[2:3]
	v_cmp_ne_u32_e32 vcc, 41, v169
	s_waitcnt lgkmcnt(0)
	s_barrier
	s_and_saveexec_b64 s[2:3], vcc
	s_xor_b64 s[2:3], exec, s[2:3]
	s_andn2_saveexec_b64 s[2:3], s[2:3]
	s_cbranch_execz .LBB111_228
; %bb.225:
	s_waitcnt vmcnt(22)
	ds_write_b32 v171, v141
	s_waitcnt vmcnt(18)
	ds_write2_b64 v173, v[116:117], v[138:139] offset0:21 offset1:22
	s_waitcnt vmcnt(14)
	ds_write2_b64 v173, v[114:115], v[136:137] offset0:23 offset1:24
	;; [unrolled: 2-line block ×3, first 2 shown]
	s_waitcnt vmcnt(8)
	ds_write_b64 v173, v[158:159] offset:216
	ds_read_b32 v214, v171
	s_waitcnt lgkmcnt(0)
	v_cmp_neq_f32_e32 vcc, 0, v214
	s_and_saveexec_b64 s[4:5], vcc
	s_cbranch_execz .LBB111_227
; %bb.226:
	v_div_scale_f32 v215, s[10:11], v214, v214, 1.0
	v_rcp_f32_e32 v216, v215
	v_div_scale_f32 v217, vcc, 1.0, v214, 1.0
	v_fma_f32 v218, -v215, v216, 1.0
	v_fmac_f32_e32 v216, v218, v216
	v_mul_f32_e32 v218, v217, v216
	v_fma_f32 v219, -v215, v218, v217
	v_fmac_f32_e32 v218, v219, v216
	v_fma_f32 v215, -v215, v218, v217
	v_div_fmas_f32 v215, v215, v216, v218
	v_div_fixup_f32 v214, v215, v214, 1.0
	ds_write_b32 v171, v214
.LBB111_227:
	s_or_b64 exec, exec, s[4:5]
.LBB111_228:
	s_or_b64 exec, exec, s[2:3]
	s_waitcnt lgkmcnt(0)
	s_barrier
	ds_read_b32 v214, v171
	v_cmp_lt_u32_e32 vcc, 41, v169
	s_and_saveexec_b64 s[2:3], vcc
	s_cbranch_execz .LBB111_230
; %bb.229:
	ds_read2_b64 v[216:219], v173 offset0:21 offset1:22
	s_waitcnt vmcnt(22) lgkmcnt(1)
	v_mul_f32_e32 v228, v214, v141
	ds_read2_b64 v[220:223], v173 offset0:23 offset1:24
	ds_read2_b64 v[224:227], v173 offset0:25 offset1:26
	v_mov_b32_e32 v141, v228
	s_waitcnt vmcnt(20) lgkmcnt(2)
	v_pk_fma_f32 v[116:117], v[228:229], v[216:217], v[116:117] op_sel_hi:[0,1,1] neg_lo:[1,0,0] neg_hi:[1,0,0]
	ds_read_b64 v[216:217], v173 offset:216
	s_waitcnt vmcnt(18)
	v_pk_fma_f32 v[138:139], v[228:229], v[218:219], v[138:139] op_sel_hi:[0,1,1] neg_lo:[1,0,0] neg_hi:[1,0,0]
	s_waitcnt vmcnt(16) lgkmcnt(2)
	v_pk_fma_f32 v[114:115], v[228:229], v[220:221], v[114:115] op_sel_hi:[0,1,1] neg_lo:[1,0,0] neg_hi:[1,0,0]
	s_waitcnt vmcnt(14)
	v_pk_fma_f32 v[136:137], v[228:229], v[222:223], v[136:137] op_sel_hi:[0,1,1] neg_lo:[1,0,0] neg_hi:[1,0,0]
	s_waitcnt vmcnt(12) lgkmcnt(1)
	v_pk_fma_f32 v[112:113], v[228:229], v[224:225], v[112:113] op_sel_hi:[0,1,1] neg_lo:[1,0,0] neg_hi:[1,0,0]
	;; [unrolled: 4-line block ×3, first 2 shown]
.LBB111_230:
	s_or_b64 exec, exec, s[2:3]
	v_cmp_eq_u32_e32 vcc, 42, v169
	s_waitcnt lgkmcnt(0)
	s_barrier
	s_and_saveexec_b64 s[2:3], vcc
	s_cbranch_execz .LBB111_233
; %bb.231:
	s_waitcnt vmcnt(18)
	v_pk_mov_b32 v[216:217], v[116:117], v[138:139] op_sel:[1,0]
	ds_write_b32 v171, v116
	ds_write2_b32 v173, v216, v217 offset0:43 offset1:44
	s_waitcnt vmcnt(16)
	v_pk_mov_b32 v[216:217], v[138:139], v[114:115] op_sel:[1,0]
	ds_write2_b32 v173, v216, v217 offset0:45 offset1:46
	s_waitcnt vmcnt(14)
	v_pk_mov_b32 v[216:217], v[114:115], v[136:137] op_sel:[1,0]
	;; [unrolled: 3-line block ×5, first 2 shown]
	ds_write2_b32 v173, v216, v217 offset0:53 offset1:54
	ds_write_b32 v173, v159 offset:220
	ds_read_b32 v215, v171
	s_waitcnt lgkmcnt(0)
	v_cmp_neq_f32_e32 vcc, 0, v215
	s_and_b64 exec, exec, vcc
	s_cbranch_execz .LBB111_233
; %bb.232:
	v_div_scale_f32 v216, s[4:5], v215, v215, 1.0
	v_rcp_f32_e32 v217, v216
	v_div_scale_f32 v218, vcc, 1.0, v215, 1.0
	v_fma_f32 v219, -v216, v217, 1.0
	v_fmac_f32_e32 v217, v219, v217
	v_mul_f32_e32 v219, v218, v217
	v_fma_f32 v220, -v216, v219, v218
	v_fmac_f32_e32 v219, v220, v217
	v_fma_f32 v216, -v216, v219, v218
	v_div_fmas_f32 v216, v216, v217, v219
	v_div_fixup_f32 v215, v216, v215, 1.0
	ds_write_b32 v171, v215
.LBB111_233:
	s_or_b64 exec, exec, s[2:3]
	s_waitcnt lgkmcnt(0)
	s_barrier
	ds_read_b32 v215, v171
	v_cmp_lt_u32_e32 vcc, 42, v169
	s_and_saveexec_b64 s[2:3], vcc
	s_cbranch_execz .LBB111_235
; %bb.234:
	ds_read_b32 v228, v173 offset:172
	ds_read2_b64 v[216:219], v173 offset0:22 offset1:23
	ds_read2_b64 v[220:223], v173 offset0:24 offset1:25
	ds_read2_b64 v[224:227], v173 offset0:26 offset1:27
	s_waitcnt vmcnt(21) lgkmcnt(4)
	v_mul_f32_e32 v116, v215, v116
	s_waitcnt vmcnt(20) lgkmcnt(3)
	v_fma_f32 v117, -v116, v228, v117
	s_waitcnt vmcnt(18) lgkmcnt(2)
	v_pk_fma_f32 v[138:139], v[116:117], v[216:217], v[138:139] op_sel_hi:[0,1,1] neg_lo:[1,0,0] neg_hi:[1,0,0]
	s_waitcnt vmcnt(16)
	v_pk_fma_f32 v[114:115], v[116:117], v[218:219], v[114:115] op_sel_hi:[0,1,1] neg_lo:[1,0,0] neg_hi:[1,0,0]
	s_waitcnt vmcnt(14) lgkmcnt(1)
	v_pk_fma_f32 v[136:137], v[116:117], v[220:221], v[136:137] op_sel_hi:[0,1,1] neg_lo:[1,0,0] neg_hi:[1,0,0]
	s_waitcnt vmcnt(12)
	v_pk_fma_f32 v[112:113], v[116:117], v[222:223], v[112:113] op_sel_hi:[0,1,1] neg_lo:[1,0,0] neg_hi:[1,0,0]
	;; [unrolled: 4-line block ×3, first 2 shown]
.LBB111_235:
	s_or_b64 exec, exec, s[2:3]
	v_cmp_ne_u32_e32 vcc, 43, v169
	s_waitcnt lgkmcnt(0)
	s_barrier
	s_and_saveexec_b64 s[2:3], vcc
	s_xor_b64 s[2:3], exec, s[2:3]
	s_andn2_saveexec_b64 s[2:3], s[2:3]
	s_cbranch_execz .LBB111_239
; %bb.236:
	s_waitcnt vmcnt(19)
	v_mov_b32_e32 v216, v138
	s_waitcnt vmcnt(18)
	v_mov_b32_e32 v217, v139
	;; [unrolled: 2-line block ×4, first 2 shown]
	ds_write_b32 v171, v117
	ds_write2_b64 v173, v[216:217], v[218:219] offset0:22 offset1:23
	s_waitcnt vmcnt(15)
	v_mov_b32_e32 v216, v136
	s_waitcnt vmcnt(14)
	v_mov_b32_e32 v217, v137
	;; [unrolled: 2-line block ×4, first 2 shown]
	ds_write2_b64 v173, v[216:217], v[218:219] offset0:24 offset1:25
	s_waitcnt vmcnt(11)
	v_mov_b32_e32 v216, v134
	s_waitcnt vmcnt(10)
	v_mov_b32_e32 v217, v135
	s_waitcnt vmcnt(8)
	ds_write2_b64 v173, v[216:217], v[158:159] offset0:26 offset1:27
	ds_read_b32 v216, v171
	s_waitcnt lgkmcnt(0)
	v_cmp_neq_f32_e32 vcc, 0, v216
	s_and_saveexec_b64 s[4:5], vcc
	s_cbranch_execz .LBB111_238
; %bb.237:
	v_div_scale_f32 v217, s[10:11], v216, v216, 1.0
	v_rcp_f32_e32 v218, v217
	v_div_scale_f32 v219, vcc, 1.0, v216, 1.0
	v_fma_f32 v220, -v217, v218, 1.0
	v_fmac_f32_e32 v218, v220, v218
	v_mul_f32_e32 v220, v219, v218
	v_fma_f32 v221, -v217, v220, v219
	v_fmac_f32_e32 v220, v221, v218
	v_fma_f32 v217, -v217, v220, v219
	v_div_fmas_f32 v217, v217, v218, v220
	v_div_fixup_f32 v216, v217, v216, 1.0
	ds_write_b32 v171, v216
.LBB111_238:
	s_or_b64 exec, exec, s[4:5]
.LBB111_239:
	s_or_b64 exec, exec, s[2:3]
	s_waitcnt lgkmcnt(0)
	s_barrier
	ds_read_b32 v216, v171
	v_cmp_lt_u32_e32 vcc, 43, v169
	s_and_saveexec_b64 s[2:3], vcc
	s_cbranch_execz .LBB111_241
; %bb.240:
	ds_read2_b64 v[218:221], v173 offset0:22 offset1:23
	ds_read2_b64 v[222:225], v173 offset0:24 offset1:25
	;; [unrolled: 1-line block ×3, first 2 shown]
	s_waitcnt vmcnt(20) lgkmcnt(3)
	v_mul_f32_e32 v230, v216, v117
	v_mov_b32_e32 v117, v230
	s_waitcnt vmcnt(18) lgkmcnt(2)
	v_pk_fma_f32 v[138:139], v[230:231], v[218:219], v[138:139] op_sel_hi:[0,1,1] neg_lo:[1,0,0] neg_hi:[1,0,0]
	s_waitcnt vmcnt(16)
	v_pk_fma_f32 v[114:115], v[230:231], v[220:221], v[114:115] op_sel_hi:[0,1,1] neg_lo:[1,0,0] neg_hi:[1,0,0]
	s_waitcnt vmcnt(14) lgkmcnt(1)
	v_pk_fma_f32 v[136:137], v[230:231], v[222:223], v[136:137] op_sel_hi:[0,1,1] neg_lo:[1,0,0] neg_hi:[1,0,0]
	s_waitcnt vmcnt(12)
	v_pk_fma_f32 v[112:113], v[230:231], v[224:225], v[112:113] op_sel_hi:[0,1,1] neg_lo:[1,0,0] neg_hi:[1,0,0]
	;; [unrolled: 4-line block ×3, first 2 shown]
.LBB111_241:
	s_or_b64 exec, exec, s[2:3]
	v_cmp_eq_u32_e32 vcc, 44, v169
	s_waitcnt lgkmcnt(0)
	s_barrier
	s_and_saveexec_b64 s[2:3], vcc
	s_cbranch_execz .LBB111_244
; %bb.242:
	s_waitcnt vmcnt(16)
	v_pk_mov_b32 v[218:219], v[138:139], v[114:115] op_sel:[1,0]
	ds_write_b32 v171, v138
	ds_write2_b32 v173, v218, v219 offset0:45 offset1:46
	s_waitcnt vmcnt(14)
	v_pk_mov_b32 v[218:219], v[114:115], v[136:137] op_sel:[1,0]
	ds_write2_b32 v173, v218, v219 offset0:47 offset1:48
	s_waitcnt vmcnt(12)
	v_pk_mov_b32 v[218:219], v[136:137], v[112:113] op_sel:[1,0]
	;; [unrolled: 3-line block ×4, first 2 shown]
	ds_write2_b32 v173, v218, v219 offset0:53 offset1:54
	ds_write_b32 v173, v159 offset:220
	ds_read_b32 v217, v171
	s_waitcnt lgkmcnt(0)
	v_cmp_neq_f32_e32 vcc, 0, v217
	s_and_b64 exec, exec, vcc
	s_cbranch_execz .LBB111_244
; %bb.243:
	v_div_scale_f32 v218, s[4:5], v217, v217, 1.0
	v_rcp_f32_e32 v219, v218
	v_div_scale_f32 v220, vcc, 1.0, v217, 1.0
	v_fma_f32 v221, -v218, v219, 1.0
	v_fmac_f32_e32 v219, v221, v219
	v_mul_f32_e32 v221, v220, v219
	v_fma_f32 v222, -v218, v221, v220
	v_fmac_f32_e32 v221, v222, v219
	v_fma_f32 v218, -v218, v221, v220
	v_div_fmas_f32 v218, v218, v219, v221
	v_div_fixup_f32 v217, v218, v217, 1.0
	ds_write_b32 v171, v217
.LBB111_244:
	s_or_b64 exec, exec, s[2:3]
	s_waitcnt lgkmcnt(0)
	s_barrier
	ds_read_b32 v217, v171
	v_cmp_lt_u32_e32 vcc, 44, v169
	s_and_saveexec_b64 s[2:3], vcc
	s_cbranch_execz .LBB111_246
; %bb.245:
	ds_read_b32 v228, v173 offset:180
	ds_read2_b64 v[218:221], v173 offset0:23 offset1:24
	ds_read_b64 v[226:227], v173 offset:216
	ds_read2_b64 v[222:225], v173 offset0:25 offset1:26
	s_waitcnt vmcnt(19) lgkmcnt(4)
	v_mul_f32_e32 v138, v217, v138
	s_waitcnt vmcnt(18) lgkmcnt(3)
	v_fma_f32 v139, -v138, v228, v139
	s_waitcnt vmcnt(16) lgkmcnt(2)
	v_pk_fma_f32 v[114:115], v[138:139], v[218:219], v[114:115] op_sel_hi:[0,1,1] neg_lo:[1,0,0] neg_hi:[1,0,0]
	s_waitcnt vmcnt(14)
	v_pk_fma_f32 v[136:137], v[138:139], v[220:221], v[136:137] op_sel_hi:[0,1,1] neg_lo:[1,0,0] neg_hi:[1,0,0]
	s_waitcnt vmcnt(12) lgkmcnt(0)
	v_pk_fma_f32 v[112:113], v[138:139], v[222:223], v[112:113] op_sel_hi:[0,1,1] neg_lo:[1,0,0] neg_hi:[1,0,0]
	s_waitcnt vmcnt(10)
	v_pk_fma_f32 v[134:135], v[138:139], v[224:225], v[134:135] op_sel_hi:[0,1,1] neg_lo:[1,0,0] neg_hi:[1,0,0]
	s_waitcnt vmcnt(8)
	v_pk_fma_f32 v[158:159], v[138:139], v[226:227], v[158:159] op_sel_hi:[0,1,1] neg_lo:[1,0,0] neg_hi:[1,0,0]
.LBB111_246:
	s_or_b64 exec, exec, s[2:3]
	v_cmp_ne_u32_e32 vcc, 45, v169
	s_waitcnt lgkmcnt(0)
	s_barrier
	s_and_saveexec_b64 s[2:3], vcc
	s_xor_b64 s[2:3], exec, s[2:3]
	s_andn2_saveexec_b64 s[2:3], s[2:3]
	s_cbranch_execz .LBB111_250
; %bb.247:
	s_waitcnt vmcnt(18)
	ds_write_b32 v171, v139
	s_waitcnt vmcnt(14)
	ds_write2_b64 v173, v[114:115], v[136:137] offset0:23 offset1:24
	s_waitcnt vmcnt(10)
	ds_write2_b64 v173, v[112:113], v[134:135] offset0:25 offset1:26
	s_waitcnt vmcnt(8)
	ds_write_b64 v173, v[158:159] offset:216
	ds_read_b32 v218, v171
	s_waitcnt lgkmcnt(0)
	v_cmp_neq_f32_e32 vcc, 0, v218
	s_and_saveexec_b64 s[4:5], vcc
	s_cbranch_execz .LBB111_249
; %bb.248:
	v_div_scale_f32 v219, s[10:11], v218, v218, 1.0
	v_rcp_f32_e32 v220, v219
	v_div_scale_f32 v221, vcc, 1.0, v218, 1.0
	v_fma_f32 v222, -v219, v220, 1.0
	v_fmac_f32_e32 v220, v222, v220
	v_mul_f32_e32 v222, v221, v220
	v_fma_f32 v223, -v219, v222, v221
	v_fmac_f32_e32 v222, v223, v220
	v_fma_f32 v219, -v219, v222, v221
	v_div_fmas_f32 v219, v219, v220, v222
	v_div_fixup_f32 v218, v219, v218, 1.0
	ds_write_b32 v171, v218
.LBB111_249:
	s_or_b64 exec, exec, s[4:5]
.LBB111_250:
	s_or_b64 exec, exec, s[2:3]
	s_waitcnt lgkmcnt(0)
	s_barrier
	ds_read_b32 v218, v171
	v_cmp_lt_u32_e32 vcc, 45, v169
	s_and_saveexec_b64 s[2:3], vcc
	s_cbranch_execz .LBB111_252
; %bb.251:
	ds_read2_b64 v[220:223], v173 offset0:23 offset1:24
	ds_read2_b64 v[224:227], v173 offset0:25 offset1:26
	ds_read_b64 v[230:231], v173 offset:216
	s_waitcnt vmcnt(18) lgkmcnt(3)
	v_mul_f32_e32 v228, v218, v139
	v_mov_b32_e32 v139, v228
	s_waitcnt vmcnt(16) lgkmcnt(2)
	v_pk_fma_f32 v[114:115], v[228:229], v[220:221], v[114:115] op_sel_hi:[0,1,1] neg_lo:[1,0,0] neg_hi:[1,0,0]
	s_waitcnt vmcnt(14)
	v_pk_fma_f32 v[136:137], v[228:229], v[222:223], v[136:137] op_sel_hi:[0,1,1] neg_lo:[1,0,0] neg_hi:[1,0,0]
	s_waitcnt vmcnt(12) lgkmcnt(1)
	v_pk_fma_f32 v[112:113], v[228:229], v[224:225], v[112:113] op_sel_hi:[0,1,1] neg_lo:[1,0,0] neg_hi:[1,0,0]
	s_waitcnt vmcnt(10)
	v_pk_fma_f32 v[134:135], v[228:229], v[226:227], v[134:135] op_sel_hi:[0,1,1] neg_lo:[1,0,0] neg_hi:[1,0,0]
	s_waitcnt vmcnt(8) lgkmcnt(0)
	v_pk_fma_f32 v[158:159], v[228:229], v[230:231], v[158:159] op_sel_hi:[0,1,1] neg_lo:[1,0,0] neg_hi:[1,0,0]
.LBB111_252:
	s_or_b64 exec, exec, s[2:3]
	v_cmp_eq_u32_e32 vcc, 46, v169
	s_waitcnt lgkmcnt(0)
	s_barrier
	s_and_saveexec_b64 s[2:3], vcc
	s_cbranch_execz .LBB111_255
; %bb.253:
	s_waitcnt vmcnt(14)
	v_pk_mov_b32 v[220:221], v[114:115], v[136:137] op_sel:[1,0]
	ds_write_b32 v171, v114
	ds_write2_b32 v173, v220, v221 offset0:47 offset1:48
	s_waitcnt vmcnt(12)
	v_pk_mov_b32 v[220:221], v[136:137], v[112:113] op_sel:[1,0]
	ds_write2_b32 v173, v220, v221 offset0:49 offset1:50
	s_waitcnt vmcnt(10)
	v_pk_mov_b32 v[220:221], v[112:113], v[134:135] op_sel:[1,0]
	;; [unrolled: 3-line block ×3, first 2 shown]
	ds_write2_b32 v173, v220, v221 offset0:53 offset1:54
	ds_write_b32 v173, v159 offset:220
	ds_read_b32 v219, v171
	s_waitcnt lgkmcnt(0)
	v_cmp_neq_f32_e32 vcc, 0, v219
	s_and_b64 exec, exec, vcc
	s_cbranch_execz .LBB111_255
; %bb.254:
	v_div_scale_f32 v220, s[4:5], v219, v219, 1.0
	v_rcp_f32_e32 v221, v220
	v_div_scale_f32 v222, vcc, 1.0, v219, 1.0
	v_fma_f32 v223, -v220, v221, 1.0
	v_fmac_f32_e32 v221, v223, v221
	v_mul_f32_e32 v223, v222, v221
	v_fma_f32 v224, -v220, v223, v222
	v_fmac_f32_e32 v223, v224, v221
	v_fma_f32 v220, -v220, v223, v222
	v_div_fmas_f32 v220, v220, v221, v223
	v_div_fixup_f32 v219, v220, v219, 1.0
	ds_write_b32 v171, v219
.LBB111_255:
	s_or_b64 exec, exec, s[2:3]
	s_waitcnt lgkmcnt(0)
	s_barrier
	ds_read_b32 v219, v171
	v_cmp_lt_u32_e32 vcc, 46, v169
	s_and_saveexec_b64 s[2:3], vcc
	s_cbranch_execz .LBB111_257
; %bb.256:
	ds_read_b32 v228, v173 offset:188
	ds_read2_b64 v[220:223], v173 offset0:24 offset1:25
	ds_read2_b64 v[224:227], v173 offset0:26 offset1:27
	s_waitcnt vmcnt(17) lgkmcnt(3)
	v_mul_f32_e32 v114, v219, v114
	s_waitcnt vmcnt(16) lgkmcnt(2)
	v_fma_f32 v115, -v114, v228, v115
	s_waitcnt vmcnt(14) lgkmcnt(1)
	v_pk_fma_f32 v[136:137], v[114:115], v[220:221], v[136:137] op_sel_hi:[0,1,1] neg_lo:[1,0,0] neg_hi:[1,0,0]
	s_waitcnt vmcnt(12)
	v_pk_fma_f32 v[112:113], v[114:115], v[222:223], v[112:113] op_sel_hi:[0,1,1] neg_lo:[1,0,0] neg_hi:[1,0,0]
	s_waitcnt vmcnt(10) lgkmcnt(0)
	v_pk_fma_f32 v[134:135], v[114:115], v[224:225], v[134:135] op_sel_hi:[0,1,1] neg_lo:[1,0,0] neg_hi:[1,0,0]
	s_waitcnt vmcnt(8)
	v_pk_fma_f32 v[158:159], v[114:115], v[226:227], v[158:159] op_sel_hi:[0,1,1] neg_lo:[1,0,0] neg_hi:[1,0,0]
.LBB111_257:
	s_or_b64 exec, exec, s[2:3]
	v_cmp_ne_u32_e32 vcc, 47, v169
	s_waitcnt lgkmcnt(0)
	s_barrier
	s_and_saveexec_b64 s[2:3], vcc
	s_xor_b64 s[2:3], exec, s[2:3]
	s_andn2_saveexec_b64 s[2:3], s[2:3]
	s_cbranch_execz .LBB111_261
; %bb.258:
	s_waitcnt vmcnt(15)
	v_mov_b32_e32 v220, v136
	s_waitcnt vmcnt(14)
	v_mov_b32_e32 v221, v137
	;; [unrolled: 2-line block ×4, first 2 shown]
	ds_write_b32 v171, v115
	ds_write2_b64 v173, v[220:221], v[222:223] offset0:24 offset1:25
	s_waitcnt vmcnt(11)
	v_mov_b32_e32 v220, v134
	s_waitcnt vmcnt(10)
	v_mov_b32_e32 v221, v135
	s_waitcnt vmcnt(8)
	ds_write2_b64 v173, v[220:221], v[158:159] offset0:26 offset1:27
	ds_read_b32 v220, v171
	s_waitcnt lgkmcnt(0)
	v_cmp_neq_f32_e32 vcc, 0, v220
	s_and_saveexec_b64 s[4:5], vcc
	s_cbranch_execz .LBB111_260
; %bb.259:
	v_div_scale_f32 v221, s[10:11], v220, v220, 1.0
	v_rcp_f32_e32 v222, v221
	v_div_scale_f32 v223, vcc, 1.0, v220, 1.0
	v_fma_f32 v224, -v221, v222, 1.0
	v_fmac_f32_e32 v222, v224, v222
	v_mul_f32_e32 v224, v223, v222
	v_fma_f32 v225, -v221, v224, v223
	v_fmac_f32_e32 v224, v225, v222
	v_fma_f32 v221, -v221, v224, v223
	v_div_fmas_f32 v221, v221, v222, v224
	v_div_fixup_f32 v220, v221, v220, 1.0
	ds_write_b32 v171, v220
.LBB111_260:
	s_or_b64 exec, exec, s[4:5]
.LBB111_261:
	s_or_b64 exec, exec, s[2:3]
	s_waitcnt lgkmcnt(0)
	s_barrier
	ds_read_b32 v220, v171
	v_cmp_lt_u32_e32 vcc, 47, v169
	s_and_saveexec_b64 s[2:3], vcc
	s_cbranch_execz .LBB111_263
; %bb.262:
	ds_read2_b64 v[222:225], v173 offset0:24 offset1:25
	ds_read2_b64 v[226:229], v173 offset0:26 offset1:27
	s_waitcnt vmcnt(16) lgkmcnt(2)
	v_mul_f32_e32 v230, v220, v115
	v_mov_b32_e32 v115, v230
	s_waitcnt vmcnt(14) lgkmcnt(1)
	v_pk_fma_f32 v[136:137], v[230:231], v[222:223], v[136:137] op_sel_hi:[0,1,1] neg_lo:[1,0,0] neg_hi:[1,0,0]
	s_waitcnt vmcnt(12)
	v_pk_fma_f32 v[112:113], v[230:231], v[224:225], v[112:113] op_sel_hi:[0,1,1] neg_lo:[1,0,0] neg_hi:[1,0,0]
	s_waitcnt vmcnt(10) lgkmcnt(0)
	v_pk_fma_f32 v[134:135], v[230:231], v[226:227], v[134:135] op_sel_hi:[0,1,1] neg_lo:[1,0,0] neg_hi:[1,0,0]
	s_waitcnt vmcnt(8)
	v_pk_fma_f32 v[158:159], v[230:231], v[228:229], v[158:159] op_sel_hi:[0,1,1] neg_lo:[1,0,0] neg_hi:[1,0,0]
.LBB111_263:
	s_or_b64 exec, exec, s[2:3]
	v_cmp_eq_u32_e32 vcc, 48, v169
	s_waitcnt lgkmcnt(0)
	s_barrier
	s_and_saveexec_b64 s[2:3], vcc
	s_cbranch_execz .LBB111_266
; %bb.264:
	s_waitcnt vmcnt(12)
	v_pk_mov_b32 v[222:223], v[136:137], v[112:113] op_sel:[1,0]
	ds_write_b32 v171, v136
	ds_write2_b32 v173, v222, v223 offset0:49 offset1:50
	s_waitcnt vmcnt(10)
	v_pk_mov_b32 v[222:223], v[112:113], v[134:135] op_sel:[1,0]
	ds_write2_b32 v173, v222, v223 offset0:51 offset1:52
	s_waitcnt vmcnt(8)
	v_pk_mov_b32 v[222:223], v[134:135], v[158:159] op_sel:[1,0]
	ds_write2_b32 v173, v222, v223 offset0:53 offset1:54
	ds_write_b32 v173, v159 offset:220
	ds_read_b32 v221, v171
	s_waitcnt lgkmcnt(0)
	v_cmp_neq_f32_e32 vcc, 0, v221
	s_and_b64 exec, exec, vcc
	s_cbranch_execz .LBB111_266
; %bb.265:
	v_div_scale_f32 v222, s[4:5], v221, v221, 1.0
	v_rcp_f32_e32 v223, v222
	v_div_scale_f32 v224, vcc, 1.0, v221, 1.0
	v_fma_f32 v225, -v222, v223, 1.0
	v_fmac_f32_e32 v223, v225, v223
	v_mul_f32_e32 v225, v224, v223
	v_fma_f32 v226, -v222, v225, v224
	v_fmac_f32_e32 v225, v226, v223
	v_fma_f32 v222, -v222, v225, v224
	v_div_fmas_f32 v222, v222, v223, v225
	v_div_fixup_f32 v221, v222, v221, 1.0
	ds_write_b32 v171, v221
.LBB111_266:
	s_or_b64 exec, exec, s[2:3]
	s_waitcnt lgkmcnt(0)
	s_barrier
	ds_read_b32 v221, v171
	v_cmp_lt_u32_e32 vcc, 48, v169
	s_and_saveexec_b64 s[2:3], vcc
	s_cbranch_execz .LBB111_268
; %bb.267:
	ds_read_b32 v228, v173 offset:196
	ds_read2_b64 v[222:225], v173 offset0:25 offset1:26
	ds_read_b64 v[226:227], v173 offset:216
	s_waitcnt vmcnt(15) lgkmcnt(3)
	v_mul_f32_e32 v136, v221, v136
	s_waitcnt vmcnt(14) lgkmcnt(2)
	v_fma_f32 v137, -v136, v228, v137
	s_waitcnt vmcnt(12) lgkmcnt(1)
	v_pk_fma_f32 v[112:113], v[136:137], v[222:223], v[112:113] op_sel_hi:[0,1,1] neg_lo:[1,0,0] neg_hi:[1,0,0]
	s_waitcnt vmcnt(10)
	v_pk_fma_f32 v[134:135], v[136:137], v[224:225], v[134:135] op_sel_hi:[0,1,1] neg_lo:[1,0,0] neg_hi:[1,0,0]
	s_waitcnt vmcnt(8) lgkmcnt(0)
	v_pk_fma_f32 v[158:159], v[136:137], v[226:227], v[158:159] op_sel_hi:[0,1,1] neg_lo:[1,0,0] neg_hi:[1,0,0]
.LBB111_268:
	s_or_b64 exec, exec, s[2:3]
	v_cmp_ne_u32_e32 vcc, 49, v169
	s_waitcnt lgkmcnt(0)
	s_barrier
	s_and_saveexec_b64 s[2:3], vcc
	s_xor_b64 s[2:3], exec, s[2:3]
	s_andn2_saveexec_b64 s[2:3], s[2:3]
	s_cbranch_execz .LBB111_272
; %bb.269:
	s_waitcnt vmcnt(14)
	ds_write_b32 v171, v137
	s_waitcnt vmcnt(10)
	ds_write2_b64 v173, v[112:113], v[134:135] offset0:25 offset1:26
	s_waitcnt vmcnt(8)
	ds_write_b64 v173, v[158:159] offset:216
	ds_read_b32 v222, v171
	s_waitcnt lgkmcnt(0)
	v_cmp_neq_f32_e32 vcc, 0, v222
	s_and_saveexec_b64 s[4:5], vcc
	s_cbranch_execz .LBB111_271
; %bb.270:
	v_div_scale_f32 v223, s[10:11], v222, v222, 1.0
	v_rcp_f32_e32 v224, v223
	v_div_scale_f32 v225, vcc, 1.0, v222, 1.0
	v_fma_f32 v226, -v223, v224, 1.0
	v_fmac_f32_e32 v224, v226, v224
	v_mul_f32_e32 v226, v225, v224
	v_fma_f32 v227, -v223, v226, v225
	v_fmac_f32_e32 v226, v227, v224
	v_fma_f32 v223, -v223, v226, v225
	v_div_fmas_f32 v223, v223, v224, v226
	v_div_fixup_f32 v222, v223, v222, 1.0
	ds_write_b32 v171, v222
.LBB111_271:
	s_or_b64 exec, exec, s[4:5]
.LBB111_272:
	s_or_b64 exec, exec, s[2:3]
	s_waitcnt lgkmcnt(0)
	s_barrier
	ds_read_b32 v222, v171
	v_cmp_lt_u32_e32 vcc, 49, v169
	s_and_saveexec_b64 s[2:3], vcc
	s_cbranch_execz .LBB111_274
; %bb.273:
	ds_read2_b64 v[224:227], v173 offset0:25 offset1:26
	ds_read_b64 v[228:229], v173 offset:216
	s_waitcnt vmcnt(14) lgkmcnt(2)
	v_mul_f32_e32 v230, v222, v137
	v_mov_b32_e32 v137, v230
	s_waitcnt vmcnt(12) lgkmcnt(1)
	v_pk_fma_f32 v[112:113], v[230:231], v[224:225], v[112:113] op_sel_hi:[0,1,1] neg_lo:[1,0,0] neg_hi:[1,0,0]
	s_waitcnt vmcnt(10)
	v_pk_fma_f32 v[134:135], v[230:231], v[226:227], v[134:135] op_sel_hi:[0,1,1] neg_lo:[1,0,0] neg_hi:[1,0,0]
	s_waitcnt vmcnt(8) lgkmcnt(0)
	v_pk_fma_f32 v[158:159], v[230:231], v[228:229], v[158:159] op_sel_hi:[0,1,1] neg_lo:[1,0,0] neg_hi:[1,0,0]
.LBB111_274:
	s_or_b64 exec, exec, s[2:3]
	v_cmp_eq_u32_e32 vcc, 50, v169
	s_waitcnt lgkmcnt(0)
	s_barrier
	s_and_saveexec_b64 s[2:3], vcc
	s_cbranch_execz .LBB111_277
; %bb.275:
	s_waitcnt vmcnt(10)
	v_pk_mov_b32 v[224:225], v[112:113], v[134:135] op_sel:[1,0]
	ds_write_b32 v171, v112
	ds_write2_b32 v173, v224, v225 offset0:51 offset1:52
	s_waitcnt vmcnt(8)
	v_pk_mov_b32 v[224:225], v[134:135], v[158:159] op_sel:[1,0]
	ds_write2_b32 v173, v224, v225 offset0:53 offset1:54
	ds_write_b32 v173, v159 offset:220
	ds_read_b32 v223, v171
	s_waitcnt lgkmcnt(0)
	v_cmp_neq_f32_e32 vcc, 0, v223
	s_and_b64 exec, exec, vcc
	s_cbranch_execz .LBB111_277
; %bb.276:
	v_div_scale_f32 v224, s[4:5], v223, v223, 1.0
	v_rcp_f32_e32 v225, v224
	v_div_scale_f32 v226, vcc, 1.0, v223, 1.0
	v_fma_f32 v227, -v224, v225, 1.0
	v_fmac_f32_e32 v225, v227, v225
	v_mul_f32_e32 v227, v226, v225
	v_fma_f32 v228, -v224, v227, v226
	v_fmac_f32_e32 v227, v228, v225
	v_fma_f32 v224, -v224, v227, v226
	v_div_fmas_f32 v224, v224, v225, v227
	v_div_fixup_f32 v223, v224, v223, 1.0
	ds_write_b32 v171, v223
.LBB111_277:
	s_or_b64 exec, exec, s[2:3]
	s_waitcnt lgkmcnt(0)
	s_barrier
	ds_read_b32 v223, v171
	v_cmp_lt_u32_e32 vcc, 50, v169
	s_and_saveexec_b64 s[2:3], vcc
	s_cbranch_execz .LBB111_279
; %bb.278:
	ds_read_b32 v228, v173 offset:204
	ds_read2_b64 v[224:227], v173 offset0:26 offset1:27
	s_waitcnt vmcnt(13) lgkmcnt(2)
	v_mul_f32_e32 v112, v223, v112
	s_waitcnt vmcnt(12) lgkmcnt(1)
	v_fma_f32 v113, -v112, v228, v113
	s_waitcnt vmcnt(10) lgkmcnt(0)
	v_pk_fma_f32 v[134:135], v[112:113], v[224:225], v[134:135] op_sel_hi:[0,1,1] neg_lo:[1,0,0] neg_hi:[1,0,0]
	s_waitcnt vmcnt(8)
	v_pk_fma_f32 v[158:159], v[112:113], v[226:227], v[158:159] op_sel_hi:[0,1,1] neg_lo:[1,0,0] neg_hi:[1,0,0]
.LBB111_279:
	s_or_b64 exec, exec, s[2:3]
	v_cmp_ne_u32_e32 vcc, 51, v169
	s_waitcnt lgkmcnt(0)
	s_barrier
	s_and_saveexec_b64 s[2:3], vcc
	s_xor_b64 s[2:3], exec, s[2:3]
	s_andn2_saveexec_b64 s[2:3], s[2:3]
	s_cbranch_execz .LBB111_283
; %bb.280:
	s_waitcnt vmcnt(11)
	v_mov_b32_e32 v224, v134
	s_waitcnt vmcnt(10)
	v_mov_b32_e32 v225, v135
	ds_write_b32 v171, v113
	s_waitcnt vmcnt(8)
	ds_write2_b64 v173, v[224:225], v[158:159] offset0:26 offset1:27
	ds_read_b32 v224, v171
	s_waitcnt lgkmcnt(0)
	v_cmp_neq_f32_e32 vcc, 0, v224
	s_and_saveexec_b64 s[4:5], vcc
	s_cbranch_execz .LBB111_282
; %bb.281:
	v_div_scale_f32 v225, s[10:11], v224, v224, 1.0
	v_rcp_f32_e32 v226, v225
	v_div_scale_f32 v227, vcc, 1.0, v224, 1.0
	v_fma_f32 v228, -v225, v226, 1.0
	v_fmac_f32_e32 v226, v228, v226
	v_mul_f32_e32 v228, v227, v226
	v_fma_f32 v229, -v225, v228, v227
	v_fmac_f32_e32 v228, v229, v226
	v_fma_f32 v225, -v225, v228, v227
	v_div_fmas_f32 v225, v225, v226, v228
	v_div_fixup_f32 v224, v225, v224, 1.0
	ds_write_b32 v171, v224
.LBB111_282:
	s_or_b64 exec, exec, s[4:5]
.LBB111_283:
	s_or_b64 exec, exec, s[2:3]
	s_waitcnt lgkmcnt(0)
	s_barrier
	ds_read_b32 v224, v171
	v_cmp_lt_u32_e32 vcc, 51, v169
	s_and_saveexec_b64 s[2:3], vcc
	s_cbranch_execz .LBB111_285
; %bb.284:
	ds_read2_b64 v[226:229], v173 offset0:26 offset1:27
	s_waitcnt vmcnt(12) lgkmcnt(1)
	v_mul_f32_e32 v230, v224, v113
	v_mov_b32_e32 v113, v230
	s_waitcnt vmcnt(10) lgkmcnt(0)
	v_pk_fma_f32 v[134:135], v[230:231], v[226:227], v[134:135] op_sel_hi:[0,1,1] neg_lo:[1,0,0] neg_hi:[1,0,0]
	s_waitcnt vmcnt(8)
	v_pk_fma_f32 v[158:159], v[230:231], v[228:229], v[158:159] op_sel_hi:[0,1,1] neg_lo:[1,0,0] neg_hi:[1,0,0]
.LBB111_285:
	s_or_b64 exec, exec, s[2:3]
	v_cmp_eq_u32_e32 vcc, 52, v169
	s_waitcnt lgkmcnt(0)
	s_barrier
	s_and_saveexec_b64 s[2:3], vcc
	s_cbranch_execz .LBB111_288
; %bb.286:
	s_waitcnt vmcnt(8)
	v_pk_mov_b32 v[226:227], v[134:135], v[158:159] op_sel:[1,0]
	ds_write_b32 v171, v134
	ds_write2_b32 v173, v226, v227 offset0:53 offset1:54
	ds_write_b32 v173, v159 offset:220
	ds_read_b32 v225, v171
	s_waitcnt lgkmcnt(0)
	v_cmp_neq_f32_e32 vcc, 0, v225
	s_and_b64 exec, exec, vcc
	s_cbranch_execz .LBB111_288
; %bb.287:
	v_div_scale_f32 v226, s[4:5], v225, v225, 1.0
	v_rcp_f32_e32 v227, v226
	v_div_scale_f32 v228, vcc, 1.0, v225, 1.0
	v_fma_f32 v229, -v226, v227, 1.0
	v_fmac_f32_e32 v227, v229, v227
	v_mul_f32_e32 v229, v228, v227
	v_fma_f32 v230, -v226, v229, v228
	v_fmac_f32_e32 v229, v230, v227
	v_fma_f32 v226, -v226, v229, v228
	v_div_fmas_f32 v226, v226, v227, v229
	v_div_fixup_f32 v225, v226, v225, 1.0
	ds_write_b32 v171, v225
.LBB111_288:
	s_or_b64 exec, exec, s[2:3]
	s_waitcnt lgkmcnt(0)
	s_barrier
	ds_read_b32 v225, v171
	v_cmp_lt_u32_e32 vcc, 52, v169
	s_and_saveexec_b64 s[2:3], vcc
	s_cbranch_execz .LBB111_290
; %bb.289:
	ds_read_b32 v228, v173 offset:212
	ds_read_b64 v[226:227], v173 offset:216
	s_waitcnt vmcnt(11) lgkmcnt(2)
	v_mul_f32_e32 v134, v225, v134
	s_waitcnt vmcnt(10) lgkmcnt(1)
	v_fma_f32 v135, -v134, v228, v135
	s_waitcnt vmcnt(8) lgkmcnt(0)
	v_pk_fma_f32 v[158:159], v[134:135], v[226:227], v[158:159] op_sel_hi:[0,1,1] neg_lo:[1,0,0] neg_hi:[1,0,0]
.LBB111_290:
	s_or_b64 exec, exec, s[2:3]
	v_cmp_ne_u32_e32 vcc, 53, v169
	s_waitcnt lgkmcnt(0)
	s_barrier
	s_and_saveexec_b64 s[2:3], vcc
	s_xor_b64 s[2:3], exec, s[2:3]
	s_andn2_saveexec_b64 s[2:3], s[2:3]
	s_cbranch_execz .LBB111_294
; %bb.291:
	s_waitcnt vmcnt(10)
	ds_write_b32 v171, v135
	s_waitcnt vmcnt(8)
	ds_write_b64 v173, v[158:159] offset:216
	ds_read_b32 v226, v171
	s_waitcnt lgkmcnt(0)
	v_cmp_neq_f32_e32 vcc, 0, v226
	s_and_saveexec_b64 s[4:5], vcc
	s_cbranch_execz .LBB111_293
; %bb.292:
	v_div_scale_f32 v227, s[10:11], v226, v226, 1.0
	v_rcp_f32_e32 v228, v227
	v_div_scale_f32 v229, vcc, 1.0, v226, 1.0
	v_fma_f32 v230, -v227, v228, 1.0
	v_fmac_f32_e32 v228, v230, v228
	v_mul_f32_e32 v230, v229, v228
	v_fma_f32 v231, -v227, v230, v229
	v_fmac_f32_e32 v230, v231, v228
	v_fma_f32 v227, -v227, v230, v229
	v_div_fmas_f32 v227, v227, v228, v230
	v_div_fixup_f32 v226, v227, v226, 1.0
	ds_write_b32 v171, v226
.LBB111_293:
	s_or_b64 exec, exec, s[4:5]
.LBB111_294:
	s_or_b64 exec, exec, s[2:3]
	s_waitcnt lgkmcnt(0)
	s_barrier
	ds_read_b32 v226, v171
	v_cmp_lt_u32_e32 vcc, 53, v169
	s_and_saveexec_b64 s[2:3], vcc
	s_cbranch_execz .LBB111_296
; %bb.295:
	ds_read_b64 v[228:229], v173 offset:216
	s_waitcnt vmcnt(10) lgkmcnt(1)
	v_mul_f32_e32 v230, v226, v135
	v_mov_b32_e32 v135, v230
	s_waitcnt vmcnt(8) lgkmcnt(0)
	v_pk_fma_f32 v[158:159], v[230:231], v[228:229], v[158:159] op_sel_hi:[0,1,1] neg_lo:[1,0,0] neg_hi:[1,0,0]
.LBB111_296:
	s_or_b64 exec, exec, s[2:3]
	v_cmp_eq_u32_e32 vcc, 54, v169
	s_waitcnt lgkmcnt(0)
	s_barrier
	s_and_saveexec_b64 s[2:3], vcc
	s_cbranch_execz .LBB111_299
; %bb.297:
	s_waitcnt vmcnt(9)
	ds_write_b32 v171, v158
	s_waitcnt vmcnt(8)
	ds_write_b32 v173, v159 offset:220
	ds_read_b32 v227, v171
	s_waitcnt lgkmcnt(0)
	v_cmp_neq_f32_e32 vcc, 0, v227
	s_and_b64 exec, exec, vcc
	s_cbranch_execz .LBB111_299
; %bb.298:
	v_div_scale_f32 v228, s[4:5], v227, v227, 1.0
	v_rcp_f32_e32 v229, v228
	v_div_scale_f32 v230, vcc, 1.0, v227, 1.0
	v_fma_f32 v231, -v228, v229, 1.0
	v_fmac_f32_e32 v229, v231, v229
	v_mul_f32_e32 v231, v230, v229
	v_fma_f32 v232, -v228, v231, v230
	v_fmac_f32_e32 v231, v232, v229
	v_fma_f32 v228, -v228, v231, v230
	v_div_fmas_f32 v228, v228, v229, v231
	v_div_fixup_f32 v227, v228, v227, 1.0
	ds_write_b32 v171, v227
.LBB111_299:
	s_or_b64 exec, exec, s[2:3]
	s_waitcnt lgkmcnt(0)
	s_barrier
	ds_read_b32 v227, v171
	v_cmp_lt_u32_e32 vcc, 54, v169
	s_and_saveexec_b64 s[2:3], vcc
	s_cbranch_execz .LBB111_301
; %bb.300:
	ds_read_b32 v173, v173 offset:220
	s_waitcnt vmcnt(9) lgkmcnt(1)
	v_mul_f32_e32 v158, v227, v158
	s_waitcnt vmcnt(8) lgkmcnt(0)
	v_fma_f32 v159, -v158, v173, v159
.LBB111_301:
	s_or_b64 exec, exec, s[2:3]
	v_cmp_ne_u32_e32 vcc, 55, v169
	s_waitcnt lgkmcnt(0)
	s_barrier
	s_and_saveexec_b64 s[2:3], vcc
	s_xor_b64 s[2:3], exec, s[2:3]
	s_andn2_saveexec_b64 s[2:3], s[2:3]
	s_cbranch_execz .LBB111_305
; %bb.302:
	s_waitcnt vmcnt(8)
	v_cmp_neq_f32_e32 vcc, 0, v159
	ds_write_b32 v171, v159
	s_and_saveexec_b64 s[4:5], vcc
	s_cbranch_execz .LBB111_304
; %bb.303:
	v_div_scale_f32 v173, s[10:11], v159, v159, 1.0
	v_rcp_f32_e32 v228, v173
	v_div_scale_f32 v229, vcc, 1.0, v159, 1.0
	v_fma_f32 v230, -v173, v228, 1.0
	v_fmac_f32_e32 v228, v230, v228
	v_mul_f32_e32 v230, v229, v228
	v_fma_f32 v231, -v173, v230, v229
	v_fmac_f32_e32 v230, v231, v228
	v_fma_f32 v173, -v173, v230, v229
	v_div_fmas_f32 v173, v173, v228, v230
	v_div_fixup_f32 v173, v173, v159, 1.0
	ds_write_b32 v171, v173
.LBB111_304:
	s_or_b64 exec, exec, s[4:5]
.LBB111_305:
	s_or_b64 exec, exec, s[2:3]
	s_waitcnt lgkmcnt(0)
	s_barrier
	ds_read_b32 v171, v171
	s_waitcnt lgkmcnt(0)
	s_barrier
	s_and_saveexec_b64 s[2:3], s[0:1]
	s_cbranch_execz .LBB111_308
; %bb.306:
	v_cmp_eq_f32_e32 vcc, 0, v172
	v_cmp_neq_f32_e64 s[0:1], 0, v174
	v_mov_b32_e32 v173, s7
	v_cndmask_b32_e64 v172, 0, 1, vcc
	s_or_b64 vcc, s[0:1], vcc
	v_cndmask_b32_e32 v172, 2, v172, vcc
	v_cmp_eq_f32_e32 vcc, 0, v175
	v_cmp_eq_u32_e64 s[0:1], 0, v172
	s_and_b64 s[0:1], vcc, s[0:1]
	v_cmp_eq_f32_e32 vcc, 0, v176
	v_cndmask_b32_e64 v172, v172, 3, s[0:1]
	v_cmp_eq_u32_e64 s[0:1], 0, v172
	s_and_b64 s[0:1], vcc, s[0:1]
	v_cmp_eq_f32_e32 vcc, 0, v177
	v_cndmask_b32_e64 v172, v172, 4, s[0:1]
	;; [unrolled: 4-line block ×34, first 2 shown]
	v_mov_b32_e32 v172, s6
	v_lshl_add_u64 v[24:25], v[24:25], 2, v[172:173]
	global_load_dword v173, v[24:25], off
	v_cmp_eq_u32_e64 s[0:1], 0, v174
	s_and_b64 s[0:1], vcc, s[0:1]
	v_cmp_eq_f32_e32 vcc, 0, v210
	v_cndmask_b32_e64 v172, v174, 37, s[0:1]
	v_cmp_eq_u32_e64 s[0:1], 0, v172
	s_and_b64 s[0:1], vcc, s[0:1]
	v_cmp_eq_f32_e32 vcc, 0, v211
	v_cndmask_b32_e64 v172, v172, 38, s[0:1]
	;; [unrolled: 4-line block ×19, first 2 shown]
	v_cmp_eq_u32_e64 s[0:1], 0, v172
	s_and_b64 s[0:1], vcc, s[0:1]
	s_waitcnt vmcnt(0)
	v_cmp_eq_u32_e32 vcc, 0, v173
	v_cndmask_b32_e64 v172, v172, 56, s[0:1]
	v_cmp_ne_u32_e64 s[0:1], 0, v172
	s_and_b64 s[0:1], vcc, s[0:1]
	s_and_b64 exec, exec, s[0:1]
	s_cbranch_execz .LBB111_308
; %bb.307:
	v_add_u32_e32 v172, s9, v172
	global_store_dword v[24:25], v172, off
.LBB111_308:
	s_or_b64 exec, exec, s[2:3]
	s_waitcnt vmcnt(8)
	v_mul_f32_e32 v24, v171, v159
	v_cmp_lt_u32_e32 vcc, 55, v169
	s_nop 1
	v_cndmask_b32_e32 v24, v159, v24, vcc
	s_waitcnt vmcnt(1)
	global_store_dword v[0:1], v168, off
	s_waitcnt vmcnt(1)
	global_store_dword v[166:167], v170, off
	global_store_dword v[2:3], v162, off
	;; [unrolled: 1-line block ×55, first 2 shown]
.LBB111_309:
	s_endpgm
	.section	.rodata,"a",@progbits
	.p2align	6, 0x0
	.amdhsa_kernel _ZN9rocsolver6v33100L23getf2_npvt_small_kernelILi56EfiiPfEEvT1_T3_lS3_lPT2_S3_S3_
		.amdhsa_group_segment_fixed_size 0
		.amdhsa_private_segment_fixed_size 0
		.amdhsa_kernarg_size 312
		.amdhsa_user_sgpr_count 2
		.amdhsa_user_sgpr_dispatch_ptr 0
		.amdhsa_user_sgpr_queue_ptr 0
		.amdhsa_user_sgpr_kernarg_segment_ptr 1
		.amdhsa_user_sgpr_dispatch_id 0
		.amdhsa_user_sgpr_kernarg_preload_length 0
		.amdhsa_user_sgpr_kernarg_preload_offset 0
		.amdhsa_user_sgpr_private_segment_size 0
		.amdhsa_uses_dynamic_stack 0
		.amdhsa_enable_private_segment 0
		.amdhsa_system_sgpr_workgroup_id_x 1
		.amdhsa_system_sgpr_workgroup_id_y 1
		.amdhsa_system_sgpr_workgroup_id_z 0
		.amdhsa_system_sgpr_workgroup_info 0
		.amdhsa_system_vgpr_workitem_id 1
		.amdhsa_next_free_vgpr 233
		.amdhsa_next_free_sgpr 16
		.amdhsa_accum_offset 236
		.amdhsa_reserve_vcc 1
		.amdhsa_float_round_mode_32 0
		.amdhsa_float_round_mode_16_64 0
		.amdhsa_float_denorm_mode_32 3
		.amdhsa_float_denorm_mode_16_64 3
		.amdhsa_dx10_clamp 1
		.amdhsa_ieee_mode 1
		.amdhsa_fp16_overflow 0
		.amdhsa_tg_split 0
		.amdhsa_exception_fp_ieee_invalid_op 0
		.amdhsa_exception_fp_denorm_src 0
		.amdhsa_exception_fp_ieee_div_zero 0
		.amdhsa_exception_fp_ieee_overflow 0
		.amdhsa_exception_fp_ieee_underflow 0
		.amdhsa_exception_fp_ieee_inexact 0
		.amdhsa_exception_int_div_zero 0
	.end_amdhsa_kernel
	.section	.text._ZN9rocsolver6v33100L23getf2_npvt_small_kernelILi56EfiiPfEEvT1_T3_lS3_lPT2_S3_S3_,"axG",@progbits,_ZN9rocsolver6v33100L23getf2_npvt_small_kernelILi56EfiiPfEEvT1_T3_lS3_lPT2_S3_S3_,comdat
.Lfunc_end111:
	.size	_ZN9rocsolver6v33100L23getf2_npvt_small_kernelILi56EfiiPfEEvT1_T3_lS3_lPT2_S3_S3_, .Lfunc_end111-_ZN9rocsolver6v33100L23getf2_npvt_small_kernelILi56EfiiPfEEvT1_T3_lS3_lPT2_S3_S3_
                                        ; -- End function
	.set _ZN9rocsolver6v33100L23getf2_npvt_small_kernelILi56EfiiPfEEvT1_T3_lS3_lPT2_S3_S3_.num_vgpr, 233
	.set _ZN9rocsolver6v33100L23getf2_npvt_small_kernelILi56EfiiPfEEvT1_T3_lS3_lPT2_S3_S3_.num_agpr, 0
	.set _ZN9rocsolver6v33100L23getf2_npvt_small_kernelILi56EfiiPfEEvT1_T3_lS3_lPT2_S3_S3_.numbered_sgpr, 16
	.set _ZN9rocsolver6v33100L23getf2_npvt_small_kernelILi56EfiiPfEEvT1_T3_lS3_lPT2_S3_S3_.num_named_barrier, 0
	.set _ZN9rocsolver6v33100L23getf2_npvt_small_kernelILi56EfiiPfEEvT1_T3_lS3_lPT2_S3_S3_.private_seg_size, 0
	.set _ZN9rocsolver6v33100L23getf2_npvt_small_kernelILi56EfiiPfEEvT1_T3_lS3_lPT2_S3_S3_.uses_vcc, 1
	.set _ZN9rocsolver6v33100L23getf2_npvt_small_kernelILi56EfiiPfEEvT1_T3_lS3_lPT2_S3_S3_.uses_flat_scratch, 0
	.set _ZN9rocsolver6v33100L23getf2_npvt_small_kernelILi56EfiiPfEEvT1_T3_lS3_lPT2_S3_S3_.has_dyn_sized_stack, 0
	.set _ZN9rocsolver6v33100L23getf2_npvt_small_kernelILi56EfiiPfEEvT1_T3_lS3_lPT2_S3_S3_.has_recursion, 0
	.set _ZN9rocsolver6v33100L23getf2_npvt_small_kernelILi56EfiiPfEEvT1_T3_lS3_lPT2_S3_S3_.has_indirect_call, 0
	.section	.AMDGPU.csdata,"",@progbits
; Kernel info:
; codeLenInByte = 37556
; TotalNumSgprs: 22
; NumVgprs: 233
; NumAgprs: 0
; TotalNumVgprs: 233
; ScratchSize: 0
; MemoryBound: 0
; FloatMode: 240
; IeeeMode: 1
; LDSByteSize: 0 bytes/workgroup (compile time only)
; SGPRBlocks: 2
; VGPRBlocks: 29
; NumSGPRsForWavesPerEU: 22
; NumVGPRsForWavesPerEU: 233
; AccumOffset: 236
; Occupancy: 2
; WaveLimiterHint : 0
; COMPUTE_PGM_RSRC2:SCRATCH_EN: 0
; COMPUTE_PGM_RSRC2:USER_SGPR: 2
; COMPUTE_PGM_RSRC2:TRAP_HANDLER: 0
; COMPUTE_PGM_RSRC2:TGID_X_EN: 1
; COMPUTE_PGM_RSRC2:TGID_Y_EN: 1
; COMPUTE_PGM_RSRC2:TGID_Z_EN: 0
; COMPUTE_PGM_RSRC2:TIDIG_COMP_CNT: 1
; COMPUTE_PGM_RSRC3_GFX90A:ACCUM_OFFSET: 58
; COMPUTE_PGM_RSRC3_GFX90A:TG_SPLIT: 0
	.section	.text._ZN9rocsolver6v33100L18getf2_small_kernelILi57EfiiPfEEvT1_T3_lS3_lPS3_llPT2_S3_S3_S5_l,"axG",@progbits,_ZN9rocsolver6v33100L18getf2_small_kernelILi57EfiiPfEEvT1_T3_lS3_lPS3_llPT2_S3_S3_S5_l,comdat
	.globl	_ZN9rocsolver6v33100L18getf2_small_kernelILi57EfiiPfEEvT1_T3_lS3_lPS3_llPT2_S3_S3_S5_l ; -- Begin function _ZN9rocsolver6v33100L18getf2_small_kernelILi57EfiiPfEEvT1_T3_lS3_lPS3_llPT2_S3_S3_S5_l
	.p2align	8
	.type	_ZN9rocsolver6v33100L18getf2_small_kernelILi57EfiiPfEEvT1_T3_lS3_lPS3_llPT2_S3_S3_S5_l,@function
_ZN9rocsolver6v33100L18getf2_small_kernelILi57EfiiPfEEvT1_T3_lS3_lPS3_llPT2_S3_S3_S5_l: ; @_ZN9rocsolver6v33100L18getf2_small_kernelILi57EfiiPfEEvT1_T3_lS3_lPS3_llPT2_S3_S3_S5_l
; %bb.0:
	s_load_dword s2, s[0:1], 0x6c
	s_load_dwordx2 s[18:19], s[0:1], 0x48
	v_bfe_u32 v63, v0, 10, 10
	s_waitcnt lgkmcnt(0)
	s_lshr_b32 s2, s2, 16
	s_mul_i32 s3, s3, s2
	v_add_u32_e32 v2, s3, v63
	v_cmp_gt_i32_e32 vcc, s18, v2
	s_and_saveexec_b64 s[2:3], vcc
	s_cbranch_execz .LBB112_966
; %bb.1:
	s_load_dwordx4 s[4:7], s[0:1], 0x50
	v_ashrrev_i32_e32 v3, 31, v2
	v_mov_b64_e32 v[4:5], 0
	s_waitcnt lgkmcnt(0)
	s_cmp_eq_u64 s[4:5], 0
	s_cselect_b64 s[20:21], -1, 0
	s_and_b64 vcc, exec, s[20:21]
	s_cbranch_vccnz .LBB112_3
; %bb.2:
	v_mul_lo_u32 v1, s7, v2
	v_mul_lo_u32 v6, s6, v3
	v_mad_u64_u32 v[4:5], s[2:3], s6, v2, 0
	v_add3_u32 v5, v5, v6, v1
	v_lshl_add_u64 v[4:5], v[4:5], 2, s[4:5]
.LBB112_3:
	s_load_dwordx4 s[12:15], s[0:1], 0x8
	s_load_dwordx8 s[4:11], s[0:1], 0x20
	s_load_dword s16, s[0:1], 0x18
	s_load_dword s22, s[0:1], 0x0
	v_and_b32_e32 v68, 0x3ff, v0
	s_waitcnt lgkmcnt(0)
	v_mov_b32_e32 v6, s12
	v_mul_lo_u32 v1, s5, v2
	v_mul_lo_u32 v10, s4, v3
	v_mad_u64_u32 v[8:9], s[2:3], s4, v2, 0
	v_mov_b32_e32 v7, s13
	v_add3_u32 v9, v9, v10, v1
	s_add_i32 s18, s16, s16
	v_lshl_add_u64 v[6:7], v[8:9], 2, v[6:7]
	v_add_u32_e32 v8, s18, v68
	v_lshl_add_u64 v[6:7], s[14:15], 2, v[6:7]
	v_ashrrev_i32_e32 v9, 31, v8
	v_lshl_add_u64 v[10:11], v[8:9], 2, v[6:7]
	v_add_u32_e32 v8, s16, v8
	v_ashrrev_i32_e32 v9, 31, v8
	v_lshl_add_u64 v[12:13], v[8:9], 2, v[6:7]
	v_add_u32_e32 v8, s16, v8
	;; [unrolled: 3-line block ×4, first 2 shown]
	v_add_u32_e32 v56, s16, v8
	v_add_u32_e32 v58, s16, v56
	;; [unrolled: 1-line block ×7, first 2 shown]
	v_lshlrev_b32_e32 v64, 2, v68
	v_mov_b32_e32 v65, 0
	v_add_u32_e32 v76, s16, v74
	v_lshl_add_u64 v[54:55], v[6:7], 0, v[64:65]
	s_ashr_i32 s17, s16, 31
	v_add_u32_e32 v78, s16, v76
	v_lshl_add_u64 v[0:1], s[16:17], 2, v[54:55]
	v_ashrrev_i32_e32 v9, 31, v8
	v_add_u32_e32 v52, s16, v78
	v_lshl_add_u64 v[18:19], v[8:9], 2, v[6:7]
	global_load_dword v50, v[0:1], off
	global_load_dword v51, v[10:11], off
	;; [unrolled: 1-line block ×6, first 2 shown]
	v_add_u32_e32 v0, s16, v52
	v_ashrrev_i32_e32 v1, 31, v0
	v_lshl_add_u64 v[8:9], v[0:1], 2, v[6:7]
	v_add_u32_e32 v0, s16, v0
	v_ashrrev_i32_e32 v1, 31, v0
	v_lshl_add_u64 v[10:11], v[0:1], 2, v[6:7]
	;; [unrolled: 3-line block ×7, first 2 shown]
	v_add_u32_e32 v0, s16, v0
	v_ashrrev_i32_e32 v1, 31, v0
	global_load_dword v44, v[8:9], off
	global_load_dword v45, v[10:11], off
	global_load_dword v40, v[12:13], off
	global_load_dword v41, v[14:15], off
	global_load_dword v34, v[16:17], off
	global_load_dword v35, v[18:19], off
	global_load_dword v26, v[20:21], off
	v_lshl_add_u64 v[8:9], v[0:1], 2, v[6:7]
	v_add_u32_e32 v0, s16, v0
	v_ashrrev_i32_e32 v1, 31, v0
	v_lshl_add_u64 v[10:11], v[0:1], 2, v[6:7]
	v_add_u32_e32 v0, s16, v0
	v_ashrrev_i32_e32 v1, 31, v0
	v_lshl_add_u64 v[12:13], v[0:1], 2, v[6:7]
	v_add_u32_e32 v0, s16, v0
	v_ashrrev_i32_e32 v1, 31, v0
	v_lshl_add_u64 v[14:15], v[0:1], 2, v[6:7]
	v_add_u32_e32 v0, s16, v0
	v_ashrrev_i32_e32 v1, 31, v0
	v_lshl_add_u64 v[16:17], v[0:1], 2, v[6:7]
	v_add_u32_e32 v0, s16, v0
	v_ashrrev_i32_e32 v1, 31, v0
	v_lshl_add_u64 v[18:19], v[0:1], 2, v[6:7]
	v_add_u32_e32 v0, s16, v0
	v_ashrrev_i32_e32 v1, 31, v0
	v_lshl_add_u64 v[22:23], v[0:1], 2, v[6:7]
	v_add_u32_e32 v0, s16, v0
	v_ashrrev_i32_e32 v1, 31, v0
	v_lshl_add_u64 v[24:25], v[0:1], 2, v[6:7]
	v_add_u32_e32 v0, s16, v0
	v_ashrrev_i32_e32 v1, 31, v0
	global_load_dword v27, v[8:9], off
	global_load_dword v42, v[10:11], off
	global_load_dword v43, v[12:13], off
	global_load_dword v36, v[14:15], off
	global_load_dword v37, v[16:17], off
	global_load_dword v28, v[18:19], off
	global_load_dword v29, v[22:23], off
	global_load_dword v20, v[24:25], off
	v_lshl_add_u64 v[8:9], v[0:1], 2, v[6:7]
	v_add_u32_e32 v0, s16, v0
	v_ashrrev_i32_e32 v1, 31, v0
	v_lshl_add_u64 v[10:11], v[0:1], 2, v[6:7]
	v_add_u32_e32 v0, s16, v0
	v_ashrrev_i32_e32 v1, 31, v0
	v_lshl_add_u64 v[12:13], v[0:1], 2, v[6:7]
	v_add_u32_e32 v0, s16, v0
	v_ashrrev_i32_e32 v1, 31, v0
	v_lshl_add_u64 v[14:15], v[0:1], 2, v[6:7]
	v_add_u32_e32 v0, s16, v0
	v_ashrrev_i32_e32 v1, 31, v0
	v_lshl_add_u64 v[18:19], v[0:1], 2, v[6:7]
	v_add_u32_e32 v0, s16, v0
	v_ashrrev_i32_e32 v1, 31, v0
	v_lshl_add_u64 v[24:25], v[0:1], 2, v[6:7]
	v_add_u32_e32 v0, s16, v0
	v_ashrrev_i32_e32 v1, 31, v0
	v_lshl_add_u64 v[32:33], v[0:1], 2, v[6:7]
	v_add_u32_e32 v0, s16, v0
	v_ashrrev_i32_e32 v1, 31, v0
	v_lshl_add_u64 v[80:81], v[0:1], 2, v[6:7]
	v_add_u32_e32 v0, s16, v0
	v_ashrrev_i32_e32 v1, 31, v0
	global_load_dword v21, v[8:9], off
	;; [unrolled: 32-line block ×3, first 2 shown]
	global_load_dword v32, v[10:11], off
	global_load_dword v33, v[12:13], off
	;; [unrolled: 1-line block ×7, first 2 shown]
	v_lshl_add_u64 v[10:11], v[0:1], 2, v[6:7]
	v_add_u32_e32 v0, s16, v0
	v_ashrrev_i32_e32 v1, 31, v0
	v_lshl_add_u64 v[12:13], v[0:1], 2, v[6:7]
	v_add_u32_e32 v0, s16, v0
	v_ashrrev_i32_e32 v1, 31, v0
	;; [unrolled: 3-line block ×3, first 2 shown]
	global_load_dword v9, v[10:11], off
	global_load_dword v14, v[12:13], off
	;; [unrolled: 1-line block ×3, first 2 shown]
	v_lshl_add_u64 v[10:11], v[0:1], 2, v[6:7]
	v_add_u32_e32 v0, s16, v0
	v_ashrrev_i32_e32 v1, 31, v0
	v_lshl_add_u64 v[80:81], v[0:1], 2, v[6:7]
	global_load_dword v12, v[10:11], off
	global_load_dword v13, v[80:81], off
	v_add_u32_e32 v10, s16, v0
	v_ashrrev_i32_e32 v11, 31, v10
	v_lshl_add_u64 v[0:1], v[10:11], 2, v[6:7]
	v_add_u32_e32 v10, s16, v10
	v_ashrrev_i32_e32 v11, 31, v10
	v_ashrrev_i32_e32 v53, 31, v52
	v_lshl_add_u64 v[80:81], v[10:11], 2, v[6:7]
	v_lshl_add_u64 v[52:53], v[52:53], 2, v[6:7]
	global_load_dword v0, v[0:1], off
	v_ashrrev_i32_e32 v61, 31, v60
	global_load_dword v53, v[52:53], off
	v_ashrrev_i32_e32 v57, 31, v56
	global_load_dword v1, v[80:81], off
	v_add_u32_e32 v80, s16, v10
	v_ashrrev_i32_e32 v81, 31, v80
	v_lshl_add_u64 v[10:11], v[80:81], 2, v[6:7]
	v_add_u32_e32 v80, s16, v80
	v_ashrrev_i32_e32 v81, 31, v80
	v_lshl_add_u64 v[80:81], v[80:81], 2, v[6:7]
	global_load_dword v10, v[10:11], off
	v_ashrrev_i32_e32 v67, 31, v66
	global_load_dword v11, v[80:81], off
	v_lshl_add_u64 v[80:81], v[60:61], 2, v[6:7]
	v_ashrrev_i32_e32 v71, 31, v70
	v_ashrrev_i32_e32 v73, 31, v72
	;; [unrolled: 1-line block ×5, first 2 shown]
	v_lshl_add_u64 v[56:57], v[56:57], 2, v[6:7]
	v_ashrrev_i32_e32 v59, 31, v58
	v_lshl_add_u64 v[66:67], v[66:67], 2, v[6:7]
	v_lshl_add_u64 v[70:71], v[70:71], 2, v[6:7]
	;; [unrolled: 1-line block ×6, first 2 shown]
	global_load_dword v60, v[56:57], off
	global_load_dword v62, v[54:55], off
	v_lshl_add_u64 v[82:83], v[58:59], 2, v[6:7]
	global_load_dword v58, v[80:81], off
	global_load_dword v59, v[66:67], off
	;; [unrolled: 1-line block ×5, first 2 shown]
                                        ; kill: killed $vgpr80_vgpr81
                                        ; kill: killed $vgpr66_vgpr67
                                        ; kill: killed $vgpr70_vgpr71
                                        ; kill: killed $vgpr72_vgpr73
                                        ; kill: killed $vgpr74_vgpr75
	global_load_dword v55, v[76:77], off
	global_load_dword v52, v[78:79], off
	;; [unrolled: 1-line block ×3, first 2 shown]
	s_max_i32 s2, s22, 57
	v_mul_lo_u32 v66, s2, v63
	v_lshl_add_u32 v63, v66, 2, 0
	v_add_u32_e32 v64, v63, v64
	s_load_dwordx2 s[4:5], s[0:1], 0x40
	s_cmp_lt_i32 s22, 2
	v_lshlrev_b32_e32 v66, 2, v66
	s_waitcnt vmcnt(8)
	ds_write_b32 v64, v62
	s_waitcnt lgkmcnt(0)
	s_barrier
	ds_read_b32 v64, v63
	s_cbranch_scc1 .LBB112_6
; %bb.4:
	v_add3_u32 v67, v66, 0, 4
	v_mov_b32_e32 v65, 0
	s_mov_b32 s0, 1
.LBB112_5:                              ; =>This Inner Loop Header: Depth=1
	ds_read_b32 v69, v67
	v_mov_b32_e32 v70, s0
	s_add_i32 s0, s0, 1
	v_add_u32_e32 v67, 4, v67
	s_cmp_eq_u32 s22, s0
	s_waitcnt lgkmcnt(0)
	v_cmp_lt_f32_e64 vcc, |v64|, |v69|
	s_nop 1
	v_cndmask_b32_e32 v64, v64, v69, vcc
	v_cndmask_b32_e32 v65, v65, v70, vcc
	s_cbranch_scc0 .LBB112_5
.LBB112_6:
	v_cmp_ne_u32_e32 vcc, v68, v65
                                        ; implicit-def: $vgpr67
	s_and_saveexec_b64 s[0:1], vcc
	s_xor_b64 s[0:1], exec, s[0:1]
	s_cbranch_execz .LBB112_12
; %bb.7:
	v_cmp_eq_u32_e32 vcc, 0, v68
	s_and_saveexec_b64 s[2:3], vcc
	s_cbranch_execz .LBB112_11
; %bb.8:
	v_cmp_ne_u32_e32 vcc, 0, v65
	s_xor_b64 s[12:13], s[20:21], -1
	s_and_b64 s[14:15], s[12:13], vcc
	s_and_saveexec_b64 s[12:13], s[14:15]
	s_cbranch_execz .LBB112_10
; %bb.9:
	v_ashrrev_i32_e32 v69, 31, v65
	v_mov_b32_e32 v68, v65
	v_lshl_add_u64 v[68:69], v[68:69], 2, v[4:5]
	global_load_dword v67, v[68:69], off
	global_load_dword v70, v[4:5], off
	s_waitcnt vmcnt(1)
	global_store_dword v[4:5], v67, off
	s_waitcnt vmcnt(1)
	global_store_dword v[68:69], v70, off
.LBB112_10:
	s_or_b64 exec, exec, s[12:13]
	v_mov_b32_e32 v68, v65
.LBB112_11:
	s_or_b64 exec, exec, s[2:3]
	v_mov_b32_e32 v67, v68
                                        ; implicit-def: $vgpr68
.LBB112_12:
	s_or_saveexec_b64 s[0:1], s[0:1]
	v_mov_b32_e32 v65, v67
	s_xor_b64 exec, exec, s[0:1]
	s_cbranch_execz .LBB112_14
; %bb.13:
	v_mov_b32_e32 v67, 0
	v_mov_b32_e32 v65, v68
	ds_write2_b32 v63, v50, v51 offset0:1 offset1:2
	ds_write2_b32 v63, v48, v49 offset0:3 offset1:4
	;; [unrolled: 1-line block ×3, first 2 shown]
	s_waitcnt vmcnt(0)
	ds_write2_b32 v63, v60, v61 offset0:7 offset1:8
	ds_write2_b32 v63, v58, v59 offset0:9 offset1:10
	;; [unrolled: 1-line block ×25, first 2 shown]
.LBB112_14:
	s_or_b64 exec, exec, s[0:1]
	s_waitcnt lgkmcnt(0)
	v_cmp_eq_f32_e64 s[0:1], 0, v64
	v_cmp_lt_i32_e32 vcc, 0, v67
	s_barrier
	s_and_saveexec_b64 s[2:3], vcc
	s_cbranch_execz .LBB112_16
; %bb.15:
	v_div_scale_f32 v68, s[12:13], v64, v64, 1.0
	v_rcp_f32_e32 v69, v68
	v_div_scale_f32 v70, vcc, 1.0, v64, 1.0
	v_fma_f32 v71, -v68, v69, 1.0
	v_fmac_f32_e32 v69, v71, v69
	v_mul_f32_e32 v71, v70, v69
	v_fma_f32 v72, -v68, v71, v70
	v_fmac_f32_e32 v71, v72, v69
	v_fma_f32 v68, -v68, v71, v70
	v_div_fmas_f32 v68, v68, v69, v71
	v_div_fixup_f32 v68, v68, v64, 1.0
	v_cndmask_b32_e64 v64, v68, v64, s[0:1]
	ds_read2_b32 v[68:69], v63 offset0:1 offset1:2
	ds_read2_b32 v[70:71], v63 offset0:3 offset1:4
	;; [unrolled: 1-line block ×4, first 2 shown]
	v_mul_f32_e32 v62, v64, v62
	s_waitcnt lgkmcnt(3)
	v_pk_fma_f32 v[50:51], v[62:63], v[68:69], v[50:51] op_sel_hi:[0,1,1] neg_lo:[1,0,0] neg_hi:[1,0,0]
	s_waitcnt lgkmcnt(2)
	v_pk_fma_f32 v[48:49], v[62:63], v[70:71], v[48:49] op_sel_hi:[0,1,1] neg_lo:[1,0,0] neg_hi:[1,0,0]
	;; [unrolled: 2-line block ×3, first 2 shown]
	ds_read2_b32 v[68:69], v63 offset0:9 offset1:10
	ds_read2_b32 v[70:71], v63 offset0:11 offset1:12
	;; [unrolled: 1-line block ×3, first 2 shown]
	s_waitcnt vmcnt(0) lgkmcnt(3)
	v_pk_fma_f32 v[60:61], v[62:63], v[74:75], v[60:61] op_sel_hi:[0,1,1] neg_lo:[1,0,0] neg_hi:[1,0,0]
	ds_read2_b32 v[74:75], v63 offset0:15 offset1:16
	s_waitcnt lgkmcnt(3)
	v_pk_fma_f32 v[58:59], v[62:63], v[68:69], v[58:59] op_sel_hi:[0,1,1] neg_lo:[1,0,0] neg_hi:[1,0,0]
	s_waitcnt lgkmcnt(2)
	v_pk_fma_f32 v[56:57], v[62:63], v[70:71], v[56:57] op_sel_hi:[0,1,1] neg_lo:[1,0,0] neg_hi:[1,0,0]
	s_waitcnt lgkmcnt(1)
	v_pk_fma_f32 v[54:55], v[62:63], v[72:73], v[54:55] op_sel_hi:[0,1,1] neg_lo:[1,0,0] neg_hi:[1,0,0]
	ds_read2_b32 v[68:69], v63 offset0:17 offset1:18
	ds_read2_b32 v[70:71], v63 offset0:19 offset1:20
	ds_read2_b32 v[72:73], v63 offset0:21 offset1:22
	s_waitcnt lgkmcnt(3)
	v_pk_fma_f32 v[52:53], v[62:63], v[74:75], v[52:53] op_sel_hi:[0,1,1] neg_lo:[1,0,0] neg_hi:[1,0,0]
	ds_read2_b32 v[74:75], v63 offset0:23 offset1:24
	s_waitcnt lgkmcnt(3)
	v_pk_fma_f32 v[44:45], v[62:63], v[68:69], v[44:45] op_sel_hi:[0,1,1] neg_lo:[1,0,0] neg_hi:[1,0,0]
	s_waitcnt lgkmcnt(2)
	v_pk_fma_f32 v[40:41], v[62:63], v[70:71], v[40:41] op_sel_hi:[0,1,1] neg_lo:[1,0,0] neg_hi:[1,0,0]
	s_waitcnt lgkmcnt(1)
	v_pk_fma_f32 v[34:35], v[62:63], v[72:73], v[34:35] op_sel_hi:[0,1,1] neg_lo:[1,0,0] neg_hi:[1,0,0]
	ds_read2_b32 v[68:69], v63 offset0:25 offset1:26
	ds_read2_b32 v[70:71], v63 offset0:27 offset1:28
	ds_read2_b32 v[72:73], v63 offset0:29 offset1:30
	s_waitcnt lgkmcnt(3)
	;; [unrolled: 12-line block ×4, first 2 shown]
	v_pk_fma_f32 v[16:17], v[62:63], v[74:75], v[16:17] op_sel_hi:[0,1,1] neg_lo:[1,0,0] neg_hi:[1,0,0]
	ds_read2_b32 v[74:75], v63 offset0:47 offset1:48
	s_waitcnt lgkmcnt(3)
	v_pk_fma_f32 v[32:33], v[62:63], v[68:69], v[32:33] op_sel_hi:[0,1,1] neg_lo:[1,0,0] neg_hi:[1,0,0]
	s_waitcnt lgkmcnt(2)
	v_pk_fma_f32 v[24:25], v[62:63], v[70:71], v[24:25] op_sel_hi:[0,1,1] neg_lo:[1,0,0] neg_hi:[1,0,0]
	;; [unrolled: 2-line block ×3, first 2 shown]
	ds_read2_b32 v[68:69], v63 offset0:49 offset1:50
	ds_read2_b32 v[70:71], v63 offset0:51 offset1:52
	;; [unrolled: 1-line block ×4, first 2 shown]
	s_waitcnt lgkmcnt(4)
	v_pk_fma_f32 v[8:9], v[62:63], v[74:75], v[8:9] op_sel_hi:[0,1,1] neg_lo:[1,0,0] neg_hi:[1,0,0]
	s_waitcnt lgkmcnt(3)
	v_pk_fma_f32 v[14:15], v[62:63], v[68:69], v[14:15] op_sel_hi:[0,1,1] neg_lo:[1,0,0] neg_hi:[1,0,0]
	;; [unrolled: 2-line block ×5, first 2 shown]
.LBB112_16:
	s_or_b64 exec, exec, s[2:3]
	v_lshl_add_u32 v64, v67, 2, v63
	s_barrier
	ds_write_b32 v64, v50
	s_waitcnt lgkmcnt(0)
	s_barrier
	ds_read_b32 v68, v63 offset:4
	s_mov_b32 s2, 2
	s_cmp_lt_i32 s22, 3
	v_mov_b32_e32 v64, 1
	s_cbranch_scc1 .LBB112_19
; %bb.17:
	v_add3_u32 v69, v66, 0, 8
	v_mov_b32_e32 v64, 1
.LBB112_18:                             ; =>This Inner Loop Header: Depth=1
	ds_read_b32 v70, v69
	v_mov_b32_e32 v71, s2
	s_add_i32 s2, s2, 1
	v_add_u32_e32 v69, 4, v69
	s_cmp_lg_u32 s22, s2
	s_waitcnt lgkmcnt(0)
	v_cmp_lt_f32_e64 vcc, |v68|, |v70|
	s_nop 1
	v_cndmask_b32_e32 v68, v68, v70, vcc
	v_cndmask_b32_e32 v64, v64, v71, vcc
	s_cbranch_scc1 .LBB112_18
.LBB112_19:
	v_cmp_ne_u32_e32 vcc, v67, v64
	s_and_saveexec_b64 s[2:3], vcc
	s_xor_b64 s[2:3], exec, s[2:3]
	s_cbranch_execz .LBB112_25
; %bb.20:
	v_cmp_eq_u32_e32 vcc, 1, v67
	s_and_saveexec_b64 s[12:13], vcc
	s_cbranch_execz .LBB112_24
; %bb.21:
	v_cmp_ne_u32_e32 vcc, 1, v64
	s_xor_b64 s[14:15], s[20:21], -1
	s_and_b64 s[24:25], s[14:15], vcc
	s_and_saveexec_b64 s[14:15], s[24:25]
	s_cbranch_execz .LBB112_23
; %bb.22:
	v_ashrrev_i32_e32 v65, 31, v64
	v_lshl_add_u64 v[70:71], v[64:65], 2, v[4:5]
	global_load_dword v65, v[70:71], off
	global_load_dword v67, v[4:5], off offset:4
	s_waitcnt vmcnt(1)
	global_store_dword v[4:5], v65, off offset:4
	s_waitcnt vmcnt(1)
	global_store_dword v[70:71], v67, off
.LBB112_23:
	s_or_b64 exec, exec, s[14:15]
	v_mov_b32_e32 v65, v64
	v_mov_b32_e32 v67, v64
.LBB112_24:
	s_or_b64 exec, exec, s[12:13]
.LBB112_25:
	s_andn2_saveexec_b64 s[2:3], s[2:3]
	s_cbranch_execz .LBB112_27
; %bb.26:
	v_pk_mov_b32 v[70:71], v[50:51], v[48:49] op_sel:[1,0]
	ds_write2_b32 v63, v70, v71 offset0:2 offset1:3
	v_pk_mov_b32 v[70:71], v[48:49], v[46:47] op_sel:[1,0]
	ds_write2_b32 v63, v70, v71 offset0:4 offset1:5
	s_waitcnt vmcnt(0)
	v_pk_mov_b32 v[70:71], v[46:47], v[60:61] op_sel:[1,0]
	ds_write2_b32 v63, v70, v71 offset0:6 offset1:7
	v_pk_mov_b32 v[70:71], v[60:61], v[58:59] op_sel:[1,0]
	ds_write2_b32 v63, v70, v71 offset0:8 offset1:9
	;; [unrolled: 2-line block ×24, first 2 shown]
	v_pk_mov_b32 v[70:71], v[0:1], v[10:11] op_sel:[1,0]
	v_mov_b32_e32 v67, 1
	ds_write2_b32 v63, v70, v71 offset0:54 offset1:55
	ds_write_b32 v63, v11 offset:224
.LBB112_27:
	s_or_b64 exec, exec, s[2:3]
	s_waitcnt lgkmcnt(0)
	v_cmp_neq_f32_e64 s[2:3], 0, v68
	v_cmp_lt_i32_e32 vcc, 1, v67
	s_barrier
	s_and_saveexec_b64 s[12:13], vcc
	s_cbranch_execz .LBB112_29
; %bb.28:
	v_div_scale_f32 v64, s[14:15], v68, v68, 1.0
	v_rcp_f32_e32 v69, v64
	v_div_scale_f32 v70, vcc, 1.0, v68, 1.0
	v_fma_f32 v71, -v64, v69, 1.0
	v_fmac_f32_e32 v69, v71, v69
	v_mul_f32_e32 v71, v70, v69
	v_fma_f32 v72, -v64, v71, v70
	v_fmac_f32_e32 v71, v72, v69
	v_fma_f32 v64, -v64, v71, v70
	v_div_fmas_f32 v64, v64, v69, v71
	v_div_fixup_f32 v64, v64, v68, 1.0
	v_cndmask_b32_e64 v64, v68, v64, s[2:3]
	ds_read_b32 v74, v63 offset:8
	ds_read2_b32 v[68:69], v63 offset0:3 offset1:4
	ds_read2_b32 v[70:71], v63 offset0:5 offset1:6
	v_mul_f32_e32 v50, v64, v50
	ds_read2_b32 v[72:73], v63 offset0:7 offset1:8
	s_waitcnt lgkmcnt(3)
	v_fma_f32 v51, -v50, v74, v51
	s_waitcnt lgkmcnt(2)
	v_pk_fma_f32 v[48:49], v[50:51], v[68:69], v[48:49] op_sel_hi:[0,1,1] neg_lo:[1,0,0] neg_hi:[1,0,0]
	s_waitcnt lgkmcnt(1)
	v_pk_fma_f32 v[46:47], v[50:51], v[70:71], v[46:47] op_sel_hi:[0,1,1] neg_lo:[1,0,0] neg_hi:[1,0,0]
	ds_read2_b32 v[68:69], v63 offset0:9 offset1:10
	ds_read2_b32 v[70:71], v63 offset0:11 offset1:12
	;; [unrolled: 1-line block ×3, first 2 shown]
	s_waitcnt vmcnt(0) lgkmcnt(3)
	v_pk_fma_f32 v[60:61], v[50:51], v[72:73], v[60:61] op_sel_hi:[0,1,1] neg_lo:[1,0,0] neg_hi:[1,0,0]
	ds_read2_b32 v[72:73], v63 offset0:15 offset1:16
	s_waitcnt lgkmcnt(3)
	v_pk_fma_f32 v[58:59], v[50:51], v[68:69], v[58:59] op_sel_hi:[0,1,1] neg_lo:[1,0,0] neg_hi:[1,0,0]
	s_waitcnt lgkmcnt(2)
	v_pk_fma_f32 v[56:57], v[50:51], v[70:71], v[56:57] op_sel_hi:[0,1,1] neg_lo:[1,0,0] neg_hi:[1,0,0]
	s_waitcnt lgkmcnt(1)
	v_pk_fma_f32 v[54:55], v[50:51], v[74:75], v[54:55] op_sel_hi:[0,1,1] neg_lo:[1,0,0] neg_hi:[1,0,0]
	ds_read2_b32 v[68:69], v63 offset0:17 offset1:18
	ds_read2_b32 v[70:71], v63 offset0:19 offset1:20
	ds_read2_b32 v[74:75], v63 offset0:21 offset1:22
	s_waitcnt lgkmcnt(3)
	v_pk_fma_f32 v[52:53], v[50:51], v[72:73], v[52:53] op_sel_hi:[0,1,1] neg_lo:[1,0,0] neg_hi:[1,0,0]
	ds_read2_b32 v[72:73], v63 offset0:23 offset1:24
	s_waitcnt lgkmcnt(3)
	v_pk_fma_f32 v[44:45], v[50:51], v[68:69], v[44:45] op_sel_hi:[0,1,1] neg_lo:[1,0,0] neg_hi:[1,0,0]
	s_waitcnt lgkmcnt(2)
	v_pk_fma_f32 v[40:41], v[50:51], v[70:71], v[40:41] op_sel_hi:[0,1,1] neg_lo:[1,0,0] neg_hi:[1,0,0]
	s_waitcnt lgkmcnt(1)
	v_pk_fma_f32 v[34:35], v[50:51], v[74:75], v[34:35] op_sel_hi:[0,1,1] neg_lo:[1,0,0] neg_hi:[1,0,0]
	ds_read2_b32 v[68:69], v63 offset0:25 offset1:26
	ds_read2_b32 v[70:71], v63 offset0:27 offset1:28
	ds_read2_b32 v[74:75], v63 offset0:29 offset1:30
	s_waitcnt lgkmcnt(3)
	;; [unrolled: 12-line block ×4, first 2 shown]
	v_pk_fma_f32 v[16:17], v[50:51], v[72:73], v[16:17] op_sel_hi:[0,1,1] neg_lo:[1,0,0] neg_hi:[1,0,0]
	ds_read2_b32 v[72:73], v63 offset0:47 offset1:48
	s_waitcnt lgkmcnt(3)
	v_pk_fma_f32 v[32:33], v[50:51], v[68:69], v[32:33] op_sel_hi:[0,1,1] neg_lo:[1,0,0] neg_hi:[1,0,0]
	s_waitcnt lgkmcnt(2)
	v_pk_fma_f32 v[24:25], v[50:51], v[70:71], v[24:25] op_sel_hi:[0,1,1] neg_lo:[1,0,0] neg_hi:[1,0,0]
	;; [unrolled: 2-line block ×3, first 2 shown]
	ds_read2_b32 v[68:69], v63 offset0:49 offset1:50
	ds_read2_b32 v[70:71], v63 offset0:51 offset1:52
	;; [unrolled: 1-line block ×4, first 2 shown]
	s_waitcnt lgkmcnt(4)
	v_pk_fma_f32 v[8:9], v[50:51], v[72:73], v[8:9] op_sel_hi:[0,1,1] neg_lo:[1,0,0] neg_hi:[1,0,0]
	s_waitcnt lgkmcnt(3)
	v_pk_fma_f32 v[14:15], v[50:51], v[68:69], v[14:15] op_sel_hi:[0,1,1] neg_lo:[1,0,0] neg_hi:[1,0,0]
	s_waitcnt lgkmcnt(2)
	v_pk_fma_f32 v[12:13], v[50:51], v[70:71], v[12:13] op_sel_hi:[0,1,1] neg_lo:[1,0,0] neg_hi:[1,0,0]
	s_waitcnt lgkmcnt(1)
	v_pk_fma_f32 v[0:1], v[50:51], v[74:75], v[0:1] op_sel_hi:[0,1,1] neg_lo:[1,0,0] neg_hi:[1,0,0]
	s_waitcnt lgkmcnt(0)
	v_pk_fma_f32 v[10:11], v[50:51], v[76:77], v[10:11] op_sel_hi:[0,1,1] neg_lo:[1,0,0] neg_hi:[1,0,0]
.LBB112_29:
	s_or_b64 exec, exec, s[12:13]
	v_lshl_add_u32 v64, v67, 2, v63
	s_barrier
	ds_write_b32 v64, v51
	s_waitcnt lgkmcnt(0)
	s_barrier
	ds_read_b32 v69, v63 offset:8
	s_cmp_lt_i32 s22, 4
	v_mov_b32_e32 v64, 2
	s_cbranch_scc1 .LBB112_32
; %bb.30:
	v_mov_b32_e32 v64, 2
	v_add3_u32 v68, v66, 0, 12
	s_mov_b32 s12, 3
.LBB112_31:                             ; =>This Inner Loop Header: Depth=1
	ds_read_b32 v70, v68
	v_mov_b32_e32 v71, s12
	s_add_i32 s12, s12, 1
	v_add_u32_e32 v68, 4, v68
	s_cmp_lg_u32 s22, s12
	s_waitcnt lgkmcnt(0)
	v_cmp_lt_f32_e64 vcc, |v69|, |v70|
	s_nop 1
	v_cndmask_b32_e32 v69, v69, v70, vcc
	v_cndmask_b32_e32 v64, v64, v71, vcc
	s_cbranch_scc1 .LBB112_31
.LBB112_32:
	v_cndmask_b32_e64 v68, 2, 1, s[0:1]
	v_cndmask_b32_e64 v70, 0, 1, s[0:1]
	;; [unrolled: 1-line block ×3, first 2 shown]
	s_waitcnt lgkmcnt(0)
	v_cmp_eq_f32_e32 vcc, 0, v69
	s_and_saveexec_b64 s[0:1], vcc
	s_xor_b64 s[0:1], exec, s[0:1]
; %bb.33:
	v_cmp_ne_u32_e32 vcc, 0, v68
	s_nop 1
	v_cndmask_b32_e32 v68, 3, v68, vcc
; %bb.34:
	s_andn2_saveexec_b64 s[0:1], s[0:1]
	s_cbranch_execz .LBB112_36
; %bb.35:
	v_div_scale_f32 v70, s[2:3], v69, v69, 1.0
	v_rcp_f32_e32 v71, v70
	v_div_scale_f32 v72, vcc, 1.0, v69, 1.0
	v_fma_f32 v73, -v70, v71, 1.0
	v_fmac_f32_e32 v71, v73, v71
	v_mul_f32_e32 v73, v72, v71
	v_fma_f32 v74, -v70, v73, v72
	v_fmac_f32_e32 v73, v74, v71
	v_fma_f32 v70, -v70, v73, v72
	v_div_fmas_f32 v70, v70, v71, v73
	v_div_fixup_f32 v69, v70, v69, 1.0
.LBB112_36:
	s_or_b64 exec, exec, s[0:1]
	v_cmp_ne_u32_e32 vcc, v67, v64
	s_and_saveexec_b64 s[0:1], vcc
	s_xor_b64 s[0:1], exec, s[0:1]
	s_cbranch_execz .LBB112_42
; %bb.37:
	v_cmp_eq_u32_e32 vcc, 2, v67
	s_and_saveexec_b64 s[2:3], vcc
	s_cbranch_execz .LBB112_41
; %bb.38:
	v_cmp_ne_u32_e32 vcc, 2, v64
	s_xor_b64 s[12:13], s[20:21], -1
	s_and_b64 s[14:15], s[12:13], vcc
	s_and_saveexec_b64 s[12:13], s[14:15]
	s_cbranch_execz .LBB112_40
; %bb.39:
	v_ashrrev_i32_e32 v65, 31, v64
	v_lshl_add_u64 v[70:71], v[64:65], 2, v[4:5]
	global_load_dword v65, v[70:71], off
	global_load_dword v67, v[4:5], off offset:8
	s_waitcnt vmcnt(1)
	global_store_dword v[4:5], v65, off offset:8
	s_waitcnt vmcnt(1)
	global_store_dword v[70:71], v67, off
.LBB112_40:
	s_or_b64 exec, exec, s[12:13]
	v_mov_b32_e32 v65, v64
	v_mov_b32_e32 v67, v64
.LBB112_41:
	s_or_b64 exec, exec, s[2:3]
.LBB112_42:
	s_andn2_saveexec_b64 s[0:1], s[0:1]
	s_cbranch_execz .LBB112_44
; %bb.43:
	v_mov_b32_e32 v67, 2
	ds_write2_b32 v63, v48, v49 offset0:3 offset1:4
	ds_write2_b32 v63, v46, v47 offset0:5 offset1:6
	s_waitcnt vmcnt(0)
	ds_write2_b32 v63, v60, v61 offset0:7 offset1:8
	ds_write2_b32 v63, v58, v59 offset0:9 offset1:10
	;; [unrolled: 1-line block ×25, first 2 shown]
.LBB112_44:
	s_or_b64 exec, exec, s[0:1]
	v_cmp_lt_i32_e32 vcc, 2, v67
	s_waitcnt lgkmcnt(0)
	s_barrier
	s_and_saveexec_b64 s[0:1], vcc
	s_cbranch_execz .LBB112_46
; %bb.45:
	ds_read2_b32 v[70:71], v63 offset0:3 offset1:4
	ds_read2_b32 v[72:73], v63 offset0:5 offset1:6
	;; [unrolled: 1-line block ×3, first 2 shown]
	v_mul_f32_e32 v64, v69, v51
	ds_read2_b32 v[76:77], v63 offset0:9 offset1:10
	s_waitcnt lgkmcnt(3)
	v_pk_fma_f32 v[48:49], v[64:65], v[70:71], v[48:49] op_sel_hi:[0,1,1] neg_lo:[1,0,0] neg_hi:[1,0,0]
	s_waitcnt lgkmcnt(2)
	v_pk_fma_f32 v[46:47], v[64:65], v[72:73], v[46:47] op_sel_hi:[0,1,1] neg_lo:[1,0,0] neg_hi:[1,0,0]
	s_waitcnt vmcnt(0) lgkmcnt(1)
	v_pk_fma_f32 v[60:61], v[64:65], v[74:75], v[60:61] op_sel_hi:[0,1,1] neg_lo:[1,0,0] neg_hi:[1,0,0]
	ds_read2_b32 v[70:71], v63 offset0:11 offset1:12
	ds_read2_b32 v[72:73], v63 offset0:13 offset1:14
	ds_read2_b32 v[74:75], v63 offset0:15 offset1:16
	s_waitcnt lgkmcnt(3)
	v_pk_fma_f32 v[58:59], v[64:65], v[76:77], v[58:59] op_sel_hi:[0,1,1] neg_lo:[1,0,0] neg_hi:[1,0,0]
	ds_read2_b32 v[76:77], v63 offset0:17 offset1:18
	s_waitcnt lgkmcnt(3)
	v_pk_fma_f32 v[56:57], v[64:65], v[70:71], v[56:57] op_sel_hi:[0,1,1] neg_lo:[1,0,0] neg_hi:[1,0,0]
	s_waitcnt lgkmcnt(2)
	v_pk_fma_f32 v[54:55], v[64:65], v[72:73], v[54:55] op_sel_hi:[0,1,1] neg_lo:[1,0,0] neg_hi:[1,0,0]
	s_waitcnt lgkmcnt(1)
	v_pk_fma_f32 v[52:53], v[64:65], v[74:75], v[52:53] op_sel_hi:[0,1,1] neg_lo:[1,0,0] neg_hi:[1,0,0]
	ds_read2_b32 v[70:71], v63 offset0:19 offset1:20
	ds_read2_b32 v[72:73], v63 offset0:21 offset1:22
	ds_read2_b32 v[74:75], v63 offset0:23 offset1:24
	s_waitcnt lgkmcnt(3)
	v_pk_fma_f32 v[44:45], v[64:65], v[76:77], v[44:45] op_sel_hi:[0,1,1] neg_lo:[1,0,0] neg_hi:[1,0,0]
	ds_read2_b32 v[76:77], v63 offset0:25 offset1:26
	s_waitcnt lgkmcnt(3)
	v_pk_fma_f32 v[40:41], v[64:65], v[70:71], v[40:41] op_sel_hi:[0,1,1] neg_lo:[1,0,0] neg_hi:[1,0,0]
	s_waitcnt lgkmcnt(2)
	v_pk_fma_f32 v[34:35], v[64:65], v[72:73], v[34:35] op_sel_hi:[0,1,1] neg_lo:[1,0,0] neg_hi:[1,0,0]
	s_waitcnt lgkmcnt(1)
	v_pk_fma_f32 v[26:27], v[64:65], v[74:75], v[26:27] op_sel_hi:[0,1,1] neg_lo:[1,0,0] neg_hi:[1,0,0]
	ds_read2_b32 v[70:71], v63 offset0:27 offset1:28
	ds_read2_b32 v[72:73], v63 offset0:29 offset1:30
	ds_read2_b32 v[74:75], v63 offset0:31 offset1:32
	s_waitcnt lgkmcnt(3)
	v_pk_fma_f32 v[42:43], v[64:65], v[76:77], v[42:43] op_sel_hi:[0,1,1] neg_lo:[1,0,0] neg_hi:[1,0,0]
	ds_read2_b32 v[76:77], v63 offset0:33 offset1:34
	s_waitcnt lgkmcnt(3)
	v_pk_fma_f32 v[36:37], v[64:65], v[70:71], v[36:37] op_sel_hi:[0,1,1] neg_lo:[1,0,0] neg_hi:[1,0,0]
	s_waitcnt lgkmcnt(2)
	v_pk_fma_f32 v[28:29], v[64:65], v[72:73], v[28:29] op_sel_hi:[0,1,1] neg_lo:[1,0,0] neg_hi:[1,0,0]
	s_waitcnt lgkmcnt(1)
	v_pk_fma_f32 v[20:21], v[64:65], v[74:75], v[20:21] op_sel_hi:[0,1,1] neg_lo:[1,0,0] neg_hi:[1,0,0]
	ds_read2_b32 v[70:71], v63 offset0:35 offset1:36
	ds_read2_b32 v[72:73], v63 offset0:37 offset1:38
	;; [unrolled: 1-line block ×3, first 2 shown]
	s_waitcnt lgkmcnt(3)
	v_pk_fma_f32 v[38:39], v[64:65], v[76:77], v[38:39] op_sel_hi:[0,1,1] neg_lo:[1,0,0] neg_hi:[1,0,0]
	ds_read2_b32 v[76:77], v63 offset0:41 offset1:42
	s_waitcnt lgkmcnt(3)
	v_pk_fma_f32 v[30:31], v[64:65], v[70:71], v[30:31] op_sel_hi:[0,1,1] neg_lo:[1,0,0] neg_hi:[1,0,0]
	s_waitcnt lgkmcnt(2)
	v_pk_fma_f32 v[22:23], v[64:65], v[72:73], v[22:23] op_sel_hi:[0,1,1] neg_lo:[1,0,0] neg_hi:[1,0,0]
	ds_read2_b32 v[70:71], v63 offset0:43 offset1:44
	ds_read2_b32 v[72:73], v63 offset0:45 offset1:46
	s_waitcnt lgkmcnt(3)
	v_pk_fma_f32 v[16:17], v[64:65], v[74:75], v[16:17] op_sel_hi:[0,1,1] neg_lo:[1,0,0] neg_hi:[1,0,0]
	s_waitcnt lgkmcnt(2)
	v_pk_fma_f32 v[32:33], v[64:65], v[76:77], v[32:33] op_sel_hi:[0,1,1] neg_lo:[1,0,0] neg_hi:[1,0,0]
	ds_read2_b32 v[74:75], v63 offset0:47 offset1:48
	;; [unrolled: 6-line block ×3, first 2 shown]
	ds_read2_b32 v[72:73], v63 offset0:53 offset1:54
	ds_read2_b32 v[78:79], v63 offset0:55 offset1:56
	s_waitcnt lgkmcnt(4)
	v_pk_fma_f32 v[8:9], v[64:65], v[74:75], v[8:9] op_sel_hi:[0,1,1] neg_lo:[1,0,0] neg_hi:[1,0,0]
	s_waitcnt lgkmcnt(3)
	v_pk_fma_f32 v[14:15], v[64:65], v[76:77], v[14:15] op_sel_hi:[0,1,1] neg_lo:[1,0,0] neg_hi:[1,0,0]
	;; [unrolled: 2-line block ×5, first 2 shown]
	v_mov_b32_e32 v51, v64
.LBB112_46:
	s_or_b64 exec, exec, s[0:1]
	v_lshl_add_u32 v64, v67, 2, v63
	s_barrier
	ds_write_b32 v64, v48
	s_waitcnt lgkmcnt(0)
	s_barrier
	ds_read_b32 v69, v63 offset:12
	s_cmp_lt_i32 s22, 5
	v_mov_b32_e32 v64, 3
	s_cbranch_scc1 .LBB112_49
; %bb.47:
	v_add3_u32 v70, v66, 0, 16
	v_mov_b32_e32 v64, 3
	s_mov_b32 s0, 4
.LBB112_48:                             ; =>This Inner Loop Header: Depth=1
	ds_read_b32 v71, v70
	v_mov_b32_e32 v72, s0
	s_add_i32 s0, s0, 1
	v_add_u32_e32 v70, 4, v70
	s_cmp_lg_u32 s22, s0
	s_waitcnt lgkmcnt(0)
	v_cmp_lt_f32_e64 vcc, |v69|, |v71|
	s_nop 1
	v_cndmask_b32_e32 v69, v69, v71, vcc
	v_cndmask_b32_e32 v64, v64, v72, vcc
	s_cbranch_scc1 .LBB112_48
.LBB112_49:
	s_waitcnt lgkmcnt(0)
	v_cmp_eq_f32_e32 vcc, 0, v69
	s_and_saveexec_b64 s[0:1], vcc
	s_xor_b64 s[0:1], exec, s[0:1]
; %bb.50:
	v_cmp_ne_u32_e32 vcc, 0, v68
	s_nop 1
	v_cndmask_b32_e32 v68, 4, v68, vcc
; %bb.51:
	s_andn2_saveexec_b64 s[0:1], s[0:1]
	s_cbranch_execz .LBB112_53
; %bb.52:
	v_div_scale_f32 v70, s[2:3], v69, v69, 1.0
	v_rcp_f32_e32 v71, v70
	v_div_scale_f32 v72, vcc, 1.0, v69, 1.0
	v_fma_f32 v73, -v70, v71, 1.0
	v_fmac_f32_e32 v71, v73, v71
	v_mul_f32_e32 v73, v72, v71
	v_fma_f32 v74, -v70, v73, v72
	v_fmac_f32_e32 v73, v74, v71
	v_fma_f32 v70, -v70, v73, v72
	v_div_fmas_f32 v70, v70, v71, v73
	v_div_fixup_f32 v69, v70, v69, 1.0
.LBB112_53:
	s_or_b64 exec, exec, s[0:1]
	v_cmp_ne_u32_e32 vcc, v67, v64
	s_and_saveexec_b64 s[0:1], vcc
	s_xor_b64 s[0:1], exec, s[0:1]
	s_cbranch_execz .LBB112_59
; %bb.54:
	v_cmp_eq_u32_e32 vcc, 3, v67
	s_and_saveexec_b64 s[2:3], vcc
	s_cbranch_execz .LBB112_58
; %bb.55:
	v_cmp_ne_u32_e32 vcc, 3, v64
	s_xor_b64 s[12:13], s[20:21], -1
	s_and_b64 s[14:15], s[12:13], vcc
	s_and_saveexec_b64 s[12:13], s[14:15]
	s_cbranch_execz .LBB112_57
; %bb.56:
	v_ashrrev_i32_e32 v65, 31, v64
	v_lshl_add_u64 v[70:71], v[64:65], 2, v[4:5]
	global_load_dword v65, v[70:71], off
	global_load_dword v67, v[4:5], off offset:12
	s_waitcnt vmcnt(1)
	global_store_dword v[4:5], v65, off offset:12
	s_waitcnt vmcnt(1)
	global_store_dword v[70:71], v67, off
.LBB112_57:
	s_or_b64 exec, exec, s[12:13]
	v_mov_b32_e32 v65, v64
	v_mov_b32_e32 v67, v64
.LBB112_58:
	s_or_b64 exec, exec, s[2:3]
.LBB112_59:
	s_andn2_saveexec_b64 s[0:1], s[0:1]
	s_cbranch_execz .LBB112_61
; %bb.60:
	v_pk_mov_b32 v[70:71], v[48:49], v[46:47] op_sel:[1,0]
	ds_write2_b32 v63, v70, v71 offset0:4 offset1:5
	s_waitcnt vmcnt(0)
	v_pk_mov_b32 v[70:71], v[46:47], v[60:61] op_sel:[1,0]
	ds_write2_b32 v63, v70, v71 offset0:6 offset1:7
	v_pk_mov_b32 v[70:71], v[60:61], v[58:59] op_sel:[1,0]
	ds_write2_b32 v63, v70, v71 offset0:8 offset1:9
	;; [unrolled: 2-line block ×24, first 2 shown]
	v_pk_mov_b32 v[70:71], v[0:1], v[10:11] op_sel:[1,0]
	v_mov_b32_e32 v67, 3
	ds_write2_b32 v63, v70, v71 offset0:54 offset1:55
	ds_write_b32 v63, v11 offset:224
.LBB112_61:
	s_or_b64 exec, exec, s[0:1]
	v_cmp_lt_i32_e32 vcc, 3, v67
	s_waitcnt lgkmcnt(0)
	s_barrier
	s_and_saveexec_b64 s[0:1], vcc
	s_cbranch_execz .LBB112_63
; %bb.62:
	ds_read_b32 v64, v63 offset:16
	ds_read2_b32 v[70:71], v63 offset0:5 offset1:6
	ds_read2_b32 v[72:73], v63 offset0:7 offset1:8
	v_mul_f32_e32 v48, v69, v48
	ds_read2_b32 v[74:75], v63 offset0:9 offset1:10
	s_waitcnt lgkmcnt(3)
	v_fma_f32 v49, -v48, v64, v49
	s_waitcnt lgkmcnt(2)
	v_pk_fma_f32 v[46:47], v[48:49], v[70:71], v[46:47] op_sel_hi:[0,1,1] neg_lo:[1,0,0] neg_hi:[1,0,0]
	s_waitcnt vmcnt(0) lgkmcnt(1)
	v_pk_fma_f32 v[60:61], v[48:49], v[72:73], v[60:61] op_sel_hi:[0,1,1] neg_lo:[1,0,0] neg_hi:[1,0,0]
	ds_read2_b32 v[70:71], v63 offset0:11 offset1:12
	ds_read2_b32 v[72:73], v63 offset0:13 offset1:14
	ds_read2_b32 v[76:77], v63 offset0:15 offset1:16
	s_waitcnt lgkmcnt(3)
	v_pk_fma_f32 v[58:59], v[48:49], v[74:75], v[58:59] op_sel_hi:[0,1,1] neg_lo:[1,0,0] neg_hi:[1,0,0]
	ds_read2_b32 v[74:75], v63 offset0:17 offset1:18
	s_waitcnt lgkmcnt(3)
	v_pk_fma_f32 v[56:57], v[48:49], v[70:71], v[56:57] op_sel_hi:[0,1,1] neg_lo:[1,0,0] neg_hi:[1,0,0]
	s_waitcnt lgkmcnt(2)
	v_pk_fma_f32 v[54:55], v[48:49], v[72:73], v[54:55] op_sel_hi:[0,1,1] neg_lo:[1,0,0] neg_hi:[1,0,0]
	s_waitcnt lgkmcnt(1)
	v_pk_fma_f32 v[52:53], v[48:49], v[76:77], v[52:53] op_sel_hi:[0,1,1] neg_lo:[1,0,0] neg_hi:[1,0,0]
	ds_read2_b32 v[70:71], v63 offset0:19 offset1:20
	ds_read2_b32 v[72:73], v63 offset0:21 offset1:22
	ds_read2_b32 v[76:77], v63 offset0:23 offset1:24
	s_waitcnt lgkmcnt(3)
	v_pk_fma_f32 v[44:45], v[48:49], v[74:75], v[44:45] op_sel_hi:[0,1,1] neg_lo:[1,0,0] neg_hi:[1,0,0]
	ds_read2_b32 v[74:75], v63 offset0:25 offset1:26
	s_waitcnt lgkmcnt(3)
	v_pk_fma_f32 v[40:41], v[48:49], v[70:71], v[40:41] op_sel_hi:[0,1,1] neg_lo:[1,0,0] neg_hi:[1,0,0]
	s_waitcnt lgkmcnt(2)
	v_pk_fma_f32 v[34:35], v[48:49], v[72:73], v[34:35] op_sel_hi:[0,1,1] neg_lo:[1,0,0] neg_hi:[1,0,0]
	s_waitcnt lgkmcnt(1)
	;; [unrolled: 12-line block ×3, first 2 shown]
	v_pk_fma_f32 v[20:21], v[48:49], v[76:77], v[20:21] op_sel_hi:[0,1,1] neg_lo:[1,0,0] neg_hi:[1,0,0]
	ds_read2_b32 v[70:71], v63 offset0:35 offset1:36
	ds_read2_b32 v[72:73], v63 offset0:37 offset1:38
	ds_read2_b32 v[76:77], v63 offset0:39 offset1:40
	s_waitcnt lgkmcnt(3)
	v_pk_fma_f32 v[38:39], v[48:49], v[74:75], v[38:39] op_sel_hi:[0,1,1] neg_lo:[1,0,0] neg_hi:[1,0,0]
	ds_read2_b32 v[74:75], v63 offset0:41 offset1:42
	s_waitcnt lgkmcnt(3)
	v_pk_fma_f32 v[30:31], v[48:49], v[70:71], v[30:31] op_sel_hi:[0,1,1] neg_lo:[1,0,0] neg_hi:[1,0,0]
	s_waitcnt lgkmcnt(2)
	v_pk_fma_f32 v[22:23], v[48:49], v[72:73], v[22:23] op_sel_hi:[0,1,1] neg_lo:[1,0,0] neg_hi:[1,0,0]
	ds_read2_b32 v[70:71], v63 offset0:43 offset1:44
	ds_read2_b32 v[72:73], v63 offset0:45 offset1:46
	s_waitcnt lgkmcnt(3)
	v_pk_fma_f32 v[16:17], v[48:49], v[76:77], v[16:17] op_sel_hi:[0,1,1] neg_lo:[1,0,0] neg_hi:[1,0,0]
	s_waitcnt lgkmcnt(2)
	v_pk_fma_f32 v[32:33], v[48:49], v[74:75], v[32:33] op_sel_hi:[0,1,1] neg_lo:[1,0,0] neg_hi:[1,0,0]
	ds_read2_b32 v[74:75], v63 offset0:47 offset1:48
	;; [unrolled: 6-line block ×3, first 2 shown]
	ds_read2_b32 v[72:73], v63 offset0:53 offset1:54
	ds_read2_b32 v[78:79], v63 offset0:55 offset1:56
	s_waitcnt lgkmcnt(4)
	v_pk_fma_f32 v[8:9], v[48:49], v[74:75], v[8:9] op_sel_hi:[0,1,1] neg_lo:[1,0,0] neg_hi:[1,0,0]
	s_waitcnt lgkmcnt(3)
	v_pk_fma_f32 v[14:15], v[48:49], v[76:77], v[14:15] op_sel_hi:[0,1,1] neg_lo:[1,0,0] neg_hi:[1,0,0]
	;; [unrolled: 2-line block ×5, first 2 shown]
.LBB112_63:
	s_or_b64 exec, exec, s[0:1]
	v_lshl_add_u32 v64, v67, 2, v63
	s_barrier
	ds_write_b32 v64, v49
	s_waitcnt lgkmcnt(0)
	s_barrier
	ds_read_b32 v69, v63 offset:16
	s_cmp_lt_i32 s22, 6
	v_mov_b32_e32 v64, 4
	s_cbranch_scc1 .LBB112_66
; %bb.64:
	v_add3_u32 v70, v66, 0, 20
	v_mov_b32_e32 v64, 4
	s_mov_b32 s0, 5
.LBB112_65:                             ; =>This Inner Loop Header: Depth=1
	ds_read_b32 v71, v70
	v_mov_b32_e32 v72, s0
	s_add_i32 s0, s0, 1
	v_add_u32_e32 v70, 4, v70
	s_cmp_lg_u32 s22, s0
	s_waitcnt lgkmcnt(0)
	v_cmp_lt_f32_e64 vcc, |v69|, |v71|
	s_nop 1
	v_cndmask_b32_e32 v69, v69, v71, vcc
	v_cndmask_b32_e32 v64, v64, v72, vcc
	s_cbranch_scc1 .LBB112_65
.LBB112_66:
	s_waitcnt lgkmcnt(0)
	v_cmp_eq_f32_e32 vcc, 0, v69
	s_and_saveexec_b64 s[0:1], vcc
	s_xor_b64 s[0:1], exec, s[0:1]
; %bb.67:
	v_cmp_ne_u32_e32 vcc, 0, v68
	s_nop 1
	v_cndmask_b32_e32 v68, 5, v68, vcc
; %bb.68:
	s_andn2_saveexec_b64 s[0:1], s[0:1]
	s_cbranch_execz .LBB112_70
; %bb.69:
	v_div_scale_f32 v70, s[2:3], v69, v69, 1.0
	v_rcp_f32_e32 v71, v70
	v_div_scale_f32 v72, vcc, 1.0, v69, 1.0
	v_fma_f32 v73, -v70, v71, 1.0
	v_fmac_f32_e32 v71, v73, v71
	v_mul_f32_e32 v73, v72, v71
	v_fma_f32 v74, -v70, v73, v72
	v_fmac_f32_e32 v73, v74, v71
	v_fma_f32 v70, -v70, v73, v72
	v_div_fmas_f32 v70, v70, v71, v73
	v_div_fixup_f32 v69, v70, v69, 1.0
.LBB112_70:
	s_or_b64 exec, exec, s[0:1]
	v_cmp_ne_u32_e32 vcc, v67, v64
	s_and_saveexec_b64 s[0:1], vcc
	s_xor_b64 s[0:1], exec, s[0:1]
	s_cbranch_execz .LBB112_76
; %bb.71:
	v_cmp_eq_u32_e32 vcc, 4, v67
	s_and_saveexec_b64 s[2:3], vcc
	s_cbranch_execz .LBB112_75
; %bb.72:
	v_cmp_ne_u32_e32 vcc, 4, v64
	s_xor_b64 s[12:13], s[20:21], -1
	s_and_b64 s[14:15], s[12:13], vcc
	s_and_saveexec_b64 s[12:13], s[14:15]
	s_cbranch_execz .LBB112_74
; %bb.73:
	v_ashrrev_i32_e32 v65, 31, v64
	v_lshl_add_u64 v[70:71], v[64:65], 2, v[4:5]
	global_load_dword v65, v[70:71], off
	global_load_dword v67, v[4:5], off offset:16
	s_waitcnt vmcnt(1)
	global_store_dword v[4:5], v65, off offset:16
	s_waitcnt vmcnt(1)
	global_store_dword v[70:71], v67, off
.LBB112_74:
	s_or_b64 exec, exec, s[12:13]
	v_mov_b32_e32 v65, v64
	v_mov_b32_e32 v67, v64
.LBB112_75:
	s_or_b64 exec, exec, s[2:3]
.LBB112_76:
	s_andn2_saveexec_b64 s[0:1], s[0:1]
	s_cbranch_execz .LBB112_78
; %bb.77:
	v_mov_b32_e32 v67, 4
	ds_write2_b32 v63, v46, v47 offset0:5 offset1:6
	s_waitcnt vmcnt(0)
	ds_write2_b32 v63, v60, v61 offset0:7 offset1:8
	ds_write2_b32 v63, v58, v59 offset0:9 offset1:10
	;; [unrolled: 1-line block ×25, first 2 shown]
.LBB112_78:
	s_or_b64 exec, exec, s[0:1]
	v_cmp_lt_i32_e32 vcc, 4, v67
	s_waitcnt lgkmcnt(0)
	s_barrier
	s_and_saveexec_b64 s[0:1], vcc
	s_cbranch_execz .LBB112_80
; %bb.79:
	ds_read2_b32 v[70:71], v63 offset0:5 offset1:6
	ds_read2_b32 v[72:73], v63 offset0:7 offset1:8
	;; [unrolled: 1-line block ×4, first 2 shown]
	v_mul_f32_e32 v64, v69, v49
	s_waitcnt lgkmcnt(3)
	v_pk_fma_f32 v[46:47], v[64:65], v[70:71], v[46:47] op_sel_hi:[0,1,1] neg_lo:[1,0,0] neg_hi:[1,0,0]
	s_waitcnt vmcnt(0) lgkmcnt(2)
	v_pk_fma_f32 v[60:61], v[64:65], v[72:73], v[60:61] op_sel_hi:[0,1,1] neg_lo:[1,0,0] neg_hi:[1,0,0]
	s_waitcnt lgkmcnt(1)
	v_pk_fma_f32 v[58:59], v[64:65], v[74:75], v[58:59] op_sel_hi:[0,1,1] neg_lo:[1,0,0] neg_hi:[1,0,0]
	ds_read2_b32 v[70:71], v63 offset0:13 offset1:14
	ds_read2_b32 v[72:73], v63 offset0:15 offset1:16
	ds_read2_b32 v[74:75], v63 offset0:17 offset1:18
	s_waitcnt lgkmcnt(3)
	v_pk_fma_f32 v[56:57], v[64:65], v[76:77], v[56:57] op_sel_hi:[0,1,1] neg_lo:[1,0,0] neg_hi:[1,0,0]
	ds_read2_b32 v[76:77], v63 offset0:19 offset1:20
	s_waitcnt lgkmcnt(3)
	v_pk_fma_f32 v[54:55], v[64:65], v[70:71], v[54:55] op_sel_hi:[0,1,1] neg_lo:[1,0,0] neg_hi:[1,0,0]
	s_waitcnt lgkmcnt(2)
	v_pk_fma_f32 v[52:53], v[64:65], v[72:73], v[52:53] op_sel_hi:[0,1,1] neg_lo:[1,0,0] neg_hi:[1,0,0]
	s_waitcnt lgkmcnt(1)
	v_pk_fma_f32 v[44:45], v[64:65], v[74:75], v[44:45] op_sel_hi:[0,1,1] neg_lo:[1,0,0] neg_hi:[1,0,0]
	ds_read2_b32 v[70:71], v63 offset0:21 offset1:22
	ds_read2_b32 v[72:73], v63 offset0:23 offset1:24
	ds_read2_b32 v[74:75], v63 offset0:25 offset1:26
	s_waitcnt lgkmcnt(3)
	v_pk_fma_f32 v[40:41], v[64:65], v[76:77], v[40:41] op_sel_hi:[0,1,1] neg_lo:[1,0,0] neg_hi:[1,0,0]
	ds_read2_b32 v[76:77], v63 offset0:27 offset1:28
	s_waitcnt lgkmcnt(3)
	v_pk_fma_f32 v[34:35], v[64:65], v[70:71], v[34:35] op_sel_hi:[0,1,1] neg_lo:[1,0,0] neg_hi:[1,0,0]
	s_waitcnt lgkmcnt(2)
	;; [unrolled: 12-line block ×3, first 2 shown]
	v_pk_fma_f32 v[20:21], v[64:65], v[72:73], v[20:21] op_sel_hi:[0,1,1] neg_lo:[1,0,0] neg_hi:[1,0,0]
	s_waitcnt lgkmcnt(1)
	v_pk_fma_f32 v[38:39], v[64:65], v[74:75], v[38:39] op_sel_hi:[0,1,1] neg_lo:[1,0,0] neg_hi:[1,0,0]
	ds_read2_b32 v[70:71], v63 offset0:37 offset1:38
	ds_read2_b32 v[72:73], v63 offset0:39 offset1:40
	;; [unrolled: 1-line block ×3, first 2 shown]
	s_waitcnt lgkmcnt(3)
	v_pk_fma_f32 v[30:31], v[64:65], v[76:77], v[30:31] op_sel_hi:[0,1,1] neg_lo:[1,0,0] neg_hi:[1,0,0]
	ds_read2_b32 v[76:77], v63 offset0:43 offset1:44
	s_waitcnt lgkmcnt(3)
	v_pk_fma_f32 v[22:23], v[64:65], v[70:71], v[22:23] op_sel_hi:[0,1,1] neg_lo:[1,0,0] neg_hi:[1,0,0]
	ds_read2_b32 v[70:71], v63 offset0:45 offset1:46
	s_waitcnt lgkmcnt(3)
	v_pk_fma_f32 v[16:17], v[64:65], v[72:73], v[16:17] op_sel_hi:[0,1,1] neg_lo:[1,0,0] neg_hi:[1,0,0]
	s_waitcnt lgkmcnt(2)
	v_pk_fma_f32 v[32:33], v[64:65], v[74:75], v[32:33] op_sel_hi:[0,1,1] neg_lo:[1,0,0] neg_hi:[1,0,0]
	;; [unrolled: 2-line block ×3, first 2 shown]
	ds_read2_b32 v[72:73], v63 offset0:47 offset1:48
	ds_read2_b32 v[74:75], v63 offset0:49 offset1:50
	;; [unrolled: 1-line block ×3, first 2 shown]
	s_waitcnt lgkmcnt(3)
	v_pk_fma_f32 v[18:19], v[64:65], v[70:71], v[18:19] op_sel_hi:[0,1,1] neg_lo:[1,0,0] neg_hi:[1,0,0]
	ds_read2_b32 v[70:71], v63 offset0:53 offset1:54
	ds_read2_b32 v[78:79], v63 offset0:55 offset1:56
	s_waitcnt lgkmcnt(4)
	v_pk_fma_f32 v[8:9], v[64:65], v[72:73], v[8:9] op_sel_hi:[0,1,1] neg_lo:[1,0,0] neg_hi:[1,0,0]
	s_waitcnt lgkmcnt(3)
	v_pk_fma_f32 v[14:15], v[64:65], v[74:75], v[14:15] op_sel_hi:[0,1,1] neg_lo:[1,0,0] neg_hi:[1,0,0]
	;; [unrolled: 2-line block ×5, first 2 shown]
	v_mov_b32_e32 v49, v64
.LBB112_80:
	s_or_b64 exec, exec, s[0:1]
	v_lshl_add_u32 v64, v67, 2, v63
	s_barrier
	ds_write_b32 v64, v46
	s_waitcnt lgkmcnt(0)
	s_barrier
	ds_read_b32 v69, v63 offset:20
	s_cmp_lt_i32 s22, 7
	v_mov_b32_e32 v64, 5
	s_cbranch_scc1 .LBB112_83
; %bb.81:
	v_add3_u32 v70, v66, 0, 24
	v_mov_b32_e32 v64, 5
	s_mov_b32 s0, 6
.LBB112_82:                             ; =>This Inner Loop Header: Depth=1
	ds_read_b32 v71, v70
	v_mov_b32_e32 v72, s0
	s_add_i32 s0, s0, 1
	v_add_u32_e32 v70, 4, v70
	s_cmp_lg_u32 s22, s0
	s_waitcnt lgkmcnt(0)
	v_cmp_lt_f32_e64 vcc, |v69|, |v71|
	s_nop 1
	v_cndmask_b32_e32 v69, v69, v71, vcc
	v_cndmask_b32_e32 v64, v64, v72, vcc
	s_cbranch_scc1 .LBB112_82
.LBB112_83:
	s_waitcnt lgkmcnt(0)
	v_cmp_eq_f32_e32 vcc, 0, v69
	s_and_saveexec_b64 s[0:1], vcc
	s_xor_b64 s[0:1], exec, s[0:1]
; %bb.84:
	v_cmp_ne_u32_e32 vcc, 0, v68
	s_nop 1
	v_cndmask_b32_e32 v68, 6, v68, vcc
; %bb.85:
	s_andn2_saveexec_b64 s[0:1], s[0:1]
	s_cbranch_execz .LBB112_87
; %bb.86:
	v_div_scale_f32 v70, s[2:3], v69, v69, 1.0
	v_rcp_f32_e32 v71, v70
	v_div_scale_f32 v72, vcc, 1.0, v69, 1.0
	v_fma_f32 v73, -v70, v71, 1.0
	v_fmac_f32_e32 v71, v73, v71
	v_mul_f32_e32 v73, v72, v71
	v_fma_f32 v74, -v70, v73, v72
	v_fmac_f32_e32 v73, v74, v71
	v_fma_f32 v70, -v70, v73, v72
	v_div_fmas_f32 v70, v70, v71, v73
	v_div_fixup_f32 v69, v70, v69, 1.0
.LBB112_87:
	s_or_b64 exec, exec, s[0:1]
	v_cmp_ne_u32_e32 vcc, v67, v64
	s_and_saveexec_b64 s[0:1], vcc
	s_xor_b64 s[0:1], exec, s[0:1]
	s_cbranch_execz .LBB112_93
; %bb.88:
	v_cmp_eq_u32_e32 vcc, 5, v67
	s_and_saveexec_b64 s[2:3], vcc
	s_cbranch_execz .LBB112_92
; %bb.89:
	v_cmp_ne_u32_e32 vcc, 5, v64
	s_xor_b64 s[12:13], s[20:21], -1
	s_and_b64 s[14:15], s[12:13], vcc
	s_and_saveexec_b64 s[12:13], s[14:15]
	s_cbranch_execz .LBB112_91
; %bb.90:
	v_ashrrev_i32_e32 v65, 31, v64
	v_lshl_add_u64 v[70:71], v[64:65], 2, v[4:5]
	global_load_dword v65, v[70:71], off
	global_load_dword v67, v[4:5], off offset:20
	s_waitcnt vmcnt(1)
	global_store_dword v[4:5], v65, off offset:20
	s_waitcnt vmcnt(1)
	global_store_dword v[70:71], v67, off
.LBB112_91:
	s_or_b64 exec, exec, s[12:13]
	v_mov_b32_e32 v65, v64
	v_mov_b32_e32 v67, v64
.LBB112_92:
	s_or_b64 exec, exec, s[2:3]
.LBB112_93:
	s_andn2_saveexec_b64 s[0:1], s[0:1]
	s_cbranch_execz .LBB112_95
; %bb.94:
	s_waitcnt vmcnt(0)
	v_pk_mov_b32 v[70:71], v[46:47], v[60:61] op_sel:[1,0]
	ds_write2_b32 v63, v70, v71 offset0:6 offset1:7
	v_pk_mov_b32 v[70:71], v[60:61], v[58:59] op_sel:[1,0]
	ds_write2_b32 v63, v70, v71 offset0:8 offset1:9
	;; [unrolled: 2-line block ×24, first 2 shown]
	v_pk_mov_b32 v[70:71], v[0:1], v[10:11] op_sel:[1,0]
	v_mov_b32_e32 v67, 5
	ds_write2_b32 v63, v70, v71 offset0:54 offset1:55
	ds_write_b32 v63, v11 offset:224
.LBB112_95:
	s_or_b64 exec, exec, s[0:1]
	v_cmp_lt_i32_e32 vcc, 5, v67
	s_waitcnt lgkmcnt(0)
	s_barrier
	s_and_saveexec_b64 s[0:1], vcc
	s_cbranch_execz .LBB112_97
; %bb.96:
	ds_read_b32 v64, v63 offset:24
	ds_read2_b32 v[70:71], v63 offset0:7 offset1:8
	ds_read2_b32 v[72:73], v63 offset0:9 offset1:10
	v_mul_f32_e32 v46, v69, v46
	ds_read2_b32 v[74:75], v63 offset0:11 offset1:12
	s_waitcnt lgkmcnt(3)
	v_fma_f32 v47, -v46, v64, v47
	s_waitcnt vmcnt(0) lgkmcnt(2)
	v_pk_fma_f32 v[60:61], v[46:47], v[70:71], v[60:61] op_sel_hi:[0,1,1] neg_lo:[1,0,0] neg_hi:[1,0,0]
	s_waitcnt lgkmcnt(1)
	v_pk_fma_f32 v[58:59], v[46:47], v[72:73], v[58:59] op_sel_hi:[0,1,1] neg_lo:[1,0,0] neg_hi:[1,0,0]
	ds_read2_b32 v[70:71], v63 offset0:13 offset1:14
	ds_read2_b32 v[72:73], v63 offset0:15 offset1:16
	ds_read2_b32 v[76:77], v63 offset0:17 offset1:18
	s_waitcnt lgkmcnt(3)
	v_pk_fma_f32 v[56:57], v[46:47], v[74:75], v[56:57] op_sel_hi:[0,1,1] neg_lo:[1,0,0] neg_hi:[1,0,0]
	ds_read2_b32 v[74:75], v63 offset0:19 offset1:20
	s_waitcnt lgkmcnt(3)
	v_pk_fma_f32 v[54:55], v[46:47], v[70:71], v[54:55] op_sel_hi:[0,1,1] neg_lo:[1,0,0] neg_hi:[1,0,0]
	s_waitcnt lgkmcnt(2)
	v_pk_fma_f32 v[52:53], v[46:47], v[72:73], v[52:53] op_sel_hi:[0,1,1] neg_lo:[1,0,0] neg_hi:[1,0,0]
	s_waitcnt lgkmcnt(1)
	v_pk_fma_f32 v[44:45], v[46:47], v[76:77], v[44:45] op_sel_hi:[0,1,1] neg_lo:[1,0,0] neg_hi:[1,0,0]
	ds_read2_b32 v[70:71], v63 offset0:21 offset1:22
	ds_read2_b32 v[72:73], v63 offset0:23 offset1:24
	ds_read2_b32 v[76:77], v63 offset0:25 offset1:26
	s_waitcnt lgkmcnt(3)
	v_pk_fma_f32 v[40:41], v[46:47], v[74:75], v[40:41] op_sel_hi:[0,1,1] neg_lo:[1,0,0] neg_hi:[1,0,0]
	ds_read2_b32 v[74:75], v63 offset0:27 offset1:28
	s_waitcnt lgkmcnt(3)
	v_pk_fma_f32 v[34:35], v[46:47], v[70:71], v[34:35] op_sel_hi:[0,1,1] neg_lo:[1,0,0] neg_hi:[1,0,0]
	s_waitcnt lgkmcnt(2)
	v_pk_fma_f32 v[26:27], v[46:47], v[72:73], v[26:27] op_sel_hi:[0,1,1] neg_lo:[1,0,0] neg_hi:[1,0,0]
	s_waitcnt lgkmcnt(1)
	v_pk_fma_f32 v[42:43], v[46:47], v[76:77], v[42:43] op_sel_hi:[0,1,1] neg_lo:[1,0,0] neg_hi:[1,0,0]
	ds_read2_b32 v[70:71], v63 offset0:29 offset1:30
	ds_read2_b32 v[72:73], v63 offset0:31 offset1:32
	ds_read2_b32 v[76:77], v63 offset0:33 offset1:34
	s_waitcnt lgkmcnt(3)
	v_pk_fma_f32 v[36:37], v[46:47], v[74:75], v[36:37] op_sel_hi:[0,1,1] neg_lo:[1,0,0] neg_hi:[1,0,0]
	ds_read2_b32 v[74:75], v63 offset0:35 offset1:36
	s_waitcnt lgkmcnt(3)
	v_pk_fma_f32 v[28:29], v[46:47], v[70:71], v[28:29] op_sel_hi:[0,1,1] neg_lo:[1,0,0] neg_hi:[1,0,0]
	s_waitcnt lgkmcnt(2)
	v_pk_fma_f32 v[20:21], v[46:47], v[72:73], v[20:21] op_sel_hi:[0,1,1] neg_lo:[1,0,0] neg_hi:[1,0,0]
	s_waitcnt lgkmcnt(1)
	v_pk_fma_f32 v[38:39], v[46:47], v[76:77], v[38:39] op_sel_hi:[0,1,1] neg_lo:[1,0,0] neg_hi:[1,0,0]
	ds_read2_b32 v[70:71], v63 offset0:37 offset1:38
	ds_read2_b32 v[72:73], v63 offset0:39 offset1:40
	;; [unrolled: 1-line block ×3, first 2 shown]
	s_waitcnt lgkmcnt(3)
	v_pk_fma_f32 v[30:31], v[46:47], v[74:75], v[30:31] op_sel_hi:[0,1,1] neg_lo:[1,0,0] neg_hi:[1,0,0]
	ds_read2_b32 v[74:75], v63 offset0:43 offset1:44
	s_waitcnt lgkmcnt(3)
	v_pk_fma_f32 v[22:23], v[46:47], v[70:71], v[22:23] op_sel_hi:[0,1,1] neg_lo:[1,0,0] neg_hi:[1,0,0]
	ds_read2_b32 v[70:71], v63 offset0:45 offset1:46
	s_waitcnt lgkmcnt(3)
	v_pk_fma_f32 v[16:17], v[46:47], v[72:73], v[16:17] op_sel_hi:[0,1,1] neg_lo:[1,0,0] neg_hi:[1,0,0]
	s_waitcnt lgkmcnt(2)
	v_pk_fma_f32 v[32:33], v[46:47], v[76:77], v[32:33] op_sel_hi:[0,1,1] neg_lo:[1,0,0] neg_hi:[1,0,0]
	;; [unrolled: 2-line block ×3, first 2 shown]
	ds_read2_b32 v[72:73], v63 offset0:47 offset1:48
	ds_read2_b32 v[74:75], v63 offset0:49 offset1:50
	;; [unrolled: 1-line block ×3, first 2 shown]
	s_waitcnt lgkmcnt(3)
	v_pk_fma_f32 v[18:19], v[46:47], v[70:71], v[18:19] op_sel_hi:[0,1,1] neg_lo:[1,0,0] neg_hi:[1,0,0]
	ds_read2_b32 v[70:71], v63 offset0:53 offset1:54
	ds_read2_b32 v[78:79], v63 offset0:55 offset1:56
	s_waitcnt lgkmcnt(4)
	v_pk_fma_f32 v[8:9], v[46:47], v[72:73], v[8:9] op_sel_hi:[0,1,1] neg_lo:[1,0,0] neg_hi:[1,0,0]
	s_waitcnt lgkmcnt(3)
	v_pk_fma_f32 v[14:15], v[46:47], v[74:75], v[14:15] op_sel_hi:[0,1,1] neg_lo:[1,0,0] neg_hi:[1,0,0]
	;; [unrolled: 2-line block ×5, first 2 shown]
.LBB112_97:
	s_or_b64 exec, exec, s[0:1]
	v_lshl_add_u32 v64, v67, 2, v63
	s_barrier
	ds_write_b32 v64, v47
	s_waitcnt lgkmcnt(0)
	s_barrier
	ds_read_b32 v69, v63 offset:24
	s_cmp_lt_i32 s22, 8
	v_mov_b32_e32 v64, 6
	s_cbranch_scc1 .LBB112_100
; %bb.98:
	v_add3_u32 v70, v66, 0, 28
	v_mov_b32_e32 v64, 6
	s_mov_b32 s0, 7
.LBB112_99:                             ; =>This Inner Loop Header: Depth=1
	ds_read_b32 v71, v70
	v_mov_b32_e32 v72, s0
	s_add_i32 s0, s0, 1
	v_add_u32_e32 v70, 4, v70
	s_cmp_lg_u32 s22, s0
	s_waitcnt lgkmcnt(0)
	v_cmp_lt_f32_e64 vcc, |v69|, |v71|
	s_nop 1
	v_cndmask_b32_e32 v69, v69, v71, vcc
	v_cndmask_b32_e32 v64, v64, v72, vcc
	s_cbranch_scc1 .LBB112_99
.LBB112_100:
	s_waitcnt lgkmcnt(0)
	v_cmp_eq_f32_e32 vcc, 0, v69
	s_and_saveexec_b64 s[0:1], vcc
	s_xor_b64 s[0:1], exec, s[0:1]
; %bb.101:
	v_cmp_ne_u32_e32 vcc, 0, v68
	s_nop 1
	v_cndmask_b32_e32 v68, 7, v68, vcc
; %bb.102:
	s_andn2_saveexec_b64 s[0:1], s[0:1]
	s_cbranch_execz .LBB112_104
; %bb.103:
	v_div_scale_f32 v70, s[2:3], v69, v69, 1.0
	v_rcp_f32_e32 v71, v70
	v_div_scale_f32 v72, vcc, 1.0, v69, 1.0
	v_fma_f32 v73, -v70, v71, 1.0
	v_fmac_f32_e32 v71, v73, v71
	v_mul_f32_e32 v73, v72, v71
	v_fma_f32 v74, -v70, v73, v72
	v_fmac_f32_e32 v73, v74, v71
	v_fma_f32 v70, -v70, v73, v72
	v_div_fmas_f32 v70, v70, v71, v73
	v_div_fixup_f32 v69, v70, v69, 1.0
.LBB112_104:
	s_or_b64 exec, exec, s[0:1]
	v_cmp_ne_u32_e32 vcc, v67, v64
	s_and_saveexec_b64 s[0:1], vcc
	s_xor_b64 s[0:1], exec, s[0:1]
	s_cbranch_execz .LBB112_110
; %bb.105:
	v_cmp_eq_u32_e32 vcc, 6, v67
	s_and_saveexec_b64 s[2:3], vcc
	s_cbranch_execz .LBB112_109
; %bb.106:
	v_cmp_ne_u32_e32 vcc, 6, v64
	s_xor_b64 s[12:13], s[20:21], -1
	s_and_b64 s[14:15], s[12:13], vcc
	s_and_saveexec_b64 s[12:13], s[14:15]
	s_cbranch_execz .LBB112_108
; %bb.107:
	v_ashrrev_i32_e32 v65, 31, v64
	v_lshl_add_u64 v[70:71], v[64:65], 2, v[4:5]
	global_load_dword v65, v[70:71], off
	global_load_dword v67, v[4:5], off offset:24
	s_waitcnt vmcnt(1)
	global_store_dword v[4:5], v65, off offset:24
	s_waitcnt vmcnt(1)
	global_store_dword v[70:71], v67, off
.LBB112_108:
	s_or_b64 exec, exec, s[12:13]
	v_mov_b32_e32 v65, v64
	v_mov_b32_e32 v67, v64
.LBB112_109:
	s_or_b64 exec, exec, s[2:3]
.LBB112_110:
	s_andn2_saveexec_b64 s[0:1], s[0:1]
	s_cbranch_execz .LBB112_112
; %bb.111:
	v_mov_b32_e32 v67, 6
	s_waitcnt vmcnt(0)
	ds_write2_b32 v63, v60, v61 offset0:7 offset1:8
	ds_write2_b32 v63, v58, v59 offset0:9 offset1:10
	;; [unrolled: 1-line block ×25, first 2 shown]
.LBB112_112:
	s_or_b64 exec, exec, s[0:1]
	v_cmp_lt_i32_e32 vcc, 6, v67
	s_waitcnt lgkmcnt(0)
	s_barrier
	s_and_saveexec_b64 s[0:1], vcc
	s_cbranch_execz .LBB112_114
; %bb.113:
	ds_read2_b32 v[70:71], v63 offset0:7 offset1:8
	ds_read2_b32 v[72:73], v63 offset0:9 offset1:10
	;; [unrolled: 1-line block ×3, first 2 shown]
	v_mul_f32_e32 v64, v69, v47
	ds_read2_b32 v[76:77], v63 offset0:13 offset1:14
	s_waitcnt vmcnt(0) lgkmcnt(3)
	v_pk_fma_f32 v[60:61], v[64:65], v[70:71], v[60:61] op_sel_hi:[0,1,1] neg_lo:[1,0,0] neg_hi:[1,0,0]
	s_waitcnt lgkmcnt(2)
	v_pk_fma_f32 v[58:59], v[64:65], v[72:73], v[58:59] op_sel_hi:[0,1,1] neg_lo:[1,0,0] neg_hi:[1,0,0]
	s_waitcnt lgkmcnt(1)
	v_pk_fma_f32 v[56:57], v[64:65], v[74:75], v[56:57] op_sel_hi:[0,1,1] neg_lo:[1,0,0] neg_hi:[1,0,0]
	ds_read2_b32 v[70:71], v63 offset0:15 offset1:16
	ds_read2_b32 v[72:73], v63 offset0:17 offset1:18
	ds_read2_b32 v[74:75], v63 offset0:19 offset1:20
	s_waitcnt lgkmcnt(3)
	v_pk_fma_f32 v[54:55], v[64:65], v[76:77], v[54:55] op_sel_hi:[0,1,1] neg_lo:[1,0,0] neg_hi:[1,0,0]
	ds_read2_b32 v[76:77], v63 offset0:21 offset1:22
	s_waitcnt lgkmcnt(3)
	v_pk_fma_f32 v[52:53], v[64:65], v[70:71], v[52:53] op_sel_hi:[0,1,1] neg_lo:[1,0,0] neg_hi:[1,0,0]
	s_waitcnt lgkmcnt(2)
	v_pk_fma_f32 v[44:45], v[64:65], v[72:73], v[44:45] op_sel_hi:[0,1,1] neg_lo:[1,0,0] neg_hi:[1,0,0]
	s_waitcnt lgkmcnt(1)
	v_pk_fma_f32 v[40:41], v[64:65], v[74:75], v[40:41] op_sel_hi:[0,1,1] neg_lo:[1,0,0] neg_hi:[1,0,0]
	ds_read2_b32 v[70:71], v63 offset0:23 offset1:24
	ds_read2_b32 v[72:73], v63 offset0:25 offset1:26
	ds_read2_b32 v[74:75], v63 offset0:27 offset1:28
	s_waitcnt lgkmcnt(3)
	v_pk_fma_f32 v[34:35], v[64:65], v[76:77], v[34:35] op_sel_hi:[0,1,1] neg_lo:[1,0,0] neg_hi:[1,0,0]
	ds_read2_b32 v[76:77], v63 offset0:29 offset1:30
	s_waitcnt lgkmcnt(3)
	;; [unrolled: 12-line block ×3, first 2 shown]
	v_pk_fma_f32 v[20:21], v[64:65], v[70:71], v[20:21] op_sel_hi:[0,1,1] neg_lo:[1,0,0] neg_hi:[1,0,0]
	s_waitcnt lgkmcnt(2)
	v_pk_fma_f32 v[38:39], v[64:65], v[72:73], v[38:39] op_sel_hi:[0,1,1] neg_lo:[1,0,0] neg_hi:[1,0,0]
	s_waitcnt lgkmcnt(1)
	v_pk_fma_f32 v[30:31], v[64:65], v[74:75], v[30:31] op_sel_hi:[0,1,1] neg_lo:[1,0,0] neg_hi:[1,0,0]
	ds_read2_b32 v[70:71], v63 offset0:39 offset1:40
	ds_read2_b32 v[72:73], v63 offset0:41 offset1:42
	;; [unrolled: 1-line block ×4, first 2 shown]
	s_waitcnt lgkmcnt(4)
	v_pk_fma_f32 v[22:23], v[64:65], v[76:77], v[22:23] op_sel_hi:[0,1,1] neg_lo:[1,0,0] neg_hi:[1,0,0]
	s_waitcnt lgkmcnt(3)
	v_pk_fma_f32 v[16:17], v[64:65], v[70:71], v[16:17] op_sel_hi:[0,1,1] neg_lo:[1,0,0] neg_hi:[1,0,0]
	;; [unrolled: 2-line block ×5, first 2 shown]
	ds_read2_b32 v[70:71], v63 offset0:47 offset1:48
	ds_read2_b32 v[72:73], v63 offset0:49 offset1:50
	;; [unrolled: 1-line block ×5, first 2 shown]
	s_waitcnt lgkmcnt(4)
	v_pk_fma_f32 v[8:9], v[64:65], v[70:71], v[8:9] op_sel_hi:[0,1,1] neg_lo:[1,0,0] neg_hi:[1,0,0]
	s_waitcnt lgkmcnt(3)
	v_pk_fma_f32 v[14:15], v[64:65], v[72:73], v[14:15] op_sel_hi:[0,1,1] neg_lo:[1,0,0] neg_hi:[1,0,0]
	;; [unrolled: 2-line block ×5, first 2 shown]
	v_mov_b32_e32 v47, v64
.LBB112_114:
	s_or_b64 exec, exec, s[0:1]
	v_lshl_add_u32 v64, v67, 2, v63
	s_barrier
	ds_write_b32 v64, v60
	s_waitcnt lgkmcnt(0)
	s_barrier
	ds_read_b32 v69, v63 offset:28
	s_cmp_lt_i32 s22, 9
	v_mov_b32_e32 v64, 7
	s_cbranch_scc1 .LBB112_117
; %bb.115:
	v_add3_u32 v70, v66, 0, 32
	v_mov_b32_e32 v64, 7
	s_mov_b32 s0, 8
.LBB112_116:                            ; =>This Inner Loop Header: Depth=1
	ds_read_b32 v71, v70
	v_mov_b32_e32 v72, s0
	s_add_i32 s0, s0, 1
	v_add_u32_e32 v70, 4, v70
	s_cmp_lg_u32 s22, s0
	s_waitcnt lgkmcnt(0)
	v_cmp_lt_f32_e64 vcc, |v69|, |v71|
	s_nop 1
	v_cndmask_b32_e32 v69, v69, v71, vcc
	v_cndmask_b32_e32 v64, v64, v72, vcc
	s_cbranch_scc1 .LBB112_116
.LBB112_117:
	s_waitcnt lgkmcnt(0)
	v_cmp_eq_f32_e32 vcc, 0, v69
	s_and_saveexec_b64 s[0:1], vcc
	s_xor_b64 s[0:1], exec, s[0:1]
; %bb.118:
	v_cmp_ne_u32_e32 vcc, 0, v68
	s_nop 1
	v_cndmask_b32_e32 v68, 8, v68, vcc
; %bb.119:
	s_andn2_saveexec_b64 s[0:1], s[0:1]
	s_cbranch_execz .LBB112_121
; %bb.120:
	v_div_scale_f32 v70, s[2:3], v69, v69, 1.0
	v_rcp_f32_e32 v71, v70
	v_div_scale_f32 v72, vcc, 1.0, v69, 1.0
	v_fma_f32 v73, -v70, v71, 1.0
	v_fmac_f32_e32 v71, v73, v71
	v_mul_f32_e32 v73, v72, v71
	v_fma_f32 v74, -v70, v73, v72
	v_fmac_f32_e32 v73, v74, v71
	v_fma_f32 v70, -v70, v73, v72
	v_div_fmas_f32 v70, v70, v71, v73
	v_div_fixup_f32 v69, v70, v69, 1.0
.LBB112_121:
	s_or_b64 exec, exec, s[0:1]
	v_cmp_ne_u32_e32 vcc, v67, v64
	s_and_saveexec_b64 s[0:1], vcc
	s_xor_b64 s[0:1], exec, s[0:1]
	s_cbranch_execz .LBB112_127
; %bb.122:
	v_cmp_eq_u32_e32 vcc, 7, v67
	s_and_saveexec_b64 s[2:3], vcc
	s_cbranch_execz .LBB112_126
; %bb.123:
	v_cmp_ne_u32_e32 vcc, 7, v64
	s_xor_b64 s[12:13], s[20:21], -1
	s_and_b64 s[14:15], s[12:13], vcc
	s_and_saveexec_b64 s[12:13], s[14:15]
	s_cbranch_execz .LBB112_125
; %bb.124:
	v_ashrrev_i32_e32 v65, 31, v64
	v_lshl_add_u64 v[70:71], v[64:65], 2, v[4:5]
	global_load_dword v65, v[70:71], off
	global_load_dword v67, v[4:5], off offset:28
	s_waitcnt vmcnt(1)
	global_store_dword v[4:5], v65, off offset:28
	s_waitcnt vmcnt(1)
	global_store_dword v[70:71], v67, off
.LBB112_125:
	s_or_b64 exec, exec, s[12:13]
	v_mov_b32_e32 v65, v64
	v_mov_b32_e32 v67, v64
.LBB112_126:
	s_or_b64 exec, exec, s[2:3]
.LBB112_127:
	s_andn2_saveexec_b64 s[0:1], s[0:1]
	s_cbranch_execz .LBB112_129
; %bb.128:
	s_waitcnt vmcnt(0)
	v_pk_mov_b32 v[70:71], v[60:61], v[58:59] op_sel:[1,0]
	ds_write2_b32 v63, v70, v71 offset0:8 offset1:9
	v_pk_mov_b32 v[70:71], v[58:59], v[56:57] op_sel:[1,0]
	ds_write2_b32 v63, v70, v71 offset0:10 offset1:11
	;; [unrolled: 2-line block ×23, first 2 shown]
	v_pk_mov_b32 v[70:71], v[0:1], v[10:11] op_sel:[1,0]
	v_mov_b32_e32 v67, 7
	ds_write2_b32 v63, v70, v71 offset0:54 offset1:55
	ds_write_b32 v63, v11 offset:224
.LBB112_129:
	s_or_b64 exec, exec, s[0:1]
	v_cmp_lt_i32_e32 vcc, 7, v67
	s_waitcnt lgkmcnt(0)
	s_barrier
	s_and_saveexec_b64 s[0:1], vcc
	s_cbranch_execz .LBB112_131
; %bb.130:
	ds_read_b32 v64, v63 offset:32
	ds_read2_b32 v[70:71], v63 offset0:9 offset1:10
	ds_read2_b32 v[72:73], v63 offset0:11 offset1:12
	v_mul_f32_e32 v60, v69, v60
	ds_read2_b32 v[74:75], v63 offset0:13 offset1:14
	s_waitcnt vmcnt(0) lgkmcnt(3)
	v_fma_f32 v61, -v60, v64, v61
	s_waitcnt lgkmcnt(2)
	v_pk_fma_f32 v[58:59], v[60:61], v[70:71], v[58:59] op_sel_hi:[0,1,1] neg_lo:[1,0,0] neg_hi:[1,0,0]
	s_waitcnt lgkmcnt(1)
	v_pk_fma_f32 v[56:57], v[60:61], v[72:73], v[56:57] op_sel_hi:[0,1,1] neg_lo:[1,0,0] neg_hi:[1,0,0]
	ds_read2_b32 v[70:71], v63 offset0:15 offset1:16
	ds_read2_b32 v[72:73], v63 offset0:17 offset1:18
	ds_read2_b32 v[76:77], v63 offset0:19 offset1:20
	s_waitcnt lgkmcnt(3)
	v_pk_fma_f32 v[54:55], v[60:61], v[74:75], v[54:55] op_sel_hi:[0,1,1] neg_lo:[1,0,0] neg_hi:[1,0,0]
	ds_read2_b32 v[74:75], v63 offset0:21 offset1:22
	s_waitcnt lgkmcnt(3)
	v_pk_fma_f32 v[52:53], v[60:61], v[70:71], v[52:53] op_sel_hi:[0,1,1] neg_lo:[1,0,0] neg_hi:[1,0,0]
	s_waitcnt lgkmcnt(2)
	v_pk_fma_f32 v[44:45], v[60:61], v[72:73], v[44:45] op_sel_hi:[0,1,1] neg_lo:[1,0,0] neg_hi:[1,0,0]
	s_waitcnt lgkmcnt(1)
	v_pk_fma_f32 v[40:41], v[60:61], v[76:77], v[40:41] op_sel_hi:[0,1,1] neg_lo:[1,0,0] neg_hi:[1,0,0]
	ds_read2_b32 v[70:71], v63 offset0:23 offset1:24
	ds_read2_b32 v[72:73], v63 offset0:25 offset1:26
	ds_read2_b32 v[76:77], v63 offset0:27 offset1:28
	s_waitcnt lgkmcnt(3)
	v_pk_fma_f32 v[34:35], v[60:61], v[74:75], v[34:35] op_sel_hi:[0,1,1] neg_lo:[1,0,0] neg_hi:[1,0,0]
	ds_read2_b32 v[74:75], v63 offset0:29 offset1:30
	s_waitcnt lgkmcnt(3)
	v_pk_fma_f32 v[26:27], v[60:61], v[70:71], v[26:27] op_sel_hi:[0,1,1] neg_lo:[1,0,0] neg_hi:[1,0,0]
	;; [unrolled: 12-line block ×3, first 2 shown]
	s_waitcnt lgkmcnt(2)
	v_pk_fma_f32 v[38:39], v[60:61], v[72:73], v[38:39] op_sel_hi:[0,1,1] neg_lo:[1,0,0] neg_hi:[1,0,0]
	s_waitcnt lgkmcnt(1)
	v_pk_fma_f32 v[30:31], v[60:61], v[76:77], v[30:31] op_sel_hi:[0,1,1] neg_lo:[1,0,0] neg_hi:[1,0,0]
	ds_read2_b32 v[70:71], v63 offset0:39 offset1:40
	ds_read2_b32 v[72:73], v63 offset0:41 offset1:42
	;; [unrolled: 1-line block ×4, first 2 shown]
	s_waitcnt lgkmcnt(4)
	v_pk_fma_f32 v[22:23], v[60:61], v[74:75], v[22:23] op_sel_hi:[0,1,1] neg_lo:[1,0,0] neg_hi:[1,0,0]
	s_waitcnt lgkmcnt(3)
	v_pk_fma_f32 v[16:17], v[60:61], v[70:71], v[16:17] op_sel_hi:[0,1,1] neg_lo:[1,0,0] neg_hi:[1,0,0]
	;; [unrolled: 2-line block ×5, first 2 shown]
	ds_read2_b32 v[70:71], v63 offset0:47 offset1:48
	ds_read2_b32 v[72:73], v63 offset0:49 offset1:50
	;; [unrolled: 1-line block ×5, first 2 shown]
	s_waitcnt lgkmcnt(4)
	v_pk_fma_f32 v[8:9], v[60:61], v[70:71], v[8:9] op_sel_hi:[0,1,1] neg_lo:[1,0,0] neg_hi:[1,0,0]
	s_waitcnt lgkmcnt(3)
	v_pk_fma_f32 v[14:15], v[60:61], v[72:73], v[14:15] op_sel_hi:[0,1,1] neg_lo:[1,0,0] neg_hi:[1,0,0]
	;; [unrolled: 2-line block ×5, first 2 shown]
.LBB112_131:
	s_or_b64 exec, exec, s[0:1]
	v_lshl_add_u32 v64, v67, 2, v63
	s_barrier
	s_waitcnt vmcnt(0)
	ds_write_b32 v64, v61
	s_waitcnt lgkmcnt(0)
	s_barrier
	ds_read_b32 v69, v63 offset:32
	s_cmp_lt_i32 s22, 10
	v_mov_b32_e32 v64, 8
	s_cbranch_scc1 .LBB112_134
; %bb.132:
	v_add3_u32 v70, v66, 0, 36
	v_mov_b32_e32 v64, 8
	s_mov_b32 s0, 9
.LBB112_133:                            ; =>This Inner Loop Header: Depth=1
	ds_read_b32 v71, v70
	v_mov_b32_e32 v72, s0
	s_add_i32 s0, s0, 1
	v_add_u32_e32 v70, 4, v70
	s_cmp_lg_u32 s22, s0
	s_waitcnt lgkmcnt(0)
	v_cmp_lt_f32_e64 vcc, |v69|, |v71|
	s_nop 1
	v_cndmask_b32_e32 v69, v69, v71, vcc
	v_cndmask_b32_e32 v64, v64, v72, vcc
	s_cbranch_scc1 .LBB112_133
.LBB112_134:
	s_waitcnt lgkmcnt(0)
	v_cmp_eq_f32_e32 vcc, 0, v69
	s_and_saveexec_b64 s[0:1], vcc
	s_xor_b64 s[0:1], exec, s[0:1]
; %bb.135:
	v_cmp_ne_u32_e32 vcc, 0, v68
	s_nop 1
	v_cndmask_b32_e32 v68, 9, v68, vcc
; %bb.136:
	s_andn2_saveexec_b64 s[0:1], s[0:1]
	s_cbranch_execz .LBB112_138
; %bb.137:
	v_div_scale_f32 v70, s[2:3], v69, v69, 1.0
	v_rcp_f32_e32 v71, v70
	v_div_scale_f32 v72, vcc, 1.0, v69, 1.0
	v_fma_f32 v73, -v70, v71, 1.0
	v_fmac_f32_e32 v71, v73, v71
	v_mul_f32_e32 v73, v72, v71
	v_fma_f32 v74, -v70, v73, v72
	v_fmac_f32_e32 v73, v74, v71
	v_fma_f32 v70, -v70, v73, v72
	v_div_fmas_f32 v70, v70, v71, v73
	v_div_fixup_f32 v69, v70, v69, 1.0
.LBB112_138:
	s_or_b64 exec, exec, s[0:1]
	v_cmp_ne_u32_e32 vcc, v67, v64
	s_and_saveexec_b64 s[0:1], vcc
	s_xor_b64 s[0:1], exec, s[0:1]
	s_cbranch_execz .LBB112_144
; %bb.139:
	v_cmp_eq_u32_e32 vcc, 8, v67
	s_and_saveexec_b64 s[2:3], vcc
	s_cbranch_execz .LBB112_143
; %bb.140:
	v_cmp_ne_u32_e32 vcc, 8, v64
	s_xor_b64 s[12:13], s[20:21], -1
	s_and_b64 s[14:15], s[12:13], vcc
	s_and_saveexec_b64 s[12:13], s[14:15]
	s_cbranch_execz .LBB112_142
; %bb.141:
	v_ashrrev_i32_e32 v65, 31, v64
	v_lshl_add_u64 v[70:71], v[64:65], 2, v[4:5]
	global_load_dword v65, v[70:71], off
	global_load_dword v67, v[4:5], off offset:32
	s_waitcnt vmcnt(1)
	global_store_dword v[4:5], v65, off offset:32
	s_waitcnt vmcnt(1)
	global_store_dword v[70:71], v67, off
.LBB112_142:
	s_or_b64 exec, exec, s[12:13]
	v_mov_b32_e32 v65, v64
	v_mov_b32_e32 v67, v64
.LBB112_143:
	s_or_b64 exec, exec, s[2:3]
.LBB112_144:
	s_andn2_saveexec_b64 s[0:1], s[0:1]
	s_cbranch_execz .LBB112_146
; %bb.145:
	v_mov_b32_e32 v67, 8
	ds_write2_b32 v63, v58, v59 offset0:9 offset1:10
	ds_write2_b32 v63, v56, v57 offset0:11 offset1:12
	;; [unrolled: 1-line block ×24, first 2 shown]
.LBB112_146:
	s_or_b64 exec, exec, s[0:1]
	v_cmp_lt_i32_e32 vcc, 8, v67
	s_waitcnt lgkmcnt(0)
	s_barrier
	s_and_saveexec_b64 s[0:1], vcc
	s_cbranch_execz .LBB112_148
; %bb.147:
	ds_read2_b32 v[70:71], v63 offset0:9 offset1:10
	ds_read2_b32 v[72:73], v63 offset0:11 offset1:12
	;; [unrolled: 1-line block ×3, first 2 shown]
	v_mul_f32_e32 v64, v69, v61
	ds_read2_b32 v[76:77], v63 offset0:15 offset1:16
	s_waitcnt lgkmcnt(3)
	v_pk_fma_f32 v[58:59], v[64:65], v[70:71], v[58:59] op_sel_hi:[0,1,1] neg_lo:[1,0,0] neg_hi:[1,0,0]
	s_waitcnt lgkmcnt(2)
	v_pk_fma_f32 v[56:57], v[64:65], v[72:73], v[56:57] op_sel_hi:[0,1,1] neg_lo:[1,0,0] neg_hi:[1,0,0]
	s_waitcnt lgkmcnt(1)
	v_pk_fma_f32 v[54:55], v[64:65], v[74:75], v[54:55] op_sel_hi:[0,1,1] neg_lo:[1,0,0] neg_hi:[1,0,0]
	ds_read2_b32 v[70:71], v63 offset0:17 offset1:18
	ds_read2_b32 v[72:73], v63 offset0:19 offset1:20
	ds_read2_b32 v[74:75], v63 offset0:21 offset1:22
	s_waitcnt lgkmcnt(3)
	v_pk_fma_f32 v[52:53], v[64:65], v[76:77], v[52:53] op_sel_hi:[0,1,1] neg_lo:[1,0,0] neg_hi:[1,0,0]
	ds_read2_b32 v[76:77], v63 offset0:23 offset1:24
	s_waitcnt lgkmcnt(3)
	v_pk_fma_f32 v[44:45], v[64:65], v[70:71], v[44:45] op_sel_hi:[0,1,1] neg_lo:[1,0,0] neg_hi:[1,0,0]
	s_waitcnt lgkmcnt(2)
	v_pk_fma_f32 v[40:41], v[64:65], v[72:73], v[40:41] op_sel_hi:[0,1,1] neg_lo:[1,0,0] neg_hi:[1,0,0]
	s_waitcnt lgkmcnt(1)
	v_pk_fma_f32 v[34:35], v[64:65], v[74:75], v[34:35] op_sel_hi:[0,1,1] neg_lo:[1,0,0] neg_hi:[1,0,0]
	ds_read2_b32 v[70:71], v63 offset0:25 offset1:26
	ds_read2_b32 v[72:73], v63 offset0:27 offset1:28
	ds_read2_b32 v[74:75], v63 offset0:29 offset1:30
	s_waitcnt lgkmcnt(3)
	v_pk_fma_f32 v[26:27], v[64:65], v[76:77], v[26:27] op_sel_hi:[0,1,1] neg_lo:[1,0,0] neg_hi:[1,0,0]
	;; [unrolled: 12-line block ×4, first 2 shown]
	ds_read2_b32 v[76:77], v63 offset0:47 offset1:48
	s_waitcnt lgkmcnt(3)
	v_pk_fma_f32 v[32:33], v[64:65], v[70:71], v[32:33] op_sel_hi:[0,1,1] neg_lo:[1,0,0] neg_hi:[1,0,0]
	s_waitcnt lgkmcnt(2)
	v_pk_fma_f32 v[24:25], v[64:65], v[72:73], v[24:25] op_sel_hi:[0,1,1] neg_lo:[1,0,0] neg_hi:[1,0,0]
	;; [unrolled: 2-line block ×3, first 2 shown]
	ds_read2_b32 v[70:71], v63 offset0:49 offset1:50
	ds_read2_b32 v[72:73], v63 offset0:51 offset1:52
	;; [unrolled: 1-line block ×4, first 2 shown]
	s_waitcnt lgkmcnt(4)
	v_pk_fma_f32 v[8:9], v[64:65], v[76:77], v[8:9] op_sel_hi:[0,1,1] neg_lo:[1,0,0] neg_hi:[1,0,0]
	s_waitcnt lgkmcnt(3)
	v_pk_fma_f32 v[14:15], v[64:65], v[70:71], v[14:15] op_sel_hi:[0,1,1] neg_lo:[1,0,0] neg_hi:[1,0,0]
	;; [unrolled: 2-line block ×5, first 2 shown]
	v_mov_b32_e32 v61, v64
.LBB112_148:
	s_or_b64 exec, exec, s[0:1]
	v_lshl_add_u32 v64, v67, 2, v63
	s_barrier
	ds_write_b32 v64, v58
	s_waitcnt lgkmcnt(0)
	s_barrier
	ds_read_b32 v69, v63 offset:36
	s_cmp_lt_i32 s22, 11
	v_mov_b32_e32 v64, 9
	s_cbranch_scc1 .LBB112_151
; %bb.149:
	v_add3_u32 v70, v66, 0, 40
	v_mov_b32_e32 v64, 9
	s_mov_b32 s0, 10
.LBB112_150:                            ; =>This Inner Loop Header: Depth=1
	ds_read_b32 v71, v70
	v_mov_b32_e32 v72, s0
	s_add_i32 s0, s0, 1
	v_add_u32_e32 v70, 4, v70
	s_cmp_lg_u32 s22, s0
	s_waitcnt lgkmcnt(0)
	v_cmp_lt_f32_e64 vcc, |v69|, |v71|
	s_nop 1
	v_cndmask_b32_e32 v69, v69, v71, vcc
	v_cndmask_b32_e32 v64, v64, v72, vcc
	s_cbranch_scc1 .LBB112_150
.LBB112_151:
	s_waitcnt lgkmcnt(0)
	v_cmp_eq_f32_e32 vcc, 0, v69
	s_and_saveexec_b64 s[0:1], vcc
	s_xor_b64 s[0:1], exec, s[0:1]
; %bb.152:
	v_cmp_ne_u32_e32 vcc, 0, v68
	s_nop 1
	v_cndmask_b32_e32 v68, 10, v68, vcc
; %bb.153:
	s_andn2_saveexec_b64 s[0:1], s[0:1]
	s_cbranch_execz .LBB112_155
; %bb.154:
	v_div_scale_f32 v70, s[2:3], v69, v69, 1.0
	v_rcp_f32_e32 v71, v70
	v_div_scale_f32 v72, vcc, 1.0, v69, 1.0
	v_fma_f32 v73, -v70, v71, 1.0
	v_fmac_f32_e32 v71, v73, v71
	v_mul_f32_e32 v73, v72, v71
	v_fma_f32 v74, -v70, v73, v72
	v_fmac_f32_e32 v73, v74, v71
	v_fma_f32 v70, -v70, v73, v72
	v_div_fmas_f32 v70, v70, v71, v73
	v_div_fixup_f32 v69, v70, v69, 1.0
.LBB112_155:
	s_or_b64 exec, exec, s[0:1]
	v_cmp_ne_u32_e32 vcc, v67, v64
	s_and_saveexec_b64 s[0:1], vcc
	s_xor_b64 s[0:1], exec, s[0:1]
	s_cbranch_execz .LBB112_161
; %bb.156:
	v_cmp_eq_u32_e32 vcc, 9, v67
	s_and_saveexec_b64 s[2:3], vcc
	s_cbranch_execz .LBB112_160
; %bb.157:
	v_cmp_ne_u32_e32 vcc, 9, v64
	s_xor_b64 s[12:13], s[20:21], -1
	s_and_b64 s[14:15], s[12:13], vcc
	s_and_saveexec_b64 s[12:13], s[14:15]
	s_cbranch_execz .LBB112_159
; %bb.158:
	v_ashrrev_i32_e32 v65, 31, v64
	v_lshl_add_u64 v[70:71], v[64:65], 2, v[4:5]
	global_load_dword v65, v[70:71], off
	global_load_dword v67, v[4:5], off offset:36
	s_waitcnt vmcnt(1)
	global_store_dword v[4:5], v65, off offset:36
	s_waitcnt vmcnt(1)
	global_store_dword v[70:71], v67, off
.LBB112_159:
	s_or_b64 exec, exec, s[12:13]
	v_mov_b32_e32 v65, v64
	v_mov_b32_e32 v67, v64
.LBB112_160:
	s_or_b64 exec, exec, s[2:3]
.LBB112_161:
	s_andn2_saveexec_b64 s[0:1], s[0:1]
	s_cbranch_execz .LBB112_163
; %bb.162:
	v_pk_mov_b32 v[70:71], v[58:59], v[56:57] op_sel:[1,0]
	ds_write2_b32 v63, v70, v71 offset0:10 offset1:11
	v_pk_mov_b32 v[70:71], v[56:57], v[54:55] op_sel:[1,0]
	ds_write2_b32 v63, v70, v71 offset0:12 offset1:13
	;; [unrolled: 2-line block ×22, first 2 shown]
	v_pk_mov_b32 v[70:71], v[0:1], v[10:11] op_sel:[1,0]
	v_mov_b32_e32 v67, 9
	ds_write2_b32 v63, v70, v71 offset0:54 offset1:55
	ds_write_b32 v63, v11 offset:224
.LBB112_163:
	s_or_b64 exec, exec, s[0:1]
	v_cmp_lt_i32_e32 vcc, 9, v67
	s_waitcnt lgkmcnt(0)
	s_barrier
	s_and_saveexec_b64 s[0:1], vcc
	s_cbranch_execz .LBB112_165
; %bb.164:
	ds_read_b32 v64, v63 offset:40
	ds_read2_b32 v[70:71], v63 offset0:11 offset1:12
	ds_read2_b32 v[72:73], v63 offset0:13 offset1:14
	v_mul_f32_e32 v58, v69, v58
	ds_read2_b32 v[74:75], v63 offset0:15 offset1:16
	s_waitcnt lgkmcnt(3)
	v_fma_f32 v59, -v58, v64, v59
	s_waitcnt lgkmcnt(2)
	v_pk_fma_f32 v[56:57], v[58:59], v[70:71], v[56:57] op_sel_hi:[0,1,1] neg_lo:[1,0,0] neg_hi:[1,0,0]
	s_waitcnt lgkmcnt(1)
	v_pk_fma_f32 v[54:55], v[58:59], v[72:73], v[54:55] op_sel_hi:[0,1,1] neg_lo:[1,0,0] neg_hi:[1,0,0]
	ds_read2_b32 v[70:71], v63 offset0:17 offset1:18
	ds_read2_b32 v[72:73], v63 offset0:19 offset1:20
	ds_read2_b32 v[76:77], v63 offset0:21 offset1:22
	s_waitcnt lgkmcnt(3)
	v_pk_fma_f32 v[52:53], v[58:59], v[74:75], v[52:53] op_sel_hi:[0,1,1] neg_lo:[1,0,0] neg_hi:[1,0,0]
	ds_read2_b32 v[74:75], v63 offset0:23 offset1:24
	s_waitcnt lgkmcnt(3)
	v_pk_fma_f32 v[44:45], v[58:59], v[70:71], v[44:45] op_sel_hi:[0,1,1] neg_lo:[1,0,0] neg_hi:[1,0,0]
	s_waitcnt lgkmcnt(2)
	v_pk_fma_f32 v[40:41], v[58:59], v[72:73], v[40:41] op_sel_hi:[0,1,1] neg_lo:[1,0,0] neg_hi:[1,0,0]
	s_waitcnt lgkmcnt(1)
	v_pk_fma_f32 v[34:35], v[58:59], v[76:77], v[34:35] op_sel_hi:[0,1,1] neg_lo:[1,0,0] neg_hi:[1,0,0]
	ds_read2_b32 v[70:71], v63 offset0:25 offset1:26
	ds_read2_b32 v[72:73], v63 offset0:27 offset1:28
	ds_read2_b32 v[76:77], v63 offset0:29 offset1:30
	s_waitcnt lgkmcnt(3)
	v_pk_fma_f32 v[26:27], v[58:59], v[74:75], v[26:27] op_sel_hi:[0,1,1] neg_lo:[1,0,0] neg_hi:[1,0,0]
	ds_read2_b32 v[74:75], v63 offset0:31 offset1:32
	s_waitcnt lgkmcnt(3)
	v_pk_fma_f32 v[42:43], v[58:59], v[70:71], v[42:43] op_sel_hi:[0,1,1] neg_lo:[1,0,0] neg_hi:[1,0,0]
	;; [unrolled: 12-line block ×4, first 2 shown]
	s_waitcnt lgkmcnt(2)
	v_pk_fma_f32 v[24:25], v[58:59], v[72:73], v[24:25] op_sel_hi:[0,1,1] neg_lo:[1,0,0] neg_hi:[1,0,0]
	s_waitcnt lgkmcnt(1)
	v_pk_fma_f32 v[18:19], v[58:59], v[76:77], v[18:19] op_sel_hi:[0,1,1] neg_lo:[1,0,0] neg_hi:[1,0,0]
	ds_read2_b32 v[70:71], v63 offset0:49 offset1:50
	ds_read2_b32 v[72:73], v63 offset0:51 offset1:52
	;; [unrolled: 1-line block ×4, first 2 shown]
	s_waitcnt lgkmcnt(4)
	v_pk_fma_f32 v[8:9], v[58:59], v[74:75], v[8:9] op_sel_hi:[0,1,1] neg_lo:[1,0,0] neg_hi:[1,0,0]
	s_waitcnt lgkmcnt(3)
	v_pk_fma_f32 v[14:15], v[58:59], v[70:71], v[14:15] op_sel_hi:[0,1,1] neg_lo:[1,0,0] neg_hi:[1,0,0]
	;; [unrolled: 2-line block ×5, first 2 shown]
.LBB112_165:
	s_or_b64 exec, exec, s[0:1]
	v_lshl_add_u32 v64, v67, 2, v63
	s_barrier
	ds_write_b32 v64, v59
	s_waitcnt lgkmcnt(0)
	s_barrier
	ds_read_b32 v69, v63 offset:40
	s_cmp_lt_i32 s22, 12
	v_mov_b32_e32 v64, 10
	s_cbranch_scc1 .LBB112_168
; %bb.166:
	v_add3_u32 v70, v66, 0, 44
	v_mov_b32_e32 v64, 10
	s_mov_b32 s0, 11
.LBB112_167:                            ; =>This Inner Loop Header: Depth=1
	ds_read_b32 v71, v70
	v_mov_b32_e32 v72, s0
	s_add_i32 s0, s0, 1
	v_add_u32_e32 v70, 4, v70
	s_cmp_lg_u32 s22, s0
	s_waitcnt lgkmcnt(0)
	v_cmp_lt_f32_e64 vcc, |v69|, |v71|
	s_nop 1
	v_cndmask_b32_e32 v69, v69, v71, vcc
	v_cndmask_b32_e32 v64, v64, v72, vcc
	s_cbranch_scc1 .LBB112_167
.LBB112_168:
	s_waitcnt lgkmcnt(0)
	v_cmp_eq_f32_e32 vcc, 0, v69
	s_and_saveexec_b64 s[0:1], vcc
	s_xor_b64 s[0:1], exec, s[0:1]
; %bb.169:
	v_cmp_ne_u32_e32 vcc, 0, v68
	s_nop 1
	v_cndmask_b32_e32 v68, 11, v68, vcc
; %bb.170:
	s_andn2_saveexec_b64 s[0:1], s[0:1]
	s_cbranch_execz .LBB112_172
; %bb.171:
	v_div_scale_f32 v70, s[2:3], v69, v69, 1.0
	v_rcp_f32_e32 v71, v70
	v_div_scale_f32 v72, vcc, 1.0, v69, 1.0
	v_fma_f32 v73, -v70, v71, 1.0
	v_fmac_f32_e32 v71, v73, v71
	v_mul_f32_e32 v73, v72, v71
	v_fma_f32 v74, -v70, v73, v72
	v_fmac_f32_e32 v73, v74, v71
	v_fma_f32 v70, -v70, v73, v72
	v_div_fmas_f32 v70, v70, v71, v73
	v_div_fixup_f32 v69, v70, v69, 1.0
.LBB112_172:
	s_or_b64 exec, exec, s[0:1]
	v_cmp_ne_u32_e32 vcc, v67, v64
	s_and_saveexec_b64 s[0:1], vcc
	s_xor_b64 s[0:1], exec, s[0:1]
	s_cbranch_execz .LBB112_178
; %bb.173:
	v_cmp_eq_u32_e32 vcc, 10, v67
	s_and_saveexec_b64 s[2:3], vcc
	s_cbranch_execz .LBB112_177
; %bb.174:
	v_cmp_ne_u32_e32 vcc, 10, v64
	s_xor_b64 s[12:13], s[20:21], -1
	s_and_b64 s[14:15], s[12:13], vcc
	s_and_saveexec_b64 s[12:13], s[14:15]
	s_cbranch_execz .LBB112_176
; %bb.175:
	v_ashrrev_i32_e32 v65, 31, v64
	v_lshl_add_u64 v[70:71], v[64:65], 2, v[4:5]
	global_load_dword v65, v[70:71], off
	global_load_dword v67, v[4:5], off offset:40
	s_waitcnt vmcnt(1)
	global_store_dword v[4:5], v65, off offset:40
	s_waitcnt vmcnt(1)
	global_store_dword v[70:71], v67, off
.LBB112_176:
	s_or_b64 exec, exec, s[12:13]
	v_mov_b32_e32 v65, v64
	v_mov_b32_e32 v67, v64
.LBB112_177:
	s_or_b64 exec, exec, s[2:3]
.LBB112_178:
	s_andn2_saveexec_b64 s[0:1], s[0:1]
	s_cbranch_execz .LBB112_180
; %bb.179:
	v_mov_b32_e32 v67, 10
	ds_write2_b32 v63, v56, v57 offset0:11 offset1:12
	ds_write2_b32 v63, v54, v55 offset0:13 offset1:14
	;; [unrolled: 1-line block ×23, first 2 shown]
.LBB112_180:
	s_or_b64 exec, exec, s[0:1]
	v_cmp_lt_i32_e32 vcc, 10, v67
	s_waitcnt lgkmcnt(0)
	s_barrier
	s_and_saveexec_b64 s[0:1], vcc
	s_cbranch_execz .LBB112_182
; %bb.181:
	ds_read2_b32 v[70:71], v63 offset0:11 offset1:12
	ds_read2_b32 v[72:73], v63 offset0:13 offset1:14
	;; [unrolled: 1-line block ×3, first 2 shown]
	v_mul_f32_e32 v64, v69, v59
	ds_read2_b32 v[76:77], v63 offset0:17 offset1:18
	s_waitcnt lgkmcnt(3)
	v_pk_fma_f32 v[56:57], v[64:65], v[70:71], v[56:57] op_sel_hi:[0,1,1] neg_lo:[1,0,0] neg_hi:[1,0,0]
	s_waitcnt lgkmcnt(2)
	v_pk_fma_f32 v[54:55], v[64:65], v[72:73], v[54:55] op_sel_hi:[0,1,1] neg_lo:[1,0,0] neg_hi:[1,0,0]
	s_waitcnt lgkmcnt(1)
	v_pk_fma_f32 v[52:53], v[64:65], v[74:75], v[52:53] op_sel_hi:[0,1,1] neg_lo:[1,0,0] neg_hi:[1,0,0]
	ds_read2_b32 v[70:71], v63 offset0:19 offset1:20
	ds_read2_b32 v[72:73], v63 offset0:21 offset1:22
	ds_read2_b32 v[74:75], v63 offset0:23 offset1:24
	s_waitcnt lgkmcnt(3)
	v_pk_fma_f32 v[44:45], v[64:65], v[76:77], v[44:45] op_sel_hi:[0,1,1] neg_lo:[1,0,0] neg_hi:[1,0,0]
	ds_read2_b32 v[76:77], v63 offset0:25 offset1:26
	s_waitcnt lgkmcnt(3)
	v_pk_fma_f32 v[40:41], v[64:65], v[70:71], v[40:41] op_sel_hi:[0,1,1] neg_lo:[1,0,0] neg_hi:[1,0,0]
	s_waitcnt lgkmcnt(2)
	v_pk_fma_f32 v[34:35], v[64:65], v[72:73], v[34:35] op_sel_hi:[0,1,1] neg_lo:[1,0,0] neg_hi:[1,0,0]
	s_waitcnt lgkmcnt(1)
	v_pk_fma_f32 v[26:27], v[64:65], v[74:75], v[26:27] op_sel_hi:[0,1,1] neg_lo:[1,0,0] neg_hi:[1,0,0]
	ds_read2_b32 v[70:71], v63 offset0:27 offset1:28
	ds_read2_b32 v[72:73], v63 offset0:29 offset1:30
	ds_read2_b32 v[74:75], v63 offset0:31 offset1:32
	s_waitcnt lgkmcnt(3)
	v_pk_fma_f32 v[42:43], v[64:65], v[76:77], v[42:43] op_sel_hi:[0,1,1] neg_lo:[1,0,0] neg_hi:[1,0,0]
	ds_read2_b32 v[76:77], v63 offset0:33 offset1:34
	s_waitcnt lgkmcnt(3)
	v_pk_fma_f32 v[36:37], v[64:65], v[70:71], v[36:37] op_sel_hi:[0,1,1] neg_lo:[1,0,0] neg_hi:[1,0,0]
	s_waitcnt lgkmcnt(2)
	v_pk_fma_f32 v[28:29], v[64:65], v[72:73], v[28:29] op_sel_hi:[0,1,1] neg_lo:[1,0,0] neg_hi:[1,0,0]
	s_waitcnt lgkmcnt(1)
	v_pk_fma_f32 v[20:21], v[64:65], v[74:75], v[20:21] op_sel_hi:[0,1,1] neg_lo:[1,0,0] neg_hi:[1,0,0]
	ds_read2_b32 v[70:71], v63 offset0:35 offset1:36
	ds_read2_b32 v[72:73], v63 offset0:37 offset1:38
	ds_read2_b32 v[74:75], v63 offset0:39 offset1:40
	s_waitcnt lgkmcnt(3)
	v_pk_fma_f32 v[38:39], v[64:65], v[76:77], v[38:39] op_sel_hi:[0,1,1] neg_lo:[1,0,0] neg_hi:[1,0,0]
	ds_read2_b32 v[76:77], v63 offset0:41 offset1:42
	s_waitcnt lgkmcnt(3)
	v_pk_fma_f32 v[30:31], v[64:65], v[70:71], v[30:31] op_sel_hi:[0,1,1] neg_lo:[1,0,0] neg_hi:[1,0,0]
	s_waitcnt lgkmcnt(2)
	v_pk_fma_f32 v[22:23], v[64:65], v[72:73], v[22:23] op_sel_hi:[0,1,1] neg_lo:[1,0,0] neg_hi:[1,0,0]
	ds_read2_b32 v[70:71], v63 offset0:43 offset1:44
	ds_read2_b32 v[72:73], v63 offset0:45 offset1:46
	s_waitcnt lgkmcnt(3)
	v_pk_fma_f32 v[16:17], v[64:65], v[74:75], v[16:17] op_sel_hi:[0,1,1] neg_lo:[1,0,0] neg_hi:[1,0,0]
	s_waitcnt lgkmcnt(2)
	v_pk_fma_f32 v[32:33], v[64:65], v[76:77], v[32:33] op_sel_hi:[0,1,1] neg_lo:[1,0,0] neg_hi:[1,0,0]
	ds_read2_b32 v[74:75], v63 offset0:47 offset1:48
	;; [unrolled: 6-line block ×3, first 2 shown]
	ds_read2_b32 v[72:73], v63 offset0:53 offset1:54
	ds_read2_b32 v[78:79], v63 offset0:55 offset1:56
	s_waitcnt lgkmcnt(4)
	v_pk_fma_f32 v[8:9], v[64:65], v[74:75], v[8:9] op_sel_hi:[0,1,1] neg_lo:[1,0,0] neg_hi:[1,0,0]
	s_waitcnt lgkmcnt(3)
	v_pk_fma_f32 v[14:15], v[64:65], v[76:77], v[14:15] op_sel_hi:[0,1,1] neg_lo:[1,0,0] neg_hi:[1,0,0]
	;; [unrolled: 2-line block ×5, first 2 shown]
	v_mov_b32_e32 v59, v64
.LBB112_182:
	s_or_b64 exec, exec, s[0:1]
	v_lshl_add_u32 v64, v67, 2, v63
	s_barrier
	ds_write_b32 v64, v56
	s_waitcnt lgkmcnt(0)
	s_barrier
	ds_read_b32 v69, v63 offset:44
	s_cmp_lt_i32 s22, 13
	v_mov_b32_e32 v64, 11
	s_cbranch_scc1 .LBB112_185
; %bb.183:
	v_add3_u32 v70, v66, 0, 48
	v_mov_b32_e32 v64, 11
	s_mov_b32 s0, 12
.LBB112_184:                            ; =>This Inner Loop Header: Depth=1
	ds_read_b32 v71, v70
	v_mov_b32_e32 v72, s0
	s_add_i32 s0, s0, 1
	v_add_u32_e32 v70, 4, v70
	s_cmp_lg_u32 s22, s0
	s_waitcnt lgkmcnt(0)
	v_cmp_lt_f32_e64 vcc, |v69|, |v71|
	s_nop 1
	v_cndmask_b32_e32 v69, v69, v71, vcc
	v_cndmask_b32_e32 v64, v64, v72, vcc
	s_cbranch_scc1 .LBB112_184
.LBB112_185:
	s_waitcnt lgkmcnt(0)
	v_cmp_eq_f32_e32 vcc, 0, v69
	s_and_saveexec_b64 s[0:1], vcc
	s_xor_b64 s[0:1], exec, s[0:1]
; %bb.186:
	v_cmp_ne_u32_e32 vcc, 0, v68
	s_nop 1
	v_cndmask_b32_e32 v68, 12, v68, vcc
; %bb.187:
	s_andn2_saveexec_b64 s[0:1], s[0:1]
	s_cbranch_execz .LBB112_189
; %bb.188:
	v_div_scale_f32 v70, s[2:3], v69, v69, 1.0
	v_rcp_f32_e32 v71, v70
	v_div_scale_f32 v72, vcc, 1.0, v69, 1.0
	v_fma_f32 v73, -v70, v71, 1.0
	v_fmac_f32_e32 v71, v73, v71
	v_mul_f32_e32 v73, v72, v71
	v_fma_f32 v74, -v70, v73, v72
	v_fmac_f32_e32 v73, v74, v71
	v_fma_f32 v70, -v70, v73, v72
	v_div_fmas_f32 v70, v70, v71, v73
	v_div_fixup_f32 v69, v70, v69, 1.0
.LBB112_189:
	s_or_b64 exec, exec, s[0:1]
	v_cmp_ne_u32_e32 vcc, v67, v64
	s_and_saveexec_b64 s[0:1], vcc
	s_xor_b64 s[0:1], exec, s[0:1]
	s_cbranch_execz .LBB112_195
; %bb.190:
	v_cmp_eq_u32_e32 vcc, 11, v67
	s_and_saveexec_b64 s[2:3], vcc
	s_cbranch_execz .LBB112_194
; %bb.191:
	v_cmp_ne_u32_e32 vcc, 11, v64
	s_xor_b64 s[12:13], s[20:21], -1
	s_and_b64 s[14:15], s[12:13], vcc
	s_and_saveexec_b64 s[12:13], s[14:15]
	s_cbranch_execz .LBB112_193
; %bb.192:
	v_ashrrev_i32_e32 v65, 31, v64
	v_lshl_add_u64 v[70:71], v[64:65], 2, v[4:5]
	global_load_dword v65, v[70:71], off
	global_load_dword v67, v[4:5], off offset:44
	s_waitcnt vmcnt(1)
	global_store_dword v[4:5], v65, off offset:44
	s_waitcnt vmcnt(1)
	global_store_dword v[70:71], v67, off
.LBB112_193:
	s_or_b64 exec, exec, s[12:13]
	v_mov_b32_e32 v65, v64
	v_mov_b32_e32 v67, v64
.LBB112_194:
	s_or_b64 exec, exec, s[2:3]
.LBB112_195:
	s_andn2_saveexec_b64 s[0:1], s[0:1]
	s_cbranch_execz .LBB112_197
; %bb.196:
	v_pk_mov_b32 v[70:71], v[56:57], v[54:55] op_sel:[1,0]
	ds_write2_b32 v63, v70, v71 offset0:12 offset1:13
	v_pk_mov_b32 v[70:71], v[54:55], v[52:53] op_sel:[1,0]
	ds_write2_b32 v63, v70, v71 offset0:14 offset1:15
	;; [unrolled: 2-line block ×21, first 2 shown]
	v_pk_mov_b32 v[70:71], v[0:1], v[10:11] op_sel:[1,0]
	v_mov_b32_e32 v67, 11
	ds_write2_b32 v63, v70, v71 offset0:54 offset1:55
	ds_write_b32 v63, v11 offset:224
.LBB112_197:
	s_or_b64 exec, exec, s[0:1]
	v_cmp_lt_i32_e32 vcc, 11, v67
	s_waitcnt lgkmcnt(0)
	s_barrier
	s_and_saveexec_b64 s[0:1], vcc
	s_cbranch_execz .LBB112_199
; %bb.198:
	ds_read_b32 v64, v63 offset:48
	ds_read2_b32 v[70:71], v63 offset0:13 offset1:14
	ds_read2_b32 v[72:73], v63 offset0:15 offset1:16
	v_mul_f32_e32 v56, v69, v56
	ds_read2_b32 v[74:75], v63 offset0:17 offset1:18
	s_waitcnt lgkmcnt(3)
	v_fma_f32 v57, -v56, v64, v57
	s_waitcnt lgkmcnt(2)
	v_pk_fma_f32 v[54:55], v[56:57], v[70:71], v[54:55] op_sel_hi:[0,1,1] neg_lo:[1,0,0] neg_hi:[1,0,0]
	s_waitcnt lgkmcnt(1)
	v_pk_fma_f32 v[52:53], v[56:57], v[72:73], v[52:53] op_sel_hi:[0,1,1] neg_lo:[1,0,0] neg_hi:[1,0,0]
	ds_read2_b32 v[70:71], v63 offset0:19 offset1:20
	ds_read2_b32 v[72:73], v63 offset0:21 offset1:22
	ds_read2_b32 v[76:77], v63 offset0:23 offset1:24
	s_waitcnt lgkmcnt(3)
	v_pk_fma_f32 v[44:45], v[56:57], v[74:75], v[44:45] op_sel_hi:[0,1,1] neg_lo:[1,0,0] neg_hi:[1,0,0]
	ds_read2_b32 v[74:75], v63 offset0:25 offset1:26
	s_waitcnt lgkmcnt(3)
	v_pk_fma_f32 v[40:41], v[56:57], v[70:71], v[40:41] op_sel_hi:[0,1,1] neg_lo:[1,0,0] neg_hi:[1,0,0]
	s_waitcnt lgkmcnt(2)
	v_pk_fma_f32 v[34:35], v[56:57], v[72:73], v[34:35] op_sel_hi:[0,1,1] neg_lo:[1,0,0] neg_hi:[1,0,0]
	s_waitcnt lgkmcnt(1)
	v_pk_fma_f32 v[26:27], v[56:57], v[76:77], v[26:27] op_sel_hi:[0,1,1] neg_lo:[1,0,0] neg_hi:[1,0,0]
	ds_read2_b32 v[70:71], v63 offset0:27 offset1:28
	ds_read2_b32 v[72:73], v63 offset0:29 offset1:30
	ds_read2_b32 v[76:77], v63 offset0:31 offset1:32
	s_waitcnt lgkmcnt(3)
	v_pk_fma_f32 v[42:43], v[56:57], v[74:75], v[42:43] op_sel_hi:[0,1,1] neg_lo:[1,0,0] neg_hi:[1,0,0]
	ds_read2_b32 v[74:75], v63 offset0:33 offset1:34
	s_waitcnt lgkmcnt(3)
	v_pk_fma_f32 v[36:37], v[56:57], v[70:71], v[36:37] op_sel_hi:[0,1,1] neg_lo:[1,0,0] neg_hi:[1,0,0]
	;; [unrolled: 12-line block ×3, first 2 shown]
	s_waitcnt lgkmcnt(2)
	v_pk_fma_f32 v[22:23], v[56:57], v[72:73], v[22:23] op_sel_hi:[0,1,1] neg_lo:[1,0,0] neg_hi:[1,0,0]
	ds_read2_b32 v[70:71], v63 offset0:43 offset1:44
	ds_read2_b32 v[72:73], v63 offset0:45 offset1:46
	s_waitcnt lgkmcnt(3)
	v_pk_fma_f32 v[16:17], v[56:57], v[76:77], v[16:17] op_sel_hi:[0,1,1] neg_lo:[1,0,0] neg_hi:[1,0,0]
	s_waitcnt lgkmcnt(2)
	v_pk_fma_f32 v[32:33], v[56:57], v[74:75], v[32:33] op_sel_hi:[0,1,1] neg_lo:[1,0,0] neg_hi:[1,0,0]
	ds_read2_b32 v[74:75], v63 offset0:47 offset1:48
	ds_read2_b32 v[76:77], v63 offset0:49 offset1:50
	s_waitcnt lgkmcnt(3)
	v_pk_fma_f32 v[24:25], v[56:57], v[70:71], v[24:25] op_sel_hi:[0,1,1] neg_lo:[1,0,0] neg_hi:[1,0,0]
	s_waitcnt lgkmcnt(2)
	v_pk_fma_f32 v[18:19], v[56:57], v[72:73], v[18:19] op_sel_hi:[0,1,1] neg_lo:[1,0,0] neg_hi:[1,0,0]
	ds_read2_b32 v[70:71], v63 offset0:51 offset1:52
	ds_read2_b32 v[72:73], v63 offset0:53 offset1:54
	;; [unrolled: 1-line block ×3, first 2 shown]
	s_waitcnt lgkmcnt(4)
	v_pk_fma_f32 v[8:9], v[56:57], v[74:75], v[8:9] op_sel_hi:[0,1,1] neg_lo:[1,0,0] neg_hi:[1,0,0]
	s_waitcnt lgkmcnt(3)
	v_pk_fma_f32 v[14:15], v[56:57], v[76:77], v[14:15] op_sel_hi:[0,1,1] neg_lo:[1,0,0] neg_hi:[1,0,0]
	;; [unrolled: 2-line block ×5, first 2 shown]
.LBB112_199:
	s_or_b64 exec, exec, s[0:1]
	v_lshl_add_u32 v64, v67, 2, v63
	s_barrier
	ds_write_b32 v64, v57
	s_waitcnt lgkmcnt(0)
	s_barrier
	ds_read_b32 v69, v63 offset:48
	s_cmp_lt_i32 s22, 14
	v_mov_b32_e32 v64, 12
	s_cbranch_scc1 .LBB112_202
; %bb.200:
	v_add3_u32 v70, v66, 0, 52
	v_mov_b32_e32 v64, 12
	s_mov_b32 s0, 13
.LBB112_201:                            ; =>This Inner Loop Header: Depth=1
	ds_read_b32 v71, v70
	v_mov_b32_e32 v72, s0
	s_add_i32 s0, s0, 1
	v_add_u32_e32 v70, 4, v70
	s_cmp_lg_u32 s22, s0
	s_waitcnt lgkmcnt(0)
	v_cmp_lt_f32_e64 vcc, |v69|, |v71|
	s_nop 1
	v_cndmask_b32_e32 v69, v69, v71, vcc
	v_cndmask_b32_e32 v64, v64, v72, vcc
	s_cbranch_scc1 .LBB112_201
.LBB112_202:
	s_waitcnt lgkmcnt(0)
	v_cmp_eq_f32_e32 vcc, 0, v69
	s_and_saveexec_b64 s[0:1], vcc
	s_xor_b64 s[0:1], exec, s[0:1]
; %bb.203:
	v_cmp_ne_u32_e32 vcc, 0, v68
	s_nop 1
	v_cndmask_b32_e32 v68, 13, v68, vcc
; %bb.204:
	s_andn2_saveexec_b64 s[0:1], s[0:1]
	s_cbranch_execz .LBB112_206
; %bb.205:
	v_div_scale_f32 v70, s[2:3], v69, v69, 1.0
	v_rcp_f32_e32 v71, v70
	v_div_scale_f32 v72, vcc, 1.0, v69, 1.0
	v_fma_f32 v73, -v70, v71, 1.0
	v_fmac_f32_e32 v71, v73, v71
	v_mul_f32_e32 v73, v72, v71
	v_fma_f32 v74, -v70, v73, v72
	v_fmac_f32_e32 v73, v74, v71
	v_fma_f32 v70, -v70, v73, v72
	v_div_fmas_f32 v70, v70, v71, v73
	v_div_fixup_f32 v69, v70, v69, 1.0
.LBB112_206:
	s_or_b64 exec, exec, s[0:1]
	v_cmp_ne_u32_e32 vcc, v67, v64
	s_and_saveexec_b64 s[0:1], vcc
	s_xor_b64 s[0:1], exec, s[0:1]
	s_cbranch_execz .LBB112_212
; %bb.207:
	v_cmp_eq_u32_e32 vcc, 12, v67
	s_and_saveexec_b64 s[2:3], vcc
	s_cbranch_execz .LBB112_211
; %bb.208:
	v_cmp_ne_u32_e32 vcc, 12, v64
	s_xor_b64 s[12:13], s[20:21], -1
	s_and_b64 s[14:15], s[12:13], vcc
	s_and_saveexec_b64 s[12:13], s[14:15]
	s_cbranch_execz .LBB112_210
; %bb.209:
	v_ashrrev_i32_e32 v65, 31, v64
	v_lshl_add_u64 v[70:71], v[64:65], 2, v[4:5]
	global_load_dword v65, v[70:71], off
	global_load_dword v67, v[4:5], off offset:48
	s_waitcnt vmcnt(1)
	global_store_dword v[4:5], v65, off offset:48
	s_waitcnt vmcnt(1)
	global_store_dword v[70:71], v67, off
.LBB112_210:
	s_or_b64 exec, exec, s[12:13]
	v_mov_b32_e32 v65, v64
	v_mov_b32_e32 v67, v64
.LBB112_211:
	s_or_b64 exec, exec, s[2:3]
.LBB112_212:
	s_andn2_saveexec_b64 s[0:1], s[0:1]
	s_cbranch_execz .LBB112_214
; %bb.213:
	v_mov_b32_e32 v67, 12
	ds_write2_b32 v63, v54, v55 offset0:13 offset1:14
	ds_write2_b32 v63, v52, v53 offset0:15 offset1:16
	;; [unrolled: 1-line block ×22, first 2 shown]
.LBB112_214:
	s_or_b64 exec, exec, s[0:1]
	v_cmp_lt_i32_e32 vcc, 12, v67
	s_waitcnt lgkmcnt(0)
	s_barrier
	s_and_saveexec_b64 s[0:1], vcc
	s_cbranch_execz .LBB112_216
; %bb.215:
	ds_read2_b32 v[70:71], v63 offset0:13 offset1:14
	ds_read2_b32 v[72:73], v63 offset0:15 offset1:16
	;; [unrolled: 1-line block ×4, first 2 shown]
	v_mul_f32_e32 v64, v69, v57
	s_waitcnt lgkmcnt(3)
	v_pk_fma_f32 v[54:55], v[64:65], v[70:71], v[54:55] op_sel_hi:[0,1,1] neg_lo:[1,0,0] neg_hi:[1,0,0]
	s_waitcnt lgkmcnt(2)
	v_pk_fma_f32 v[52:53], v[64:65], v[72:73], v[52:53] op_sel_hi:[0,1,1] neg_lo:[1,0,0] neg_hi:[1,0,0]
	s_waitcnt lgkmcnt(1)
	v_pk_fma_f32 v[44:45], v[64:65], v[74:75], v[44:45] op_sel_hi:[0,1,1] neg_lo:[1,0,0] neg_hi:[1,0,0]
	ds_read2_b32 v[70:71], v63 offset0:21 offset1:22
	ds_read2_b32 v[72:73], v63 offset0:23 offset1:24
	ds_read2_b32 v[74:75], v63 offset0:25 offset1:26
	s_waitcnt lgkmcnt(3)
	v_pk_fma_f32 v[40:41], v[64:65], v[76:77], v[40:41] op_sel_hi:[0,1,1] neg_lo:[1,0,0] neg_hi:[1,0,0]
	ds_read2_b32 v[76:77], v63 offset0:27 offset1:28
	s_waitcnt lgkmcnt(3)
	v_pk_fma_f32 v[34:35], v[64:65], v[70:71], v[34:35] op_sel_hi:[0,1,1] neg_lo:[1,0,0] neg_hi:[1,0,0]
	s_waitcnt lgkmcnt(2)
	v_pk_fma_f32 v[26:27], v[64:65], v[72:73], v[26:27] op_sel_hi:[0,1,1] neg_lo:[1,0,0] neg_hi:[1,0,0]
	s_waitcnt lgkmcnt(1)
	v_pk_fma_f32 v[42:43], v[64:65], v[74:75], v[42:43] op_sel_hi:[0,1,1] neg_lo:[1,0,0] neg_hi:[1,0,0]
	ds_read2_b32 v[70:71], v63 offset0:29 offset1:30
	ds_read2_b32 v[72:73], v63 offset0:31 offset1:32
	ds_read2_b32 v[74:75], v63 offset0:33 offset1:34
	s_waitcnt lgkmcnt(3)
	v_pk_fma_f32 v[36:37], v[64:65], v[76:77], v[36:37] op_sel_hi:[0,1,1] neg_lo:[1,0,0] neg_hi:[1,0,0]
	ds_read2_b32 v[76:77], v63 offset0:35 offset1:36
	;; [unrolled: 12-line block ×3, first 2 shown]
	s_waitcnt lgkmcnt(3)
	v_pk_fma_f32 v[22:23], v[64:65], v[70:71], v[22:23] op_sel_hi:[0,1,1] neg_lo:[1,0,0] neg_hi:[1,0,0]
	ds_read2_b32 v[70:71], v63 offset0:45 offset1:46
	s_waitcnt lgkmcnt(3)
	v_pk_fma_f32 v[16:17], v[64:65], v[72:73], v[16:17] op_sel_hi:[0,1,1] neg_lo:[1,0,0] neg_hi:[1,0,0]
	s_waitcnt lgkmcnt(2)
	v_pk_fma_f32 v[32:33], v[64:65], v[74:75], v[32:33] op_sel_hi:[0,1,1] neg_lo:[1,0,0] neg_hi:[1,0,0]
	;; [unrolled: 2-line block ×3, first 2 shown]
	ds_read2_b32 v[72:73], v63 offset0:47 offset1:48
	ds_read2_b32 v[74:75], v63 offset0:49 offset1:50
	;; [unrolled: 1-line block ×3, first 2 shown]
	s_waitcnt lgkmcnt(3)
	v_pk_fma_f32 v[18:19], v[64:65], v[70:71], v[18:19] op_sel_hi:[0,1,1] neg_lo:[1,0,0] neg_hi:[1,0,0]
	ds_read2_b32 v[70:71], v63 offset0:53 offset1:54
	ds_read2_b32 v[78:79], v63 offset0:55 offset1:56
	s_waitcnt lgkmcnt(4)
	v_pk_fma_f32 v[8:9], v[64:65], v[72:73], v[8:9] op_sel_hi:[0,1,1] neg_lo:[1,0,0] neg_hi:[1,0,0]
	s_waitcnt lgkmcnt(3)
	v_pk_fma_f32 v[14:15], v[64:65], v[74:75], v[14:15] op_sel_hi:[0,1,1] neg_lo:[1,0,0] neg_hi:[1,0,0]
	;; [unrolled: 2-line block ×5, first 2 shown]
	v_mov_b32_e32 v57, v64
.LBB112_216:
	s_or_b64 exec, exec, s[0:1]
	v_lshl_add_u32 v64, v67, 2, v63
	s_barrier
	ds_write_b32 v64, v54
	s_waitcnt lgkmcnt(0)
	s_barrier
	ds_read_b32 v69, v63 offset:52
	s_cmp_lt_i32 s22, 15
	v_mov_b32_e32 v64, 13
	s_cbranch_scc1 .LBB112_219
; %bb.217:
	v_add3_u32 v70, v66, 0, 56
	v_mov_b32_e32 v64, 13
	s_mov_b32 s0, 14
.LBB112_218:                            ; =>This Inner Loop Header: Depth=1
	ds_read_b32 v71, v70
	v_mov_b32_e32 v72, s0
	s_add_i32 s0, s0, 1
	v_add_u32_e32 v70, 4, v70
	s_cmp_lg_u32 s22, s0
	s_waitcnt lgkmcnt(0)
	v_cmp_lt_f32_e64 vcc, |v69|, |v71|
	s_nop 1
	v_cndmask_b32_e32 v69, v69, v71, vcc
	v_cndmask_b32_e32 v64, v64, v72, vcc
	s_cbranch_scc1 .LBB112_218
.LBB112_219:
	s_waitcnt lgkmcnt(0)
	v_cmp_eq_f32_e32 vcc, 0, v69
	s_and_saveexec_b64 s[0:1], vcc
	s_xor_b64 s[0:1], exec, s[0:1]
; %bb.220:
	v_cmp_ne_u32_e32 vcc, 0, v68
	s_nop 1
	v_cndmask_b32_e32 v68, 14, v68, vcc
; %bb.221:
	s_andn2_saveexec_b64 s[0:1], s[0:1]
	s_cbranch_execz .LBB112_223
; %bb.222:
	v_div_scale_f32 v70, s[2:3], v69, v69, 1.0
	v_rcp_f32_e32 v71, v70
	v_div_scale_f32 v72, vcc, 1.0, v69, 1.0
	v_fma_f32 v73, -v70, v71, 1.0
	v_fmac_f32_e32 v71, v73, v71
	v_mul_f32_e32 v73, v72, v71
	v_fma_f32 v74, -v70, v73, v72
	v_fmac_f32_e32 v73, v74, v71
	v_fma_f32 v70, -v70, v73, v72
	v_div_fmas_f32 v70, v70, v71, v73
	v_div_fixup_f32 v69, v70, v69, 1.0
.LBB112_223:
	s_or_b64 exec, exec, s[0:1]
	v_cmp_ne_u32_e32 vcc, v67, v64
	s_and_saveexec_b64 s[0:1], vcc
	s_xor_b64 s[0:1], exec, s[0:1]
	s_cbranch_execz .LBB112_229
; %bb.224:
	v_cmp_eq_u32_e32 vcc, 13, v67
	s_and_saveexec_b64 s[2:3], vcc
	s_cbranch_execz .LBB112_228
; %bb.225:
	v_cmp_ne_u32_e32 vcc, 13, v64
	s_xor_b64 s[12:13], s[20:21], -1
	s_and_b64 s[14:15], s[12:13], vcc
	s_and_saveexec_b64 s[12:13], s[14:15]
	s_cbranch_execz .LBB112_227
; %bb.226:
	v_ashrrev_i32_e32 v65, 31, v64
	v_lshl_add_u64 v[70:71], v[64:65], 2, v[4:5]
	global_load_dword v65, v[70:71], off
	global_load_dword v67, v[4:5], off offset:52
	s_waitcnt vmcnt(1)
	global_store_dword v[4:5], v65, off offset:52
	s_waitcnt vmcnt(1)
	global_store_dword v[70:71], v67, off
.LBB112_227:
	s_or_b64 exec, exec, s[12:13]
	v_mov_b32_e32 v65, v64
	v_mov_b32_e32 v67, v64
.LBB112_228:
	s_or_b64 exec, exec, s[2:3]
.LBB112_229:
	s_andn2_saveexec_b64 s[0:1], s[0:1]
	s_cbranch_execz .LBB112_231
; %bb.230:
	v_pk_mov_b32 v[70:71], v[54:55], v[52:53] op_sel:[1,0]
	ds_write2_b32 v63, v70, v71 offset0:14 offset1:15
	v_pk_mov_b32 v[70:71], v[52:53], v[44:45] op_sel:[1,0]
	ds_write2_b32 v63, v70, v71 offset0:16 offset1:17
	;; [unrolled: 2-line block ×20, first 2 shown]
	v_pk_mov_b32 v[70:71], v[0:1], v[10:11] op_sel:[1,0]
	v_mov_b32_e32 v67, 13
	ds_write2_b32 v63, v70, v71 offset0:54 offset1:55
	ds_write_b32 v63, v11 offset:224
.LBB112_231:
	s_or_b64 exec, exec, s[0:1]
	v_cmp_lt_i32_e32 vcc, 13, v67
	s_waitcnt lgkmcnt(0)
	s_barrier
	s_and_saveexec_b64 s[0:1], vcc
	s_cbranch_execz .LBB112_233
; %bb.232:
	ds_read_b32 v64, v63 offset:56
	ds_read2_b32 v[70:71], v63 offset0:15 offset1:16
	ds_read2_b32 v[72:73], v63 offset0:17 offset1:18
	v_mul_f32_e32 v54, v69, v54
	ds_read2_b32 v[74:75], v63 offset0:19 offset1:20
	s_waitcnt lgkmcnt(3)
	v_fma_f32 v55, -v54, v64, v55
	s_waitcnt lgkmcnt(2)
	v_pk_fma_f32 v[52:53], v[54:55], v[70:71], v[52:53] op_sel_hi:[0,1,1] neg_lo:[1,0,0] neg_hi:[1,0,0]
	s_waitcnt lgkmcnt(1)
	v_pk_fma_f32 v[44:45], v[54:55], v[72:73], v[44:45] op_sel_hi:[0,1,1] neg_lo:[1,0,0] neg_hi:[1,0,0]
	ds_read2_b32 v[70:71], v63 offset0:21 offset1:22
	ds_read2_b32 v[72:73], v63 offset0:23 offset1:24
	ds_read2_b32 v[76:77], v63 offset0:25 offset1:26
	s_waitcnt lgkmcnt(3)
	v_pk_fma_f32 v[40:41], v[54:55], v[74:75], v[40:41] op_sel_hi:[0,1,1] neg_lo:[1,0,0] neg_hi:[1,0,0]
	ds_read2_b32 v[74:75], v63 offset0:27 offset1:28
	s_waitcnt lgkmcnt(3)
	v_pk_fma_f32 v[34:35], v[54:55], v[70:71], v[34:35] op_sel_hi:[0,1,1] neg_lo:[1,0,0] neg_hi:[1,0,0]
	s_waitcnt lgkmcnt(2)
	v_pk_fma_f32 v[26:27], v[54:55], v[72:73], v[26:27] op_sel_hi:[0,1,1] neg_lo:[1,0,0] neg_hi:[1,0,0]
	s_waitcnt lgkmcnt(1)
	v_pk_fma_f32 v[42:43], v[54:55], v[76:77], v[42:43] op_sel_hi:[0,1,1] neg_lo:[1,0,0] neg_hi:[1,0,0]
	ds_read2_b32 v[70:71], v63 offset0:29 offset1:30
	ds_read2_b32 v[72:73], v63 offset0:31 offset1:32
	ds_read2_b32 v[76:77], v63 offset0:33 offset1:34
	s_waitcnt lgkmcnt(3)
	v_pk_fma_f32 v[36:37], v[54:55], v[74:75], v[36:37] op_sel_hi:[0,1,1] neg_lo:[1,0,0] neg_hi:[1,0,0]
	ds_read2_b32 v[74:75], v63 offset0:35 offset1:36
	s_waitcnt lgkmcnt(3)
	v_pk_fma_f32 v[28:29], v[54:55], v[70:71], v[28:29] op_sel_hi:[0,1,1] neg_lo:[1,0,0] neg_hi:[1,0,0]
	;; [unrolled: 12-line block ×3, first 2 shown]
	ds_read2_b32 v[70:71], v63 offset0:45 offset1:46
	s_waitcnt lgkmcnt(3)
	v_pk_fma_f32 v[16:17], v[54:55], v[72:73], v[16:17] op_sel_hi:[0,1,1] neg_lo:[1,0,0] neg_hi:[1,0,0]
	s_waitcnt lgkmcnt(2)
	v_pk_fma_f32 v[32:33], v[54:55], v[76:77], v[32:33] op_sel_hi:[0,1,1] neg_lo:[1,0,0] neg_hi:[1,0,0]
	;; [unrolled: 2-line block ×3, first 2 shown]
	ds_read2_b32 v[72:73], v63 offset0:47 offset1:48
	ds_read2_b32 v[74:75], v63 offset0:49 offset1:50
	;; [unrolled: 1-line block ×3, first 2 shown]
	s_waitcnt lgkmcnt(3)
	v_pk_fma_f32 v[18:19], v[54:55], v[70:71], v[18:19] op_sel_hi:[0,1,1] neg_lo:[1,0,0] neg_hi:[1,0,0]
	ds_read2_b32 v[70:71], v63 offset0:53 offset1:54
	ds_read2_b32 v[78:79], v63 offset0:55 offset1:56
	s_waitcnt lgkmcnt(4)
	v_pk_fma_f32 v[8:9], v[54:55], v[72:73], v[8:9] op_sel_hi:[0,1,1] neg_lo:[1,0,0] neg_hi:[1,0,0]
	s_waitcnt lgkmcnt(3)
	v_pk_fma_f32 v[14:15], v[54:55], v[74:75], v[14:15] op_sel_hi:[0,1,1] neg_lo:[1,0,0] neg_hi:[1,0,0]
	;; [unrolled: 2-line block ×5, first 2 shown]
.LBB112_233:
	s_or_b64 exec, exec, s[0:1]
	v_lshl_add_u32 v64, v67, 2, v63
	s_barrier
	ds_write_b32 v64, v55
	s_waitcnt lgkmcnt(0)
	s_barrier
	ds_read_b32 v69, v63 offset:56
	s_cmp_lt_i32 s22, 16
	v_mov_b32_e32 v64, 14
	s_cbranch_scc1 .LBB112_236
; %bb.234:
	v_add3_u32 v70, v66, 0, 60
	v_mov_b32_e32 v64, 14
	s_mov_b32 s0, 15
.LBB112_235:                            ; =>This Inner Loop Header: Depth=1
	ds_read_b32 v71, v70
	v_mov_b32_e32 v72, s0
	s_add_i32 s0, s0, 1
	v_add_u32_e32 v70, 4, v70
	s_cmp_lg_u32 s22, s0
	s_waitcnt lgkmcnt(0)
	v_cmp_lt_f32_e64 vcc, |v69|, |v71|
	s_nop 1
	v_cndmask_b32_e32 v69, v69, v71, vcc
	v_cndmask_b32_e32 v64, v64, v72, vcc
	s_cbranch_scc1 .LBB112_235
.LBB112_236:
	s_waitcnt lgkmcnt(0)
	v_cmp_eq_f32_e32 vcc, 0, v69
	s_and_saveexec_b64 s[0:1], vcc
	s_xor_b64 s[0:1], exec, s[0:1]
; %bb.237:
	v_cmp_ne_u32_e32 vcc, 0, v68
	s_nop 1
	v_cndmask_b32_e32 v68, 15, v68, vcc
; %bb.238:
	s_andn2_saveexec_b64 s[0:1], s[0:1]
	s_cbranch_execz .LBB112_240
; %bb.239:
	v_div_scale_f32 v70, s[2:3], v69, v69, 1.0
	v_rcp_f32_e32 v71, v70
	v_div_scale_f32 v72, vcc, 1.0, v69, 1.0
	v_fma_f32 v73, -v70, v71, 1.0
	v_fmac_f32_e32 v71, v73, v71
	v_mul_f32_e32 v73, v72, v71
	v_fma_f32 v74, -v70, v73, v72
	v_fmac_f32_e32 v73, v74, v71
	v_fma_f32 v70, -v70, v73, v72
	v_div_fmas_f32 v70, v70, v71, v73
	v_div_fixup_f32 v69, v70, v69, 1.0
.LBB112_240:
	s_or_b64 exec, exec, s[0:1]
	v_cmp_ne_u32_e32 vcc, v67, v64
	s_and_saveexec_b64 s[0:1], vcc
	s_xor_b64 s[0:1], exec, s[0:1]
	s_cbranch_execz .LBB112_246
; %bb.241:
	v_cmp_eq_u32_e32 vcc, 14, v67
	s_and_saveexec_b64 s[2:3], vcc
	s_cbranch_execz .LBB112_245
; %bb.242:
	v_cmp_ne_u32_e32 vcc, 14, v64
	s_xor_b64 s[12:13], s[20:21], -1
	s_and_b64 s[14:15], s[12:13], vcc
	s_and_saveexec_b64 s[12:13], s[14:15]
	s_cbranch_execz .LBB112_244
; %bb.243:
	v_ashrrev_i32_e32 v65, 31, v64
	v_lshl_add_u64 v[70:71], v[64:65], 2, v[4:5]
	global_load_dword v65, v[70:71], off
	global_load_dword v67, v[4:5], off offset:56
	s_waitcnt vmcnt(1)
	global_store_dword v[4:5], v65, off offset:56
	s_waitcnt vmcnt(1)
	global_store_dword v[70:71], v67, off
.LBB112_244:
	s_or_b64 exec, exec, s[12:13]
	v_mov_b32_e32 v65, v64
	v_mov_b32_e32 v67, v64
.LBB112_245:
	s_or_b64 exec, exec, s[2:3]
.LBB112_246:
	s_andn2_saveexec_b64 s[0:1], s[0:1]
	s_cbranch_execz .LBB112_248
; %bb.247:
	v_mov_b32_e32 v67, 14
	ds_write2_b32 v63, v52, v53 offset0:15 offset1:16
	ds_write2_b32 v63, v44, v45 offset0:17 offset1:18
	ds_write2_b32 v63, v40, v41 offset0:19 offset1:20
	ds_write2_b32 v63, v34, v35 offset0:21 offset1:22
	ds_write2_b32 v63, v26, v27 offset0:23 offset1:24
	ds_write2_b32 v63, v42, v43 offset0:25 offset1:26
	ds_write2_b32 v63, v36, v37 offset0:27 offset1:28
	ds_write2_b32 v63, v28, v29 offset0:29 offset1:30
	ds_write2_b32 v63, v20, v21 offset0:31 offset1:32
	ds_write2_b32 v63, v38, v39 offset0:33 offset1:34
	ds_write2_b32 v63, v30, v31 offset0:35 offset1:36
	ds_write2_b32 v63, v22, v23 offset0:37 offset1:38
	ds_write2_b32 v63, v16, v17 offset0:39 offset1:40
	ds_write2_b32 v63, v32, v33 offset0:41 offset1:42
	ds_write2_b32 v63, v24, v25 offset0:43 offset1:44
	ds_write2_b32 v63, v18, v19 offset0:45 offset1:46
	ds_write2_b32 v63, v8, v9 offset0:47 offset1:48
	ds_write2_b32 v63, v14, v15 offset0:49 offset1:50
	ds_write2_b32 v63, v12, v13 offset0:51 offset1:52
	ds_write2_b32 v63, v0, v1 offset0:53 offset1:54
	ds_write2_b32 v63, v10, v11 offset0:55 offset1:56
.LBB112_248:
	s_or_b64 exec, exec, s[0:1]
	v_cmp_lt_i32_e32 vcc, 14, v67
	s_waitcnt lgkmcnt(0)
	s_barrier
	s_and_saveexec_b64 s[0:1], vcc
	s_cbranch_execz .LBB112_250
; %bb.249:
	ds_read2_b32 v[70:71], v63 offset0:15 offset1:16
	ds_read2_b32 v[72:73], v63 offset0:17 offset1:18
	ds_read2_b32 v[74:75], v63 offset0:19 offset1:20
	v_mul_f32_e32 v64, v69, v55
	ds_read2_b32 v[76:77], v63 offset0:21 offset1:22
	s_waitcnt lgkmcnt(3)
	v_pk_fma_f32 v[52:53], v[64:65], v[70:71], v[52:53] op_sel_hi:[0,1,1] neg_lo:[1,0,0] neg_hi:[1,0,0]
	s_waitcnt lgkmcnt(2)
	v_pk_fma_f32 v[44:45], v[64:65], v[72:73], v[44:45] op_sel_hi:[0,1,1] neg_lo:[1,0,0] neg_hi:[1,0,0]
	;; [unrolled: 2-line block ×3, first 2 shown]
	ds_read2_b32 v[70:71], v63 offset0:23 offset1:24
	ds_read2_b32 v[72:73], v63 offset0:25 offset1:26
	;; [unrolled: 1-line block ×3, first 2 shown]
	s_waitcnt lgkmcnt(3)
	v_pk_fma_f32 v[34:35], v[64:65], v[76:77], v[34:35] op_sel_hi:[0,1,1] neg_lo:[1,0,0] neg_hi:[1,0,0]
	ds_read2_b32 v[76:77], v63 offset0:29 offset1:30
	s_waitcnt lgkmcnt(3)
	v_pk_fma_f32 v[26:27], v[64:65], v[70:71], v[26:27] op_sel_hi:[0,1,1] neg_lo:[1,0,0] neg_hi:[1,0,0]
	s_waitcnt lgkmcnt(2)
	v_pk_fma_f32 v[42:43], v[64:65], v[72:73], v[42:43] op_sel_hi:[0,1,1] neg_lo:[1,0,0] neg_hi:[1,0,0]
	s_waitcnt lgkmcnt(1)
	v_pk_fma_f32 v[36:37], v[64:65], v[74:75], v[36:37] op_sel_hi:[0,1,1] neg_lo:[1,0,0] neg_hi:[1,0,0]
	ds_read2_b32 v[70:71], v63 offset0:31 offset1:32
	ds_read2_b32 v[72:73], v63 offset0:33 offset1:34
	;; [unrolled: 1-line block ×3, first 2 shown]
	s_waitcnt lgkmcnt(3)
	v_pk_fma_f32 v[28:29], v[64:65], v[76:77], v[28:29] op_sel_hi:[0,1,1] neg_lo:[1,0,0] neg_hi:[1,0,0]
	ds_read2_b32 v[76:77], v63 offset0:37 offset1:38
	s_waitcnt lgkmcnt(3)
	v_pk_fma_f32 v[20:21], v[64:65], v[70:71], v[20:21] op_sel_hi:[0,1,1] neg_lo:[1,0,0] neg_hi:[1,0,0]
	s_waitcnt lgkmcnt(2)
	v_pk_fma_f32 v[38:39], v[64:65], v[72:73], v[38:39] op_sel_hi:[0,1,1] neg_lo:[1,0,0] neg_hi:[1,0,0]
	;; [unrolled: 2-line block ×3, first 2 shown]
	ds_read2_b32 v[70:71], v63 offset0:39 offset1:40
	ds_read2_b32 v[72:73], v63 offset0:41 offset1:42
	;; [unrolled: 1-line block ×4, first 2 shown]
	s_waitcnt lgkmcnt(4)
	v_pk_fma_f32 v[22:23], v[64:65], v[76:77], v[22:23] op_sel_hi:[0,1,1] neg_lo:[1,0,0] neg_hi:[1,0,0]
	s_waitcnt lgkmcnt(3)
	v_pk_fma_f32 v[16:17], v[64:65], v[70:71], v[16:17] op_sel_hi:[0,1,1] neg_lo:[1,0,0] neg_hi:[1,0,0]
	;; [unrolled: 2-line block ×5, first 2 shown]
	ds_read2_b32 v[70:71], v63 offset0:47 offset1:48
	ds_read2_b32 v[72:73], v63 offset0:49 offset1:50
	;; [unrolled: 1-line block ×5, first 2 shown]
	s_waitcnt lgkmcnt(4)
	v_pk_fma_f32 v[8:9], v[64:65], v[70:71], v[8:9] op_sel_hi:[0,1,1] neg_lo:[1,0,0] neg_hi:[1,0,0]
	s_waitcnt lgkmcnt(3)
	v_pk_fma_f32 v[14:15], v[64:65], v[72:73], v[14:15] op_sel_hi:[0,1,1] neg_lo:[1,0,0] neg_hi:[1,0,0]
	s_waitcnt lgkmcnt(2)
	v_pk_fma_f32 v[12:13], v[64:65], v[74:75], v[12:13] op_sel_hi:[0,1,1] neg_lo:[1,0,0] neg_hi:[1,0,0]
	s_waitcnt lgkmcnt(1)
	v_pk_fma_f32 v[0:1], v[64:65], v[76:77], v[0:1] op_sel_hi:[0,1,1] neg_lo:[1,0,0] neg_hi:[1,0,0]
	s_waitcnt lgkmcnt(0)
	v_pk_fma_f32 v[10:11], v[64:65], v[78:79], v[10:11] op_sel_hi:[0,1,1] neg_lo:[1,0,0] neg_hi:[1,0,0]
	v_mov_b32_e32 v55, v64
.LBB112_250:
	s_or_b64 exec, exec, s[0:1]
	v_lshl_add_u32 v64, v67, 2, v63
	s_barrier
	ds_write_b32 v64, v52
	s_waitcnt lgkmcnt(0)
	s_barrier
	ds_read_b32 v69, v63 offset:60
	s_cmp_lt_i32 s22, 17
	v_mov_b32_e32 v64, 15
	s_cbranch_scc1 .LBB112_253
; %bb.251:
	v_add3_u32 v66, v66, 0, 64
	v_mov_b32_e32 v64, 15
	s_mov_b32 s0, 16
.LBB112_252:                            ; =>This Inner Loop Header: Depth=1
	ds_read_b32 v70, v66
	v_mov_b32_e32 v71, s0
	s_add_i32 s0, s0, 1
	v_add_u32_e32 v66, 4, v66
	s_cmp_lg_u32 s22, s0
	s_waitcnt lgkmcnt(0)
	v_cmp_lt_f32_e64 vcc, |v69|, |v70|
	s_nop 1
	v_cndmask_b32_e32 v69, v69, v70, vcc
	v_cndmask_b32_e32 v64, v64, v71, vcc
	s_cbranch_scc1 .LBB112_252
.LBB112_253:
	s_waitcnt lgkmcnt(0)
	v_cmp_eq_f32_e32 vcc, 0, v69
	s_and_saveexec_b64 s[0:1], vcc
	s_xor_b64 s[0:1], exec, s[0:1]
; %bb.254:
	v_cmp_ne_u32_e32 vcc, 0, v68
	s_nop 1
	v_cndmask_b32_e32 v68, 16, v68, vcc
; %bb.255:
	s_andn2_saveexec_b64 s[0:1], s[0:1]
	s_cbranch_execz .LBB112_257
; %bb.256:
	v_div_scale_f32 v66, s[2:3], v69, v69, 1.0
	v_rcp_f32_e32 v70, v66
	v_div_scale_f32 v71, vcc, 1.0, v69, 1.0
	v_fma_f32 v72, -v66, v70, 1.0
	v_fmac_f32_e32 v70, v72, v70
	v_mul_f32_e32 v72, v71, v70
	v_fma_f32 v73, -v66, v72, v71
	v_fmac_f32_e32 v72, v73, v70
	v_fma_f32 v66, -v66, v72, v71
	v_div_fmas_f32 v66, v66, v70, v72
	v_div_fixup_f32 v69, v66, v69, 1.0
.LBB112_257:
	s_or_b64 exec, exec, s[0:1]
	v_cmp_ne_u32_e32 vcc, v67, v64
	s_and_saveexec_b64 s[0:1], vcc
	s_xor_b64 s[0:1], exec, s[0:1]
	s_cbranch_execz .LBB112_263
; %bb.258:
	v_cmp_eq_u32_e32 vcc, 15, v67
	s_and_saveexec_b64 s[2:3], vcc
	s_cbranch_execz .LBB112_262
; %bb.259:
	v_cmp_ne_u32_e32 vcc, 15, v64
	s_xor_b64 s[12:13], s[20:21], -1
	s_and_b64 s[14:15], s[12:13], vcc
	s_and_saveexec_b64 s[12:13], s[14:15]
	s_cbranch_execz .LBB112_261
; %bb.260:
	v_ashrrev_i32_e32 v65, 31, v64
	v_lshl_add_u64 v[66:67], v[64:65], 2, v[4:5]
	global_load_dword v65, v[66:67], off
	global_load_dword v70, v[4:5], off offset:60
	s_waitcnt vmcnt(1)
	global_store_dword v[4:5], v65, off offset:60
	s_waitcnt vmcnt(1)
	global_store_dword v[66:67], v70, off
.LBB112_261:
	s_or_b64 exec, exec, s[12:13]
	v_mov_b32_e32 v65, v64
	v_mov_b32_e32 v67, v64
.LBB112_262:
	s_or_b64 exec, exec, s[2:3]
.LBB112_263:
	s_andn2_saveexec_b64 s[0:1], s[0:1]
	s_cbranch_execz .LBB112_265
; %bb.264:
	v_pk_mov_b32 v[66:67], v[52:53], v[44:45] op_sel:[1,0]
	ds_write2_b32 v63, v66, v67 offset0:16 offset1:17
	v_pk_mov_b32 v[66:67], v[44:45], v[40:41] op_sel:[1,0]
	ds_write2_b32 v63, v66, v67 offset0:18 offset1:19
	;; [unrolled: 2-line block ×20, first 2 shown]
	ds_write_b32 v63, v11 offset:224
	v_mov_b32_e32 v67, 15
.LBB112_265:
	s_or_b64 exec, exec, s[0:1]
	v_cmp_lt_i32_e32 vcc, 15, v67
	s_waitcnt lgkmcnt(0)
	s_barrier
	s_and_saveexec_b64 s[0:1], vcc
	s_cbranch_execz .LBB112_267
; %bb.266:
	ds_read_b32 v64, v63 offset:64
	ds_read2_b32 v[70:71], v63 offset0:17 offset1:18
	ds_read2_b32 v[72:73], v63 offset0:19 offset1:20
	v_mul_f32_e32 v52, v69, v52
	ds_read2_b32 v[74:75], v63 offset0:21 offset1:22
	s_waitcnt lgkmcnt(3)
	v_fma_f32 v53, -v52, v64, v53
	s_waitcnt lgkmcnt(2)
	v_pk_fma_f32 v[44:45], v[52:53], v[70:71], v[44:45] op_sel_hi:[0,1,1] neg_lo:[1,0,0] neg_hi:[1,0,0]
	s_waitcnt lgkmcnt(1)
	v_pk_fma_f32 v[40:41], v[52:53], v[72:73], v[40:41] op_sel_hi:[0,1,1] neg_lo:[1,0,0] neg_hi:[1,0,0]
	ds_read2_b32 v[70:71], v63 offset0:23 offset1:24
	ds_read2_b32 v[72:73], v63 offset0:25 offset1:26
	;; [unrolled: 1-line block ×3, first 2 shown]
	s_waitcnt lgkmcnt(3)
	v_pk_fma_f32 v[34:35], v[52:53], v[74:75], v[34:35] op_sel_hi:[0,1,1] neg_lo:[1,0,0] neg_hi:[1,0,0]
	ds_read2_b32 v[74:75], v63 offset0:29 offset1:30
	s_waitcnt lgkmcnt(3)
	v_pk_fma_f32 v[26:27], v[52:53], v[70:71], v[26:27] op_sel_hi:[0,1,1] neg_lo:[1,0,0] neg_hi:[1,0,0]
	s_waitcnt lgkmcnt(2)
	v_pk_fma_f32 v[42:43], v[52:53], v[72:73], v[42:43] op_sel_hi:[0,1,1] neg_lo:[1,0,0] neg_hi:[1,0,0]
	;; [unrolled: 2-line block ×3, first 2 shown]
	ds_read2_b32 v[70:71], v63 offset0:31 offset1:32
	ds_read2_b32 v[72:73], v63 offset0:33 offset1:34
	;; [unrolled: 1-line block ×3, first 2 shown]
	s_waitcnt lgkmcnt(3)
	v_pk_fma_f32 v[28:29], v[52:53], v[74:75], v[28:29] op_sel_hi:[0,1,1] neg_lo:[1,0,0] neg_hi:[1,0,0]
	ds_read2_b32 v[74:75], v63 offset0:37 offset1:38
	s_waitcnt lgkmcnt(3)
	v_pk_fma_f32 v[20:21], v[52:53], v[70:71], v[20:21] op_sel_hi:[0,1,1] neg_lo:[1,0,0] neg_hi:[1,0,0]
	s_waitcnt lgkmcnt(2)
	v_pk_fma_f32 v[38:39], v[52:53], v[72:73], v[38:39] op_sel_hi:[0,1,1] neg_lo:[1,0,0] neg_hi:[1,0,0]
	;; [unrolled: 2-line block ×3, first 2 shown]
	ds_read2_b32 v[70:71], v63 offset0:39 offset1:40
	ds_read2_b32 v[72:73], v63 offset0:41 offset1:42
	ds_read2_b32 v[76:77], v63 offset0:43 offset1:44
	ds_read2_b32 v[78:79], v63 offset0:45 offset1:46
	s_waitcnt lgkmcnt(4)
	v_pk_fma_f32 v[22:23], v[52:53], v[74:75], v[22:23] op_sel_hi:[0,1,1] neg_lo:[1,0,0] neg_hi:[1,0,0]
	s_waitcnt lgkmcnt(3)
	v_pk_fma_f32 v[16:17], v[52:53], v[70:71], v[16:17] op_sel_hi:[0,1,1] neg_lo:[1,0,0] neg_hi:[1,0,0]
	;; [unrolled: 2-line block ×5, first 2 shown]
	ds_read2_b32 v[70:71], v63 offset0:47 offset1:48
	ds_read2_b32 v[72:73], v63 offset0:49 offset1:50
	;; [unrolled: 1-line block ×5, first 2 shown]
	s_waitcnt lgkmcnt(4)
	v_pk_fma_f32 v[8:9], v[52:53], v[70:71], v[8:9] op_sel_hi:[0,1,1] neg_lo:[1,0,0] neg_hi:[1,0,0]
	s_waitcnt lgkmcnt(3)
	v_pk_fma_f32 v[14:15], v[52:53], v[72:73], v[14:15] op_sel_hi:[0,1,1] neg_lo:[1,0,0] neg_hi:[1,0,0]
	s_waitcnt lgkmcnt(2)
	v_pk_fma_f32 v[12:13], v[52:53], v[74:75], v[12:13] op_sel_hi:[0,1,1] neg_lo:[1,0,0] neg_hi:[1,0,0]
	s_waitcnt lgkmcnt(1)
	v_pk_fma_f32 v[0:1], v[52:53], v[76:77], v[0:1] op_sel_hi:[0,1,1] neg_lo:[1,0,0] neg_hi:[1,0,0]
	s_waitcnt lgkmcnt(0)
	v_pk_fma_f32 v[10:11], v[52:53], v[78:79], v[10:11] op_sel_hi:[0,1,1] neg_lo:[1,0,0] neg_hi:[1,0,0]
.LBB112_267:
	s_or_b64 exec, exec, s[0:1]
	v_lshl_add_u32 v64, v67, 2, v63
	s_barrier
	ds_write_b32 v64, v53
	s_waitcnt lgkmcnt(0)
	s_barrier
	ds_read_b32 v66, v63 offset:64
	s_cmp_lt_i32 s22, 18
	v_mov_b32_e32 v64, 16
	s_cbranch_scc1 .LBB112_270
; %bb.268:
	v_add_u32_e32 v69, 0x44, v63
	v_mov_b32_e32 v64, 16
	s_mov_b32 s0, 17
.LBB112_269:                            ; =>This Inner Loop Header: Depth=1
	ds_read_b32 v70, v69
	v_mov_b32_e32 v71, s0
	s_add_i32 s0, s0, 1
	v_add_u32_e32 v69, 4, v69
	s_cmp_lg_u32 s22, s0
	s_waitcnt lgkmcnt(0)
	v_cmp_lt_f32_e64 vcc, |v66|, |v70|
	s_nop 1
	v_cndmask_b32_e32 v66, v66, v70, vcc
	v_cndmask_b32_e32 v64, v64, v71, vcc
	s_cbranch_scc1 .LBB112_269
.LBB112_270:
	s_waitcnt lgkmcnt(0)
	v_cmp_eq_f32_e32 vcc, 0, v66
	s_and_saveexec_b64 s[0:1], vcc
	s_xor_b64 s[0:1], exec, s[0:1]
; %bb.271:
	v_cmp_ne_u32_e32 vcc, 0, v68
	s_nop 1
	v_cndmask_b32_e32 v68, 17, v68, vcc
; %bb.272:
	s_andn2_saveexec_b64 s[0:1], s[0:1]
	s_cbranch_execz .LBB112_274
; %bb.273:
	v_div_scale_f32 v69, s[2:3], v66, v66, 1.0
	v_rcp_f32_e32 v70, v69
	v_div_scale_f32 v71, vcc, 1.0, v66, 1.0
	v_fma_f32 v72, -v69, v70, 1.0
	v_fmac_f32_e32 v70, v72, v70
	v_mul_f32_e32 v72, v71, v70
	v_fma_f32 v73, -v69, v72, v71
	v_fmac_f32_e32 v72, v73, v70
	v_fma_f32 v69, -v69, v72, v71
	v_div_fmas_f32 v69, v69, v70, v72
	v_div_fixup_f32 v66, v69, v66, 1.0
.LBB112_274:
	s_or_b64 exec, exec, s[0:1]
	v_cmp_ne_u32_e32 vcc, v67, v64
	s_and_saveexec_b64 s[0:1], vcc
	s_xor_b64 s[0:1], exec, s[0:1]
	s_cbranch_execz .LBB112_280
; %bb.275:
	v_cmp_eq_u32_e32 vcc, 16, v67
	s_and_saveexec_b64 s[2:3], vcc
	s_cbranch_execz .LBB112_279
; %bb.276:
	v_cmp_ne_u32_e32 vcc, 16, v64
	s_xor_b64 s[12:13], s[20:21], -1
	s_and_b64 s[14:15], s[12:13], vcc
	s_and_saveexec_b64 s[12:13], s[14:15]
	s_cbranch_execz .LBB112_278
; %bb.277:
	v_ashrrev_i32_e32 v65, 31, v64
	v_lshl_add_u64 v[70:71], v[64:65], 2, v[4:5]
	global_load_dword v65, v[70:71], off
	global_load_dword v67, v[4:5], off offset:64
	s_waitcnt vmcnt(1)
	global_store_dword v[4:5], v65, off offset:64
	s_waitcnt vmcnt(1)
	global_store_dword v[70:71], v67, off
.LBB112_278:
	s_or_b64 exec, exec, s[12:13]
	v_mov_b32_e32 v65, v64
	v_mov_b32_e32 v67, v64
.LBB112_279:
	s_or_b64 exec, exec, s[2:3]
.LBB112_280:
	s_andn2_saveexec_b64 s[0:1], s[0:1]
	s_cbranch_execz .LBB112_282
; %bb.281:
	v_mov_b32_e32 v67, 16
	ds_write2_b32 v63, v44, v45 offset0:17 offset1:18
	ds_write2_b32 v63, v40, v41 offset0:19 offset1:20
	;; [unrolled: 1-line block ×20, first 2 shown]
.LBB112_282:
	s_or_b64 exec, exec, s[0:1]
	v_cmp_lt_i32_e32 vcc, 16, v67
	s_waitcnt lgkmcnt(0)
	s_barrier
	s_and_saveexec_b64 s[0:1], vcc
	s_cbranch_execz .LBB112_284
; %bb.283:
	ds_read2_b32 v[70:71], v63 offset0:17 offset1:18
	ds_read2_b32 v[72:73], v63 offset0:19 offset1:20
	;; [unrolled: 1-line block ×3, first 2 shown]
	v_mul_f32_e32 v64, v66, v53
	ds_read2_b32 v[76:77], v63 offset0:23 offset1:24
	s_waitcnt lgkmcnt(3)
	v_pk_fma_f32 v[44:45], v[64:65], v[70:71], v[44:45] op_sel_hi:[0,1,1] neg_lo:[1,0,0] neg_hi:[1,0,0]
	s_waitcnt lgkmcnt(2)
	v_pk_fma_f32 v[40:41], v[64:65], v[72:73], v[40:41] op_sel_hi:[0,1,1] neg_lo:[1,0,0] neg_hi:[1,0,0]
	s_waitcnt lgkmcnt(1)
	v_pk_fma_f32 v[34:35], v[64:65], v[74:75], v[34:35] op_sel_hi:[0,1,1] neg_lo:[1,0,0] neg_hi:[1,0,0]
	ds_read2_b32 v[70:71], v63 offset0:25 offset1:26
	ds_read2_b32 v[72:73], v63 offset0:27 offset1:28
	ds_read2_b32 v[74:75], v63 offset0:29 offset1:30
	s_waitcnt lgkmcnt(3)
	v_pk_fma_f32 v[26:27], v[64:65], v[76:77], v[26:27] op_sel_hi:[0,1,1] neg_lo:[1,0,0] neg_hi:[1,0,0]
	ds_read2_b32 v[76:77], v63 offset0:31 offset1:32
	s_waitcnt lgkmcnt(3)
	v_pk_fma_f32 v[42:43], v[64:65], v[70:71], v[42:43] op_sel_hi:[0,1,1] neg_lo:[1,0,0] neg_hi:[1,0,0]
	s_waitcnt lgkmcnt(2)
	v_pk_fma_f32 v[36:37], v[64:65], v[72:73], v[36:37] op_sel_hi:[0,1,1] neg_lo:[1,0,0] neg_hi:[1,0,0]
	s_waitcnt lgkmcnt(1)
	v_pk_fma_f32 v[28:29], v[64:65], v[74:75], v[28:29] op_sel_hi:[0,1,1] neg_lo:[1,0,0] neg_hi:[1,0,0]
	ds_read2_b32 v[70:71], v63 offset0:33 offset1:34
	ds_read2_b32 v[72:73], v63 offset0:35 offset1:36
	ds_read2_b32 v[74:75], v63 offset0:37 offset1:38
	s_waitcnt lgkmcnt(3)
	v_pk_fma_f32 v[20:21], v[64:65], v[76:77], v[20:21] op_sel_hi:[0,1,1] neg_lo:[1,0,0] neg_hi:[1,0,0]
	;; [unrolled: 12-line block ×3, first 2 shown]
	ds_read2_b32 v[76:77], v63 offset0:47 offset1:48
	s_waitcnt lgkmcnt(3)
	v_pk_fma_f32 v[32:33], v[64:65], v[70:71], v[32:33] op_sel_hi:[0,1,1] neg_lo:[1,0,0] neg_hi:[1,0,0]
	s_waitcnt lgkmcnt(2)
	v_pk_fma_f32 v[24:25], v[64:65], v[72:73], v[24:25] op_sel_hi:[0,1,1] neg_lo:[1,0,0] neg_hi:[1,0,0]
	;; [unrolled: 2-line block ×3, first 2 shown]
	ds_read2_b32 v[70:71], v63 offset0:49 offset1:50
	ds_read2_b32 v[72:73], v63 offset0:51 offset1:52
	;; [unrolled: 1-line block ×4, first 2 shown]
	s_waitcnt lgkmcnt(4)
	v_pk_fma_f32 v[8:9], v[64:65], v[76:77], v[8:9] op_sel_hi:[0,1,1] neg_lo:[1,0,0] neg_hi:[1,0,0]
	s_waitcnt lgkmcnt(3)
	v_pk_fma_f32 v[14:15], v[64:65], v[70:71], v[14:15] op_sel_hi:[0,1,1] neg_lo:[1,0,0] neg_hi:[1,0,0]
	;; [unrolled: 2-line block ×5, first 2 shown]
	v_mov_b32_e32 v53, v64
.LBB112_284:
	s_or_b64 exec, exec, s[0:1]
	v_lshl_add_u32 v64, v67, 2, v63
	s_barrier
	ds_write_b32 v64, v44
	s_waitcnt lgkmcnt(0)
	s_barrier
	ds_read_b32 v66, v63 offset:68
	s_cmp_lt_i32 s22, 19
	v_mov_b32_e32 v64, 17
	s_cbranch_scc1 .LBB112_287
; %bb.285:
	v_add_u32_e32 v69, 0x48, v63
	v_mov_b32_e32 v64, 17
	s_mov_b32 s0, 18
.LBB112_286:                            ; =>This Inner Loop Header: Depth=1
	ds_read_b32 v70, v69
	v_mov_b32_e32 v71, s0
	s_add_i32 s0, s0, 1
	v_add_u32_e32 v69, 4, v69
	s_cmp_lg_u32 s22, s0
	s_waitcnt lgkmcnt(0)
	v_cmp_lt_f32_e64 vcc, |v66|, |v70|
	s_nop 1
	v_cndmask_b32_e32 v66, v66, v70, vcc
	v_cndmask_b32_e32 v64, v64, v71, vcc
	s_cbranch_scc1 .LBB112_286
.LBB112_287:
	s_waitcnt lgkmcnt(0)
	v_cmp_eq_f32_e32 vcc, 0, v66
	s_and_saveexec_b64 s[0:1], vcc
	s_xor_b64 s[0:1], exec, s[0:1]
; %bb.288:
	v_cmp_ne_u32_e32 vcc, 0, v68
	s_nop 1
	v_cndmask_b32_e32 v68, 18, v68, vcc
; %bb.289:
	s_andn2_saveexec_b64 s[0:1], s[0:1]
	s_cbranch_execz .LBB112_291
; %bb.290:
	v_div_scale_f32 v69, s[2:3], v66, v66, 1.0
	v_rcp_f32_e32 v70, v69
	v_div_scale_f32 v71, vcc, 1.0, v66, 1.0
	v_fma_f32 v72, -v69, v70, 1.0
	v_fmac_f32_e32 v70, v72, v70
	v_mul_f32_e32 v72, v71, v70
	v_fma_f32 v73, -v69, v72, v71
	v_fmac_f32_e32 v72, v73, v70
	v_fma_f32 v69, -v69, v72, v71
	v_div_fmas_f32 v69, v69, v70, v72
	v_div_fixup_f32 v66, v69, v66, 1.0
.LBB112_291:
	s_or_b64 exec, exec, s[0:1]
	v_cmp_ne_u32_e32 vcc, v67, v64
	s_and_saveexec_b64 s[0:1], vcc
	s_xor_b64 s[0:1], exec, s[0:1]
	s_cbranch_execz .LBB112_297
; %bb.292:
	v_cmp_eq_u32_e32 vcc, 17, v67
	s_and_saveexec_b64 s[2:3], vcc
	s_cbranch_execz .LBB112_296
; %bb.293:
	v_cmp_ne_u32_e32 vcc, 17, v64
	s_xor_b64 s[12:13], s[20:21], -1
	s_and_b64 s[14:15], s[12:13], vcc
	s_and_saveexec_b64 s[12:13], s[14:15]
	s_cbranch_execz .LBB112_295
; %bb.294:
	v_ashrrev_i32_e32 v65, 31, v64
	v_lshl_add_u64 v[70:71], v[64:65], 2, v[4:5]
	global_load_dword v65, v[70:71], off
	global_load_dword v67, v[4:5], off offset:68
	s_waitcnt vmcnt(1)
	global_store_dword v[4:5], v65, off offset:68
	s_waitcnt vmcnt(1)
	global_store_dword v[70:71], v67, off
.LBB112_295:
	s_or_b64 exec, exec, s[12:13]
	v_mov_b32_e32 v65, v64
	v_mov_b32_e32 v67, v64
.LBB112_296:
	s_or_b64 exec, exec, s[2:3]
.LBB112_297:
	s_andn2_saveexec_b64 s[0:1], s[0:1]
	s_cbranch_execz .LBB112_299
; %bb.298:
	v_pk_mov_b32 v[70:71], v[44:45], v[40:41] op_sel:[1,0]
	ds_write2_b32 v63, v70, v71 offset0:18 offset1:19
	v_pk_mov_b32 v[70:71], v[40:41], v[34:35] op_sel:[1,0]
	ds_write2_b32 v63, v70, v71 offset0:20 offset1:21
	;; [unrolled: 2-line block ×18, first 2 shown]
	v_pk_mov_b32 v[70:71], v[0:1], v[10:11] op_sel:[1,0]
	v_mov_b32_e32 v67, 17
	ds_write2_b32 v63, v70, v71 offset0:54 offset1:55
	ds_write_b32 v63, v11 offset:224
.LBB112_299:
	s_or_b64 exec, exec, s[0:1]
	v_cmp_lt_i32_e32 vcc, 17, v67
	s_waitcnt lgkmcnt(0)
	s_barrier
	s_and_saveexec_b64 s[0:1], vcc
	s_cbranch_execz .LBB112_301
; %bb.300:
	ds_read_b32 v64, v63 offset:72
	ds_read2_b32 v[70:71], v63 offset0:19 offset1:20
	ds_read2_b32 v[72:73], v63 offset0:21 offset1:22
	v_mul_f32_e32 v44, v66, v44
	ds_read2_b32 v[74:75], v63 offset0:23 offset1:24
	s_waitcnt lgkmcnt(3)
	v_fma_f32 v45, -v44, v64, v45
	s_waitcnt lgkmcnt(2)
	v_pk_fma_f32 v[40:41], v[44:45], v[70:71], v[40:41] op_sel_hi:[0,1,1] neg_lo:[1,0,0] neg_hi:[1,0,0]
	s_waitcnt lgkmcnt(1)
	v_pk_fma_f32 v[34:35], v[44:45], v[72:73], v[34:35] op_sel_hi:[0,1,1] neg_lo:[1,0,0] neg_hi:[1,0,0]
	ds_read2_b32 v[70:71], v63 offset0:25 offset1:26
	ds_read2_b32 v[72:73], v63 offset0:27 offset1:28
	ds_read2_b32 v[76:77], v63 offset0:29 offset1:30
	s_waitcnt lgkmcnt(3)
	v_pk_fma_f32 v[26:27], v[44:45], v[74:75], v[26:27] op_sel_hi:[0,1,1] neg_lo:[1,0,0] neg_hi:[1,0,0]
	ds_read2_b32 v[74:75], v63 offset0:31 offset1:32
	s_waitcnt lgkmcnt(3)
	v_pk_fma_f32 v[42:43], v[44:45], v[70:71], v[42:43] op_sel_hi:[0,1,1] neg_lo:[1,0,0] neg_hi:[1,0,0]
	s_waitcnt lgkmcnt(2)
	v_pk_fma_f32 v[36:37], v[44:45], v[72:73], v[36:37] op_sel_hi:[0,1,1] neg_lo:[1,0,0] neg_hi:[1,0,0]
	s_waitcnt lgkmcnt(1)
	v_pk_fma_f32 v[28:29], v[44:45], v[76:77], v[28:29] op_sel_hi:[0,1,1] neg_lo:[1,0,0] neg_hi:[1,0,0]
	ds_read2_b32 v[70:71], v63 offset0:33 offset1:34
	ds_read2_b32 v[72:73], v63 offset0:35 offset1:36
	ds_read2_b32 v[76:77], v63 offset0:37 offset1:38
	s_waitcnt lgkmcnt(3)
	v_pk_fma_f32 v[20:21], v[44:45], v[74:75], v[20:21] op_sel_hi:[0,1,1] neg_lo:[1,0,0] neg_hi:[1,0,0]
	ds_read2_b32 v[74:75], v63 offset0:39 offset1:40
	s_waitcnt lgkmcnt(3)
	v_pk_fma_f32 v[38:39], v[44:45], v[70:71], v[38:39] op_sel_hi:[0,1,1] neg_lo:[1,0,0] neg_hi:[1,0,0]
	;; [unrolled: 12-line block ×3, first 2 shown]
	s_waitcnt lgkmcnt(2)
	v_pk_fma_f32 v[24:25], v[44:45], v[72:73], v[24:25] op_sel_hi:[0,1,1] neg_lo:[1,0,0] neg_hi:[1,0,0]
	s_waitcnt lgkmcnt(1)
	v_pk_fma_f32 v[18:19], v[44:45], v[76:77], v[18:19] op_sel_hi:[0,1,1] neg_lo:[1,0,0] neg_hi:[1,0,0]
	ds_read2_b32 v[70:71], v63 offset0:49 offset1:50
	ds_read2_b32 v[72:73], v63 offset0:51 offset1:52
	;; [unrolled: 1-line block ×4, first 2 shown]
	s_waitcnt lgkmcnt(4)
	v_pk_fma_f32 v[8:9], v[44:45], v[74:75], v[8:9] op_sel_hi:[0,1,1] neg_lo:[1,0,0] neg_hi:[1,0,0]
	s_waitcnt lgkmcnt(3)
	v_pk_fma_f32 v[14:15], v[44:45], v[70:71], v[14:15] op_sel_hi:[0,1,1] neg_lo:[1,0,0] neg_hi:[1,0,0]
	;; [unrolled: 2-line block ×5, first 2 shown]
.LBB112_301:
	s_or_b64 exec, exec, s[0:1]
	v_lshl_add_u32 v64, v67, 2, v63
	s_barrier
	ds_write_b32 v64, v45
	s_waitcnt lgkmcnt(0)
	s_barrier
	ds_read_b32 v66, v63 offset:72
	s_cmp_lt_i32 s22, 20
	v_mov_b32_e32 v64, 18
	s_cbranch_scc1 .LBB112_304
; %bb.302:
	v_add_u32_e32 v69, 0x4c, v63
	v_mov_b32_e32 v64, 18
	s_mov_b32 s0, 19
.LBB112_303:                            ; =>This Inner Loop Header: Depth=1
	ds_read_b32 v70, v69
	v_mov_b32_e32 v71, s0
	s_add_i32 s0, s0, 1
	v_add_u32_e32 v69, 4, v69
	s_cmp_lg_u32 s22, s0
	s_waitcnt lgkmcnt(0)
	v_cmp_lt_f32_e64 vcc, |v66|, |v70|
	s_nop 1
	v_cndmask_b32_e32 v66, v66, v70, vcc
	v_cndmask_b32_e32 v64, v64, v71, vcc
	s_cbranch_scc1 .LBB112_303
.LBB112_304:
	s_waitcnt lgkmcnt(0)
	v_cmp_eq_f32_e32 vcc, 0, v66
	s_and_saveexec_b64 s[0:1], vcc
	s_xor_b64 s[0:1], exec, s[0:1]
; %bb.305:
	v_cmp_ne_u32_e32 vcc, 0, v68
	s_nop 1
	v_cndmask_b32_e32 v68, 19, v68, vcc
; %bb.306:
	s_andn2_saveexec_b64 s[0:1], s[0:1]
	s_cbranch_execz .LBB112_308
; %bb.307:
	v_div_scale_f32 v69, s[2:3], v66, v66, 1.0
	v_rcp_f32_e32 v70, v69
	v_div_scale_f32 v71, vcc, 1.0, v66, 1.0
	v_fma_f32 v72, -v69, v70, 1.0
	v_fmac_f32_e32 v70, v72, v70
	v_mul_f32_e32 v72, v71, v70
	v_fma_f32 v73, -v69, v72, v71
	v_fmac_f32_e32 v72, v73, v70
	v_fma_f32 v69, -v69, v72, v71
	v_div_fmas_f32 v69, v69, v70, v72
	v_div_fixup_f32 v66, v69, v66, 1.0
.LBB112_308:
	s_or_b64 exec, exec, s[0:1]
	v_cmp_ne_u32_e32 vcc, v67, v64
	s_and_saveexec_b64 s[0:1], vcc
	s_xor_b64 s[0:1], exec, s[0:1]
	s_cbranch_execz .LBB112_314
; %bb.309:
	v_cmp_eq_u32_e32 vcc, 18, v67
	s_and_saveexec_b64 s[2:3], vcc
	s_cbranch_execz .LBB112_313
; %bb.310:
	v_cmp_ne_u32_e32 vcc, 18, v64
	s_xor_b64 s[12:13], s[20:21], -1
	s_and_b64 s[14:15], s[12:13], vcc
	s_and_saveexec_b64 s[12:13], s[14:15]
	s_cbranch_execz .LBB112_312
; %bb.311:
	v_ashrrev_i32_e32 v65, 31, v64
	v_lshl_add_u64 v[70:71], v[64:65], 2, v[4:5]
	global_load_dword v65, v[70:71], off
	global_load_dword v67, v[4:5], off offset:72
	s_waitcnt vmcnt(1)
	global_store_dword v[4:5], v65, off offset:72
	s_waitcnt vmcnt(1)
	global_store_dword v[70:71], v67, off
.LBB112_312:
	s_or_b64 exec, exec, s[12:13]
	v_mov_b32_e32 v65, v64
	v_mov_b32_e32 v67, v64
.LBB112_313:
	s_or_b64 exec, exec, s[2:3]
.LBB112_314:
	s_andn2_saveexec_b64 s[0:1], s[0:1]
	s_cbranch_execz .LBB112_316
; %bb.315:
	v_mov_b32_e32 v67, 18
	ds_write2_b32 v63, v40, v41 offset0:19 offset1:20
	ds_write2_b32 v63, v34, v35 offset0:21 offset1:22
	;; [unrolled: 1-line block ×19, first 2 shown]
.LBB112_316:
	s_or_b64 exec, exec, s[0:1]
	v_cmp_lt_i32_e32 vcc, 18, v67
	s_waitcnt lgkmcnt(0)
	s_barrier
	s_and_saveexec_b64 s[0:1], vcc
	s_cbranch_execz .LBB112_318
; %bb.317:
	ds_read2_b32 v[70:71], v63 offset0:19 offset1:20
	ds_read2_b32 v[72:73], v63 offset0:21 offset1:22
	;; [unrolled: 1-line block ×3, first 2 shown]
	v_mul_f32_e32 v64, v66, v45
	ds_read2_b32 v[76:77], v63 offset0:25 offset1:26
	s_waitcnt lgkmcnt(3)
	v_pk_fma_f32 v[40:41], v[64:65], v[70:71], v[40:41] op_sel_hi:[0,1,1] neg_lo:[1,0,0] neg_hi:[1,0,0]
	s_waitcnt lgkmcnt(2)
	v_pk_fma_f32 v[34:35], v[64:65], v[72:73], v[34:35] op_sel_hi:[0,1,1] neg_lo:[1,0,0] neg_hi:[1,0,0]
	;; [unrolled: 2-line block ×3, first 2 shown]
	ds_read2_b32 v[70:71], v63 offset0:27 offset1:28
	ds_read2_b32 v[72:73], v63 offset0:29 offset1:30
	;; [unrolled: 1-line block ×3, first 2 shown]
	s_waitcnt lgkmcnt(3)
	v_pk_fma_f32 v[42:43], v[64:65], v[76:77], v[42:43] op_sel_hi:[0,1,1] neg_lo:[1,0,0] neg_hi:[1,0,0]
	ds_read2_b32 v[76:77], v63 offset0:33 offset1:34
	s_waitcnt lgkmcnt(3)
	v_pk_fma_f32 v[36:37], v[64:65], v[70:71], v[36:37] op_sel_hi:[0,1,1] neg_lo:[1,0,0] neg_hi:[1,0,0]
	s_waitcnt lgkmcnt(2)
	v_pk_fma_f32 v[28:29], v[64:65], v[72:73], v[28:29] op_sel_hi:[0,1,1] neg_lo:[1,0,0] neg_hi:[1,0,0]
	;; [unrolled: 2-line block ×3, first 2 shown]
	ds_read2_b32 v[70:71], v63 offset0:35 offset1:36
	ds_read2_b32 v[72:73], v63 offset0:37 offset1:38
	;; [unrolled: 1-line block ×3, first 2 shown]
	s_waitcnt lgkmcnt(3)
	v_pk_fma_f32 v[38:39], v[64:65], v[76:77], v[38:39] op_sel_hi:[0,1,1] neg_lo:[1,0,0] neg_hi:[1,0,0]
	ds_read2_b32 v[76:77], v63 offset0:41 offset1:42
	s_waitcnt lgkmcnt(3)
	v_pk_fma_f32 v[30:31], v[64:65], v[70:71], v[30:31] op_sel_hi:[0,1,1] neg_lo:[1,0,0] neg_hi:[1,0,0]
	s_waitcnt lgkmcnt(2)
	v_pk_fma_f32 v[22:23], v[64:65], v[72:73], v[22:23] op_sel_hi:[0,1,1] neg_lo:[1,0,0] neg_hi:[1,0,0]
	ds_read2_b32 v[70:71], v63 offset0:43 offset1:44
	ds_read2_b32 v[72:73], v63 offset0:45 offset1:46
	s_waitcnt lgkmcnt(3)
	v_pk_fma_f32 v[16:17], v[64:65], v[74:75], v[16:17] op_sel_hi:[0,1,1] neg_lo:[1,0,0] neg_hi:[1,0,0]
	s_waitcnt lgkmcnt(2)
	v_pk_fma_f32 v[32:33], v[64:65], v[76:77], v[32:33] op_sel_hi:[0,1,1] neg_lo:[1,0,0] neg_hi:[1,0,0]
	ds_read2_b32 v[74:75], v63 offset0:47 offset1:48
	;; [unrolled: 6-line block ×3, first 2 shown]
	ds_read2_b32 v[72:73], v63 offset0:53 offset1:54
	ds_read2_b32 v[78:79], v63 offset0:55 offset1:56
	s_waitcnt lgkmcnt(4)
	v_pk_fma_f32 v[8:9], v[64:65], v[74:75], v[8:9] op_sel_hi:[0,1,1] neg_lo:[1,0,0] neg_hi:[1,0,0]
	s_waitcnt lgkmcnt(3)
	v_pk_fma_f32 v[14:15], v[64:65], v[76:77], v[14:15] op_sel_hi:[0,1,1] neg_lo:[1,0,0] neg_hi:[1,0,0]
	;; [unrolled: 2-line block ×5, first 2 shown]
	v_mov_b32_e32 v45, v64
.LBB112_318:
	s_or_b64 exec, exec, s[0:1]
	v_lshl_add_u32 v64, v67, 2, v63
	s_barrier
	ds_write_b32 v64, v40
	s_waitcnt lgkmcnt(0)
	s_barrier
	ds_read_b32 v66, v63 offset:76
	s_cmp_lt_i32 s22, 21
	v_mov_b32_e32 v64, 19
	s_cbranch_scc1 .LBB112_321
; %bb.319:
	v_add_u32_e32 v69, 0x50, v63
	v_mov_b32_e32 v64, 19
	s_mov_b32 s0, 20
.LBB112_320:                            ; =>This Inner Loop Header: Depth=1
	ds_read_b32 v70, v69
	v_mov_b32_e32 v71, s0
	s_add_i32 s0, s0, 1
	v_add_u32_e32 v69, 4, v69
	s_cmp_lg_u32 s22, s0
	s_waitcnt lgkmcnt(0)
	v_cmp_lt_f32_e64 vcc, |v66|, |v70|
	s_nop 1
	v_cndmask_b32_e32 v66, v66, v70, vcc
	v_cndmask_b32_e32 v64, v64, v71, vcc
	s_cbranch_scc1 .LBB112_320
.LBB112_321:
	s_waitcnt lgkmcnt(0)
	v_cmp_eq_f32_e32 vcc, 0, v66
	s_and_saveexec_b64 s[0:1], vcc
	s_xor_b64 s[0:1], exec, s[0:1]
; %bb.322:
	v_cmp_ne_u32_e32 vcc, 0, v68
	s_nop 1
	v_cndmask_b32_e32 v68, 20, v68, vcc
; %bb.323:
	s_andn2_saveexec_b64 s[0:1], s[0:1]
	s_cbranch_execz .LBB112_325
; %bb.324:
	v_div_scale_f32 v69, s[2:3], v66, v66, 1.0
	v_rcp_f32_e32 v70, v69
	v_div_scale_f32 v71, vcc, 1.0, v66, 1.0
	v_fma_f32 v72, -v69, v70, 1.0
	v_fmac_f32_e32 v70, v72, v70
	v_mul_f32_e32 v72, v71, v70
	v_fma_f32 v73, -v69, v72, v71
	v_fmac_f32_e32 v72, v73, v70
	v_fma_f32 v69, -v69, v72, v71
	v_div_fmas_f32 v69, v69, v70, v72
	v_div_fixup_f32 v66, v69, v66, 1.0
.LBB112_325:
	s_or_b64 exec, exec, s[0:1]
	v_cmp_ne_u32_e32 vcc, v67, v64
	s_and_saveexec_b64 s[0:1], vcc
	s_xor_b64 s[0:1], exec, s[0:1]
	s_cbranch_execz .LBB112_331
; %bb.326:
	v_cmp_eq_u32_e32 vcc, 19, v67
	s_and_saveexec_b64 s[2:3], vcc
	s_cbranch_execz .LBB112_330
; %bb.327:
	v_cmp_ne_u32_e32 vcc, 19, v64
	s_xor_b64 s[12:13], s[20:21], -1
	s_and_b64 s[14:15], s[12:13], vcc
	s_and_saveexec_b64 s[12:13], s[14:15]
	s_cbranch_execz .LBB112_329
; %bb.328:
	v_ashrrev_i32_e32 v65, 31, v64
	v_lshl_add_u64 v[70:71], v[64:65], 2, v[4:5]
	global_load_dword v65, v[70:71], off
	global_load_dword v67, v[4:5], off offset:76
	s_waitcnt vmcnt(1)
	global_store_dword v[4:5], v65, off offset:76
	s_waitcnt vmcnt(1)
	global_store_dword v[70:71], v67, off
.LBB112_329:
	s_or_b64 exec, exec, s[12:13]
	v_mov_b32_e32 v65, v64
	v_mov_b32_e32 v67, v64
.LBB112_330:
	s_or_b64 exec, exec, s[2:3]
.LBB112_331:
	s_andn2_saveexec_b64 s[0:1], s[0:1]
	s_cbranch_execz .LBB112_333
; %bb.332:
	v_pk_mov_b32 v[70:71], v[40:41], v[34:35] op_sel:[1,0]
	ds_write2_b32 v63, v70, v71 offset0:20 offset1:21
	v_pk_mov_b32 v[70:71], v[34:35], v[26:27] op_sel:[1,0]
	ds_write2_b32 v63, v70, v71 offset0:22 offset1:23
	;; [unrolled: 2-line block ×17, first 2 shown]
	v_pk_mov_b32 v[70:71], v[0:1], v[10:11] op_sel:[1,0]
	v_mov_b32_e32 v67, 19
	ds_write2_b32 v63, v70, v71 offset0:54 offset1:55
	ds_write_b32 v63, v11 offset:224
.LBB112_333:
	s_or_b64 exec, exec, s[0:1]
	v_cmp_lt_i32_e32 vcc, 19, v67
	s_waitcnt lgkmcnt(0)
	s_barrier
	s_and_saveexec_b64 s[0:1], vcc
	s_cbranch_execz .LBB112_335
; %bb.334:
	ds_read_b32 v64, v63 offset:80
	ds_read2_b32 v[70:71], v63 offset0:21 offset1:22
	ds_read2_b32 v[72:73], v63 offset0:23 offset1:24
	v_mul_f32_e32 v40, v66, v40
	ds_read2_b32 v[74:75], v63 offset0:25 offset1:26
	s_waitcnt lgkmcnt(3)
	v_fma_f32 v41, -v40, v64, v41
	s_waitcnt lgkmcnt(2)
	v_pk_fma_f32 v[34:35], v[40:41], v[70:71], v[34:35] op_sel_hi:[0,1,1] neg_lo:[1,0,0] neg_hi:[1,0,0]
	s_waitcnt lgkmcnt(1)
	v_pk_fma_f32 v[26:27], v[40:41], v[72:73], v[26:27] op_sel_hi:[0,1,1] neg_lo:[1,0,0] neg_hi:[1,0,0]
	ds_read2_b32 v[70:71], v63 offset0:27 offset1:28
	ds_read2_b32 v[72:73], v63 offset0:29 offset1:30
	;; [unrolled: 1-line block ×3, first 2 shown]
	s_waitcnt lgkmcnt(3)
	v_pk_fma_f32 v[42:43], v[40:41], v[74:75], v[42:43] op_sel_hi:[0,1,1] neg_lo:[1,0,0] neg_hi:[1,0,0]
	ds_read2_b32 v[74:75], v63 offset0:33 offset1:34
	s_waitcnt lgkmcnt(3)
	v_pk_fma_f32 v[36:37], v[40:41], v[70:71], v[36:37] op_sel_hi:[0,1,1] neg_lo:[1,0,0] neg_hi:[1,0,0]
	s_waitcnt lgkmcnt(2)
	v_pk_fma_f32 v[28:29], v[40:41], v[72:73], v[28:29] op_sel_hi:[0,1,1] neg_lo:[1,0,0] neg_hi:[1,0,0]
	;; [unrolled: 2-line block ×3, first 2 shown]
	ds_read2_b32 v[70:71], v63 offset0:35 offset1:36
	ds_read2_b32 v[72:73], v63 offset0:37 offset1:38
	ds_read2_b32 v[76:77], v63 offset0:39 offset1:40
	s_waitcnt lgkmcnt(3)
	v_pk_fma_f32 v[38:39], v[40:41], v[74:75], v[38:39] op_sel_hi:[0,1,1] neg_lo:[1,0,0] neg_hi:[1,0,0]
	ds_read2_b32 v[74:75], v63 offset0:41 offset1:42
	s_waitcnt lgkmcnt(3)
	v_pk_fma_f32 v[30:31], v[40:41], v[70:71], v[30:31] op_sel_hi:[0,1,1] neg_lo:[1,0,0] neg_hi:[1,0,0]
	s_waitcnt lgkmcnt(2)
	v_pk_fma_f32 v[22:23], v[40:41], v[72:73], v[22:23] op_sel_hi:[0,1,1] neg_lo:[1,0,0] neg_hi:[1,0,0]
	ds_read2_b32 v[70:71], v63 offset0:43 offset1:44
	ds_read2_b32 v[72:73], v63 offset0:45 offset1:46
	s_waitcnt lgkmcnt(3)
	v_pk_fma_f32 v[16:17], v[40:41], v[76:77], v[16:17] op_sel_hi:[0,1,1] neg_lo:[1,0,0] neg_hi:[1,0,0]
	s_waitcnt lgkmcnt(2)
	v_pk_fma_f32 v[32:33], v[40:41], v[74:75], v[32:33] op_sel_hi:[0,1,1] neg_lo:[1,0,0] neg_hi:[1,0,0]
	ds_read2_b32 v[74:75], v63 offset0:47 offset1:48
	;; [unrolled: 6-line block ×3, first 2 shown]
	ds_read2_b32 v[72:73], v63 offset0:53 offset1:54
	ds_read2_b32 v[78:79], v63 offset0:55 offset1:56
	s_waitcnt lgkmcnt(4)
	v_pk_fma_f32 v[8:9], v[40:41], v[74:75], v[8:9] op_sel_hi:[0,1,1] neg_lo:[1,0,0] neg_hi:[1,0,0]
	s_waitcnt lgkmcnt(3)
	v_pk_fma_f32 v[14:15], v[40:41], v[76:77], v[14:15] op_sel_hi:[0,1,1] neg_lo:[1,0,0] neg_hi:[1,0,0]
	;; [unrolled: 2-line block ×5, first 2 shown]
.LBB112_335:
	s_or_b64 exec, exec, s[0:1]
	v_lshl_add_u32 v64, v67, 2, v63
	s_barrier
	ds_write_b32 v64, v41
	s_waitcnt lgkmcnt(0)
	s_barrier
	ds_read_b32 v66, v63 offset:80
	s_cmp_lt_i32 s22, 22
	v_mov_b32_e32 v64, 20
	s_cbranch_scc1 .LBB112_338
; %bb.336:
	v_add_u32_e32 v69, 0x54, v63
	v_mov_b32_e32 v64, 20
	s_mov_b32 s0, 21
.LBB112_337:                            ; =>This Inner Loop Header: Depth=1
	ds_read_b32 v70, v69
	v_mov_b32_e32 v71, s0
	s_add_i32 s0, s0, 1
	v_add_u32_e32 v69, 4, v69
	s_cmp_lg_u32 s22, s0
	s_waitcnt lgkmcnt(0)
	v_cmp_lt_f32_e64 vcc, |v66|, |v70|
	s_nop 1
	v_cndmask_b32_e32 v66, v66, v70, vcc
	v_cndmask_b32_e32 v64, v64, v71, vcc
	s_cbranch_scc1 .LBB112_337
.LBB112_338:
	s_waitcnt lgkmcnt(0)
	v_cmp_eq_f32_e32 vcc, 0, v66
	s_and_saveexec_b64 s[0:1], vcc
	s_xor_b64 s[0:1], exec, s[0:1]
; %bb.339:
	v_cmp_ne_u32_e32 vcc, 0, v68
	s_nop 1
	v_cndmask_b32_e32 v68, 21, v68, vcc
; %bb.340:
	s_andn2_saveexec_b64 s[0:1], s[0:1]
	s_cbranch_execz .LBB112_342
; %bb.341:
	v_div_scale_f32 v69, s[2:3], v66, v66, 1.0
	v_rcp_f32_e32 v70, v69
	v_div_scale_f32 v71, vcc, 1.0, v66, 1.0
	v_fma_f32 v72, -v69, v70, 1.0
	v_fmac_f32_e32 v70, v72, v70
	v_mul_f32_e32 v72, v71, v70
	v_fma_f32 v73, -v69, v72, v71
	v_fmac_f32_e32 v72, v73, v70
	v_fma_f32 v69, -v69, v72, v71
	v_div_fmas_f32 v69, v69, v70, v72
	v_div_fixup_f32 v66, v69, v66, 1.0
.LBB112_342:
	s_or_b64 exec, exec, s[0:1]
	v_cmp_ne_u32_e32 vcc, v67, v64
	s_and_saveexec_b64 s[0:1], vcc
	s_xor_b64 s[0:1], exec, s[0:1]
	s_cbranch_execz .LBB112_348
; %bb.343:
	v_cmp_eq_u32_e32 vcc, 20, v67
	s_and_saveexec_b64 s[2:3], vcc
	s_cbranch_execz .LBB112_347
; %bb.344:
	v_cmp_ne_u32_e32 vcc, 20, v64
	s_xor_b64 s[12:13], s[20:21], -1
	s_and_b64 s[14:15], s[12:13], vcc
	s_and_saveexec_b64 s[12:13], s[14:15]
	s_cbranch_execz .LBB112_346
; %bb.345:
	v_ashrrev_i32_e32 v65, 31, v64
	v_lshl_add_u64 v[70:71], v[64:65], 2, v[4:5]
	global_load_dword v65, v[70:71], off
	global_load_dword v67, v[4:5], off offset:80
	s_waitcnt vmcnt(1)
	global_store_dword v[4:5], v65, off offset:80
	s_waitcnt vmcnt(1)
	global_store_dword v[70:71], v67, off
.LBB112_346:
	s_or_b64 exec, exec, s[12:13]
	v_mov_b32_e32 v65, v64
	v_mov_b32_e32 v67, v64
.LBB112_347:
	s_or_b64 exec, exec, s[2:3]
.LBB112_348:
	s_andn2_saveexec_b64 s[0:1], s[0:1]
	s_cbranch_execz .LBB112_350
; %bb.349:
	v_mov_b32_e32 v67, 20
	ds_write2_b32 v63, v34, v35 offset0:21 offset1:22
	ds_write2_b32 v63, v26, v27 offset0:23 offset1:24
	;; [unrolled: 1-line block ×18, first 2 shown]
.LBB112_350:
	s_or_b64 exec, exec, s[0:1]
	v_cmp_lt_i32_e32 vcc, 20, v67
	s_waitcnt lgkmcnt(0)
	s_barrier
	s_and_saveexec_b64 s[0:1], vcc
	s_cbranch_execz .LBB112_352
; %bb.351:
	ds_read2_b32 v[70:71], v63 offset0:21 offset1:22
	ds_read2_b32 v[72:73], v63 offset0:23 offset1:24
	;; [unrolled: 1-line block ×4, first 2 shown]
	v_mul_f32_e32 v64, v66, v41
	s_waitcnt lgkmcnt(3)
	v_pk_fma_f32 v[34:35], v[64:65], v[70:71], v[34:35] op_sel_hi:[0,1,1] neg_lo:[1,0,0] neg_hi:[1,0,0]
	s_waitcnt lgkmcnt(2)
	v_pk_fma_f32 v[26:27], v[64:65], v[72:73], v[26:27] op_sel_hi:[0,1,1] neg_lo:[1,0,0] neg_hi:[1,0,0]
	;; [unrolled: 2-line block ×3, first 2 shown]
	ds_read2_b32 v[70:71], v63 offset0:29 offset1:30
	ds_read2_b32 v[72:73], v63 offset0:31 offset1:32
	;; [unrolled: 1-line block ×3, first 2 shown]
	s_waitcnt lgkmcnt(3)
	v_pk_fma_f32 v[36:37], v[64:65], v[76:77], v[36:37] op_sel_hi:[0,1,1] neg_lo:[1,0,0] neg_hi:[1,0,0]
	ds_read2_b32 v[76:77], v63 offset0:35 offset1:36
	s_waitcnt lgkmcnt(3)
	v_pk_fma_f32 v[28:29], v[64:65], v[70:71], v[28:29] op_sel_hi:[0,1,1] neg_lo:[1,0,0] neg_hi:[1,0,0]
	s_waitcnt lgkmcnt(2)
	v_pk_fma_f32 v[20:21], v[64:65], v[72:73], v[20:21] op_sel_hi:[0,1,1] neg_lo:[1,0,0] neg_hi:[1,0,0]
	;; [unrolled: 2-line block ×3, first 2 shown]
	ds_read2_b32 v[70:71], v63 offset0:37 offset1:38
	ds_read2_b32 v[72:73], v63 offset0:39 offset1:40
	;; [unrolled: 1-line block ×3, first 2 shown]
	s_waitcnt lgkmcnt(3)
	v_pk_fma_f32 v[30:31], v[64:65], v[76:77], v[30:31] op_sel_hi:[0,1,1] neg_lo:[1,0,0] neg_hi:[1,0,0]
	ds_read2_b32 v[76:77], v63 offset0:43 offset1:44
	s_waitcnt lgkmcnt(3)
	v_pk_fma_f32 v[22:23], v[64:65], v[70:71], v[22:23] op_sel_hi:[0,1,1] neg_lo:[1,0,0] neg_hi:[1,0,0]
	ds_read2_b32 v[70:71], v63 offset0:45 offset1:46
	s_waitcnt lgkmcnt(3)
	v_pk_fma_f32 v[16:17], v[64:65], v[72:73], v[16:17] op_sel_hi:[0,1,1] neg_lo:[1,0,0] neg_hi:[1,0,0]
	s_waitcnt lgkmcnt(2)
	v_pk_fma_f32 v[32:33], v[64:65], v[74:75], v[32:33] op_sel_hi:[0,1,1] neg_lo:[1,0,0] neg_hi:[1,0,0]
	;; [unrolled: 2-line block ×3, first 2 shown]
	ds_read2_b32 v[72:73], v63 offset0:47 offset1:48
	ds_read2_b32 v[74:75], v63 offset0:49 offset1:50
	;; [unrolled: 1-line block ×3, first 2 shown]
	s_waitcnt lgkmcnt(3)
	v_pk_fma_f32 v[18:19], v[64:65], v[70:71], v[18:19] op_sel_hi:[0,1,1] neg_lo:[1,0,0] neg_hi:[1,0,0]
	ds_read2_b32 v[70:71], v63 offset0:53 offset1:54
	ds_read2_b32 v[78:79], v63 offset0:55 offset1:56
	s_waitcnt lgkmcnt(4)
	v_pk_fma_f32 v[8:9], v[64:65], v[72:73], v[8:9] op_sel_hi:[0,1,1] neg_lo:[1,0,0] neg_hi:[1,0,0]
	s_waitcnt lgkmcnt(3)
	v_pk_fma_f32 v[14:15], v[64:65], v[74:75], v[14:15] op_sel_hi:[0,1,1] neg_lo:[1,0,0] neg_hi:[1,0,0]
	;; [unrolled: 2-line block ×5, first 2 shown]
	v_mov_b32_e32 v41, v64
.LBB112_352:
	s_or_b64 exec, exec, s[0:1]
	v_lshl_add_u32 v64, v67, 2, v63
	s_barrier
	ds_write_b32 v64, v34
	s_waitcnt lgkmcnt(0)
	s_barrier
	ds_read_b32 v66, v63 offset:84
	s_cmp_lt_i32 s22, 23
	v_mov_b32_e32 v64, 21
	s_cbranch_scc1 .LBB112_355
; %bb.353:
	v_add_u32_e32 v69, 0x58, v63
	v_mov_b32_e32 v64, 21
	s_mov_b32 s0, 22
.LBB112_354:                            ; =>This Inner Loop Header: Depth=1
	ds_read_b32 v70, v69
	v_mov_b32_e32 v71, s0
	s_add_i32 s0, s0, 1
	v_add_u32_e32 v69, 4, v69
	s_cmp_lg_u32 s22, s0
	s_waitcnt lgkmcnt(0)
	v_cmp_lt_f32_e64 vcc, |v66|, |v70|
	s_nop 1
	v_cndmask_b32_e32 v66, v66, v70, vcc
	v_cndmask_b32_e32 v64, v64, v71, vcc
	s_cbranch_scc1 .LBB112_354
.LBB112_355:
	s_waitcnt lgkmcnt(0)
	v_cmp_eq_f32_e32 vcc, 0, v66
	s_and_saveexec_b64 s[0:1], vcc
	s_xor_b64 s[0:1], exec, s[0:1]
; %bb.356:
	v_cmp_ne_u32_e32 vcc, 0, v68
	s_nop 1
	v_cndmask_b32_e32 v68, 22, v68, vcc
; %bb.357:
	s_andn2_saveexec_b64 s[0:1], s[0:1]
	s_cbranch_execz .LBB112_359
; %bb.358:
	v_div_scale_f32 v69, s[2:3], v66, v66, 1.0
	v_rcp_f32_e32 v70, v69
	v_div_scale_f32 v71, vcc, 1.0, v66, 1.0
	v_fma_f32 v72, -v69, v70, 1.0
	v_fmac_f32_e32 v70, v72, v70
	v_mul_f32_e32 v72, v71, v70
	v_fma_f32 v73, -v69, v72, v71
	v_fmac_f32_e32 v72, v73, v70
	v_fma_f32 v69, -v69, v72, v71
	v_div_fmas_f32 v69, v69, v70, v72
	v_div_fixup_f32 v66, v69, v66, 1.0
.LBB112_359:
	s_or_b64 exec, exec, s[0:1]
	v_cmp_ne_u32_e32 vcc, v67, v64
	s_and_saveexec_b64 s[0:1], vcc
	s_xor_b64 s[0:1], exec, s[0:1]
	s_cbranch_execz .LBB112_365
; %bb.360:
	v_cmp_eq_u32_e32 vcc, 21, v67
	s_and_saveexec_b64 s[2:3], vcc
	s_cbranch_execz .LBB112_364
; %bb.361:
	v_cmp_ne_u32_e32 vcc, 21, v64
	s_xor_b64 s[12:13], s[20:21], -1
	s_and_b64 s[14:15], s[12:13], vcc
	s_and_saveexec_b64 s[12:13], s[14:15]
	s_cbranch_execz .LBB112_363
; %bb.362:
	v_ashrrev_i32_e32 v65, 31, v64
	v_lshl_add_u64 v[70:71], v[64:65], 2, v[4:5]
	global_load_dword v65, v[70:71], off
	global_load_dword v67, v[4:5], off offset:84
	s_waitcnt vmcnt(1)
	global_store_dword v[4:5], v65, off offset:84
	s_waitcnt vmcnt(1)
	global_store_dword v[70:71], v67, off
.LBB112_363:
	s_or_b64 exec, exec, s[12:13]
	v_mov_b32_e32 v65, v64
	v_mov_b32_e32 v67, v64
.LBB112_364:
	s_or_b64 exec, exec, s[2:3]
.LBB112_365:
	s_andn2_saveexec_b64 s[0:1], s[0:1]
	s_cbranch_execz .LBB112_367
; %bb.366:
	v_pk_mov_b32 v[70:71], v[34:35], v[26:27] op_sel:[1,0]
	ds_write2_b32 v63, v70, v71 offset0:22 offset1:23
	v_pk_mov_b32 v[70:71], v[26:27], v[42:43] op_sel:[1,0]
	ds_write2_b32 v63, v70, v71 offset0:24 offset1:25
	;; [unrolled: 2-line block ×16, first 2 shown]
	v_pk_mov_b32 v[70:71], v[0:1], v[10:11] op_sel:[1,0]
	v_mov_b32_e32 v67, 21
	ds_write2_b32 v63, v70, v71 offset0:54 offset1:55
	ds_write_b32 v63, v11 offset:224
.LBB112_367:
	s_or_b64 exec, exec, s[0:1]
	v_cmp_lt_i32_e32 vcc, 21, v67
	s_waitcnt lgkmcnt(0)
	s_barrier
	s_and_saveexec_b64 s[0:1], vcc
	s_cbranch_execz .LBB112_369
; %bb.368:
	ds_read_b32 v64, v63 offset:88
	ds_read2_b32 v[70:71], v63 offset0:23 offset1:24
	ds_read2_b32 v[72:73], v63 offset0:25 offset1:26
	v_mul_f32_e32 v34, v66, v34
	ds_read2_b32 v[74:75], v63 offset0:27 offset1:28
	s_waitcnt lgkmcnt(3)
	v_fma_f32 v35, -v34, v64, v35
	s_waitcnt lgkmcnt(2)
	v_pk_fma_f32 v[26:27], v[34:35], v[70:71], v[26:27] op_sel_hi:[0,1,1] neg_lo:[1,0,0] neg_hi:[1,0,0]
	s_waitcnt lgkmcnt(1)
	v_pk_fma_f32 v[42:43], v[34:35], v[72:73], v[42:43] op_sel_hi:[0,1,1] neg_lo:[1,0,0] neg_hi:[1,0,0]
	ds_read2_b32 v[70:71], v63 offset0:29 offset1:30
	ds_read2_b32 v[72:73], v63 offset0:31 offset1:32
	;; [unrolled: 1-line block ×3, first 2 shown]
	s_waitcnt lgkmcnt(3)
	v_pk_fma_f32 v[36:37], v[34:35], v[74:75], v[36:37] op_sel_hi:[0,1,1] neg_lo:[1,0,0] neg_hi:[1,0,0]
	ds_read2_b32 v[74:75], v63 offset0:35 offset1:36
	s_waitcnt lgkmcnt(3)
	v_pk_fma_f32 v[28:29], v[34:35], v[70:71], v[28:29] op_sel_hi:[0,1,1] neg_lo:[1,0,0] neg_hi:[1,0,0]
	s_waitcnt lgkmcnt(2)
	v_pk_fma_f32 v[20:21], v[34:35], v[72:73], v[20:21] op_sel_hi:[0,1,1] neg_lo:[1,0,0] neg_hi:[1,0,0]
	s_waitcnt lgkmcnt(1)
	v_pk_fma_f32 v[38:39], v[34:35], v[76:77], v[38:39] op_sel_hi:[0,1,1] neg_lo:[1,0,0] neg_hi:[1,0,0]
	ds_read2_b32 v[70:71], v63 offset0:37 offset1:38
	ds_read2_b32 v[72:73], v63 offset0:39 offset1:40
	;; [unrolled: 1-line block ×3, first 2 shown]
	s_waitcnt lgkmcnt(3)
	v_pk_fma_f32 v[30:31], v[34:35], v[74:75], v[30:31] op_sel_hi:[0,1,1] neg_lo:[1,0,0] neg_hi:[1,0,0]
	ds_read2_b32 v[74:75], v63 offset0:43 offset1:44
	s_waitcnt lgkmcnt(3)
	v_pk_fma_f32 v[22:23], v[34:35], v[70:71], v[22:23] op_sel_hi:[0,1,1] neg_lo:[1,0,0] neg_hi:[1,0,0]
	ds_read2_b32 v[70:71], v63 offset0:45 offset1:46
	s_waitcnt lgkmcnt(3)
	v_pk_fma_f32 v[16:17], v[34:35], v[72:73], v[16:17] op_sel_hi:[0,1,1] neg_lo:[1,0,0] neg_hi:[1,0,0]
	s_waitcnt lgkmcnt(2)
	v_pk_fma_f32 v[32:33], v[34:35], v[76:77], v[32:33] op_sel_hi:[0,1,1] neg_lo:[1,0,0] neg_hi:[1,0,0]
	;; [unrolled: 2-line block ×3, first 2 shown]
	ds_read2_b32 v[72:73], v63 offset0:47 offset1:48
	ds_read2_b32 v[74:75], v63 offset0:49 offset1:50
	;; [unrolled: 1-line block ×3, first 2 shown]
	s_waitcnt lgkmcnt(3)
	v_pk_fma_f32 v[18:19], v[34:35], v[70:71], v[18:19] op_sel_hi:[0,1,1] neg_lo:[1,0,0] neg_hi:[1,0,0]
	ds_read2_b32 v[70:71], v63 offset0:53 offset1:54
	ds_read2_b32 v[78:79], v63 offset0:55 offset1:56
	s_waitcnt lgkmcnt(4)
	v_pk_fma_f32 v[8:9], v[34:35], v[72:73], v[8:9] op_sel_hi:[0,1,1] neg_lo:[1,0,0] neg_hi:[1,0,0]
	s_waitcnt lgkmcnt(3)
	v_pk_fma_f32 v[14:15], v[34:35], v[74:75], v[14:15] op_sel_hi:[0,1,1] neg_lo:[1,0,0] neg_hi:[1,0,0]
	;; [unrolled: 2-line block ×5, first 2 shown]
.LBB112_369:
	s_or_b64 exec, exec, s[0:1]
	v_lshl_add_u32 v64, v67, 2, v63
	s_barrier
	ds_write_b32 v64, v35
	s_waitcnt lgkmcnt(0)
	s_barrier
	ds_read_b32 v66, v63 offset:88
	s_cmp_lt_i32 s22, 24
	v_mov_b32_e32 v64, 22
	s_cbranch_scc1 .LBB112_372
; %bb.370:
	v_add_u32_e32 v69, 0x5c, v63
	v_mov_b32_e32 v64, 22
	s_mov_b32 s0, 23
.LBB112_371:                            ; =>This Inner Loop Header: Depth=1
	ds_read_b32 v70, v69
	v_mov_b32_e32 v71, s0
	s_add_i32 s0, s0, 1
	v_add_u32_e32 v69, 4, v69
	s_cmp_lg_u32 s22, s0
	s_waitcnt lgkmcnt(0)
	v_cmp_lt_f32_e64 vcc, |v66|, |v70|
	s_nop 1
	v_cndmask_b32_e32 v66, v66, v70, vcc
	v_cndmask_b32_e32 v64, v64, v71, vcc
	s_cbranch_scc1 .LBB112_371
.LBB112_372:
	s_waitcnt lgkmcnt(0)
	v_cmp_eq_f32_e32 vcc, 0, v66
	s_and_saveexec_b64 s[0:1], vcc
	s_xor_b64 s[0:1], exec, s[0:1]
; %bb.373:
	v_cmp_ne_u32_e32 vcc, 0, v68
	s_nop 1
	v_cndmask_b32_e32 v68, 23, v68, vcc
; %bb.374:
	s_andn2_saveexec_b64 s[0:1], s[0:1]
	s_cbranch_execz .LBB112_376
; %bb.375:
	v_div_scale_f32 v69, s[2:3], v66, v66, 1.0
	v_rcp_f32_e32 v70, v69
	v_div_scale_f32 v71, vcc, 1.0, v66, 1.0
	v_fma_f32 v72, -v69, v70, 1.0
	v_fmac_f32_e32 v70, v72, v70
	v_mul_f32_e32 v72, v71, v70
	v_fma_f32 v73, -v69, v72, v71
	v_fmac_f32_e32 v72, v73, v70
	v_fma_f32 v69, -v69, v72, v71
	v_div_fmas_f32 v69, v69, v70, v72
	v_div_fixup_f32 v66, v69, v66, 1.0
.LBB112_376:
	s_or_b64 exec, exec, s[0:1]
	v_cmp_ne_u32_e32 vcc, v67, v64
	s_and_saveexec_b64 s[0:1], vcc
	s_xor_b64 s[0:1], exec, s[0:1]
	s_cbranch_execz .LBB112_382
; %bb.377:
	v_cmp_eq_u32_e32 vcc, 22, v67
	s_and_saveexec_b64 s[2:3], vcc
	s_cbranch_execz .LBB112_381
; %bb.378:
	v_cmp_ne_u32_e32 vcc, 22, v64
	s_xor_b64 s[12:13], s[20:21], -1
	s_and_b64 s[14:15], s[12:13], vcc
	s_and_saveexec_b64 s[12:13], s[14:15]
	s_cbranch_execz .LBB112_380
; %bb.379:
	v_ashrrev_i32_e32 v65, 31, v64
	v_lshl_add_u64 v[70:71], v[64:65], 2, v[4:5]
	global_load_dword v65, v[70:71], off
	global_load_dword v67, v[4:5], off offset:88
	s_waitcnt vmcnt(1)
	global_store_dword v[4:5], v65, off offset:88
	s_waitcnt vmcnt(1)
	global_store_dword v[70:71], v67, off
.LBB112_380:
	s_or_b64 exec, exec, s[12:13]
	v_mov_b32_e32 v65, v64
	v_mov_b32_e32 v67, v64
.LBB112_381:
	s_or_b64 exec, exec, s[2:3]
.LBB112_382:
	s_andn2_saveexec_b64 s[0:1], s[0:1]
	s_cbranch_execz .LBB112_384
; %bb.383:
	v_mov_b32_e32 v67, 22
	ds_write2_b32 v63, v26, v27 offset0:23 offset1:24
	ds_write2_b32 v63, v42, v43 offset0:25 offset1:26
	ds_write2_b32 v63, v36, v37 offset0:27 offset1:28
	ds_write2_b32 v63, v28, v29 offset0:29 offset1:30
	ds_write2_b32 v63, v20, v21 offset0:31 offset1:32
	ds_write2_b32 v63, v38, v39 offset0:33 offset1:34
	ds_write2_b32 v63, v30, v31 offset0:35 offset1:36
	ds_write2_b32 v63, v22, v23 offset0:37 offset1:38
	ds_write2_b32 v63, v16, v17 offset0:39 offset1:40
	ds_write2_b32 v63, v32, v33 offset0:41 offset1:42
	ds_write2_b32 v63, v24, v25 offset0:43 offset1:44
	ds_write2_b32 v63, v18, v19 offset0:45 offset1:46
	ds_write2_b32 v63, v8, v9 offset0:47 offset1:48
	ds_write2_b32 v63, v14, v15 offset0:49 offset1:50
	ds_write2_b32 v63, v12, v13 offset0:51 offset1:52
	ds_write2_b32 v63, v0, v1 offset0:53 offset1:54
	ds_write2_b32 v63, v10, v11 offset0:55 offset1:56
.LBB112_384:
	s_or_b64 exec, exec, s[0:1]
	v_cmp_lt_i32_e32 vcc, 22, v67
	s_waitcnt lgkmcnt(0)
	s_barrier
	s_and_saveexec_b64 s[0:1], vcc
	s_cbranch_execz .LBB112_386
; %bb.385:
	ds_read2_b32 v[70:71], v63 offset0:23 offset1:24
	ds_read2_b32 v[72:73], v63 offset0:25 offset1:26
	;; [unrolled: 1-line block ×3, first 2 shown]
	v_mul_f32_e32 v64, v66, v35
	ds_read2_b32 v[76:77], v63 offset0:29 offset1:30
	s_waitcnt lgkmcnt(3)
	v_pk_fma_f32 v[26:27], v[64:65], v[70:71], v[26:27] op_sel_hi:[0,1,1] neg_lo:[1,0,0] neg_hi:[1,0,0]
	s_waitcnt lgkmcnt(2)
	v_pk_fma_f32 v[42:43], v[64:65], v[72:73], v[42:43] op_sel_hi:[0,1,1] neg_lo:[1,0,0] neg_hi:[1,0,0]
	;; [unrolled: 2-line block ×3, first 2 shown]
	ds_read2_b32 v[70:71], v63 offset0:31 offset1:32
	ds_read2_b32 v[72:73], v63 offset0:33 offset1:34
	;; [unrolled: 1-line block ×3, first 2 shown]
	s_waitcnt lgkmcnt(3)
	v_pk_fma_f32 v[28:29], v[64:65], v[76:77], v[28:29] op_sel_hi:[0,1,1] neg_lo:[1,0,0] neg_hi:[1,0,0]
	ds_read2_b32 v[76:77], v63 offset0:37 offset1:38
	s_waitcnt lgkmcnt(3)
	v_pk_fma_f32 v[20:21], v[64:65], v[70:71], v[20:21] op_sel_hi:[0,1,1] neg_lo:[1,0,0] neg_hi:[1,0,0]
	s_waitcnt lgkmcnt(2)
	v_pk_fma_f32 v[38:39], v[64:65], v[72:73], v[38:39] op_sel_hi:[0,1,1] neg_lo:[1,0,0] neg_hi:[1,0,0]
	;; [unrolled: 2-line block ×3, first 2 shown]
	ds_read2_b32 v[70:71], v63 offset0:39 offset1:40
	ds_read2_b32 v[72:73], v63 offset0:41 offset1:42
	;; [unrolled: 1-line block ×4, first 2 shown]
	s_waitcnt lgkmcnt(4)
	v_pk_fma_f32 v[22:23], v[64:65], v[76:77], v[22:23] op_sel_hi:[0,1,1] neg_lo:[1,0,0] neg_hi:[1,0,0]
	s_waitcnt lgkmcnt(3)
	v_pk_fma_f32 v[16:17], v[64:65], v[70:71], v[16:17] op_sel_hi:[0,1,1] neg_lo:[1,0,0] neg_hi:[1,0,0]
	;; [unrolled: 2-line block ×5, first 2 shown]
	ds_read2_b32 v[70:71], v63 offset0:47 offset1:48
	ds_read2_b32 v[72:73], v63 offset0:49 offset1:50
	;; [unrolled: 1-line block ×5, first 2 shown]
	s_waitcnt lgkmcnt(4)
	v_pk_fma_f32 v[8:9], v[64:65], v[70:71], v[8:9] op_sel_hi:[0,1,1] neg_lo:[1,0,0] neg_hi:[1,0,0]
	s_waitcnt lgkmcnt(3)
	v_pk_fma_f32 v[14:15], v[64:65], v[72:73], v[14:15] op_sel_hi:[0,1,1] neg_lo:[1,0,0] neg_hi:[1,0,0]
	;; [unrolled: 2-line block ×5, first 2 shown]
	v_mov_b32_e32 v35, v64
.LBB112_386:
	s_or_b64 exec, exec, s[0:1]
	v_lshl_add_u32 v64, v67, 2, v63
	s_barrier
	ds_write_b32 v64, v26
	s_waitcnt lgkmcnt(0)
	s_barrier
	ds_read_b32 v66, v63 offset:92
	s_cmp_lt_i32 s22, 25
	v_mov_b32_e32 v64, 23
	s_cbranch_scc1 .LBB112_389
; %bb.387:
	v_add_u32_e32 v69, 0x60, v63
	v_mov_b32_e32 v64, 23
	s_mov_b32 s0, 24
.LBB112_388:                            ; =>This Inner Loop Header: Depth=1
	ds_read_b32 v70, v69
	v_mov_b32_e32 v71, s0
	s_add_i32 s0, s0, 1
	v_add_u32_e32 v69, 4, v69
	s_cmp_lg_u32 s22, s0
	s_waitcnt lgkmcnt(0)
	v_cmp_lt_f32_e64 vcc, |v66|, |v70|
	s_nop 1
	v_cndmask_b32_e32 v66, v66, v70, vcc
	v_cndmask_b32_e32 v64, v64, v71, vcc
	s_cbranch_scc1 .LBB112_388
.LBB112_389:
	s_waitcnt lgkmcnt(0)
	v_cmp_eq_f32_e32 vcc, 0, v66
	s_and_saveexec_b64 s[0:1], vcc
	s_xor_b64 s[0:1], exec, s[0:1]
; %bb.390:
	v_cmp_ne_u32_e32 vcc, 0, v68
	s_nop 1
	v_cndmask_b32_e32 v68, 24, v68, vcc
; %bb.391:
	s_andn2_saveexec_b64 s[0:1], s[0:1]
	s_cbranch_execz .LBB112_393
; %bb.392:
	v_div_scale_f32 v69, s[2:3], v66, v66, 1.0
	v_rcp_f32_e32 v70, v69
	v_div_scale_f32 v71, vcc, 1.0, v66, 1.0
	v_fma_f32 v72, -v69, v70, 1.0
	v_fmac_f32_e32 v70, v72, v70
	v_mul_f32_e32 v72, v71, v70
	v_fma_f32 v73, -v69, v72, v71
	v_fmac_f32_e32 v72, v73, v70
	v_fma_f32 v69, -v69, v72, v71
	v_div_fmas_f32 v69, v69, v70, v72
	v_div_fixup_f32 v66, v69, v66, 1.0
.LBB112_393:
	s_or_b64 exec, exec, s[0:1]
	v_cmp_ne_u32_e32 vcc, v67, v64
	s_and_saveexec_b64 s[0:1], vcc
	s_xor_b64 s[0:1], exec, s[0:1]
	s_cbranch_execz .LBB112_399
; %bb.394:
	v_cmp_eq_u32_e32 vcc, 23, v67
	s_and_saveexec_b64 s[2:3], vcc
	s_cbranch_execz .LBB112_398
; %bb.395:
	v_cmp_ne_u32_e32 vcc, 23, v64
	s_xor_b64 s[12:13], s[20:21], -1
	s_and_b64 s[14:15], s[12:13], vcc
	s_and_saveexec_b64 s[12:13], s[14:15]
	s_cbranch_execz .LBB112_397
; %bb.396:
	v_ashrrev_i32_e32 v65, 31, v64
	v_lshl_add_u64 v[70:71], v[64:65], 2, v[4:5]
	global_load_dword v65, v[70:71], off
	global_load_dword v67, v[4:5], off offset:92
	s_waitcnt vmcnt(1)
	global_store_dword v[4:5], v65, off offset:92
	s_waitcnt vmcnt(1)
	global_store_dword v[70:71], v67, off
.LBB112_397:
	s_or_b64 exec, exec, s[12:13]
	v_mov_b32_e32 v65, v64
	v_mov_b32_e32 v67, v64
.LBB112_398:
	s_or_b64 exec, exec, s[2:3]
.LBB112_399:
	s_andn2_saveexec_b64 s[0:1], s[0:1]
	s_cbranch_execz .LBB112_401
; %bb.400:
	v_pk_mov_b32 v[70:71], v[26:27], v[42:43] op_sel:[1,0]
	ds_write2_b32 v63, v70, v71 offset0:24 offset1:25
	v_pk_mov_b32 v[70:71], v[42:43], v[36:37] op_sel:[1,0]
	ds_write2_b32 v63, v70, v71 offset0:26 offset1:27
	v_pk_mov_b32 v[70:71], v[36:37], v[28:29] op_sel:[1,0]
	ds_write2_b32 v63, v70, v71 offset0:28 offset1:29
	v_pk_mov_b32 v[70:71], v[28:29], v[20:21] op_sel:[1,0]
	ds_write2_b32 v63, v70, v71 offset0:30 offset1:31
	v_pk_mov_b32 v[70:71], v[20:21], v[38:39] op_sel:[1,0]
	ds_write2_b32 v63, v70, v71 offset0:32 offset1:33
	v_pk_mov_b32 v[70:71], v[38:39], v[30:31] op_sel:[1,0]
	ds_write2_b32 v63, v70, v71 offset0:34 offset1:35
	v_pk_mov_b32 v[70:71], v[30:31], v[22:23] op_sel:[1,0]
	ds_write2_b32 v63, v70, v71 offset0:36 offset1:37
	v_pk_mov_b32 v[70:71], v[22:23], v[16:17] op_sel:[1,0]
	ds_write2_b32 v63, v70, v71 offset0:38 offset1:39
	v_pk_mov_b32 v[70:71], v[16:17], v[32:33] op_sel:[1,0]
	ds_write2_b32 v63, v70, v71 offset0:40 offset1:41
	v_pk_mov_b32 v[70:71], v[32:33], v[24:25] op_sel:[1,0]
	ds_write2_b32 v63, v70, v71 offset0:42 offset1:43
	v_pk_mov_b32 v[70:71], v[24:25], v[18:19] op_sel:[1,0]
	ds_write2_b32 v63, v70, v71 offset0:44 offset1:45
	v_pk_mov_b32 v[70:71], v[18:19], v[8:9] op_sel:[1,0]
	ds_write2_b32 v63, v70, v71 offset0:46 offset1:47
	v_pk_mov_b32 v[70:71], v[8:9], v[14:15] op_sel:[1,0]
	ds_write2_b32 v63, v70, v71 offset0:48 offset1:49
	v_pk_mov_b32 v[70:71], v[14:15], v[12:13] op_sel:[1,0]
	ds_write2_b32 v63, v70, v71 offset0:50 offset1:51
	v_pk_mov_b32 v[70:71], v[12:13], v[0:1] op_sel:[1,0]
	ds_write2_b32 v63, v70, v71 offset0:52 offset1:53
	v_pk_mov_b32 v[70:71], v[0:1], v[10:11] op_sel:[1,0]
	v_mov_b32_e32 v67, 23
	ds_write2_b32 v63, v70, v71 offset0:54 offset1:55
	ds_write_b32 v63, v11 offset:224
.LBB112_401:
	s_or_b64 exec, exec, s[0:1]
	v_cmp_lt_i32_e32 vcc, 23, v67
	s_waitcnt lgkmcnt(0)
	s_barrier
	s_and_saveexec_b64 s[0:1], vcc
	s_cbranch_execz .LBB112_403
; %bb.402:
	ds_read_b32 v64, v63 offset:96
	ds_read2_b32 v[70:71], v63 offset0:25 offset1:26
	ds_read2_b32 v[72:73], v63 offset0:27 offset1:28
	v_mul_f32_e32 v26, v66, v26
	ds_read2_b32 v[74:75], v63 offset0:29 offset1:30
	s_waitcnt lgkmcnt(3)
	v_fma_f32 v27, -v26, v64, v27
	s_waitcnt lgkmcnt(2)
	v_pk_fma_f32 v[42:43], v[26:27], v[70:71], v[42:43] op_sel_hi:[0,1,1] neg_lo:[1,0,0] neg_hi:[1,0,0]
	s_waitcnt lgkmcnt(1)
	v_pk_fma_f32 v[36:37], v[26:27], v[72:73], v[36:37] op_sel_hi:[0,1,1] neg_lo:[1,0,0] neg_hi:[1,0,0]
	ds_read2_b32 v[70:71], v63 offset0:31 offset1:32
	ds_read2_b32 v[72:73], v63 offset0:33 offset1:34
	;; [unrolled: 1-line block ×3, first 2 shown]
	s_waitcnt lgkmcnt(3)
	v_pk_fma_f32 v[28:29], v[26:27], v[74:75], v[28:29] op_sel_hi:[0,1,1] neg_lo:[1,0,0] neg_hi:[1,0,0]
	ds_read2_b32 v[74:75], v63 offset0:37 offset1:38
	s_waitcnt lgkmcnt(3)
	v_pk_fma_f32 v[20:21], v[26:27], v[70:71], v[20:21] op_sel_hi:[0,1,1] neg_lo:[1,0,0] neg_hi:[1,0,0]
	s_waitcnt lgkmcnt(2)
	v_pk_fma_f32 v[38:39], v[26:27], v[72:73], v[38:39] op_sel_hi:[0,1,1] neg_lo:[1,0,0] neg_hi:[1,0,0]
	;; [unrolled: 2-line block ×3, first 2 shown]
	ds_read2_b32 v[70:71], v63 offset0:39 offset1:40
	ds_read2_b32 v[72:73], v63 offset0:41 offset1:42
	;; [unrolled: 1-line block ×4, first 2 shown]
	s_waitcnt lgkmcnt(4)
	v_pk_fma_f32 v[22:23], v[26:27], v[74:75], v[22:23] op_sel_hi:[0,1,1] neg_lo:[1,0,0] neg_hi:[1,0,0]
	s_waitcnt lgkmcnt(3)
	v_pk_fma_f32 v[16:17], v[26:27], v[70:71], v[16:17] op_sel_hi:[0,1,1] neg_lo:[1,0,0] neg_hi:[1,0,0]
	;; [unrolled: 2-line block ×5, first 2 shown]
	ds_read2_b32 v[70:71], v63 offset0:47 offset1:48
	ds_read2_b32 v[72:73], v63 offset0:49 offset1:50
	;; [unrolled: 1-line block ×5, first 2 shown]
	s_waitcnt lgkmcnt(4)
	v_pk_fma_f32 v[8:9], v[26:27], v[70:71], v[8:9] op_sel_hi:[0,1,1] neg_lo:[1,0,0] neg_hi:[1,0,0]
	s_waitcnt lgkmcnt(3)
	v_pk_fma_f32 v[14:15], v[26:27], v[72:73], v[14:15] op_sel_hi:[0,1,1] neg_lo:[1,0,0] neg_hi:[1,0,0]
	s_waitcnt lgkmcnt(2)
	v_pk_fma_f32 v[12:13], v[26:27], v[74:75], v[12:13] op_sel_hi:[0,1,1] neg_lo:[1,0,0] neg_hi:[1,0,0]
	s_waitcnt lgkmcnt(1)
	v_pk_fma_f32 v[0:1], v[26:27], v[76:77], v[0:1] op_sel_hi:[0,1,1] neg_lo:[1,0,0] neg_hi:[1,0,0]
	s_waitcnt lgkmcnt(0)
	v_pk_fma_f32 v[10:11], v[26:27], v[78:79], v[10:11] op_sel_hi:[0,1,1] neg_lo:[1,0,0] neg_hi:[1,0,0]
.LBB112_403:
	s_or_b64 exec, exec, s[0:1]
	v_lshl_add_u32 v64, v67, 2, v63
	s_barrier
	ds_write_b32 v64, v27
	s_waitcnt lgkmcnt(0)
	s_barrier
	ds_read_b32 v66, v63 offset:96
	s_cmp_lt_i32 s22, 26
	v_mov_b32_e32 v64, 24
	s_cbranch_scc1 .LBB112_406
; %bb.404:
	v_add_u32_e32 v69, 0x64, v63
	v_mov_b32_e32 v64, 24
	s_mov_b32 s0, 25
.LBB112_405:                            ; =>This Inner Loop Header: Depth=1
	ds_read_b32 v70, v69
	v_mov_b32_e32 v71, s0
	s_add_i32 s0, s0, 1
	v_add_u32_e32 v69, 4, v69
	s_cmp_lg_u32 s22, s0
	s_waitcnt lgkmcnt(0)
	v_cmp_lt_f32_e64 vcc, |v66|, |v70|
	s_nop 1
	v_cndmask_b32_e32 v66, v66, v70, vcc
	v_cndmask_b32_e32 v64, v64, v71, vcc
	s_cbranch_scc1 .LBB112_405
.LBB112_406:
	s_waitcnt lgkmcnt(0)
	v_cmp_eq_f32_e32 vcc, 0, v66
	s_and_saveexec_b64 s[0:1], vcc
	s_xor_b64 s[0:1], exec, s[0:1]
; %bb.407:
	v_cmp_ne_u32_e32 vcc, 0, v68
	s_nop 1
	v_cndmask_b32_e32 v68, 25, v68, vcc
; %bb.408:
	s_andn2_saveexec_b64 s[0:1], s[0:1]
	s_cbranch_execz .LBB112_410
; %bb.409:
	v_div_scale_f32 v69, s[2:3], v66, v66, 1.0
	v_rcp_f32_e32 v70, v69
	v_div_scale_f32 v71, vcc, 1.0, v66, 1.0
	v_fma_f32 v72, -v69, v70, 1.0
	v_fmac_f32_e32 v70, v72, v70
	v_mul_f32_e32 v72, v71, v70
	v_fma_f32 v73, -v69, v72, v71
	v_fmac_f32_e32 v72, v73, v70
	v_fma_f32 v69, -v69, v72, v71
	v_div_fmas_f32 v69, v69, v70, v72
	v_div_fixup_f32 v66, v69, v66, 1.0
.LBB112_410:
	s_or_b64 exec, exec, s[0:1]
	v_cmp_ne_u32_e32 vcc, v67, v64
	s_and_saveexec_b64 s[0:1], vcc
	s_xor_b64 s[0:1], exec, s[0:1]
	s_cbranch_execz .LBB112_416
; %bb.411:
	v_cmp_eq_u32_e32 vcc, 24, v67
	s_and_saveexec_b64 s[2:3], vcc
	s_cbranch_execz .LBB112_415
; %bb.412:
	v_cmp_ne_u32_e32 vcc, 24, v64
	s_xor_b64 s[12:13], s[20:21], -1
	s_and_b64 s[14:15], s[12:13], vcc
	s_and_saveexec_b64 s[12:13], s[14:15]
	s_cbranch_execz .LBB112_414
; %bb.413:
	v_ashrrev_i32_e32 v65, 31, v64
	v_lshl_add_u64 v[70:71], v[64:65], 2, v[4:5]
	global_load_dword v65, v[70:71], off
	global_load_dword v67, v[4:5], off offset:96
	s_waitcnt vmcnt(1)
	global_store_dword v[4:5], v65, off offset:96
	s_waitcnt vmcnt(1)
	global_store_dword v[70:71], v67, off
.LBB112_414:
	s_or_b64 exec, exec, s[12:13]
	v_mov_b32_e32 v65, v64
	v_mov_b32_e32 v67, v64
.LBB112_415:
	s_or_b64 exec, exec, s[2:3]
.LBB112_416:
	s_andn2_saveexec_b64 s[0:1], s[0:1]
	s_cbranch_execz .LBB112_418
; %bb.417:
	v_mov_b32_e32 v67, 24
	ds_write2_b32 v63, v42, v43 offset0:25 offset1:26
	ds_write2_b32 v63, v36, v37 offset0:27 offset1:28
	;; [unrolled: 1-line block ×16, first 2 shown]
.LBB112_418:
	s_or_b64 exec, exec, s[0:1]
	v_cmp_lt_i32_e32 vcc, 24, v67
	s_waitcnt lgkmcnt(0)
	s_barrier
	s_and_saveexec_b64 s[0:1], vcc
	s_cbranch_execz .LBB112_420
; %bb.419:
	ds_read2_b32 v[70:71], v63 offset0:25 offset1:26
	ds_read2_b32 v[72:73], v63 offset0:27 offset1:28
	;; [unrolled: 1-line block ×3, first 2 shown]
	v_mul_f32_e32 v64, v66, v27
	ds_read2_b32 v[76:77], v63 offset0:31 offset1:32
	s_waitcnt lgkmcnt(3)
	v_pk_fma_f32 v[42:43], v[64:65], v[70:71], v[42:43] op_sel_hi:[0,1,1] neg_lo:[1,0,0] neg_hi:[1,0,0]
	s_waitcnt lgkmcnt(2)
	v_pk_fma_f32 v[36:37], v[64:65], v[72:73], v[36:37] op_sel_hi:[0,1,1] neg_lo:[1,0,0] neg_hi:[1,0,0]
	;; [unrolled: 2-line block ×3, first 2 shown]
	ds_read2_b32 v[70:71], v63 offset0:33 offset1:34
	ds_read2_b32 v[72:73], v63 offset0:35 offset1:36
	;; [unrolled: 1-line block ×3, first 2 shown]
	s_waitcnt lgkmcnt(3)
	v_pk_fma_f32 v[20:21], v[64:65], v[76:77], v[20:21] op_sel_hi:[0,1,1] neg_lo:[1,0,0] neg_hi:[1,0,0]
	ds_read2_b32 v[76:77], v63 offset0:39 offset1:40
	s_waitcnt lgkmcnt(3)
	v_pk_fma_f32 v[38:39], v[64:65], v[70:71], v[38:39] op_sel_hi:[0,1,1] neg_lo:[1,0,0] neg_hi:[1,0,0]
	s_waitcnt lgkmcnt(2)
	v_pk_fma_f32 v[30:31], v[64:65], v[72:73], v[30:31] op_sel_hi:[0,1,1] neg_lo:[1,0,0] neg_hi:[1,0,0]
	;; [unrolled: 2-line block ×3, first 2 shown]
	ds_read2_b32 v[70:71], v63 offset0:41 offset1:42
	ds_read2_b32 v[72:73], v63 offset0:43 offset1:44
	;; [unrolled: 1-line block ×3, first 2 shown]
	s_waitcnt lgkmcnt(3)
	v_pk_fma_f32 v[16:17], v[64:65], v[76:77], v[16:17] op_sel_hi:[0,1,1] neg_lo:[1,0,0] neg_hi:[1,0,0]
	ds_read2_b32 v[76:77], v63 offset0:47 offset1:48
	s_waitcnt lgkmcnt(3)
	v_pk_fma_f32 v[32:33], v[64:65], v[70:71], v[32:33] op_sel_hi:[0,1,1] neg_lo:[1,0,0] neg_hi:[1,0,0]
	s_waitcnt lgkmcnt(2)
	v_pk_fma_f32 v[24:25], v[64:65], v[72:73], v[24:25] op_sel_hi:[0,1,1] neg_lo:[1,0,0] neg_hi:[1,0,0]
	;; [unrolled: 2-line block ×3, first 2 shown]
	ds_read2_b32 v[70:71], v63 offset0:49 offset1:50
	ds_read2_b32 v[72:73], v63 offset0:51 offset1:52
	;; [unrolled: 1-line block ×4, first 2 shown]
	s_waitcnt lgkmcnt(4)
	v_pk_fma_f32 v[8:9], v[64:65], v[76:77], v[8:9] op_sel_hi:[0,1,1] neg_lo:[1,0,0] neg_hi:[1,0,0]
	s_waitcnt lgkmcnt(3)
	v_pk_fma_f32 v[14:15], v[64:65], v[70:71], v[14:15] op_sel_hi:[0,1,1] neg_lo:[1,0,0] neg_hi:[1,0,0]
	;; [unrolled: 2-line block ×5, first 2 shown]
	v_mov_b32_e32 v27, v64
.LBB112_420:
	s_or_b64 exec, exec, s[0:1]
	v_lshl_add_u32 v64, v67, 2, v63
	s_barrier
	ds_write_b32 v64, v42
	s_waitcnt lgkmcnt(0)
	s_barrier
	ds_read_b32 v66, v63 offset:100
	s_cmp_lt_i32 s22, 27
	v_mov_b32_e32 v64, 25
	s_cbranch_scc1 .LBB112_423
; %bb.421:
	v_add_u32_e32 v69, 0x68, v63
	v_mov_b32_e32 v64, 25
	s_mov_b32 s0, 26
.LBB112_422:                            ; =>This Inner Loop Header: Depth=1
	ds_read_b32 v70, v69
	v_mov_b32_e32 v71, s0
	s_add_i32 s0, s0, 1
	v_add_u32_e32 v69, 4, v69
	s_cmp_lg_u32 s22, s0
	s_waitcnt lgkmcnt(0)
	v_cmp_lt_f32_e64 vcc, |v66|, |v70|
	s_nop 1
	v_cndmask_b32_e32 v66, v66, v70, vcc
	v_cndmask_b32_e32 v64, v64, v71, vcc
	s_cbranch_scc1 .LBB112_422
.LBB112_423:
	s_waitcnt lgkmcnt(0)
	v_cmp_eq_f32_e32 vcc, 0, v66
	s_and_saveexec_b64 s[0:1], vcc
	s_xor_b64 s[0:1], exec, s[0:1]
; %bb.424:
	v_cmp_ne_u32_e32 vcc, 0, v68
	s_nop 1
	v_cndmask_b32_e32 v68, 26, v68, vcc
; %bb.425:
	s_andn2_saveexec_b64 s[0:1], s[0:1]
	s_cbranch_execz .LBB112_427
; %bb.426:
	v_div_scale_f32 v69, s[2:3], v66, v66, 1.0
	v_rcp_f32_e32 v70, v69
	v_div_scale_f32 v71, vcc, 1.0, v66, 1.0
	v_fma_f32 v72, -v69, v70, 1.0
	v_fmac_f32_e32 v70, v72, v70
	v_mul_f32_e32 v72, v71, v70
	v_fma_f32 v73, -v69, v72, v71
	v_fmac_f32_e32 v72, v73, v70
	v_fma_f32 v69, -v69, v72, v71
	v_div_fmas_f32 v69, v69, v70, v72
	v_div_fixup_f32 v66, v69, v66, 1.0
.LBB112_427:
	s_or_b64 exec, exec, s[0:1]
	v_cmp_ne_u32_e32 vcc, v67, v64
	s_and_saveexec_b64 s[0:1], vcc
	s_xor_b64 s[0:1], exec, s[0:1]
	s_cbranch_execz .LBB112_433
; %bb.428:
	v_cmp_eq_u32_e32 vcc, 25, v67
	s_and_saveexec_b64 s[2:3], vcc
	s_cbranch_execz .LBB112_432
; %bb.429:
	v_cmp_ne_u32_e32 vcc, 25, v64
	s_xor_b64 s[12:13], s[20:21], -1
	s_and_b64 s[14:15], s[12:13], vcc
	s_and_saveexec_b64 s[12:13], s[14:15]
	s_cbranch_execz .LBB112_431
; %bb.430:
	v_ashrrev_i32_e32 v65, 31, v64
	v_lshl_add_u64 v[70:71], v[64:65], 2, v[4:5]
	global_load_dword v65, v[70:71], off
	global_load_dword v67, v[4:5], off offset:100
	s_waitcnt vmcnt(1)
	global_store_dword v[4:5], v65, off offset:100
	s_waitcnt vmcnt(1)
	global_store_dword v[70:71], v67, off
.LBB112_431:
	s_or_b64 exec, exec, s[12:13]
	v_mov_b32_e32 v65, v64
	v_mov_b32_e32 v67, v64
.LBB112_432:
	s_or_b64 exec, exec, s[2:3]
.LBB112_433:
	s_andn2_saveexec_b64 s[0:1], s[0:1]
	s_cbranch_execz .LBB112_435
; %bb.434:
	v_pk_mov_b32 v[70:71], v[42:43], v[36:37] op_sel:[1,0]
	ds_write2_b32 v63, v70, v71 offset0:26 offset1:27
	v_pk_mov_b32 v[70:71], v[36:37], v[28:29] op_sel:[1,0]
	ds_write2_b32 v63, v70, v71 offset0:28 offset1:29
	;; [unrolled: 2-line block ×14, first 2 shown]
	v_pk_mov_b32 v[70:71], v[0:1], v[10:11] op_sel:[1,0]
	v_mov_b32_e32 v67, 25
	ds_write2_b32 v63, v70, v71 offset0:54 offset1:55
	ds_write_b32 v63, v11 offset:224
.LBB112_435:
	s_or_b64 exec, exec, s[0:1]
	v_cmp_lt_i32_e32 vcc, 25, v67
	s_waitcnt lgkmcnt(0)
	s_barrier
	s_and_saveexec_b64 s[0:1], vcc
	s_cbranch_execz .LBB112_437
; %bb.436:
	ds_read_b32 v64, v63 offset:104
	ds_read2_b32 v[70:71], v63 offset0:27 offset1:28
	ds_read2_b32 v[72:73], v63 offset0:29 offset1:30
	v_mul_f32_e32 v42, v66, v42
	ds_read2_b32 v[74:75], v63 offset0:31 offset1:32
	s_waitcnt lgkmcnt(3)
	v_fma_f32 v43, -v42, v64, v43
	s_waitcnt lgkmcnt(2)
	v_pk_fma_f32 v[36:37], v[42:43], v[70:71], v[36:37] op_sel_hi:[0,1,1] neg_lo:[1,0,0] neg_hi:[1,0,0]
	s_waitcnt lgkmcnt(1)
	v_pk_fma_f32 v[28:29], v[42:43], v[72:73], v[28:29] op_sel_hi:[0,1,1] neg_lo:[1,0,0] neg_hi:[1,0,0]
	ds_read2_b32 v[70:71], v63 offset0:33 offset1:34
	ds_read2_b32 v[72:73], v63 offset0:35 offset1:36
	;; [unrolled: 1-line block ×3, first 2 shown]
	s_waitcnt lgkmcnt(3)
	v_pk_fma_f32 v[20:21], v[42:43], v[74:75], v[20:21] op_sel_hi:[0,1,1] neg_lo:[1,0,0] neg_hi:[1,0,0]
	ds_read2_b32 v[74:75], v63 offset0:39 offset1:40
	s_waitcnt lgkmcnt(3)
	v_pk_fma_f32 v[38:39], v[42:43], v[70:71], v[38:39] op_sel_hi:[0,1,1] neg_lo:[1,0,0] neg_hi:[1,0,0]
	s_waitcnt lgkmcnt(2)
	v_pk_fma_f32 v[30:31], v[42:43], v[72:73], v[30:31] op_sel_hi:[0,1,1] neg_lo:[1,0,0] neg_hi:[1,0,0]
	;; [unrolled: 2-line block ×3, first 2 shown]
	ds_read2_b32 v[70:71], v63 offset0:41 offset1:42
	ds_read2_b32 v[72:73], v63 offset0:43 offset1:44
	;; [unrolled: 1-line block ×3, first 2 shown]
	s_waitcnt lgkmcnt(3)
	v_pk_fma_f32 v[16:17], v[42:43], v[74:75], v[16:17] op_sel_hi:[0,1,1] neg_lo:[1,0,0] neg_hi:[1,0,0]
	ds_read2_b32 v[74:75], v63 offset0:47 offset1:48
	s_waitcnt lgkmcnt(3)
	v_pk_fma_f32 v[32:33], v[42:43], v[70:71], v[32:33] op_sel_hi:[0,1,1] neg_lo:[1,0,0] neg_hi:[1,0,0]
	s_waitcnt lgkmcnt(2)
	v_pk_fma_f32 v[24:25], v[42:43], v[72:73], v[24:25] op_sel_hi:[0,1,1] neg_lo:[1,0,0] neg_hi:[1,0,0]
	s_waitcnt lgkmcnt(1)
	v_pk_fma_f32 v[18:19], v[42:43], v[76:77], v[18:19] op_sel_hi:[0,1,1] neg_lo:[1,0,0] neg_hi:[1,0,0]
	ds_read2_b32 v[70:71], v63 offset0:49 offset1:50
	ds_read2_b32 v[72:73], v63 offset0:51 offset1:52
	;; [unrolled: 1-line block ×4, first 2 shown]
	s_waitcnt lgkmcnt(4)
	v_pk_fma_f32 v[8:9], v[42:43], v[74:75], v[8:9] op_sel_hi:[0,1,1] neg_lo:[1,0,0] neg_hi:[1,0,0]
	s_waitcnt lgkmcnt(3)
	v_pk_fma_f32 v[14:15], v[42:43], v[70:71], v[14:15] op_sel_hi:[0,1,1] neg_lo:[1,0,0] neg_hi:[1,0,0]
	;; [unrolled: 2-line block ×5, first 2 shown]
.LBB112_437:
	s_or_b64 exec, exec, s[0:1]
	v_lshl_add_u32 v64, v67, 2, v63
	s_barrier
	ds_write_b32 v64, v43
	s_waitcnt lgkmcnt(0)
	s_barrier
	ds_read_b32 v66, v63 offset:104
	s_cmp_lt_i32 s22, 28
	v_mov_b32_e32 v64, 26
	s_cbranch_scc1 .LBB112_440
; %bb.438:
	v_add_u32_e32 v69, 0x6c, v63
	v_mov_b32_e32 v64, 26
	s_mov_b32 s0, 27
.LBB112_439:                            ; =>This Inner Loop Header: Depth=1
	ds_read_b32 v70, v69
	v_mov_b32_e32 v71, s0
	s_add_i32 s0, s0, 1
	v_add_u32_e32 v69, 4, v69
	s_cmp_lg_u32 s22, s0
	s_waitcnt lgkmcnt(0)
	v_cmp_lt_f32_e64 vcc, |v66|, |v70|
	s_nop 1
	v_cndmask_b32_e32 v66, v66, v70, vcc
	v_cndmask_b32_e32 v64, v64, v71, vcc
	s_cbranch_scc1 .LBB112_439
.LBB112_440:
	s_waitcnt lgkmcnt(0)
	v_cmp_eq_f32_e32 vcc, 0, v66
	s_and_saveexec_b64 s[0:1], vcc
	s_xor_b64 s[0:1], exec, s[0:1]
; %bb.441:
	v_cmp_ne_u32_e32 vcc, 0, v68
	s_nop 1
	v_cndmask_b32_e32 v68, 27, v68, vcc
; %bb.442:
	s_andn2_saveexec_b64 s[0:1], s[0:1]
	s_cbranch_execz .LBB112_444
; %bb.443:
	v_div_scale_f32 v69, s[2:3], v66, v66, 1.0
	v_rcp_f32_e32 v70, v69
	v_div_scale_f32 v71, vcc, 1.0, v66, 1.0
	v_fma_f32 v72, -v69, v70, 1.0
	v_fmac_f32_e32 v70, v72, v70
	v_mul_f32_e32 v72, v71, v70
	v_fma_f32 v73, -v69, v72, v71
	v_fmac_f32_e32 v72, v73, v70
	v_fma_f32 v69, -v69, v72, v71
	v_div_fmas_f32 v69, v69, v70, v72
	v_div_fixup_f32 v66, v69, v66, 1.0
.LBB112_444:
	s_or_b64 exec, exec, s[0:1]
	v_cmp_ne_u32_e32 vcc, v67, v64
	s_and_saveexec_b64 s[0:1], vcc
	s_xor_b64 s[0:1], exec, s[0:1]
	s_cbranch_execz .LBB112_450
; %bb.445:
	v_cmp_eq_u32_e32 vcc, 26, v67
	s_and_saveexec_b64 s[2:3], vcc
	s_cbranch_execz .LBB112_449
; %bb.446:
	v_cmp_ne_u32_e32 vcc, 26, v64
	s_xor_b64 s[12:13], s[20:21], -1
	s_and_b64 s[14:15], s[12:13], vcc
	s_and_saveexec_b64 s[12:13], s[14:15]
	s_cbranch_execz .LBB112_448
; %bb.447:
	v_ashrrev_i32_e32 v65, 31, v64
	v_lshl_add_u64 v[70:71], v[64:65], 2, v[4:5]
	global_load_dword v65, v[70:71], off
	global_load_dword v67, v[4:5], off offset:104
	s_waitcnt vmcnt(1)
	global_store_dword v[4:5], v65, off offset:104
	s_waitcnt vmcnt(1)
	global_store_dword v[70:71], v67, off
.LBB112_448:
	s_or_b64 exec, exec, s[12:13]
	v_mov_b32_e32 v65, v64
	v_mov_b32_e32 v67, v64
.LBB112_449:
	s_or_b64 exec, exec, s[2:3]
.LBB112_450:
	s_andn2_saveexec_b64 s[0:1], s[0:1]
	s_cbranch_execz .LBB112_452
; %bb.451:
	v_mov_b32_e32 v67, 26
	ds_write2_b32 v63, v36, v37 offset0:27 offset1:28
	ds_write2_b32 v63, v28, v29 offset0:29 offset1:30
	;; [unrolled: 1-line block ×15, first 2 shown]
.LBB112_452:
	s_or_b64 exec, exec, s[0:1]
	v_cmp_lt_i32_e32 vcc, 26, v67
	s_waitcnt lgkmcnt(0)
	s_barrier
	s_and_saveexec_b64 s[0:1], vcc
	s_cbranch_execz .LBB112_454
; %bb.453:
	ds_read2_b32 v[70:71], v63 offset0:27 offset1:28
	ds_read2_b32 v[72:73], v63 offset0:29 offset1:30
	;; [unrolled: 1-line block ×3, first 2 shown]
	v_mul_f32_e32 v64, v66, v43
	ds_read2_b32 v[76:77], v63 offset0:33 offset1:34
	s_waitcnt lgkmcnt(3)
	v_pk_fma_f32 v[36:37], v[64:65], v[70:71], v[36:37] op_sel_hi:[0,1,1] neg_lo:[1,0,0] neg_hi:[1,0,0]
	s_waitcnt lgkmcnt(2)
	v_pk_fma_f32 v[28:29], v[64:65], v[72:73], v[28:29] op_sel_hi:[0,1,1] neg_lo:[1,0,0] neg_hi:[1,0,0]
	;; [unrolled: 2-line block ×3, first 2 shown]
	ds_read2_b32 v[70:71], v63 offset0:35 offset1:36
	ds_read2_b32 v[72:73], v63 offset0:37 offset1:38
	;; [unrolled: 1-line block ×3, first 2 shown]
	s_waitcnt lgkmcnt(3)
	v_pk_fma_f32 v[38:39], v[64:65], v[76:77], v[38:39] op_sel_hi:[0,1,1] neg_lo:[1,0,0] neg_hi:[1,0,0]
	ds_read2_b32 v[76:77], v63 offset0:41 offset1:42
	s_waitcnt lgkmcnt(3)
	v_pk_fma_f32 v[30:31], v[64:65], v[70:71], v[30:31] op_sel_hi:[0,1,1] neg_lo:[1,0,0] neg_hi:[1,0,0]
	s_waitcnt lgkmcnt(2)
	v_pk_fma_f32 v[22:23], v[64:65], v[72:73], v[22:23] op_sel_hi:[0,1,1] neg_lo:[1,0,0] neg_hi:[1,0,0]
	ds_read2_b32 v[70:71], v63 offset0:43 offset1:44
	ds_read2_b32 v[72:73], v63 offset0:45 offset1:46
	s_waitcnt lgkmcnt(3)
	v_pk_fma_f32 v[16:17], v[64:65], v[74:75], v[16:17] op_sel_hi:[0,1,1] neg_lo:[1,0,0] neg_hi:[1,0,0]
	s_waitcnt lgkmcnt(2)
	v_pk_fma_f32 v[32:33], v[64:65], v[76:77], v[32:33] op_sel_hi:[0,1,1] neg_lo:[1,0,0] neg_hi:[1,0,0]
	ds_read2_b32 v[74:75], v63 offset0:47 offset1:48
	;; [unrolled: 6-line block ×3, first 2 shown]
	ds_read2_b32 v[72:73], v63 offset0:53 offset1:54
	ds_read2_b32 v[78:79], v63 offset0:55 offset1:56
	s_waitcnt lgkmcnt(4)
	v_pk_fma_f32 v[8:9], v[64:65], v[74:75], v[8:9] op_sel_hi:[0,1,1] neg_lo:[1,0,0] neg_hi:[1,0,0]
	s_waitcnt lgkmcnt(3)
	v_pk_fma_f32 v[14:15], v[64:65], v[76:77], v[14:15] op_sel_hi:[0,1,1] neg_lo:[1,0,0] neg_hi:[1,0,0]
	;; [unrolled: 2-line block ×5, first 2 shown]
	v_mov_b32_e32 v43, v64
.LBB112_454:
	s_or_b64 exec, exec, s[0:1]
	v_lshl_add_u32 v64, v67, 2, v63
	s_barrier
	ds_write_b32 v64, v36
	s_waitcnt lgkmcnt(0)
	s_barrier
	ds_read_b32 v66, v63 offset:108
	s_cmp_lt_i32 s22, 29
	v_mov_b32_e32 v64, 27
	s_cbranch_scc1 .LBB112_457
; %bb.455:
	v_add_u32_e32 v69, 0x70, v63
	v_mov_b32_e32 v64, 27
	s_mov_b32 s0, 28
.LBB112_456:                            ; =>This Inner Loop Header: Depth=1
	ds_read_b32 v70, v69
	v_mov_b32_e32 v71, s0
	s_add_i32 s0, s0, 1
	v_add_u32_e32 v69, 4, v69
	s_cmp_lg_u32 s22, s0
	s_waitcnt lgkmcnt(0)
	v_cmp_lt_f32_e64 vcc, |v66|, |v70|
	s_nop 1
	v_cndmask_b32_e32 v66, v66, v70, vcc
	v_cndmask_b32_e32 v64, v64, v71, vcc
	s_cbranch_scc1 .LBB112_456
.LBB112_457:
	s_waitcnt lgkmcnt(0)
	v_cmp_eq_f32_e32 vcc, 0, v66
	s_and_saveexec_b64 s[0:1], vcc
	s_xor_b64 s[0:1], exec, s[0:1]
; %bb.458:
	v_cmp_ne_u32_e32 vcc, 0, v68
	s_nop 1
	v_cndmask_b32_e32 v68, 28, v68, vcc
; %bb.459:
	s_andn2_saveexec_b64 s[0:1], s[0:1]
	s_cbranch_execz .LBB112_461
; %bb.460:
	v_div_scale_f32 v69, s[2:3], v66, v66, 1.0
	v_rcp_f32_e32 v70, v69
	v_div_scale_f32 v71, vcc, 1.0, v66, 1.0
	v_fma_f32 v72, -v69, v70, 1.0
	v_fmac_f32_e32 v70, v72, v70
	v_mul_f32_e32 v72, v71, v70
	v_fma_f32 v73, -v69, v72, v71
	v_fmac_f32_e32 v72, v73, v70
	v_fma_f32 v69, -v69, v72, v71
	v_div_fmas_f32 v69, v69, v70, v72
	v_div_fixup_f32 v66, v69, v66, 1.0
.LBB112_461:
	s_or_b64 exec, exec, s[0:1]
	v_cmp_ne_u32_e32 vcc, v67, v64
	s_and_saveexec_b64 s[0:1], vcc
	s_xor_b64 s[0:1], exec, s[0:1]
	s_cbranch_execz .LBB112_467
; %bb.462:
	v_cmp_eq_u32_e32 vcc, 27, v67
	s_and_saveexec_b64 s[2:3], vcc
	s_cbranch_execz .LBB112_466
; %bb.463:
	v_cmp_ne_u32_e32 vcc, 27, v64
	s_xor_b64 s[12:13], s[20:21], -1
	s_and_b64 s[14:15], s[12:13], vcc
	s_and_saveexec_b64 s[12:13], s[14:15]
	s_cbranch_execz .LBB112_465
; %bb.464:
	v_ashrrev_i32_e32 v65, 31, v64
	v_lshl_add_u64 v[70:71], v[64:65], 2, v[4:5]
	global_load_dword v65, v[70:71], off
	global_load_dword v67, v[4:5], off offset:108
	s_waitcnt vmcnt(1)
	global_store_dword v[4:5], v65, off offset:108
	s_waitcnt vmcnt(1)
	global_store_dword v[70:71], v67, off
.LBB112_465:
	s_or_b64 exec, exec, s[12:13]
	v_mov_b32_e32 v65, v64
	v_mov_b32_e32 v67, v64
.LBB112_466:
	s_or_b64 exec, exec, s[2:3]
.LBB112_467:
	s_andn2_saveexec_b64 s[0:1], s[0:1]
	s_cbranch_execz .LBB112_469
; %bb.468:
	v_pk_mov_b32 v[70:71], v[36:37], v[28:29] op_sel:[1,0]
	ds_write2_b32 v63, v70, v71 offset0:28 offset1:29
	v_pk_mov_b32 v[70:71], v[28:29], v[20:21] op_sel:[1,0]
	ds_write2_b32 v63, v70, v71 offset0:30 offset1:31
	;; [unrolled: 2-line block ×13, first 2 shown]
	v_pk_mov_b32 v[70:71], v[0:1], v[10:11] op_sel:[1,0]
	v_mov_b32_e32 v67, 27
	ds_write2_b32 v63, v70, v71 offset0:54 offset1:55
	ds_write_b32 v63, v11 offset:224
.LBB112_469:
	s_or_b64 exec, exec, s[0:1]
	v_cmp_lt_i32_e32 vcc, 27, v67
	s_waitcnt lgkmcnt(0)
	s_barrier
	s_and_saveexec_b64 s[0:1], vcc
	s_cbranch_execz .LBB112_471
; %bb.470:
	ds_read_b32 v64, v63 offset:112
	ds_read2_b32 v[70:71], v63 offset0:29 offset1:30
	ds_read2_b32 v[72:73], v63 offset0:31 offset1:32
	v_mul_f32_e32 v36, v66, v36
	ds_read2_b32 v[74:75], v63 offset0:33 offset1:34
	s_waitcnt lgkmcnt(3)
	v_fma_f32 v37, -v36, v64, v37
	s_waitcnt lgkmcnt(2)
	v_pk_fma_f32 v[28:29], v[36:37], v[70:71], v[28:29] op_sel_hi:[0,1,1] neg_lo:[1,0,0] neg_hi:[1,0,0]
	s_waitcnt lgkmcnt(1)
	v_pk_fma_f32 v[20:21], v[36:37], v[72:73], v[20:21] op_sel_hi:[0,1,1] neg_lo:[1,0,0] neg_hi:[1,0,0]
	ds_read2_b32 v[70:71], v63 offset0:35 offset1:36
	ds_read2_b32 v[72:73], v63 offset0:37 offset1:38
	;; [unrolled: 1-line block ×3, first 2 shown]
	s_waitcnt lgkmcnt(3)
	v_pk_fma_f32 v[38:39], v[36:37], v[74:75], v[38:39] op_sel_hi:[0,1,1] neg_lo:[1,0,0] neg_hi:[1,0,0]
	ds_read2_b32 v[74:75], v63 offset0:41 offset1:42
	s_waitcnt lgkmcnt(3)
	v_pk_fma_f32 v[30:31], v[36:37], v[70:71], v[30:31] op_sel_hi:[0,1,1] neg_lo:[1,0,0] neg_hi:[1,0,0]
	s_waitcnt lgkmcnt(2)
	v_pk_fma_f32 v[22:23], v[36:37], v[72:73], v[22:23] op_sel_hi:[0,1,1] neg_lo:[1,0,0] neg_hi:[1,0,0]
	ds_read2_b32 v[70:71], v63 offset0:43 offset1:44
	ds_read2_b32 v[72:73], v63 offset0:45 offset1:46
	s_waitcnt lgkmcnt(3)
	v_pk_fma_f32 v[16:17], v[36:37], v[76:77], v[16:17] op_sel_hi:[0,1,1] neg_lo:[1,0,0] neg_hi:[1,0,0]
	s_waitcnt lgkmcnt(2)
	v_pk_fma_f32 v[32:33], v[36:37], v[74:75], v[32:33] op_sel_hi:[0,1,1] neg_lo:[1,0,0] neg_hi:[1,0,0]
	ds_read2_b32 v[74:75], v63 offset0:47 offset1:48
	;; [unrolled: 6-line block ×3, first 2 shown]
	ds_read2_b32 v[72:73], v63 offset0:53 offset1:54
	ds_read2_b32 v[78:79], v63 offset0:55 offset1:56
	s_waitcnt lgkmcnt(4)
	v_pk_fma_f32 v[8:9], v[36:37], v[74:75], v[8:9] op_sel_hi:[0,1,1] neg_lo:[1,0,0] neg_hi:[1,0,0]
	s_waitcnt lgkmcnt(3)
	v_pk_fma_f32 v[14:15], v[36:37], v[76:77], v[14:15] op_sel_hi:[0,1,1] neg_lo:[1,0,0] neg_hi:[1,0,0]
	;; [unrolled: 2-line block ×5, first 2 shown]
.LBB112_471:
	s_or_b64 exec, exec, s[0:1]
	v_lshl_add_u32 v64, v67, 2, v63
	s_barrier
	ds_write_b32 v64, v37
	s_waitcnt lgkmcnt(0)
	s_barrier
	ds_read_b32 v66, v63 offset:112
	s_cmp_lt_i32 s22, 30
	v_mov_b32_e32 v64, 28
	s_cbranch_scc1 .LBB112_474
; %bb.472:
	v_add_u32_e32 v69, 0x74, v63
	v_mov_b32_e32 v64, 28
	s_mov_b32 s0, 29
.LBB112_473:                            ; =>This Inner Loop Header: Depth=1
	ds_read_b32 v70, v69
	v_mov_b32_e32 v71, s0
	s_add_i32 s0, s0, 1
	v_add_u32_e32 v69, 4, v69
	s_cmp_lg_u32 s22, s0
	s_waitcnt lgkmcnt(0)
	v_cmp_lt_f32_e64 vcc, |v66|, |v70|
	s_nop 1
	v_cndmask_b32_e32 v66, v66, v70, vcc
	v_cndmask_b32_e32 v64, v64, v71, vcc
	s_cbranch_scc1 .LBB112_473
.LBB112_474:
	s_waitcnt lgkmcnt(0)
	v_cmp_eq_f32_e32 vcc, 0, v66
	s_and_saveexec_b64 s[0:1], vcc
	s_xor_b64 s[0:1], exec, s[0:1]
; %bb.475:
	v_cmp_ne_u32_e32 vcc, 0, v68
	s_nop 1
	v_cndmask_b32_e32 v68, 29, v68, vcc
; %bb.476:
	s_andn2_saveexec_b64 s[0:1], s[0:1]
	s_cbranch_execz .LBB112_478
; %bb.477:
	v_div_scale_f32 v69, s[2:3], v66, v66, 1.0
	v_rcp_f32_e32 v70, v69
	v_div_scale_f32 v71, vcc, 1.0, v66, 1.0
	v_fma_f32 v72, -v69, v70, 1.0
	v_fmac_f32_e32 v70, v72, v70
	v_mul_f32_e32 v72, v71, v70
	v_fma_f32 v73, -v69, v72, v71
	v_fmac_f32_e32 v72, v73, v70
	v_fma_f32 v69, -v69, v72, v71
	v_div_fmas_f32 v69, v69, v70, v72
	v_div_fixup_f32 v66, v69, v66, 1.0
.LBB112_478:
	s_or_b64 exec, exec, s[0:1]
	v_cmp_ne_u32_e32 vcc, v67, v64
	s_and_saveexec_b64 s[0:1], vcc
	s_xor_b64 s[0:1], exec, s[0:1]
	s_cbranch_execz .LBB112_484
; %bb.479:
	v_cmp_eq_u32_e32 vcc, 28, v67
	s_and_saveexec_b64 s[2:3], vcc
	s_cbranch_execz .LBB112_483
; %bb.480:
	v_cmp_ne_u32_e32 vcc, 28, v64
	s_xor_b64 s[12:13], s[20:21], -1
	s_and_b64 s[14:15], s[12:13], vcc
	s_and_saveexec_b64 s[12:13], s[14:15]
	s_cbranch_execz .LBB112_482
; %bb.481:
	v_ashrrev_i32_e32 v65, 31, v64
	v_lshl_add_u64 v[70:71], v[64:65], 2, v[4:5]
	global_load_dword v65, v[70:71], off
	global_load_dword v67, v[4:5], off offset:112
	s_waitcnt vmcnt(1)
	global_store_dword v[4:5], v65, off offset:112
	s_waitcnt vmcnt(1)
	global_store_dword v[70:71], v67, off
.LBB112_482:
	s_or_b64 exec, exec, s[12:13]
	v_mov_b32_e32 v65, v64
	v_mov_b32_e32 v67, v64
.LBB112_483:
	s_or_b64 exec, exec, s[2:3]
.LBB112_484:
	s_andn2_saveexec_b64 s[0:1], s[0:1]
	s_cbranch_execz .LBB112_486
; %bb.485:
	v_mov_b32_e32 v67, 28
	ds_write2_b32 v63, v28, v29 offset0:29 offset1:30
	ds_write2_b32 v63, v20, v21 offset0:31 offset1:32
	;; [unrolled: 1-line block ×14, first 2 shown]
.LBB112_486:
	s_or_b64 exec, exec, s[0:1]
	v_cmp_lt_i32_e32 vcc, 28, v67
	s_waitcnt lgkmcnt(0)
	s_barrier
	s_and_saveexec_b64 s[0:1], vcc
	s_cbranch_execz .LBB112_488
; %bb.487:
	ds_read2_b32 v[70:71], v63 offset0:29 offset1:30
	ds_read2_b32 v[72:73], v63 offset0:31 offset1:32
	;; [unrolled: 1-line block ×4, first 2 shown]
	v_mul_f32_e32 v64, v66, v37
	s_waitcnt lgkmcnt(3)
	v_pk_fma_f32 v[28:29], v[64:65], v[70:71], v[28:29] op_sel_hi:[0,1,1] neg_lo:[1,0,0] neg_hi:[1,0,0]
	s_waitcnt lgkmcnt(2)
	v_pk_fma_f32 v[20:21], v[64:65], v[72:73], v[20:21] op_sel_hi:[0,1,1] neg_lo:[1,0,0] neg_hi:[1,0,0]
	;; [unrolled: 2-line block ×3, first 2 shown]
	ds_read2_b32 v[70:71], v63 offset0:37 offset1:38
	ds_read2_b32 v[72:73], v63 offset0:39 offset1:40
	;; [unrolled: 1-line block ×3, first 2 shown]
	s_waitcnt lgkmcnt(3)
	v_pk_fma_f32 v[30:31], v[64:65], v[76:77], v[30:31] op_sel_hi:[0,1,1] neg_lo:[1,0,0] neg_hi:[1,0,0]
	ds_read2_b32 v[76:77], v63 offset0:43 offset1:44
	s_waitcnt lgkmcnt(3)
	v_pk_fma_f32 v[22:23], v[64:65], v[70:71], v[22:23] op_sel_hi:[0,1,1] neg_lo:[1,0,0] neg_hi:[1,0,0]
	ds_read2_b32 v[70:71], v63 offset0:45 offset1:46
	s_waitcnt lgkmcnt(3)
	v_pk_fma_f32 v[16:17], v[64:65], v[72:73], v[16:17] op_sel_hi:[0,1,1] neg_lo:[1,0,0] neg_hi:[1,0,0]
	s_waitcnt lgkmcnt(2)
	v_pk_fma_f32 v[32:33], v[64:65], v[74:75], v[32:33] op_sel_hi:[0,1,1] neg_lo:[1,0,0] neg_hi:[1,0,0]
	;; [unrolled: 2-line block ×3, first 2 shown]
	ds_read2_b32 v[72:73], v63 offset0:47 offset1:48
	ds_read2_b32 v[74:75], v63 offset0:49 offset1:50
	;; [unrolled: 1-line block ×3, first 2 shown]
	s_waitcnt lgkmcnt(3)
	v_pk_fma_f32 v[18:19], v[64:65], v[70:71], v[18:19] op_sel_hi:[0,1,1] neg_lo:[1,0,0] neg_hi:[1,0,0]
	ds_read2_b32 v[70:71], v63 offset0:53 offset1:54
	ds_read2_b32 v[78:79], v63 offset0:55 offset1:56
	s_waitcnt lgkmcnt(4)
	v_pk_fma_f32 v[8:9], v[64:65], v[72:73], v[8:9] op_sel_hi:[0,1,1] neg_lo:[1,0,0] neg_hi:[1,0,0]
	s_waitcnt lgkmcnt(3)
	v_pk_fma_f32 v[14:15], v[64:65], v[74:75], v[14:15] op_sel_hi:[0,1,1] neg_lo:[1,0,0] neg_hi:[1,0,0]
	;; [unrolled: 2-line block ×5, first 2 shown]
	v_mov_b32_e32 v37, v64
.LBB112_488:
	s_or_b64 exec, exec, s[0:1]
	v_lshl_add_u32 v64, v67, 2, v63
	s_barrier
	ds_write_b32 v64, v28
	s_waitcnt lgkmcnt(0)
	s_barrier
	ds_read_b32 v66, v63 offset:116
	s_cmp_lt_i32 s22, 31
	v_mov_b32_e32 v64, 29
	s_cbranch_scc1 .LBB112_491
; %bb.489:
	v_add_u32_e32 v69, 0x78, v63
	v_mov_b32_e32 v64, 29
	s_mov_b32 s0, 30
.LBB112_490:                            ; =>This Inner Loop Header: Depth=1
	ds_read_b32 v70, v69
	v_mov_b32_e32 v71, s0
	s_add_i32 s0, s0, 1
	v_add_u32_e32 v69, 4, v69
	s_cmp_lg_u32 s22, s0
	s_waitcnt lgkmcnt(0)
	v_cmp_lt_f32_e64 vcc, |v66|, |v70|
	s_nop 1
	v_cndmask_b32_e32 v66, v66, v70, vcc
	v_cndmask_b32_e32 v64, v64, v71, vcc
	s_cbranch_scc1 .LBB112_490
.LBB112_491:
	s_waitcnt lgkmcnt(0)
	v_cmp_eq_f32_e32 vcc, 0, v66
	s_and_saveexec_b64 s[0:1], vcc
	s_xor_b64 s[0:1], exec, s[0:1]
; %bb.492:
	v_cmp_ne_u32_e32 vcc, 0, v68
	s_nop 1
	v_cndmask_b32_e32 v68, 30, v68, vcc
; %bb.493:
	s_andn2_saveexec_b64 s[0:1], s[0:1]
	s_cbranch_execz .LBB112_495
; %bb.494:
	v_div_scale_f32 v69, s[2:3], v66, v66, 1.0
	v_rcp_f32_e32 v70, v69
	v_div_scale_f32 v71, vcc, 1.0, v66, 1.0
	v_fma_f32 v72, -v69, v70, 1.0
	v_fmac_f32_e32 v70, v72, v70
	v_mul_f32_e32 v72, v71, v70
	v_fma_f32 v73, -v69, v72, v71
	v_fmac_f32_e32 v72, v73, v70
	v_fma_f32 v69, -v69, v72, v71
	v_div_fmas_f32 v69, v69, v70, v72
	v_div_fixup_f32 v66, v69, v66, 1.0
.LBB112_495:
	s_or_b64 exec, exec, s[0:1]
	v_cmp_ne_u32_e32 vcc, v67, v64
	s_and_saveexec_b64 s[0:1], vcc
	s_xor_b64 s[0:1], exec, s[0:1]
	s_cbranch_execz .LBB112_501
; %bb.496:
	v_cmp_eq_u32_e32 vcc, 29, v67
	s_and_saveexec_b64 s[2:3], vcc
	s_cbranch_execz .LBB112_500
; %bb.497:
	v_cmp_ne_u32_e32 vcc, 29, v64
	s_xor_b64 s[12:13], s[20:21], -1
	s_and_b64 s[14:15], s[12:13], vcc
	s_and_saveexec_b64 s[12:13], s[14:15]
	s_cbranch_execz .LBB112_499
; %bb.498:
	v_ashrrev_i32_e32 v65, 31, v64
	v_lshl_add_u64 v[70:71], v[64:65], 2, v[4:5]
	global_load_dword v65, v[70:71], off
	global_load_dword v67, v[4:5], off offset:116
	s_waitcnt vmcnt(1)
	global_store_dword v[4:5], v65, off offset:116
	s_waitcnt vmcnt(1)
	global_store_dword v[70:71], v67, off
.LBB112_499:
	s_or_b64 exec, exec, s[12:13]
	v_mov_b32_e32 v65, v64
	v_mov_b32_e32 v67, v64
.LBB112_500:
	s_or_b64 exec, exec, s[2:3]
.LBB112_501:
	s_andn2_saveexec_b64 s[0:1], s[0:1]
	s_cbranch_execz .LBB112_503
; %bb.502:
	v_pk_mov_b32 v[70:71], v[28:29], v[20:21] op_sel:[1,0]
	ds_write2_b32 v63, v70, v71 offset0:30 offset1:31
	v_pk_mov_b32 v[70:71], v[20:21], v[38:39] op_sel:[1,0]
	ds_write2_b32 v63, v70, v71 offset0:32 offset1:33
	;; [unrolled: 2-line block ×12, first 2 shown]
	v_pk_mov_b32 v[70:71], v[0:1], v[10:11] op_sel:[1,0]
	v_mov_b32_e32 v67, 29
	ds_write2_b32 v63, v70, v71 offset0:54 offset1:55
	ds_write_b32 v63, v11 offset:224
.LBB112_503:
	s_or_b64 exec, exec, s[0:1]
	v_cmp_lt_i32_e32 vcc, 29, v67
	s_waitcnt lgkmcnt(0)
	s_barrier
	s_and_saveexec_b64 s[0:1], vcc
	s_cbranch_execz .LBB112_505
; %bb.504:
	ds_read_b32 v64, v63 offset:120
	ds_read2_b32 v[70:71], v63 offset0:31 offset1:32
	ds_read2_b32 v[72:73], v63 offset0:33 offset1:34
	v_mul_f32_e32 v28, v66, v28
	ds_read2_b32 v[74:75], v63 offset0:35 offset1:36
	s_waitcnt lgkmcnt(3)
	v_fma_f32 v29, -v28, v64, v29
	s_waitcnt lgkmcnt(2)
	v_pk_fma_f32 v[20:21], v[28:29], v[70:71], v[20:21] op_sel_hi:[0,1,1] neg_lo:[1,0,0] neg_hi:[1,0,0]
	s_waitcnt lgkmcnt(1)
	v_pk_fma_f32 v[38:39], v[28:29], v[72:73], v[38:39] op_sel_hi:[0,1,1] neg_lo:[1,0,0] neg_hi:[1,0,0]
	ds_read2_b32 v[70:71], v63 offset0:37 offset1:38
	ds_read2_b32 v[72:73], v63 offset0:39 offset1:40
	;; [unrolled: 1-line block ×3, first 2 shown]
	s_waitcnt lgkmcnt(3)
	v_pk_fma_f32 v[30:31], v[28:29], v[74:75], v[30:31] op_sel_hi:[0,1,1] neg_lo:[1,0,0] neg_hi:[1,0,0]
	ds_read2_b32 v[74:75], v63 offset0:43 offset1:44
	s_waitcnt lgkmcnt(3)
	v_pk_fma_f32 v[22:23], v[28:29], v[70:71], v[22:23] op_sel_hi:[0,1,1] neg_lo:[1,0,0] neg_hi:[1,0,0]
	ds_read2_b32 v[70:71], v63 offset0:45 offset1:46
	s_waitcnt lgkmcnt(3)
	v_pk_fma_f32 v[16:17], v[28:29], v[72:73], v[16:17] op_sel_hi:[0,1,1] neg_lo:[1,0,0] neg_hi:[1,0,0]
	s_waitcnt lgkmcnt(2)
	v_pk_fma_f32 v[32:33], v[28:29], v[76:77], v[32:33] op_sel_hi:[0,1,1] neg_lo:[1,0,0] neg_hi:[1,0,0]
	s_waitcnt lgkmcnt(1)
	v_pk_fma_f32 v[24:25], v[28:29], v[74:75], v[24:25] op_sel_hi:[0,1,1] neg_lo:[1,0,0] neg_hi:[1,0,0]
	ds_read2_b32 v[72:73], v63 offset0:47 offset1:48
	ds_read2_b32 v[74:75], v63 offset0:49 offset1:50
	ds_read2_b32 v[76:77], v63 offset0:51 offset1:52
	s_waitcnt lgkmcnt(3)
	v_pk_fma_f32 v[18:19], v[28:29], v[70:71], v[18:19] op_sel_hi:[0,1,1] neg_lo:[1,0,0] neg_hi:[1,0,0]
	ds_read2_b32 v[70:71], v63 offset0:53 offset1:54
	ds_read2_b32 v[78:79], v63 offset0:55 offset1:56
	s_waitcnt lgkmcnt(4)
	v_pk_fma_f32 v[8:9], v[28:29], v[72:73], v[8:9] op_sel_hi:[0,1,1] neg_lo:[1,0,0] neg_hi:[1,0,0]
	s_waitcnt lgkmcnt(3)
	v_pk_fma_f32 v[14:15], v[28:29], v[74:75], v[14:15] op_sel_hi:[0,1,1] neg_lo:[1,0,0] neg_hi:[1,0,0]
	;; [unrolled: 2-line block ×5, first 2 shown]
.LBB112_505:
	s_or_b64 exec, exec, s[0:1]
	v_lshl_add_u32 v64, v67, 2, v63
	s_barrier
	ds_write_b32 v64, v29
	s_waitcnt lgkmcnt(0)
	s_barrier
	ds_read_b32 v66, v63 offset:120
	s_cmp_lt_i32 s22, 32
	v_mov_b32_e32 v64, 30
	s_cbranch_scc1 .LBB112_508
; %bb.506:
	v_add_u32_e32 v69, 0x7c, v63
	v_mov_b32_e32 v64, 30
	s_mov_b32 s0, 31
.LBB112_507:                            ; =>This Inner Loop Header: Depth=1
	ds_read_b32 v70, v69
	v_mov_b32_e32 v71, s0
	s_add_i32 s0, s0, 1
	v_add_u32_e32 v69, 4, v69
	s_cmp_lg_u32 s22, s0
	s_waitcnt lgkmcnt(0)
	v_cmp_lt_f32_e64 vcc, |v66|, |v70|
	s_nop 1
	v_cndmask_b32_e32 v66, v66, v70, vcc
	v_cndmask_b32_e32 v64, v64, v71, vcc
	s_cbranch_scc1 .LBB112_507
.LBB112_508:
	s_waitcnt lgkmcnt(0)
	v_cmp_eq_f32_e32 vcc, 0, v66
	s_and_saveexec_b64 s[0:1], vcc
	s_xor_b64 s[0:1], exec, s[0:1]
; %bb.509:
	v_cmp_ne_u32_e32 vcc, 0, v68
	s_nop 1
	v_cndmask_b32_e32 v68, 31, v68, vcc
; %bb.510:
	s_andn2_saveexec_b64 s[0:1], s[0:1]
	s_cbranch_execz .LBB112_512
; %bb.511:
	v_div_scale_f32 v69, s[2:3], v66, v66, 1.0
	v_rcp_f32_e32 v70, v69
	v_div_scale_f32 v71, vcc, 1.0, v66, 1.0
	v_fma_f32 v72, -v69, v70, 1.0
	v_fmac_f32_e32 v70, v72, v70
	v_mul_f32_e32 v72, v71, v70
	v_fma_f32 v73, -v69, v72, v71
	v_fmac_f32_e32 v72, v73, v70
	v_fma_f32 v69, -v69, v72, v71
	v_div_fmas_f32 v69, v69, v70, v72
	v_div_fixup_f32 v66, v69, v66, 1.0
.LBB112_512:
	s_or_b64 exec, exec, s[0:1]
	v_cmp_ne_u32_e32 vcc, v67, v64
	s_and_saveexec_b64 s[0:1], vcc
	s_xor_b64 s[0:1], exec, s[0:1]
	s_cbranch_execz .LBB112_518
; %bb.513:
	v_cmp_eq_u32_e32 vcc, 30, v67
	s_and_saveexec_b64 s[2:3], vcc
	s_cbranch_execz .LBB112_517
; %bb.514:
	v_cmp_ne_u32_e32 vcc, 30, v64
	s_xor_b64 s[12:13], s[20:21], -1
	s_and_b64 s[14:15], s[12:13], vcc
	s_and_saveexec_b64 s[12:13], s[14:15]
	s_cbranch_execz .LBB112_516
; %bb.515:
	v_ashrrev_i32_e32 v65, 31, v64
	v_lshl_add_u64 v[70:71], v[64:65], 2, v[4:5]
	global_load_dword v65, v[70:71], off
	global_load_dword v67, v[4:5], off offset:120
	s_waitcnt vmcnt(1)
	global_store_dword v[4:5], v65, off offset:120
	s_waitcnt vmcnt(1)
	global_store_dword v[70:71], v67, off
.LBB112_516:
	s_or_b64 exec, exec, s[12:13]
	v_mov_b32_e32 v65, v64
	v_mov_b32_e32 v67, v64
.LBB112_517:
	s_or_b64 exec, exec, s[2:3]
.LBB112_518:
	s_andn2_saveexec_b64 s[0:1], s[0:1]
	s_cbranch_execz .LBB112_520
; %bb.519:
	v_mov_b32_e32 v67, 30
	ds_write2_b32 v63, v20, v21 offset0:31 offset1:32
	ds_write2_b32 v63, v38, v39 offset0:33 offset1:34
	;; [unrolled: 1-line block ×13, first 2 shown]
.LBB112_520:
	s_or_b64 exec, exec, s[0:1]
	v_cmp_lt_i32_e32 vcc, 30, v67
	s_waitcnt lgkmcnt(0)
	s_barrier
	s_and_saveexec_b64 s[0:1], vcc
	s_cbranch_execz .LBB112_522
; %bb.521:
	ds_read2_b32 v[70:71], v63 offset0:31 offset1:32
	ds_read2_b32 v[72:73], v63 offset0:33 offset1:34
	;; [unrolled: 1-line block ×3, first 2 shown]
	v_mul_f32_e32 v64, v66, v29
	ds_read2_b32 v[76:77], v63 offset0:37 offset1:38
	s_waitcnt lgkmcnt(3)
	v_pk_fma_f32 v[20:21], v[64:65], v[70:71], v[20:21] op_sel_hi:[0,1,1] neg_lo:[1,0,0] neg_hi:[1,0,0]
	s_waitcnt lgkmcnt(2)
	v_pk_fma_f32 v[38:39], v[64:65], v[72:73], v[38:39] op_sel_hi:[0,1,1] neg_lo:[1,0,0] neg_hi:[1,0,0]
	;; [unrolled: 2-line block ×3, first 2 shown]
	ds_read2_b32 v[70:71], v63 offset0:39 offset1:40
	ds_read2_b32 v[72:73], v63 offset0:41 offset1:42
	;; [unrolled: 1-line block ×4, first 2 shown]
	s_waitcnt lgkmcnt(4)
	v_pk_fma_f32 v[22:23], v[64:65], v[76:77], v[22:23] op_sel_hi:[0,1,1] neg_lo:[1,0,0] neg_hi:[1,0,0]
	s_waitcnt lgkmcnt(3)
	v_pk_fma_f32 v[16:17], v[64:65], v[70:71], v[16:17] op_sel_hi:[0,1,1] neg_lo:[1,0,0] neg_hi:[1,0,0]
	;; [unrolled: 2-line block ×5, first 2 shown]
	ds_read2_b32 v[70:71], v63 offset0:47 offset1:48
	ds_read2_b32 v[72:73], v63 offset0:49 offset1:50
	;; [unrolled: 1-line block ×5, first 2 shown]
	s_waitcnt lgkmcnt(4)
	v_pk_fma_f32 v[8:9], v[64:65], v[70:71], v[8:9] op_sel_hi:[0,1,1] neg_lo:[1,0,0] neg_hi:[1,0,0]
	s_waitcnt lgkmcnt(3)
	v_pk_fma_f32 v[14:15], v[64:65], v[72:73], v[14:15] op_sel_hi:[0,1,1] neg_lo:[1,0,0] neg_hi:[1,0,0]
	;; [unrolled: 2-line block ×5, first 2 shown]
	v_mov_b32_e32 v29, v64
.LBB112_522:
	s_or_b64 exec, exec, s[0:1]
	v_lshl_add_u32 v64, v67, 2, v63
	s_barrier
	ds_write_b32 v64, v20
	s_waitcnt lgkmcnt(0)
	s_barrier
	ds_read_b32 v66, v63 offset:124
	s_cmp_lt_i32 s22, 33
	v_mov_b32_e32 v64, 31
	s_cbranch_scc1 .LBB112_525
; %bb.523:
	v_add_u32_e32 v69, 0x80, v63
	v_mov_b32_e32 v64, 31
	s_mov_b32 s0, 32
.LBB112_524:                            ; =>This Inner Loop Header: Depth=1
	ds_read_b32 v70, v69
	v_mov_b32_e32 v71, s0
	s_add_i32 s0, s0, 1
	v_add_u32_e32 v69, 4, v69
	s_cmp_lg_u32 s22, s0
	s_waitcnt lgkmcnt(0)
	v_cmp_lt_f32_e64 vcc, |v66|, |v70|
	s_nop 1
	v_cndmask_b32_e32 v66, v66, v70, vcc
	v_cndmask_b32_e32 v64, v64, v71, vcc
	s_cbranch_scc1 .LBB112_524
.LBB112_525:
	s_waitcnt lgkmcnt(0)
	v_cmp_eq_f32_e32 vcc, 0, v66
	s_and_saveexec_b64 s[0:1], vcc
	s_xor_b64 s[0:1], exec, s[0:1]
; %bb.526:
	v_cmp_ne_u32_e32 vcc, 0, v68
	s_nop 1
	v_cndmask_b32_e32 v68, 32, v68, vcc
; %bb.527:
	s_andn2_saveexec_b64 s[0:1], s[0:1]
	s_cbranch_execz .LBB112_529
; %bb.528:
	v_div_scale_f32 v69, s[2:3], v66, v66, 1.0
	v_rcp_f32_e32 v70, v69
	v_div_scale_f32 v71, vcc, 1.0, v66, 1.0
	v_fma_f32 v72, -v69, v70, 1.0
	v_fmac_f32_e32 v70, v72, v70
	v_mul_f32_e32 v72, v71, v70
	v_fma_f32 v73, -v69, v72, v71
	v_fmac_f32_e32 v72, v73, v70
	v_fma_f32 v69, -v69, v72, v71
	v_div_fmas_f32 v69, v69, v70, v72
	v_div_fixup_f32 v66, v69, v66, 1.0
.LBB112_529:
	s_or_b64 exec, exec, s[0:1]
	v_cmp_ne_u32_e32 vcc, v67, v64
	s_and_saveexec_b64 s[0:1], vcc
	s_xor_b64 s[0:1], exec, s[0:1]
	s_cbranch_execz .LBB112_535
; %bb.530:
	v_cmp_eq_u32_e32 vcc, 31, v67
	s_and_saveexec_b64 s[2:3], vcc
	s_cbranch_execz .LBB112_534
; %bb.531:
	v_cmp_ne_u32_e32 vcc, 31, v64
	s_xor_b64 s[12:13], s[20:21], -1
	s_and_b64 s[14:15], s[12:13], vcc
	s_and_saveexec_b64 s[12:13], s[14:15]
	s_cbranch_execz .LBB112_533
; %bb.532:
	v_ashrrev_i32_e32 v65, 31, v64
	v_lshl_add_u64 v[70:71], v[64:65], 2, v[4:5]
	global_load_dword v65, v[70:71], off
	global_load_dword v67, v[4:5], off offset:124
	s_waitcnt vmcnt(1)
	global_store_dword v[4:5], v65, off offset:124
	s_waitcnt vmcnt(1)
	global_store_dword v[70:71], v67, off
.LBB112_533:
	s_or_b64 exec, exec, s[12:13]
	v_mov_b32_e32 v65, v64
	v_mov_b32_e32 v67, v64
.LBB112_534:
	s_or_b64 exec, exec, s[2:3]
.LBB112_535:
	s_andn2_saveexec_b64 s[0:1], s[0:1]
	s_cbranch_execz .LBB112_537
; %bb.536:
	v_pk_mov_b32 v[70:71], v[20:21], v[38:39] op_sel:[1,0]
	ds_write2_b32 v63, v70, v71 offset0:32 offset1:33
	v_pk_mov_b32 v[70:71], v[38:39], v[30:31] op_sel:[1,0]
	ds_write2_b32 v63, v70, v71 offset0:34 offset1:35
	;; [unrolled: 2-line block ×11, first 2 shown]
	v_pk_mov_b32 v[70:71], v[0:1], v[10:11] op_sel:[1,0]
	v_mov_b32_e32 v67, 31
	ds_write2_b32 v63, v70, v71 offset0:54 offset1:55
	ds_write_b32 v63, v11 offset:224
.LBB112_537:
	s_or_b64 exec, exec, s[0:1]
	v_cmp_lt_i32_e32 vcc, 31, v67
	s_waitcnt lgkmcnt(0)
	s_barrier
	s_and_saveexec_b64 s[0:1], vcc
	s_cbranch_execz .LBB112_539
; %bb.538:
	ds_read_b32 v64, v63 offset:128
	ds_read2_b32 v[70:71], v63 offset0:33 offset1:34
	ds_read2_b32 v[72:73], v63 offset0:35 offset1:36
	v_mul_f32_e32 v20, v66, v20
	ds_read2_b32 v[74:75], v63 offset0:37 offset1:38
	s_waitcnt lgkmcnt(3)
	v_fma_f32 v21, -v20, v64, v21
	s_waitcnt lgkmcnt(2)
	v_pk_fma_f32 v[38:39], v[20:21], v[70:71], v[38:39] op_sel_hi:[0,1,1] neg_lo:[1,0,0] neg_hi:[1,0,0]
	s_waitcnt lgkmcnt(1)
	v_pk_fma_f32 v[30:31], v[20:21], v[72:73], v[30:31] op_sel_hi:[0,1,1] neg_lo:[1,0,0] neg_hi:[1,0,0]
	ds_read2_b32 v[70:71], v63 offset0:39 offset1:40
	ds_read2_b32 v[72:73], v63 offset0:41 offset1:42
	;; [unrolled: 1-line block ×4, first 2 shown]
	s_waitcnt lgkmcnt(4)
	v_pk_fma_f32 v[22:23], v[20:21], v[74:75], v[22:23] op_sel_hi:[0,1,1] neg_lo:[1,0,0] neg_hi:[1,0,0]
	s_waitcnt lgkmcnt(3)
	v_pk_fma_f32 v[16:17], v[20:21], v[70:71], v[16:17] op_sel_hi:[0,1,1] neg_lo:[1,0,0] neg_hi:[1,0,0]
	s_waitcnt lgkmcnt(2)
	v_pk_fma_f32 v[32:33], v[20:21], v[72:73], v[32:33] op_sel_hi:[0,1,1] neg_lo:[1,0,0] neg_hi:[1,0,0]
	s_waitcnt lgkmcnt(1)
	v_pk_fma_f32 v[24:25], v[20:21], v[76:77], v[24:25] op_sel_hi:[0,1,1] neg_lo:[1,0,0] neg_hi:[1,0,0]
	s_waitcnt lgkmcnt(0)
	v_pk_fma_f32 v[18:19], v[20:21], v[78:79], v[18:19] op_sel_hi:[0,1,1] neg_lo:[1,0,0] neg_hi:[1,0,0]
	ds_read2_b32 v[70:71], v63 offset0:47 offset1:48
	ds_read2_b32 v[72:73], v63 offset0:49 offset1:50
	;; [unrolled: 1-line block ×5, first 2 shown]
	s_waitcnt lgkmcnt(4)
	v_pk_fma_f32 v[8:9], v[20:21], v[70:71], v[8:9] op_sel_hi:[0,1,1] neg_lo:[1,0,0] neg_hi:[1,0,0]
	s_waitcnt lgkmcnt(3)
	v_pk_fma_f32 v[14:15], v[20:21], v[72:73], v[14:15] op_sel_hi:[0,1,1] neg_lo:[1,0,0] neg_hi:[1,0,0]
	;; [unrolled: 2-line block ×5, first 2 shown]
.LBB112_539:
	s_or_b64 exec, exec, s[0:1]
	v_lshl_add_u32 v64, v67, 2, v63
	s_barrier
	ds_write_b32 v64, v21
	s_waitcnt lgkmcnt(0)
	s_barrier
	ds_read_b32 v66, v63 offset:128
	s_cmp_lt_i32 s22, 34
	v_mov_b32_e32 v64, 32
	s_cbranch_scc1 .LBB112_542
; %bb.540:
	v_add_u32_e32 v69, 0x84, v63
	v_mov_b32_e32 v64, 32
	s_mov_b32 s0, 33
.LBB112_541:                            ; =>This Inner Loop Header: Depth=1
	ds_read_b32 v70, v69
	v_mov_b32_e32 v71, s0
	s_add_i32 s0, s0, 1
	v_add_u32_e32 v69, 4, v69
	s_cmp_lg_u32 s22, s0
	s_waitcnt lgkmcnt(0)
	v_cmp_lt_f32_e64 vcc, |v66|, |v70|
	s_nop 1
	v_cndmask_b32_e32 v66, v66, v70, vcc
	v_cndmask_b32_e32 v64, v64, v71, vcc
	s_cbranch_scc1 .LBB112_541
.LBB112_542:
	s_waitcnt lgkmcnt(0)
	v_cmp_eq_f32_e32 vcc, 0, v66
	s_and_saveexec_b64 s[0:1], vcc
	s_xor_b64 s[0:1], exec, s[0:1]
; %bb.543:
	v_cmp_ne_u32_e32 vcc, 0, v68
	s_nop 1
	v_cndmask_b32_e32 v68, 33, v68, vcc
; %bb.544:
	s_andn2_saveexec_b64 s[0:1], s[0:1]
	s_cbranch_execz .LBB112_546
; %bb.545:
	v_div_scale_f32 v69, s[2:3], v66, v66, 1.0
	v_rcp_f32_e32 v70, v69
	v_div_scale_f32 v71, vcc, 1.0, v66, 1.0
	v_fma_f32 v72, -v69, v70, 1.0
	v_fmac_f32_e32 v70, v72, v70
	v_mul_f32_e32 v72, v71, v70
	v_fma_f32 v73, -v69, v72, v71
	v_fmac_f32_e32 v72, v73, v70
	v_fma_f32 v69, -v69, v72, v71
	v_div_fmas_f32 v69, v69, v70, v72
	v_div_fixup_f32 v66, v69, v66, 1.0
.LBB112_546:
	s_or_b64 exec, exec, s[0:1]
	v_cmp_ne_u32_e32 vcc, v67, v64
	s_and_saveexec_b64 s[0:1], vcc
	s_xor_b64 s[0:1], exec, s[0:1]
	s_cbranch_execz .LBB112_552
; %bb.547:
	v_cmp_eq_u32_e32 vcc, 32, v67
	s_and_saveexec_b64 s[2:3], vcc
	s_cbranch_execz .LBB112_551
; %bb.548:
	v_cmp_ne_u32_e32 vcc, 32, v64
	s_xor_b64 s[12:13], s[20:21], -1
	s_and_b64 s[14:15], s[12:13], vcc
	s_and_saveexec_b64 s[12:13], s[14:15]
	s_cbranch_execz .LBB112_550
; %bb.549:
	v_ashrrev_i32_e32 v65, 31, v64
	v_lshl_add_u64 v[70:71], v[64:65], 2, v[4:5]
	global_load_dword v65, v[70:71], off
	global_load_dword v67, v[4:5], off offset:128
	s_waitcnt vmcnt(1)
	global_store_dword v[4:5], v65, off offset:128
	s_waitcnt vmcnt(1)
	global_store_dword v[70:71], v67, off
.LBB112_550:
	s_or_b64 exec, exec, s[12:13]
	v_mov_b32_e32 v65, v64
	v_mov_b32_e32 v67, v64
.LBB112_551:
	s_or_b64 exec, exec, s[2:3]
.LBB112_552:
	s_andn2_saveexec_b64 s[0:1], s[0:1]
	s_cbranch_execz .LBB112_554
; %bb.553:
	v_mov_b32_e32 v67, 32
	ds_write2_b32 v63, v38, v39 offset0:33 offset1:34
	ds_write2_b32 v63, v30, v31 offset0:35 offset1:36
	;; [unrolled: 1-line block ×12, first 2 shown]
.LBB112_554:
	s_or_b64 exec, exec, s[0:1]
	v_cmp_lt_i32_e32 vcc, 32, v67
	s_waitcnt lgkmcnt(0)
	s_barrier
	s_and_saveexec_b64 s[0:1], vcc
	s_cbranch_execz .LBB112_556
; %bb.555:
	ds_read2_b32 v[70:71], v63 offset0:33 offset1:34
	ds_read2_b32 v[72:73], v63 offset0:35 offset1:36
	;; [unrolled: 1-line block ×3, first 2 shown]
	v_mul_f32_e32 v64, v66, v21
	ds_read2_b32 v[76:77], v63 offset0:39 offset1:40
	s_waitcnt lgkmcnt(3)
	v_pk_fma_f32 v[38:39], v[64:65], v[70:71], v[38:39] op_sel_hi:[0,1,1] neg_lo:[1,0,0] neg_hi:[1,0,0]
	s_waitcnt lgkmcnt(2)
	v_pk_fma_f32 v[30:31], v[64:65], v[72:73], v[30:31] op_sel_hi:[0,1,1] neg_lo:[1,0,0] neg_hi:[1,0,0]
	;; [unrolled: 2-line block ×3, first 2 shown]
	ds_read2_b32 v[70:71], v63 offset0:41 offset1:42
	ds_read2_b32 v[72:73], v63 offset0:43 offset1:44
	;; [unrolled: 1-line block ×3, first 2 shown]
	s_waitcnt lgkmcnt(3)
	v_pk_fma_f32 v[16:17], v[64:65], v[76:77], v[16:17] op_sel_hi:[0,1,1] neg_lo:[1,0,0] neg_hi:[1,0,0]
	ds_read2_b32 v[76:77], v63 offset0:47 offset1:48
	s_waitcnt lgkmcnt(3)
	v_pk_fma_f32 v[32:33], v[64:65], v[70:71], v[32:33] op_sel_hi:[0,1,1] neg_lo:[1,0,0] neg_hi:[1,0,0]
	s_waitcnt lgkmcnt(2)
	v_pk_fma_f32 v[24:25], v[64:65], v[72:73], v[24:25] op_sel_hi:[0,1,1] neg_lo:[1,0,0] neg_hi:[1,0,0]
	;; [unrolled: 2-line block ×3, first 2 shown]
	ds_read2_b32 v[70:71], v63 offset0:49 offset1:50
	ds_read2_b32 v[72:73], v63 offset0:51 offset1:52
	ds_read2_b32 v[74:75], v63 offset0:53 offset1:54
	ds_read2_b32 v[78:79], v63 offset0:55 offset1:56
	s_waitcnt lgkmcnt(4)
	v_pk_fma_f32 v[8:9], v[64:65], v[76:77], v[8:9] op_sel_hi:[0,1,1] neg_lo:[1,0,0] neg_hi:[1,0,0]
	s_waitcnt lgkmcnt(3)
	v_pk_fma_f32 v[14:15], v[64:65], v[70:71], v[14:15] op_sel_hi:[0,1,1] neg_lo:[1,0,0] neg_hi:[1,0,0]
	;; [unrolled: 2-line block ×5, first 2 shown]
	v_mov_b32_e32 v21, v64
.LBB112_556:
	s_or_b64 exec, exec, s[0:1]
	v_lshl_add_u32 v64, v67, 2, v63
	s_barrier
	ds_write_b32 v64, v38
	s_waitcnt lgkmcnt(0)
	s_barrier
	ds_read_b32 v66, v63 offset:132
	s_cmp_lt_i32 s22, 35
	v_mov_b32_e32 v64, 33
	s_cbranch_scc1 .LBB112_559
; %bb.557:
	v_add_u32_e32 v69, 0x88, v63
	v_mov_b32_e32 v64, 33
	s_mov_b32 s0, 34
.LBB112_558:                            ; =>This Inner Loop Header: Depth=1
	ds_read_b32 v70, v69
	v_mov_b32_e32 v71, s0
	s_add_i32 s0, s0, 1
	v_add_u32_e32 v69, 4, v69
	s_cmp_lg_u32 s22, s0
	s_waitcnt lgkmcnt(0)
	v_cmp_lt_f32_e64 vcc, |v66|, |v70|
	s_nop 1
	v_cndmask_b32_e32 v66, v66, v70, vcc
	v_cndmask_b32_e32 v64, v64, v71, vcc
	s_cbranch_scc1 .LBB112_558
.LBB112_559:
	s_waitcnt lgkmcnt(0)
	v_cmp_eq_f32_e32 vcc, 0, v66
	s_and_saveexec_b64 s[0:1], vcc
	s_xor_b64 s[0:1], exec, s[0:1]
; %bb.560:
	v_cmp_ne_u32_e32 vcc, 0, v68
	s_nop 1
	v_cndmask_b32_e32 v68, 34, v68, vcc
; %bb.561:
	s_andn2_saveexec_b64 s[0:1], s[0:1]
	s_cbranch_execz .LBB112_563
; %bb.562:
	v_div_scale_f32 v69, s[2:3], v66, v66, 1.0
	v_rcp_f32_e32 v70, v69
	v_div_scale_f32 v71, vcc, 1.0, v66, 1.0
	v_fma_f32 v72, -v69, v70, 1.0
	v_fmac_f32_e32 v70, v72, v70
	v_mul_f32_e32 v72, v71, v70
	v_fma_f32 v73, -v69, v72, v71
	v_fmac_f32_e32 v72, v73, v70
	v_fma_f32 v69, -v69, v72, v71
	v_div_fmas_f32 v69, v69, v70, v72
	v_div_fixup_f32 v66, v69, v66, 1.0
.LBB112_563:
	s_or_b64 exec, exec, s[0:1]
	v_cmp_ne_u32_e32 vcc, v67, v64
	s_and_saveexec_b64 s[0:1], vcc
	s_xor_b64 s[0:1], exec, s[0:1]
	s_cbranch_execz .LBB112_569
; %bb.564:
	v_cmp_eq_u32_e32 vcc, 33, v67
	s_and_saveexec_b64 s[2:3], vcc
	s_cbranch_execz .LBB112_568
; %bb.565:
	v_cmp_ne_u32_e32 vcc, 33, v64
	s_xor_b64 s[12:13], s[20:21], -1
	s_and_b64 s[14:15], s[12:13], vcc
	s_and_saveexec_b64 s[12:13], s[14:15]
	s_cbranch_execz .LBB112_567
; %bb.566:
	v_ashrrev_i32_e32 v65, 31, v64
	v_lshl_add_u64 v[70:71], v[64:65], 2, v[4:5]
	global_load_dword v65, v[70:71], off
	global_load_dword v67, v[4:5], off offset:132
	s_waitcnt vmcnt(1)
	global_store_dword v[4:5], v65, off offset:132
	s_waitcnt vmcnt(1)
	global_store_dword v[70:71], v67, off
.LBB112_567:
	s_or_b64 exec, exec, s[12:13]
	v_mov_b32_e32 v65, v64
	v_mov_b32_e32 v67, v64
.LBB112_568:
	s_or_b64 exec, exec, s[2:3]
.LBB112_569:
	s_andn2_saveexec_b64 s[0:1], s[0:1]
	s_cbranch_execz .LBB112_571
; %bb.570:
	v_pk_mov_b32 v[70:71], v[38:39], v[30:31] op_sel:[1,0]
	ds_write2_b32 v63, v70, v71 offset0:34 offset1:35
	v_pk_mov_b32 v[70:71], v[30:31], v[22:23] op_sel:[1,0]
	ds_write2_b32 v63, v70, v71 offset0:36 offset1:37
	;; [unrolled: 2-line block ×10, first 2 shown]
	v_pk_mov_b32 v[70:71], v[0:1], v[10:11] op_sel:[1,0]
	v_mov_b32_e32 v67, 33
	ds_write2_b32 v63, v70, v71 offset0:54 offset1:55
	ds_write_b32 v63, v11 offset:224
.LBB112_571:
	s_or_b64 exec, exec, s[0:1]
	v_cmp_lt_i32_e32 vcc, 33, v67
	s_waitcnt lgkmcnt(0)
	s_barrier
	s_and_saveexec_b64 s[0:1], vcc
	s_cbranch_execz .LBB112_573
; %bb.572:
	ds_read_b32 v64, v63 offset:136
	ds_read2_b32 v[70:71], v63 offset0:35 offset1:36
	ds_read2_b32 v[72:73], v63 offset0:37 offset1:38
	v_mul_f32_e32 v38, v66, v38
	ds_read2_b32 v[74:75], v63 offset0:39 offset1:40
	s_waitcnt lgkmcnt(3)
	v_fma_f32 v39, -v38, v64, v39
	s_waitcnt lgkmcnt(2)
	v_pk_fma_f32 v[30:31], v[38:39], v[70:71], v[30:31] op_sel_hi:[0,1,1] neg_lo:[1,0,0] neg_hi:[1,0,0]
	s_waitcnt lgkmcnt(1)
	v_pk_fma_f32 v[22:23], v[38:39], v[72:73], v[22:23] op_sel_hi:[0,1,1] neg_lo:[1,0,0] neg_hi:[1,0,0]
	ds_read2_b32 v[70:71], v63 offset0:41 offset1:42
	ds_read2_b32 v[72:73], v63 offset0:43 offset1:44
	;; [unrolled: 1-line block ×3, first 2 shown]
	s_waitcnt lgkmcnt(3)
	v_pk_fma_f32 v[16:17], v[38:39], v[74:75], v[16:17] op_sel_hi:[0,1,1] neg_lo:[1,0,0] neg_hi:[1,0,0]
	ds_read2_b32 v[74:75], v63 offset0:47 offset1:48
	s_waitcnt lgkmcnt(3)
	v_pk_fma_f32 v[32:33], v[38:39], v[70:71], v[32:33] op_sel_hi:[0,1,1] neg_lo:[1,0,0] neg_hi:[1,0,0]
	s_waitcnt lgkmcnt(2)
	v_pk_fma_f32 v[24:25], v[38:39], v[72:73], v[24:25] op_sel_hi:[0,1,1] neg_lo:[1,0,0] neg_hi:[1,0,0]
	;; [unrolled: 2-line block ×3, first 2 shown]
	ds_read2_b32 v[70:71], v63 offset0:49 offset1:50
	ds_read2_b32 v[72:73], v63 offset0:51 offset1:52
	;; [unrolled: 1-line block ×4, first 2 shown]
	s_waitcnt lgkmcnt(4)
	v_pk_fma_f32 v[8:9], v[38:39], v[74:75], v[8:9] op_sel_hi:[0,1,1] neg_lo:[1,0,0] neg_hi:[1,0,0]
	s_waitcnt lgkmcnt(3)
	v_pk_fma_f32 v[14:15], v[38:39], v[70:71], v[14:15] op_sel_hi:[0,1,1] neg_lo:[1,0,0] neg_hi:[1,0,0]
	;; [unrolled: 2-line block ×5, first 2 shown]
.LBB112_573:
	s_or_b64 exec, exec, s[0:1]
	v_lshl_add_u32 v64, v67, 2, v63
	s_barrier
	ds_write_b32 v64, v39
	s_waitcnt lgkmcnt(0)
	s_barrier
	ds_read_b32 v66, v63 offset:136
	s_cmp_lt_i32 s22, 36
	v_mov_b32_e32 v64, 34
	s_cbranch_scc1 .LBB112_576
; %bb.574:
	v_add_u32_e32 v69, 0x8c, v63
	v_mov_b32_e32 v64, 34
	s_mov_b32 s0, 35
.LBB112_575:                            ; =>This Inner Loop Header: Depth=1
	ds_read_b32 v70, v69
	v_mov_b32_e32 v71, s0
	s_add_i32 s0, s0, 1
	v_add_u32_e32 v69, 4, v69
	s_cmp_lg_u32 s22, s0
	s_waitcnt lgkmcnt(0)
	v_cmp_lt_f32_e64 vcc, |v66|, |v70|
	s_nop 1
	v_cndmask_b32_e32 v66, v66, v70, vcc
	v_cndmask_b32_e32 v64, v64, v71, vcc
	s_cbranch_scc1 .LBB112_575
.LBB112_576:
	s_waitcnt lgkmcnt(0)
	v_cmp_eq_f32_e32 vcc, 0, v66
	s_and_saveexec_b64 s[0:1], vcc
	s_xor_b64 s[0:1], exec, s[0:1]
; %bb.577:
	v_cmp_ne_u32_e32 vcc, 0, v68
	s_nop 1
	v_cndmask_b32_e32 v68, 35, v68, vcc
; %bb.578:
	s_andn2_saveexec_b64 s[0:1], s[0:1]
	s_cbranch_execz .LBB112_580
; %bb.579:
	v_div_scale_f32 v69, s[2:3], v66, v66, 1.0
	v_rcp_f32_e32 v70, v69
	v_div_scale_f32 v71, vcc, 1.0, v66, 1.0
	v_fma_f32 v72, -v69, v70, 1.0
	v_fmac_f32_e32 v70, v72, v70
	v_mul_f32_e32 v72, v71, v70
	v_fma_f32 v73, -v69, v72, v71
	v_fmac_f32_e32 v72, v73, v70
	v_fma_f32 v69, -v69, v72, v71
	v_div_fmas_f32 v69, v69, v70, v72
	v_div_fixup_f32 v66, v69, v66, 1.0
.LBB112_580:
	s_or_b64 exec, exec, s[0:1]
	v_cmp_ne_u32_e32 vcc, v67, v64
	s_and_saveexec_b64 s[0:1], vcc
	s_xor_b64 s[0:1], exec, s[0:1]
	s_cbranch_execz .LBB112_586
; %bb.581:
	v_cmp_eq_u32_e32 vcc, 34, v67
	s_and_saveexec_b64 s[2:3], vcc
	s_cbranch_execz .LBB112_585
; %bb.582:
	v_cmp_ne_u32_e32 vcc, 34, v64
	s_xor_b64 s[12:13], s[20:21], -1
	s_and_b64 s[14:15], s[12:13], vcc
	s_and_saveexec_b64 s[12:13], s[14:15]
	s_cbranch_execz .LBB112_584
; %bb.583:
	v_ashrrev_i32_e32 v65, 31, v64
	v_lshl_add_u64 v[70:71], v[64:65], 2, v[4:5]
	global_load_dword v65, v[70:71], off
	global_load_dword v67, v[4:5], off offset:136
	s_waitcnt vmcnt(1)
	global_store_dword v[4:5], v65, off offset:136
	s_waitcnt vmcnt(1)
	global_store_dword v[70:71], v67, off
.LBB112_584:
	s_or_b64 exec, exec, s[12:13]
	v_mov_b32_e32 v65, v64
	v_mov_b32_e32 v67, v64
.LBB112_585:
	s_or_b64 exec, exec, s[2:3]
.LBB112_586:
	s_andn2_saveexec_b64 s[0:1], s[0:1]
	s_cbranch_execz .LBB112_588
; %bb.587:
	v_mov_b32_e32 v67, 34
	ds_write2_b32 v63, v30, v31 offset0:35 offset1:36
	ds_write2_b32 v63, v22, v23 offset0:37 offset1:38
	;; [unrolled: 1-line block ×11, first 2 shown]
.LBB112_588:
	s_or_b64 exec, exec, s[0:1]
	v_cmp_lt_i32_e32 vcc, 34, v67
	s_waitcnt lgkmcnt(0)
	s_barrier
	s_and_saveexec_b64 s[0:1], vcc
	s_cbranch_execz .LBB112_590
; %bb.589:
	ds_read2_b32 v[70:71], v63 offset0:35 offset1:36
	ds_read2_b32 v[72:73], v63 offset0:37 offset1:38
	;; [unrolled: 1-line block ×3, first 2 shown]
	v_mul_f32_e32 v64, v66, v39
	ds_read2_b32 v[76:77], v63 offset0:41 offset1:42
	s_waitcnt lgkmcnt(3)
	v_pk_fma_f32 v[30:31], v[64:65], v[70:71], v[30:31] op_sel_hi:[0,1,1] neg_lo:[1,0,0] neg_hi:[1,0,0]
	s_waitcnt lgkmcnt(2)
	v_pk_fma_f32 v[22:23], v[64:65], v[72:73], v[22:23] op_sel_hi:[0,1,1] neg_lo:[1,0,0] neg_hi:[1,0,0]
	ds_read2_b32 v[70:71], v63 offset0:43 offset1:44
	ds_read2_b32 v[72:73], v63 offset0:45 offset1:46
	s_waitcnt lgkmcnt(3)
	v_pk_fma_f32 v[16:17], v[64:65], v[74:75], v[16:17] op_sel_hi:[0,1,1] neg_lo:[1,0,0] neg_hi:[1,0,0]
	s_waitcnt lgkmcnt(2)
	v_pk_fma_f32 v[32:33], v[64:65], v[76:77], v[32:33] op_sel_hi:[0,1,1] neg_lo:[1,0,0] neg_hi:[1,0,0]
	ds_read2_b32 v[74:75], v63 offset0:47 offset1:48
	;; [unrolled: 6-line block ×3, first 2 shown]
	ds_read2_b32 v[72:73], v63 offset0:53 offset1:54
	ds_read2_b32 v[78:79], v63 offset0:55 offset1:56
	s_waitcnt lgkmcnt(4)
	v_pk_fma_f32 v[8:9], v[64:65], v[74:75], v[8:9] op_sel_hi:[0,1,1] neg_lo:[1,0,0] neg_hi:[1,0,0]
	s_waitcnt lgkmcnt(3)
	v_pk_fma_f32 v[14:15], v[64:65], v[76:77], v[14:15] op_sel_hi:[0,1,1] neg_lo:[1,0,0] neg_hi:[1,0,0]
	;; [unrolled: 2-line block ×5, first 2 shown]
	v_mov_b32_e32 v39, v64
.LBB112_590:
	s_or_b64 exec, exec, s[0:1]
	v_lshl_add_u32 v64, v67, 2, v63
	s_barrier
	ds_write_b32 v64, v30
	s_waitcnt lgkmcnt(0)
	s_barrier
	ds_read_b32 v66, v63 offset:140
	s_cmp_lt_i32 s22, 37
	v_mov_b32_e32 v64, 35
	s_cbranch_scc1 .LBB112_593
; %bb.591:
	v_add_u32_e32 v69, 0x90, v63
	v_mov_b32_e32 v64, 35
	s_mov_b32 s0, 36
.LBB112_592:                            ; =>This Inner Loop Header: Depth=1
	ds_read_b32 v70, v69
	v_mov_b32_e32 v71, s0
	s_add_i32 s0, s0, 1
	v_add_u32_e32 v69, 4, v69
	s_cmp_lg_u32 s22, s0
	s_waitcnt lgkmcnt(0)
	v_cmp_lt_f32_e64 vcc, |v66|, |v70|
	s_nop 1
	v_cndmask_b32_e32 v66, v66, v70, vcc
	v_cndmask_b32_e32 v64, v64, v71, vcc
	s_cbranch_scc1 .LBB112_592
.LBB112_593:
	s_waitcnt lgkmcnt(0)
	v_cmp_eq_f32_e32 vcc, 0, v66
	s_and_saveexec_b64 s[0:1], vcc
	s_xor_b64 s[0:1], exec, s[0:1]
; %bb.594:
	v_cmp_ne_u32_e32 vcc, 0, v68
	s_nop 1
	v_cndmask_b32_e32 v68, 36, v68, vcc
; %bb.595:
	s_andn2_saveexec_b64 s[0:1], s[0:1]
	s_cbranch_execz .LBB112_597
; %bb.596:
	v_div_scale_f32 v69, s[2:3], v66, v66, 1.0
	v_rcp_f32_e32 v70, v69
	v_div_scale_f32 v71, vcc, 1.0, v66, 1.0
	v_fma_f32 v72, -v69, v70, 1.0
	v_fmac_f32_e32 v70, v72, v70
	v_mul_f32_e32 v72, v71, v70
	v_fma_f32 v73, -v69, v72, v71
	v_fmac_f32_e32 v72, v73, v70
	v_fma_f32 v69, -v69, v72, v71
	v_div_fmas_f32 v69, v69, v70, v72
	v_div_fixup_f32 v66, v69, v66, 1.0
.LBB112_597:
	s_or_b64 exec, exec, s[0:1]
	v_cmp_ne_u32_e32 vcc, v67, v64
	s_and_saveexec_b64 s[0:1], vcc
	s_xor_b64 s[0:1], exec, s[0:1]
	s_cbranch_execz .LBB112_603
; %bb.598:
	v_cmp_eq_u32_e32 vcc, 35, v67
	s_and_saveexec_b64 s[2:3], vcc
	s_cbranch_execz .LBB112_602
; %bb.599:
	v_cmp_ne_u32_e32 vcc, 35, v64
	s_xor_b64 s[12:13], s[20:21], -1
	s_and_b64 s[14:15], s[12:13], vcc
	s_and_saveexec_b64 s[12:13], s[14:15]
	s_cbranch_execz .LBB112_601
; %bb.600:
	v_ashrrev_i32_e32 v65, 31, v64
	v_lshl_add_u64 v[70:71], v[64:65], 2, v[4:5]
	global_load_dword v65, v[70:71], off
	global_load_dword v67, v[4:5], off offset:140
	s_waitcnt vmcnt(1)
	global_store_dword v[4:5], v65, off offset:140
	s_waitcnt vmcnt(1)
	global_store_dword v[70:71], v67, off
.LBB112_601:
	s_or_b64 exec, exec, s[12:13]
	v_mov_b32_e32 v65, v64
	v_mov_b32_e32 v67, v64
.LBB112_602:
	s_or_b64 exec, exec, s[2:3]
.LBB112_603:
	s_andn2_saveexec_b64 s[0:1], s[0:1]
	s_cbranch_execz .LBB112_605
; %bb.604:
	v_pk_mov_b32 v[70:71], v[30:31], v[22:23] op_sel:[1,0]
	ds_write2_b32 v63, v70, v71 offset0:36 offset1:37
	v_pk_mov_b32 v[70:71], v[22:23], v[16:17] op_sel:[1,0]
	ds_write2_b32 v63, v70, v71 offset0:38 offset1:39
	;; [unrolled: 2-line block ×9, first 2 shown]
	v_pk_mov_b32 v[70:71], v[0:1], v[10:11] op_sel:[1,0]
	v_mov_b32_e32 v67, 35
	ds_write2_b32 v63, v70, v71 offset0:54 offset1:55
	ds_write_b32 v63, v11 offset:224
.LBB112_605:
	s_or_b64 exec, exec, s[0:1]
	v_cmp_lt_i32_e32 vcc, 35, v67
	s_waitcnt lgkmcnt(0)
	s_barrier
	s_and_saveexec_b64 s[0:1], vcc
	s_cbranch_execz .LBB112_607
; %bb.606:
	ds_read_b32 v64, v63 offset:144
	ds_read2_b32 v[70:71], v63 offset0:37 offset1:38
	ds_read2_b32 v[72:73], v63 offset0:39 offset1:40
	v_mul_f32_e32 v30, v66, v30
	ds_read2_b32 v[74:75], v63 offset0:41 offset1:42
	s_waitcnt lgkmcnt(3)
	v_fma_f32 v31, -v30, v64, v31
	s_waitcnt lgkmcnt(2)
	v_pk_fma_f32 v[22:23], v[30:31], v[70:71], v[22:23] op_sel_hi:[0,1,1] neg_lo:[1,0,0] neg_hi:[1,0,0]
	s_waitcnt lgkmcnt(1)
	v_pk_fma_f32 v[16:17], v[30:31], v[72:73], v[16:17] op_sel_hi:[0,1,1] neg_lo:[1,0,0] neg_hi:[1,0,0]
	ds_read2_b32 v[70:71], v63 offset0:43 offset1:44
	ds_read2_b32 v[72:73], v63 offset0:45 offset1:46
	s_waitcnt lgkmcnt(2)
	v_pk_fma_f32 v[32:33], v[30:31], v[74:75], v[32:33] op_sel_hi:[0,1,1] neg_lo:[1,0,0] neg_hi:[1,0,0]
	ds_read2_b32 v[74:75], v63 offset0:47 offset1:48
	ds_read2_b32 v[76:77], v63 offset0:49 offset1:50
	s_waitcnt lgkmcnt(3)
	v_pk_fma_f32 v[24:25], v[30:31], v[70:71], v[24:25] op_sel_hi:[0,1,1] neg_lo:[1,0,0] neg_hi:[1,0,0]
	s_waitcnt lgkmcnt(2)
	v_pk_fma_f32 v[18:19], v[30:31], v[72:73], v[18:19] op_sel_hi:[0,1,1] neg_lo:[1,0,0] neg_hi:[1,0,0]
	ds_read2_b32 v[70:71], v63 offset0:51 offset1:52
	ds_read2_b32 v[72:73], v63 offset0:53 offset1:54
	;; [unrolled: 1-line block ×3, first 2 shown]
	s_waitcnt lgkmcnt(4)
	v_pk_fma_f32 v[8:9], v[30:31], v[74:75], v[8:9] op_sel_hi:[0,1,1] neg_lo:[1,0,0] neg_hi:[1,0,0]
	s_waitcnt lgkmcnt(3)
	v_pk_fma_f32 v[14:15], v[30:31], v[76:77], v[14:15] op_sel_hi:[0,1,1] neg_lo:[1,0,0] neg_hi:[1,0,0]
	;; [unrolled: 2-line block ×5, first 2 shown]
.LBB112_607:
	s_or_b64 exec, exec, s[0:1]
	v_lshl_add_u32 v64, v67, 2, v63
	s_barrier
	ds_write_b32 v64, v31
	s_waitcnt lgkmcnt(0)
	s_barrier
	ds_read_b32 v66, v63 offset:144
	s_cmp_lt_i32 s22, 38
	v_mov_b32_e32 v64, 36
	s_cbranch_scc1 .LBB112_610
; %bb.608:
	v_add_u32_e32 v69, 0x94, v63
	v_mov_b32_e32 v64, 36
	s_mov_b32 s0, 37
.LBB112_609:                            ; =>This Inner Loop Header: Depth=1
	ds_read_b32 v70, v69
	v_mov_b32_e32 v71, s0
	s_add_i32 s0, s0, 1
	v_add_u32_e32 v69, 4, v69
	s_cmp_lg_u32 s22, s0
	s_waitcnt lgkmcnt(0)
	v_cmp_lt_f32_e64 vcc, |v66|, |v70|
	s_nop 1
	v_cndmask_b32_e32 v66, v66, v70, vcc
	v_cndmask_b32_e32 v64, v64, v71, vcc
	s_cbranch_scc1 .LBB112_609
.LBB112_610:
	s_waitcnt lgkmcnt(0)
	v_cmp_eq_f32_e32 vcc, 0, v66
	s_and_saveexec_b64 s[0:1], vcc
	s_xor_b64 s[0:1], exec, s[0:1]
; %bb.611:
	v_cmp_ne_u32_e32 vcc, 0, v68
	s_nop 1
	v_cndmask_b32_e32 v68, 37, v68, vcc
; %bb.612:
	s_andn2_saveexec_b64 s[0:1], s[0:1]
	s_cbranch_execz .LBB112_614
; %bb.613:
	v_div_scale_f32 v69, s[2:3], v66, v66, 1.0
	v_rcp_f32_e32 v70, v69
	v_div_scale_f32 v71, vcc, 1.0, v66, 1.0
	v_fma_f32 v72, -v69, v70, 1.0
	v_fmac_f32_e32 v70, v72, v70
	v_mul_f32_e32 v72, v71, v70
	v_fma_f32 v73, -v69, v72, v71
	v_fmac_f32_e32 v72, v73, v70
	v_fma_f32 v69, -v69, v72, v71
	v_div_fmas_f32 v69, v69, v70, v72
	v_div_fixup_f32 v66, v69, v66, 1.0
.LBB112_614:
	s_or_b64 exec, exec, s[0:1]
	v_cmp_ne_u32_e32 vcc, v67, v64
	s_and_saveexec_b64 s[0:1], vcc
	s_xor_b64 s[0:1], exec, s[0:1]
	s_cbranch_execz .LBB112_620
; %bb.615:
	v_cmp_eq_u32_e32 vcc, 36, v67
	s_and_saveexec_b64 s[2:3], vcc
	s_cbranch_execz .LBB112_619
; %bb.616:
	v_cmp_ne_u32_e32 vcc, 36, v64
	s_xor_b64 s[12:13], s[20:21], -1
	s_and_b64 s[14:15], s[12:13], vcc
	s_and_saveexec_b64 s[12:13], s[14:15]
	s_cbranch_execz .LBB112_618
; %bb.617:
	v_ashrrev_i32_e32 v65, 31, v64
	v_lshl_add_u64 v[70:71], v[64:65], 2, v[4:5]
	global_load_dword v65, v[70:71], off
	global_load_dword v67, v[4:5], off offset:144
	s_waitcnt vmcnt(1)
	global_store_dword v[4:5], v65, off offset:144
	s_waitcnt vmcnt(1)
	global_store_dword v[70:71], v67, off
.LBB112_618:
	s_or_b64 exec, exec, s[12:13]
	v_mov_b32_e32 v65, v64
	v_mov_b32_e32 v67, v64
.LBB112_619:
	s_or_b64 exec, exec, s[2:3]
.LBB112_620:
	s_andn2_saveexec_b64 s[0:1], s[0:1]
	s_cbranch_execz .LBB112_622
; %bb.621:
	v_mov_b32_e32 v67, 36
	ds_write2_b32 v63, v22, v23 offset0:37 offset1:38
	ds_write2_b32 v63, v16, v17 offset0:39 offset1:40
	;; [unrolled: 1-line block ×10, first 2 shown]
.LBB112_622:
	s_or_b64 exec, exec, s[0:1]
	v_cmp_lt_i32_e32 vcc, 36, v67
	s_waitcnt lgkmcnt(0)
	s_barrier
	s_and_saveexec_b64 s[0:1], vcc
	s_cbranch_execz .LBB112_624
; %bb.623:
	ds_read2_b32 v[70:71], v63 offset0:37 offset1:38
	ds_read2_b32 v[72:73], v63 offset0:39 offset1:40
	;; [unrolled: 1-line block ×3, first 2 shown]
	v_mul_f32_e32 v64, v66, v31
	ds_read2_b32 v[76:77], v63 offset0:43 offset1:44
	s_waitcnt lgkmcnt(3)
	v_pk_fma_f32 v[22:23], v[64:65], v[70:71], v[22:23] op_sel_hi:[0,1,1] neg_lo:[1,0,0] neg_hi:[1,0,0]
	ds_read2_b32 v[70:71], v63 offset0:45 offset1:46
	s_waitcnt lgkmcnt(3)
	v_pk_fma_f32 v[16:17], v[64:65], v[72:73], v[16:17] op_sel_hi:[0,1,1] neg_lo:[1,0,0] neg_hi:[1,0,0]
	s_waitcnt lgkmcnt(2)
	v_pk_fma_f32 v[32:33], v[64:65], v[74:75], v[32:33] op_sel_hi:[0,1,1] neg_lo:[1,0,0] neg_hi:[1,0,0]
	s_waitcnt lgkmcnt(1)
	v_pk_fma_f32 v[24:25], v[64:65], v[76:77], v[24:25] op_sel_hi:[0,1,1] neg_lo:[1,0,0] neg_hi:[1,0,0]
	ds_read2_b32 v[72:73], v63 offset0:47 offset1:48
	ds_read2_b32 v[74:75], v63 offset0:49 offset1:50
	;; [unrolled: 1-line block ×3, first 2 shown]
	s_waitcnt lgkmcnt(3)
	v_pk_fma_f32 v[18:19], v[64:65], v[70:71], v[18:19] op_sel_hi:[0,1,1] neg_lo:[1,0,0] neg_hi:[1,0,0]
	ds_read2_b32 v[70:71], v63 offset0:53 offset1:54
	ds_read2_b32 v[78:79], v63 offset0:55 offset1:56
	s_waitcnt lgkmcnt(4)
	v_pk_fma_f32 v[8:9], v[64:65], v[72:73], v[8:9] op_sel_hi:[0,1,1] neg_lo:[1,0,0] neg_hi:[1,0,0]
	s_waitcnt lgkmcnt(3)
	v_pk_fma_f32 v[14:15], v[64:65], v[74:75], v[14:15] op_sel_hi:[0,1,1] neg_lo:[1,0,0] neg_hi:[1,0,0]
	s_waitcnt lgkmcnt(2)
	v_pk_fma_f32 v[12:13], v[64:65], v[76:77], v[12:13] op_sel_hi:[0,1,1] neg_lo:[1,0,0] neg_hi:[1,0,0]
	s_waitcnt lgkmcnt(1)
	v_pk_fma_f32 v[0:1], v[64:65], v[70:71], v[0:1] op_sel_hi:[0,1,1] neg_lo:[1,0,0] neg_hi:[1,0,0]
	s_waitcnt lgkmcnt(0)
	v_pk_fma_f32 v[10:11], v[64:65], v[78:79], v[10:11] op_sel_hi:[0,1,1] neg_lo:[1,0,0] neg_hi:[1,0,0]
	v_mov_b32_e32 v31, v64
.LBB112_624:
	s_or_b64 exec, exec, s[0:1]
	v_lshl_add_u32 v64, v67, 2, v63
	s_barrier
	ds_write_b32 v64, v22
	s_waitcnt lgkmcnt(0)
	s_barrier
	ds_read_b32 v66, v63 offset:148
	s_cmp_lt_i32 s22, 39
	v_mov_b32_e32 v64, 37
	s_cbranch_scc1 .LBB112_627
; %bb.625:
	v_add_u32_e32 v69, 0x98, v63
	v_mov_b32_e32 v64, 37
	s_mov_b32 s0, 38
.LBB112_626:                            ; =>This Inner Loop Header: Depth=1
	ds_read_b32 v70, v69
	v_mov_b32_e32 v71, s0
	s_add_i32 s0, s0, 1
	v_add_u32_e32 v69, 4, v69
	s_cmp_lg_u32 s22, s0
	s_waitcnt lgkmcnt(0)
	v_cmp_lt_f32_e64 vcc, |v66|, |v70|
	s_nop 1
	v_cndmask_b32_e32 v66, v66, v70, vcc
	v_cndmask_b32_e32 v64, v64, v71, vcc
	s_cbranch_scc1 .LBB112_626
.LBB112_627:
	s_waitcnt lgkmcnt(0)
	v_cmp_eq_f32_e32 vcc, 0, v66
	s_and_saveexec_b64 s[0:1], vcc
	s_xor_b64 s[0:1], exec, s[0:1]
; %bb.628:
	v_cmp_ne_u32_e32 vcc, 0, v68
	s_nop 1
	v_cndmask_b32_e32 v68, 38, v68, vcc
; %bb.629:
	s_andn2_saveexec_b64 s[0:1], s[0:1]
	s_cbranch_execz .LBB112_631
; %bb.630:
	v_div_scale_f32 v69, s[2:3], v66, v66, 1.0
	v_rcp_f32_e32 v70, v69
	v_div_scale_f32 v71, vcc, 1.0, v66, 1.0
	v_fma_f32 v72, -v69, v70, 1.0
	v_fmac_f32_e32 v70, v72, v70
	v_mul_f32_e32 v72, v71, v70
	v_fma_f32 v73, -v69, v72, v71
	v_fmac_f32_e32 v72, v73, v70
	v_fma_f32 v69, -v69, v72, v71
	v_div_fmas_f32 v69, v69, v70, v72
	v_div_fixup_f32 v66, v69, v66, 1.0
.LBB112_631:
	s_or_b64 exec, exec, s[0:1]
	v_cmp_ne_u32_e32 vcc, v67, v64
	s_and_saveexec_b64 s[0:1], vcc
	s_xor_b64 s[0:1], exec, s[0:1]
	s_cbranch_execz .LBB112_637
; %bb.632:
	v_cmp_eq_u32_e32 vcc, 37, v67
	s_and_saveexec_b64 s[2:3], vcc
	s_cbranch_execz .LBB112_636
; %bb.633:
	v_cmp_ne_u32_e32 vcc, 37, v64
	s_xor_b64 s[12:13], s[20:21], -1
	s_and_b64 s[14:15], s[12:13], vcc
	s_and_saveexec_b64 s[12:13], s[14:15]
	s_cbranch_execz .LBB112_635
; %bb.634:
	v_ashrrev_i32_e32 v65, 31, v64
	v_lshl_add_u64 v[70:71], v[64:65], 2, v[4:5]
	global_load_dword v65, v[70:71], off
	global_load_dword v67, v[4:5], off offset:148
	s_waitcnt vmcnt(1)
	global_store_dword v[4:5], v65, off offset:148
	s_waitcnt vmcnt(1)
	global_store_dword v[70:71], v67, off
.LBB112_635:
	s_or_b64 exec, exec, s[12:13]
	v_mov_b32_e32 v65, v64
	v_mov_b32_e32 v67, v64
.LBB112_636:
	s_or_b64 exec, exec, s[2:3]
.LBB112_637:
	s_andn2_saveexec_b64 s[0:1], s[0:1]
	s_cbranch_execz .LBB112_639
; %bb.638:
	v_pk_mov_b32 v[70:71], v[22:23], v[16:17] op_sel:[1,0]
	ds_write2_b32 v63, v70, v71 offset0:38 offset1:39
	v_pk_mov_b32 v[70:71], v[16:17], v[32:33] op_sel:[1,0]
	ds_write2_b32 v63, v70, v71 offset0:40 offset1:41
	;; [unrolled: 2-line block ×8, first 2 shown]
	v_pk_mov_b32 v[70:71], v[0:1], v[10:11] op_sel:[1,0]
	v_mov_b32_e32 v67, 37
	ds_write2_b32 v63, v70, v71 offset0:54 offset1:55
	ds_write_b32 v63, v11 offset:224
.LBB112_639:
	s_or_b64 exec, exec, s[0:1]
	v_cmp_lt_i32_e32 vcc, 37, v67
	s_waitcnt lgkmcnt(0)
	s_barrier
	s_and_saveexec_b64 s[0:1], vcc
	s_cbranch_execz .LBB112_641
; %bb.640:
	ds_read_b32 v64, v63 offset:152
	ds_read2_b32 v[70:71], v63 offset0:39 offset1:40
	ds_read2_b32 v[72:73], v63 offset0:41 offset1:42
	v_mul_f32_e32 v22, v66, v22
	ds_read2_b32 v[74:75], v63 offset0:43 offset1:44
	s_waitcnt lgkmcnt(3)
	v_fma_f32 v23, -v22, v64, v23
	s_waitcnt lgkmcnt(2)
	v_pk_fma_f32 v[16:17], v[22:23], v[70:71], v[16:17] op_sel_hi:[0,1,1] neg_lo:[1,0,0] neg_hi:[1,0,0]
	ds_read2_b32 v[70:71], v63 offset0:45 offset1:46
	s_waitcnt lgkmcnt(2)
	v_pk_fma_f32 v[32:33], v[22:23], v[72:73], v[32:33] op_sel_hi:[0,1,1] neg_lo:[1,0,0] neg_hi:[1,0,0]
	s_waitcnt lgkmcnt(1)
	v_pk_fma_f32 v[24:25], v[22:23], v[74:75], v[24:25] op_sel_hi:[0,1,1] neg_lo:[1,0,0] neg_hi:[1,0,0]
	ds_read2_b32 v[72:73], v63 offset0:47 offset1:48
	ds_read2_b32 v[74:75], v63 offset0:49 offset1:50
	;; [unrolled: 1-line block ×3, first 2 shown]
	s_waitcnt lgkmcnt(3)
	v_pk_fma_f32 v[18:19], v[22:23], v[70:71], v[18:19] op_sel_hi:[0,1,1] neg_lo:[1,0,0] neg_hi:[1,0,0]
	ds_read2_b32 v[70:71], v63 offset0:53 offset1:54
	ds_read2_b32 v[78:79], v63 offset0:55 offset1:56
	s_waitcnt lgkmcnt(4)
	v_pk_fma_f32 v[8:9], v[22:23], v[72:73], v[8:9] op_sel_hi:[0,1,1] neg_lo:[1,0,0] neg_hi:[1,0,0]
	s_waitcnt lgkmcnt(3)
	v_pk_fma_f32 v[14:15], v[22:23], v[74:75], v[14:15] op_sel_hi:[0,1,1] neg_lo:[1,0,0] neg_hi:[1,0,0]
	;; [unrolled: 2-line block ×5, first 2 shown]
.LBB112_641:
	s_or_b64 exec, exec, s[0:1]
	v_lshl_add_u32 v64, v67, 2, v63
	s_barrier
	ds_write_b32 v64, v23
	s_waitcnt lgkmcnt(0)
	s_barrier
	ds_read_b32 v66, v63 offset:152
	s_cmp_lt_i32 s22, 40
	v_mov_b32_e32 v64, 38
	s_cbranch_scc1 .LBB112_644
; %bb.642:
	v_add_u32_e32 v69, 0x9c, v63
	v_mov_b32_e32 v64, 38
	s_mov_b32 s0, 39
.LBB112_643:                            ; =>This Inner Loop Header: Depth=1
	ds_read_b32 v70, v69
	v_mov_b32_e32 v71, s0
	s_add_i32 s0, s0, 1
	v_add_u32_e32 v69, 4, v69
	s_cmp_lg_u32 s22, s0
	s_waitcnt lgkmcnt(0)
	v_cmp_lt_f32_e64 vcc, |v66|, |v70|
	s_nop 1
	v_cndmask_b32_e32 v66, v66, v70, vcc
	v_cndmask_b32_e32 v64, v64, v71, vcc
	s_cbranch_scc1 .LBB112_643
.LBB112_644:
	s_waitcnt lgkmcnt(0)
	v_cmp_eq_f32_e32 vcc, 0, v66
	s_and_saveexec_b64 s[0:1], vcc
	s_xor_b64 s[0:1], exec, s[0:1]
; %bb.645:
	v_cmp_ne_u32_e32 vcc, 0, v68
	s_nop 1
	v_cndmask_b32_e32 v68, 39, v68, vcc
; %bb.646:
	s_andn2_saveexec_b64 s[0:1], s[0:1]
	s_cbranch_execz .LBB112_648
; %bb.647:
	v_div_scale_f32 v69, s[2:3], v66, v66, 1.0
	v_rcp_f32_e32 v70, v69
	v_div_scale_f32 v71, vcc, 1.0, v66, 1.0
	v_fma_f32 v72, -v69, v70, 1.0
	v_fmac_f32_e32 v70, v72, v70
	v_mul_f32_e32 v72, v71, v70
	v_fma_f32 v73, -v69, v72, v71
	v_fmac_f32_e32 v72, v73, v70
	v_fma_f32 v69, -v69, v72, v71
	v_div_fmas_f32 v69, v69, v70, v72
	v_div_fixup_f32 v66, v69, v66, 1.0
.LBB112_648:
	s_or_b64 exec, exec, s[0:1]
	v_cmp_ne_u32_e32 vcc, v67, v64
	s_and_saveexec_b64 s[0:1], vcc
	s_xor_b64 s[0:1], exec, s[0:1]
	s_cbranch_execz .LBB112_654
; %bb.649:
	v_cmp_eq_u32_e32 vcc, 38, v67
	s_and_saveexec_b64 s[2:3], vcc
	s_cbranch_execz .LBB112_653
; %bb.650:
	v_cmp_ne_u32_e32 vcc, 38, v64
	s_xor_b64 s[12:13], s[20:21], -1
	s_and_b64 s[14:15], s[12:13], vcc
	s_and_saveexec_b64 s[12:13], s[14:15]
	s_cbranch_execz .LBB112_652
; %bb.651:
	v_ashrrev_i32_e32 v65, 31, v64
	v_lshl_add_u64 v[70:71], v[64:65], 2, v[4:5]
	global_load_dword v65, v[70:71], off
	global_load_dword v67, v[4:5], off offset:152
	s_waitcnt vmcnt(1)
	global_store_dword v[4:5], v65, off offset:152
	s_waitcnt vmcnt(1)
	global_store_dword v[70:71], v67, off
.LBB112_652:
	s_or_b64 exec, exec, s[12:13]
	v_mov_b32_e32 v65, v64
	v_mov_b32_e32 v67, v64
.LBB112_653:
	s_or_b64 exec, exec, s[2:3]
.LBB112_654:
	s_andn2_saveexec_b64 s[0:1], s[0:1]
	s_cbranch_execz .LBB112_656
; %bb.655:
	v_mov_b32_e32 v67, 38
	ds_write2_b32 v63, v16, v17 offset0:39 offset1:40
	ds_write2_b32 v63, v32, v33 offset0:41 offset1:42
	;; [unrolled: 1-line block ×9, first 2 shown]
.LBB112_656:
	s_or_b64 exec, exec, s[0:1]
	v_cmp_lt_i32_e32 vcc, 38, v67
	s_waitcnt lgkmcnt(0)
	s_barrier
	s_and_saveexec_b64 s[0:1], vcc
	s_cbranch_execz .LBB112_658
; %bb.657:
	ds_read2_b32 v[70:71], v63 offset0:39 offset1:40
	ds_read2_b32 v[72:73], v63 offset0:41 offset1:42
	;; [unrolled: 1-line block ×4, first 2 shown]
	v_mul_f32_e32 v64, v66, v23
	s_waitcnt lgkmcnt(3)
	v_pk_fma_f32 v[16:17], v[64:65], v[70:71], v[16:17] op_sel_hi:[0,1,1] neg_lo:[1,0,0] neg_hi:[1,0,0]
	s_waitcnt lgkmcnt(2)
	v_pk_fma_f32 v[32:33], v[64:65], v[72:73], v[32:33] op_sel_hi:[0,1,1] neg_lo:[1,0,0] neg_hi:[1,0,0]
	;; [unrolled: 2-line block ×4, first 2 shown]
	ds_read2_b32 v[70:71], v63 offset0:47 offset1:48
	ds_read2_b32 v[72:73], v63 offset0:49 offset1:50
	;; [unrolled: 1-line block ×5, first 2 shown]
	s_waitcnt lgkmcnt(4)
	v_pk_fma_f32 v[8:9], v[64:65], v[70:71], v[8:9] op_sel_hi:[0,1,1] neg_lo:[1,0,0] neg_hi:[1,0,0]
	s_waitcnt lgkmcnt(3)
	v_pk_fma_f32 v[14:15], v[64:65], v[72:73], v[14:15] op_sel_hi:[0,1,1] neg_lo:[1,0,0] neg_hi:[1,0,0]
	;; [unrolled: 2-line block ×5, first 2 shown]
	v_mov_b32_e32 v23, v64
.LBB112_658:
	s_or_b64 exec, exec, s[0:1]
	v_lshl_add_u32 v64, v67, 2, v63
	s_barrier
	ds_write_b32 v64, v16
	s_waitcnt lgkmcnt(0)
	s_barrier
	ds_read_b32 v66, v63 offset:156
	s_cmp_lt_i32 s22, 41
	v_mov_b32_e32 v64, 39
	s_cbranch_scc1 .LBB112_661
; %bb.659:
	v_add_u32_e32 v69, 0xa0, v63
	v_mov_b32_e32 v64, 39
	s_mov_b32 s0, 40
.LBB112_660:                            ; =>This Inner Loop Header: Depth=1
	ds_read_b32 v70, v69
	v_mov_b32_e32 v71, s0
	s_add_i32 s0, s0, 1
	v_add_u32_e32 v69, 4, v69
	s_cmp_lg_u32 s22, s0
	s_waitcnt lgkmcnt(0)
	v_cmp_lt_f32_e64 vcc, |v66|, |v70|
	s_nop 1
	v_cndmask_b32_e32 v66, v66, v70, vcc
	v_cndmask_b32_e32 v64, v64, v71, vcc
	s_cbranch_scc1 .LBB112_660
.LBB112_661:
	s_waitcnt lgkmcnt(0)
	v_cmp_eq_f32_e32 vcc, 0, v66
	s_and_saveexec_b64 s[0:1], vcc
	s_xor_b64 s[0:1], exec, s[0:1]
; %bb.662:
	v_cmp_ne_u32_e32 vcc, 0, v68
	s_nop 1
	v_cndmask_b32_e32 v68, 40, v68, vcc
; %bb.663:
	s_andn2_saveexec_b64 s[0:1], s[0:1]
	s_cbranch_execz .LBB112_665
; %bb.664:
	v_div_scale_f32 v69, s[2:3], v66, v66, 1.0
	v_rcp_f32_e32 v70, v69
	v_div_scale_f32 v71, vcc, 1.0, v66, 1.0
	v_fma_f32 v72, -v69, v70, 1.0
	v_fmac_f32_e32 v70, v72, v70
	v_mul_f32_e32 v72, v71, v70
	v_fma_f32 v73, -v69, v72, v71
	v_fmac_f32_e32 v72, v73, v70
	v_fma_f32 v69, -v69, v72, v71
	v_div_fmas_f32 v69, v69, v70, v72
	v_div_fixup_f32 v66, v69, v66, 1.0
.LBB112_665:
	s_or_b64 exec, exec, s[0:1]
	v_cmp_ne_u32_e32 vcc, v67, v64
	s_and_saveexec_b64 s[0:1], vcc
	s_xor_b64 s[0:1], exec, s[0:1]
	s_cbranch_execz .LBB112_671
; %bb.666:
	v_cmp_eq_u32_e32 vcc, 39, v67
	s_and_saveexec_b64 s[2:3], vcc
	s_cbranch_execz .LBB112_670
; %bb.667:
	v_cmp_ne_u32_e32 vcc, 39, v64
	s_xor_b64 s[12:13], s[20:21], -1
	s_and_b64 s[14:15], s[12:13], vcc
	s_and_saveexec_b64 s[12:13], s[14:15]
	s_cbranch_execz .LBB112_669
; %bb.668:
	v_ashrrev_i32_e32 v65, 31, v64
	v_lshl_add_u64 v[70:71], v[64:65], 2, v[4:5]
	global_load_dword v65, v[70:71], off
	global_load_dword v67, v[4:5], off offset:156
	s_waitcnt vmcnt(1)
	global_store_dword v[4:5], v65, off offset:156
	s_waitcnt vmcnt(1)
	global_store_dword v[70:71], v67, off
.LBB112_669:
	s_or_b64 exec, exec, s[12:13]
	v_mov_b32_e32 v65, v64
	v_mov_b32_e32 v67, v64
.LBB112_670:
	s_or_b64 exec, exec, s[2:3]
.LBB112_671:
	s_andn2_saveexec_b64 s[0:1], s[0:1]
	s_cbranch_execz .LBB112_673
; %bb.672:
	v_pk_mov_b32 v[70:71], v[16:17], v[32:33] op_sel:[1,0]
	ds_write2_b32 v63, v70, v71 offset0:40 offset1:41
	v_pk_mov_b32 v[70:71], v[32:33], v[24:25] op_sel:[1,0]
	ds_write2_b32 v63, v70, v71 offset0:42 offset1:43
	;; [unrolled: 2-line block ×7, first 2 shown]
	v_pk_mov_b32 v[70:71], v[0:1], v[10:11] op_sel:[1,0]
	v_mov_b32_e32 v67, 39
	ds_write2_b32 v63, v70, v71 offset0:54 offset1:55
	ds_write_b32 v63, v11 offset:224
.LBB112_673:
	s_or_b64 exec, exec, s[0:1]
	v_cmp_lt_i32_e32 vcc, 39, v67
	s_waitcnt lgkmcnt(0)
	s_barrier
	s_and_saveexec_b64 s[0:1], vcc
	s_cbranch_execz .LBB112_675
; %bb.674:
	ds_read_b32 v64, v63 offset:160
	ds_read2_b32 v[70:71], v63 offset0:41 offset1:42
	ds_read2_b32 v[72:73], v63 offset0:43 offset1:44
	;; [unrolled: 1-line block ×3, first 2 shown]
	v_mul_f32_e32 v16, v66, v16
	s_waitcnt lgkmcnt(3)
	v_fma_f32 v17, -v16, v64, v17
	s_waitcnt lgkmcnt(2)
	v_pk_fma_f32 v[32:33], v[16:17], v[70:71], v[32:33] op_sel_hi:[0,1,1] neg_lo:[1,0,0] neg_hi:[1,0,0]
	s_waitcnt lgkmcnt(1)
	v_pk_fma_f32 v[24:25], v[16:17], v[72:73], v[24:25] op_sel_hi:[0,1,1] neg_lo:[1,0,0] neg_hi:[1,0,0]
	;; [unrolled: 2-line block ×3, first 2 shown]
	ds_read2_b32 v[70:71], v63 offset0:47 offset1:48
	ds_read2_b32 v[72:73], v63 offset0:49 offset1:50
	;; [unrolled: 1-line block ×5, first 2 shown]
	s_waitcnt lgkmcnt(4)
	v_pk_fma_f32 v[8:9], v[16:17], v[70:71], v[8:9] op_sel_hi:[0,1,1] neg_lo:[1,0,0] neg_hi:[1,0,0]
	s_waitcnt lgkmcnt(3)
	v_pk_fma_f32 v[14:15], v[16:17], v[72:73], v[14:15] op_sel_hi:[0,1,1] neg_lo:[1,0,0] neg_hi:[1,0,0]
	;; [unrolled: 2-line block ×5, first 2 shown]
.LBB112_675:
	s_or_b64 exec, exec, s[0:1]
	v_lshl_add_u32 v64, v67, 2, v63
	s_barrier
	ds_write_b32 v64, v17
	s_waitcnt lgkmcnt(0)
	s_barrier
	ds_read_b32 v66, v63 offset:160
	s_cmp_lt_i32 s22, 42
	v_mov_b32_e32 v64, 40
	s_cbranch_scc1 .LBB112_678
; %bb.676:
	v_add_u32_e32 v69, 0xa4, v63
	v_mov_b32_e32 v64, 40
	s_mov_b32 s0, 41
.LBB112_677:                            ; =>This Inner Loop Header: Depth=1
	ds_read_b32 v70, v69
	v_mov_b32_e32 v71, s0
	s_add_i32 s0, s0, 1
	v_add_u32_e32 v69, 4, v69
	s_cmp_lg_u32 s22, s0
	s_waitcnt lgkmcnt(0)
	v_cmp_lt_f32_e64 vcc, |v66|, |v70|
	s_nop 1
	v_cndmask_b32_e32 v66, v66, v70, vcc
	v_cndmask_b32_e32 v64, v64, v71, vcc
	s_cbranch_scc1 .LBB112_677
.LBB112_678:
	s_waitcnt lgkmcnt(0)
	v_cmp_eq_f32_e32 vcc, 0, v66
	s_and_saveexec_b64 s[0:1], vcc
	s_xor_b64 s[0:1], exec, s[0:1]
; %bb.679:
	v_cmp_ne_u32_e32 vcc, 0, v68
	s_nop 1
	v_cndmask_b32_e32 v68, 41, v68, vcc
; %bb.680:
	s_andn2_saveexec_b64 s[0:1], s[0:1]
	s_cbranch_execz .LBB112_682
; %bb.681:
	v_div_scale_f32 v69, s[2:3], v66, v66, 1.0
	v_rcp_f32_e32 v70, v69
	v_div_scale_f32 v71, vcc, 1.0, v66, 1.0
	v_fma_f32 v72, -v69, v70, 1.0
	v_fmac_f32_e32 v70, v72, v70
	v_mul_f32_e32 v72, v71, v70
	v_fma_f32 v73, -v69, v72, v71
	v_fmac_f32_e32 v72, v73, v70
	v_fma_f32 v69, -v69, v72, v71
	v_div_fmas_f32 v69, v69, v70, v72
	v_div_fixup_f32 v66, v69, v66, 1.0
.LBB112_682:
	s_or_b64 exec, exec, s[0:1]
	v_cmp_ne_u32_e32 vcc, v67, v64
	s_and_saveexec_b64 s[0:1], vcc
	s_xor_b64 s[0:1], exec, s[0:1]
	s_cbranch_execz .LBB112_688
; %bb.683:
	v_cmp_eq_u32_e32 vcc, 40, v67
	s_and_saveexec_b64 s[2:3], vcc
	s_cbranch_execz .LBB112_687
; %bb.684:
	v_cmp_ne_u32_e32 vcc, 40, v64
	s_xor_b64 s[12:13], s[20:21], -1
	s_and_b64 s[14:15], s[12:13], vcc
	s_and_saveexec_b64 s[12:13], s[14:15]
	s_cbranch_execz .LBB112_686
; %bb.685:
	v_ashrrev_i32_e32 v65, 31, v64
	v_lshl_add_u64 v[70:71], v[64:65], 2, v[4:5]
	global_load_dword v65, v[70:71], off
	global_load_dword v67, v[4:5], off offset:160
	s_waitcnt vmcnt(1)
	global_store_dword v[4:5], v65, off offset:160
	s_waitcnt vmcnt(1)
	global_store_dword v[70:71], v67, off
.LBB112_686:
	s_or_b64 exec, exec, s[12:13]
	v_mov_b32_e32 v65, v64
	v_mov_b32_e32 v67, v64
.LBB112_687:
	s_or_b64 exec, exec, s[2:3]
.LBB112_688:
	s_andn2_saveexec_b64 s[0:1], s[0:1]
	s_cbranch_execz .LBB112_690
; %bb.689:
	v_mov_b32_e32 v67, 40
	ds_write2_b32 v63, v32, v33 offset0:41 offset1:42
	ds_write2_b32 v63, v24, v25 offset0:43 offset1:44
	;; [unrolled: 1-line block ×8, first 2 shown]
.LBB112_690:
	s_or_b64 exec, exec, s[0:1]
	v_cmp_lt_i32_e32 vcc, 40, v67
	s_waitcnt lgkmcnt(0)
	s_barrier
	s_and_saveexec_b64 s[0:1], vcc
	s_cbranch_execz .LBB112_692
; %bb.691:
	ds_read2_b32 v[70:71], v63 offset0:41 offset1:42
	ds_read2_b32 v[72:73], v63 offset0:43 offset1:44
	;; [unrolled: 1-line block ×3, first 2 shown]
	v_mul_f32_e32 v64, v66, v17
	ds_read2_b32 v[76:77], v63 offset0:47 offset1:48
	s_waitcnt lgkmcnt(3)
	v_pk_fma_f32 v[32:33], v[64:65], v[70:71], v[32:33] op_sel_hi:[0,1,1] neg_lo:[1,0,0] neg_hi:[1,0,0]
	s_waitcnt lgkmcnt(2)
	v_pk_fma_f32 v[24:25], v[64:65], v[72:73], v[24:25] op_sel_hi:[0,1,1] neg_lo:[1,0,0] neg_hi:[1,0,0]
	;; [unrolled: 2-line block ×3, first 2 shown]
	ds_read2_b32 v[70:71], v63 offset0:49 offset1:50
	ds_read2_b32 v[72:73], v63 offset0:51 offset1:52
	;; [unrolled: 1-line block ×4, first 2 shown]
	s_waitcnt lgkmcnt(4)
	v_pk_fma_f32 v[8:9], v[64:65], v[76:77], v[8:9] op_sel_hi:[0,1,1] neg_lo:[1,0,0] neg_hi:[1,0,0]
	s_waitcnt lgkmcnt(3)
	v_pk_fma_f32 v[14:15], v[64:65], v[70:71], v[14:15] op_sel_hi:[0,1,1] neg_lo:[1,0,0] neg_hi:[1,0,0]
	;; [unrolled: 2-line block ×5, first 2 shown]
	v_mov_b32_e32 v17, v64
.LBB112_692:
	s_or_b64 exec, exec, s[0:1]
	v_lshl_add_u32 v64, v67, 2, v63
	s_barrier
	ds_write_b32 v64, v32
	s_waitcnt lgkmcnt(0)
	s_barrier
	ds_read_b32 v66, v63 offset:164
	s_cmp_lt_i32 s22, 43
	v_mov_b32_e32 v64, 41
	s_cbranch_scc1 .LBB112_695
; %bb.693:
	v_add_u32_e32 v69, 0xa8, v63
	v_mov_b32_e32 v64, 41
	s_mov_b32 s0, 42
.LBB112_694:                            ; =>This Inner Loop Header: Depth=1
	ds_read_b32 v70, v69
	v_mov_b32_e32 v71, s0
	s_add_i32 s0, s0, 1
	v_add_u32_e32 v69, 4, v69
	s_cmp_lg_u32 s22, s0
	s_waitcnt lgkmcnt(0)
	v_cmp_lt_f32_e64 vcc, |v66|, |v70|
	s_nop 1
	v_cndmask_b32_e32 v66, v66, v70, vcc
	v_cndmask_b32_e32 v64, v64, v71, vcc
	s_cbranch_scc1 .LBB112_694
.LBB112_695:
	s_waitcnt lgkmcnt(0)
	v_cmp_eq_f32_e32 vcc, 0, v66
	s_and_saveexec_b64 s[0:1], vcc
	s_xor_b64 s[0:1], exec, s[0:1]
; %bb.696:
	v_cmp_ne_u32_e32 vcc, 0, v68
	s_nop 1
	v_cndmask_b32_e32 v68, 42, v68, vcc
; %bb.697:
	s_andn2_saveexec_b64 s[0:1], s[0:1]
	s_cbranch_execz .LBB112_699
; %bb.698:
	v_div_scale_f32 v69, s[2:3], v66, v66, 1.0
	v_rcp_f32_e32 v70, v69
	v_div_scale_f32 v71, vcc, 1.0, v66, 1.0
	v_fma_f32 v72, -v69, v70, 1.0
	v_fmac_f32_e32 v70, v72, v70
	v_mul_f32_e32 v72, v71, v70
	v_fma_f32 v73, -v69, v72, v71
	v_fmac_f32_e32 v72, v73, v70
	v_fma_f32 v69, -v69, v72, v71
	v_div_fmas_f32 v69, v69, v70, v72
	v_div_fixup_f32 v66, v69, v66, 1.0
.LBB112_699:
	s_or_b64 exec, exec, s[0:1]
	v_cmp_ne_u32_e32 vcc, v67, v64
	s_and_saveexec_b64 s[0:1], vcc
	s_xor_b64 s[0:1], exec, s[0:1]
	s_cbranch_execz .LBB112_705
; %bb.700:
	v_cmp_eq_u32_e32 vcc, 41, v67
	s_and_saveexec_b64 s[2:3], vcc
	s_cbranch_execz .LBB112_704
; %bb.701:
	v_cmp_ne_u32_e32 vcc, 41, v64
	s_xor_b64 s[12:13], s[20:21], -1
	s_and_b64 s[14:15], s[12:13], vcc
	s_and_saveexec_b64 s[12:13], s[14:15]
	s_cbranch_execz .LBB112_703
; %bb.702:
	v_ashrrev_i32_e32 v65, 31, v64
	v_lshl_add_u64 v[70:71], v[64:65], 2, v[4:5]
	global_load_dword v65, v[70:71], off
	global_load_dword v67, v[4:5], off offset:164
	s_waitcnt vmcnt(1)
	global_store_dword v[4:5], v65, off offset:164
	s_waitcnt vmcnt(1)
	global_store_dword v[70:71], v67, off
.LBB112_703:
	s_or_b64 exec, exec, s[12:13]
	v_mov_b32_e32 v65, v64
	v_mov_b32_e32 v67, v64
.LBB112_704:
	s_or_b64 exec, exec, s[2:3]
.LBB112_705:
	s_andn2_saveexec_b64 s[0:1], s[0:1]
	s_cbranch_execz .LBB112_707
; %bb.706:
	v_pk_mov_b32 v[70:71], v[32:33], v[24:25] op_sel:[1,0]
	ds_write2_b32 v63, v70, v71 offset0:42 offset1:43
	v_pk_mov_b32 v[70:71], v[24:25], v[18:19] op_sel:[1,0]
	ds_write2_b32 v63, v70, v71 offset0:44 offset1:45
	;; [unrolled: 2-line block ×6, first 2 shown]
	v_pk_mov_b32 v[70:71], v[0:1], v[10:11] op_sel:[1,0]
	v_mov_b32_e32 v67, 41
	ds_write2_b32 v63, v70, v71 offset0:54 offset1:55
	ds_write_b32 v63, v11 offset:224
.LBB112_707:
	s_or_b64 exec, exec, s[0:1]
	v_cmp_lt_i32_e32 vcc, 41, v67
	s_waitcnt lgkmcnt(0)
	s_barrier
	s_and_saveexec_b64 s[0:1], vcc
	s_cbranch_execz .LBB112_709
; %bb.708:
	ds_read_b32 v64, v63 offset:168
	ds_read2_b32 v[70:71], v63 offset0:43 offset1:44
	ds_read2_b32 v[72:73], v63 offset0:45 offset1:46
	v_mul_f32_e32 v32, v66, v32
	ds_read2_b32 v[74:75], v63 offset0:47 offset1:48
	s_waitcnt lgkmcnt(3)
	v_fma_f32 v33, -v32, v64, v33
	s_waitcnt lgkmcnt(2)
	v_pk_fma_f32 v[24:25], v[32:33], v[70:71], v[24:25] op_sel_hi:[0,1,1] neg_lo:[1,0,0] neg_hi:[1,0,0]
	s_waitcnt lgkmcnt(1)
	v_pk_fma_f32 v[18:19], v[32:33], v[72:73], v[18:19] op_sel_hi:[0,1,1] neg_lo:[1,0,0] neg_hi:[1,0,0]
	ds_read2_b32 v[70:71], v63 offset0:49 offset1:50
	ds_read2_b32 v[72:73], v63 offset0:51 offset1:52
	;; [unrolled: 1-line block ×4, first 2 shown]
	s_waitcnt lgkmcnt(4)
	v_pk_fma_f32 v[8:9], v[32:33], v[74:75], v[8:9] op_sel_hi:[0,1,1] neg_lo:[1,0,0] neg_hi:[1,0,0]
	s_waitcnt lgkmcnt(3)
	v_pk_fma_f32 v[14:15], v[32:33], v[70:71], v[14:15] op_sel_hi:[0,1,1] neg_lo:[1,0,0] neg_hi:[1,0,0]
	;; [unrolled: 2-line block ×5, first 2 shown]
.LBB112_709:
	s_or_b64 exec, exec, s[0:1]
	v_lshl_add_u32 v64, v67, 2, v63
	s_barrier
	ds_write_b32 v64, v33
	s_waitcnt lgkmcnt(0)
	s_barrier
	ds_read_b32 v66, v63 offset:168
	s_cmp_lt_i32 s22, 44
	v_mov_b32_e32 v64, 42
	s_cbranch_scc1 .LBB112_712
; %bb.710:
	v_add_u32_e32 v69, 0xac, v63
	v_mov_b32_e32 v64, 42
	s_mov_b32 s0, 43
.LBB112_711:                            ; =>This Inner Loop Header: Depth=1
	ds_read_b32 v70, v69
	v_mov_b32_e32 v71, s0
	s_add_i32 s0, s0, 1
	v_add_u32_e32 v69, 4, v69
	s_cmp_lg_u32 s22, s0
	s_waitcnt lgkmcnt(0)
	v_cmp_lt_f32_e64 vcc, |v66|, |v70|
	s_nop 1
	v_cndmask_b32_e32 v66, v66, v70, vcc
	v_cndmask_b32_e32 v64, v64, v71, vcc
	s_cbranch_scc1 .LBB112_711
.LBB112_712:
	s_waitcnt lgkmcnt(0)
	v_cmp_eq_f32_e32 vcc, 0, v66
	s_and_saveexec_b64 s[0:1], vcc
	s_xor_b64 s[0:1], exec, s[0:1]
; %bb.713:
	v_cmp_ne_u32_e32 vcc, 0, v68
	s_nop 1
	v_cndmask_b32_e32 v68, 43, v68, vcc
; %bb.714:
	s_andn2_saveexec_b64 s[0:1], s[0:1]
	s_cbranch_execz .LBB112_716
; %bb.715:
	v_div_scale_f32 v69, s[2:3], v66, v66, 1.0
	v_rcp_f32_e32 v70, v69
	v_div_scale_f32 v71, vcc, 1.0, v66, 1.0
	v_fma_f32 v72, -v69, v70, 1.0
	v_fmac_f32_e32 v70, v72, v70
	v_mul_f32_e32 v72, v71, v70
	v_fma_f32 v73, -v69, v72, v71
	v_fmac_f32_e32 v72, v73, v70
	v_fma_f32 v69, -v69, v72, v71
	v_div_fmas_f32 v69, v69, v70, v72
	v_div_fixup_f32 v66, v69, v66, 1.0
.LBB112_716:
	s_or_b64 exec, exec, s[0:1]
	v_cmp_ne_u32_e32 vcc, v67, v64
	s_and_saveexec_b64 s[0:1], vcc
	s_xor_b64 s[0:1], exec, s[0:1]
	s_cbranch_execz .LBB112_722
; %bb.717:
	v_cmp_eq_u32_e32 vcc, 42, v67
	s_and_saveexec_b64 s[2:3], vcc
	s_cbranch_execz .LBB112_721
; %bb.718:
	v_cmp_ne_u32_e32 vcc, 42, v64
	s_xor_b64 s[12:13], s[20:21], -1
	s_and_b64 s[14:15], s[12:13], vcc
	s_and_saveexec_b64 s[12:13], s[14:15]
	s_cbranch_execz .LBB112_720
; %bb.719:
	v_ashrrev_i32_e32 v65, 31, v64
	v_lshl_add_u64 v[70:71], v[64:65], 2, v[4:5]
	global_load_dword v65, v[70:71], off
	global_load_dword v67, v[4:5], off offset:168
	s_waitcnt vmcnt(1)
	global_store_dword v[4:5], v65, off offset:168
	s_waitcnt vmcnt(1)
	global_store_dword v[70:71], v67, off
.LBB112_720:
	s_or_b64 exec, exec, s[12:13]
	v_mov_b32_e32 v65, v64
	v_mov_b32_e32 v67, v64
.LBB112_721:
	s_or_b64 exec, exec, s[2:3]
.LBB112_722:
	s_andn2_saveexec_b64 s[0:1], s[0:1]
	s_cbranch_execz .LBB112_724
; %bb.723:
	v_mov_b32_e32 v67, 42
	ds_write2_b32 v63, v24, v25 offset0:43 offset1:44
	ds_write2_b32 v63, v18, v19 offset0:45 offset1:46
	;; [unrolled: 1-line block ×7, first 2 shown]
.LBB112_724:
	s_or_b64 exec, exec, s[0:1]
	v_cmp_lt_i32_e32 vcc, 42, v67
	s_waitcnt lgkmcnt(0)
	s_barrier
	s_and_saveexec_b64 s[0:1], vcc
	s_cbranch_execz .LBB112_726
; %bb.725:
	ds_read2_b32 v[70:71], v63 offset0:43 offset1:44
	ds_read2_b32 v[72:73], v63 offset0:45 offset1:46
	v_mul_f32_e32 v64, v66, v33
	ds_read2_b32 v[74:75], v63 offset0:47 offset1:48
	ds_read2_b32 v[76:77], v63 offset0:49 offset1:50
	v_mov_b32_e32 v33, v64
	s_waitcnt lgkmcnt(3)
	v_pk_fma_f32 v[24:25], v[64:65], v[70:71], v[24:25] op_sel_hi:[0,1,1] neg_lo:[1,0,0] neg_hi:[1,0,0]
	s_waitcnt lgkmcnt(2)
	v_pk_fma_f32 v[18:19], v[64:65], v[72:73], v[18:19] op_sel_hi:[0,1,1] neg_lo:[1,0,0] neg_hi:[1,0,0]
	ds_read2_b32 v[70:71], v63 offset0:51 offset1:52
	ds_read2_b32 v[72:73], v63 offset0:53 offset1:54
	;; [unrolled: 1-line block ×3, first 2 shown]
	s_waitcnt lgkmcnt(4)
	v_pk_fma_f32 v[8:9], v[64:65], v[74:75], v[8:9] op_sel_hi:[0,1,1] neg_lo:[1,0,0] neg_hi:[1,0,0]
	s_waitcnt lgkmcnt(3)
	v_pk_fma_f32 v[14:15], v[64:65], v[76:77], v[14:15] op_sel_hi:[0,1,1] neg_lo:[1,0,0] neg_hi:[1,0,0]
	;; [unrolled: 2-line block ×5, first 2 shown]
.LBB112_726:
	s_or_b64 exec, exec, s[0:1]
	v_lshl_add_u32 v64, v67, 2, v63
	s_barrier
	ds_write_b32 v64, v24
	s_waitcnt lgkmcnt(0)
	s_barrier
	ds_read_b32 v66, v63 offset:172
	s_cmp_lt_i32 s22, 45
	v_mov_b32_e32 v64, 43
	s_cbranch_scc1 .LBB112_729
; %bb.727:
	v_add_u32_e32 v69, 0xb0, v63
	v_mov_b32_e32 v64, 43
	s_mov_b32 s0, 44
.LBB112_728:                            ; =>This Inner Loop Header: Depth=1
	ds_read_b32 v70, v69
	v_mov_b32_e32 v71, s0
	s_add_i32 s0, s0, 1
	v_add_u32_e32 v69, 4, v69
	s_cmp_lg_u32 s22, s0
	s_waitcnt lgkmcnt(0)
	v_cmp_lt_f32_e64 vcc, |v66|, |v70|
	s_nop 1
	v_cndmask_b32_e32 v66, v66, v70, vcc
	v_cndmask_b32_e32 v64, v64, v71, vcc
	s_cbranch_scc1 .LBB112_728
.LBB112_729:
	s_waitcnt lgkmcnt(0)
	v_cmp_eq_f32_e32 vcc, 0, v66
	s_and_saveexec_b64 s[0:1], vcc
	s_xor_b64 s[0:1], exec, s[0:1]
; %bb.730:
	v_cmp_ne_u32_e32 vcc, 0, v68
	s_nop 1
	v_cndmask_b32_e32 v68, 44, v68, vcc
; %bb.731:
	s_andn2_saveexec_b64 s[0:1], s[0:1]
	s_cbranch_execz .LBB112_733
; %bb.732:
	v_div_scale_f32 v69, s[2:3], v66, v66, 1.0
	v_rcp_f32_e32 v70, v69
	v_div_scale_f32 v71, vcc, 1.0, v66, 1.0
	v_fma_f32 v72, -v69, v70, 1.0
	v_fmac_f32_e32 v70, v72, v70
	v_mul_f32_e32 v72, v71, v70
	v_fma_f32 v73, -v69, v72, v71
	v_fmac_f32_e32 v72, v73, v70
	v_fma_f32 v69, -v69, v72, v71
	v_div_fmas_f32 v69, v69, v70, v72
	v_div_fixup_f32 v66, v69, v66, 1.0
.LBB112_733:
	s_or_b64 exec, exec, s[0:1]
	v_cmp_ne_u32_e32 vcc, v67, v64
	s_and_saveexec_b64 s[0:1], vcc
	s_xor_b64 s[0:1], exec, s[0:1]
	s_cbranch_execz .LBB112_739
; %bb.734:
	v_cmp_eq_u32_e32 vcc, 43, v67
	s_and_saveexec_b64 s[2:3], vcc
	s_cbranch_execz .LBB112_738
; %bb.735:
	v_cmp_ne_u32_e32 vcc, 43, v64
	s_xor_b64 s[12:13], s[20:21], -1
	s_and_b64 s[14:15], s[12:13], vcc
	s_and_saveexec_b64 s[12:13], s[14:15]
	s_cbranch_execz .LBB112_737
; %bb.736:
	v_ashrrev_i32_e32 v65, 31, v64
	v_lshl_add_u64 v[70:71], v[64:65], 2, v[4:5]
	global_load_dword v65, v[70:71], off
	global_load_dword v67, v[4:5], off offset:172
	s_waitcnt vmcnt(1)
	global_store_dword v[4:5], v65, off offset:172
	s_waitcnt vmcnt(1)
	global_store_dword v[70:71], v67, off
.LBB112_737:
	s_or_b64 exec, exec, s[12:13]
	v_mov_b32_e32 v65, v64
	v_mov_b32_e32 v67, v64
.LBB112_738:
	s_or_b64 exec, exec, s[2:3]
.LBB112_739:
	s_andn2_saveexec_b64 s[0:1], s[0:1]
	s_cbranch_execz .LBB112_741
; %bb.740:
	v_pk_mov_b32 v[70:71], v[24:25], v[18:19] op_sel:[1,0]
	ds_write2_b32 v63, v70, v71 offset0:44 offset1:45
	v_pk_mov_b32 v[70:71], v[18:19], v[8:9] op_sel:[1,0]
	ds_write2_b32 v63, v70, v71 offset0:46 offset1:47
	;; [unrolled: 2-line block ×5, first 2 shown]
	v_pk_mov_b32 v[70:71], v[0:1], v[10:11] op_sel:[1,0]
	v_mov_b32_e32 v67, 43
	ds_write2_b32 v63, v70, v71 offset0:54 offset1:55
	ds_write_b32 v63, v11 offset:224
.LBB112_741:
	s_or_b64 exec, exec, s[0:1]
	v_cmp_lt_i32_e32 vcc, 43, v67
	s_waitcnt lgkmcnt(0)
	s_barrier
	s_and_saveexec_b64 s[0:1], vcc
	s_cbranch_execz .LBB112_743
; %bb.742:
	ds_read_b32 v64, v63 offset:176
	ds_read2_b32 v[70:71], v63 offset0:45 offset1:46
	v_mul_f32_e32 v24, v66, v24
	ds_read2_b32 v[72:73], v63 offset0:47 offset1:48
	ds_read2_b32 v[74:75], v63 offset0:49 offset1:50
	s_waitcnt lgkmcnt(3)
	v_fma_f32 v25, -v24, v64, v25
	s_waitcnt lgkmcnt(2)
	v_pk_fma_f32 v[18:19], v[24:25], v[70:71], v[18:19] op_sel_hi:[0,1,1] neg_lo:[1,0,0] neg_hi:[1,0,0]
	ds_read2_b32 v[70:71], v63 offset0:51 offset1:52
	ds_read2_b32 v[76:77], v63 offset0:53 offset1:54
	;; [unrolled: 1-line block ×3, first 2 shown]
	s_waitcnt lgkmcnt(4)
	v_pk_fma_f32 v[8:9], v[24:25], v[72:73], v[8:9] op_sel_hi:[0,1,1] neg_lo:[1,0,0] neg_hi:[1,0,0]
	s_waitcnt lgkmcnt(3)
	v_pk_fma_f32 v[14:15], v[24:25], v[74:75], v[14:15] op_sel_hi:[0,1,1] neg_lo:[1,0,0] neg_hi:[1,0,0]
	;; [unrolled: 2-line block ×5, first 2 shown]
.LBB112_743:
	s_or_b64 exec, exec, s[0:1]
	v_lshl_add_u32 v64, v67, 2, v63
	s_barrier
	ds_write_b32 v64, v25
	s_waitcnt lgkmcnt(0)
	s_barrier
	ds_read_b32 v66, v63 offset:176
	s_cmp_lt_i32 s22, 46
	v_mov_b32_e32 v64, 44
	s_cbranch_scc1 .LBB112_746
; %bb.744:
	v_add_u32_e32 v69, 0xb4, v63
	v_mov_b32_e32 v64, 44
	s_mov_b32 s0, 45
.LBB112_745:                            ; =>This Inner Loop Header: Depth=1
	ds_read_b32 v70, v69
	v_mov_b32_e32 v71, s0
	s_add_i32 s0, s0, 1
	v_add_u32_e32 v69, 4, v69
	s_cmp_lg_u32 s22, s0
	s_waitcnt lgkmcnt(0)
	v_cmp_lt_f32_e64 vcc, |v66|, |v70|
	s_nop 1
	v_cndmask_b32_e32 v66, v66, v70, vcc
	v_cndmask_b32_e32 v64, v64, v71, vcc
	s_cbranch_scc1 .LBB112_745
.LBB112_746:
	s_waitcnt lgkmcnt(0)
	v_cmp_eq_f32_e32 vcc, 0, v66
	s_and_saveexec_b64 s[0:1], vcc
	s_xor_b64 s[0:1], exec, s[0:1]
; %bb.747:
	v_cmp_ne_u32_e32 vcc, 0, v68
	s_nop 1
	v_cndmask_b32_e32 v68, 45, v68, vcc
; %bb.748:
	s_andn2_saveexec_b64 s[0:1], s[0:1]
	s_cbranch_execz .LBB112_750
; %bb.749:
	v_div_scale_f32 v69, s[2:3], v66, v66, 1.0
	v_rcp_f32_e32 v70, v69
	v_div_scale_f32 v71, vcc, 1.0, v66, 1.0
	v_fma_f32 v72, -v69, v70, 1.0
	v_fmac_f32_e32 v70, v72, v70
	v_mul_f32_e32 v72, v71, v70
	v_fma_f32 v73, -v69, v72, v71
	v_fmac_f32_e32 v72, v73, v70
	v_fma_f32 v69, -v69, v72, v71
	v_div_fmas_f32 v69, v69, v70, v72
	v_div_fixup_f32 v66, v69, v66, 1.0
.LBB112_750:
	s_or_b64 exec, exec, s[0:1]
	v_cmp_ne_u32_e32 vcc, v67, v64
	s_and_saveexec_b64 s[0:1], vcc
	s_xor_b64 s[0:1], exec, s[0:1]
	s_cbranch_execz .LBB112_756
; %bb.751:
	v_cmp_eq_u32_e32 vcc, 44, v67
	s_and_saveexec_b64 s[2:3], vcc
	s_cbranch_execz .LBB112_755
; %bb.752:
	v_cmp_ne_u32_e32 vcc, 44, v64
	s_xor_b64 s[12:13], s[20:21], -1
	s_and_b64 s[14:15], s[12:13], vcc
	s_and_saveexec_b64 s[12:13], s[14:15]
	s_cbranch_execz .LBB112_754
; %bb.753:
	v_ashrrev_i32_e32 v65, 31, v64
	v_lshl_add_u64 v[70:71], v[64:65], 2, v[4:5]
	global_load_dword v65, v[70:71], off
	global_load_dword v67, v[4:5], off offset:176
	s_waitcnt vmcnt(1)
	global_store_dword v[4:5], v65, off offset:176
	s_waitcnt vmcnt(1)
	global_store_dword v[70:71], v67, off
.LBB112_754:
	s_or_b64 exec, exec, s[12:13]
	v_mov_b32_e32 v65, v64
	v_mov_b32_e32 v67, v64
.LBB112_755:
	s_or_b64 exec, exec, s[2:3]
.LBB112_756:
	s_andn2_saveexec_b64 s[0:1], s[0:1]
	s_cbranch_execz .LBB112_758
; %bb.757:
	v_mov_b32_e32 v67, 44
	ds_write2_b32 v63, v18, v19 offset0:45 offset1:46
	ds_write2_b32 v63, v8, v9 offset0:47 offset1:48
	ds_write2_b32 v63, v14, v15 offset0:49 offset1:50
	ds_write2_b32 v63, v12, v13 offset0:51 offset1:52
	ds_write2_b32 v63, v0, v1 offset0:53 offset1:54
	ds_write2_b32 v63, v10, v11 offset0:55 offset1:56
.LBB112_758:
	s_or_b64 exec, exec, s[0:1]
	v_cmp_lt_i32_e32 vcc, 44, v67
	s_waitcnt lgkmcnt(0)
	s_barrier
	s_and_saveexec_b64 s[0:1], vcc
	s_cbranch_execz .LBB112_760
; %bb.759:
	ds_read2_b32 v[70:71], v63 offset0:45 offset1:46
	v_mul_f32_e32 v64, v66, v25
	ds_read2_b32 v[72:73], v63 offset0:47 offset1:48
	ds_read2_b32 v[74:75], v63 offset0:49 offset1:50
	;; [unrolled: 1-line block ×3, first 2 shown]
	v_mov_b32_e32 v25, v64
	s_waitcnt lgkmcnt(2)
	v_pk_fma_f32 v[8:9], v[64:65], v[72:73], v[8:9] op_sel_hi:[0,1,1] neg_lo:[1,0,0] neg_hi:[1,0,0]
	v_pk_fma_f32 v[18:19], v[64:65], v[70:71], v[18:19] op_sel_hi:[0,1,1] neg_lo:[1,0,0] neg_hi:[1,0,0]
	ds_read2_b32 v[70:71], v63 offset0:53 offset1:54
	ds_read2_b32 v[78:79], v63 offset0:55 offset1:56
	s_waitcnt lgkmcnt(3)
	v_pk_fma_f32 v[14:15], v[64:65], v[74:75], v[14:15] op_sel_hi:[0,1,1] neg_lo:[1,0,0] neg_hi:[1,0,0]
	s_waitcnt lgkmcnt(2)
	v_pk_fma_f32 v[12:13], v[64:65], v[76:77], v[12:13] op_sel_hi:[0,1,1] neg_lo:[1,0,0] neg_hi:[1,0,0]
	;; [unrolled: 2-line block ×4, first 2 shown]
.LBB112_760:
	s_or_b64 exec, exec, s[0:1]
	v_lshl_add_u32 v64, v67, 2, v63
	s_barrier
	ds_write_b32 v64, v18
	s_waitcnt lgkmcnt(0)
	s_barrier
	ds_read_b32 v66, v63 offset:180
	s_cmp_lt_i32 s22, 47
	v_mov_b32_e32 v64, 45
	s_cbranch_scc1 .LBB112_763
; %bb.761:
	v_add_u32_e32 v69, 0xb8, v63
	v_mov_b32_e32 v64, 45
	s_mov_b32 s0, 46
.LBB112_762:                            ; =>This Inner Loop Header: Depth=1
	ds_read_b32 v70, v69
	v_mov_b32_e32 v71, s0
	s_add_i32 s0, s0, 1
	v_add_u32_e32 v69, 4, v69
	s_cmp_lg_u32 s22, s0
	s_waitcnt lgkmcnt(0)
	v_cmp_lt_f32_e64 vcc, |v66|, |v70|
	s_nop 1
	v_cndmask_b32_e32 v66, v66, v70, vcc
	v_cndmask_b32_e32 v64, v64, v71, vcc
	s_cbranch_scc1 .LBB112_762
.LBB112_763:
	s_waitcnt lgkmcnt(0)
	v_cmp_eq_f32_e32 vcc, 0, v66
	s_and_saveexec_b64 s[0:1], vcc
	s_xor_b64 s[0:1], exec, s[0:1]
; %bb.764:
	v_cmp_ne_u32_e32 vcc, 0, v68
	s_nop 1
	v_cndmask_b32_e32 v68, 46, v68, vcc
; %bb.765:
	s_andn2_saveexec_b64 s[0:1], s[0:1]
	s_cbranch_execz .LBB112_767
; %bb.766:
	v_div_scale_f32 v69, s[2:3], v66, v66, 1.0
	v_rcp_f32_e32 v70, v69
	v_div_scale_f32 v71, vcc, 1.0, v66, 1.0
	v_fma_f32 v72, -v69, v70, 1.0
	v_fmac_f32_e32 v70, v72, v70
	v_mul_f32_e32 v72, v71, v70
	v_fma_f32 v73, -v69, v72, v71
	v_fmac_f32_e32 v72, v73, v70
	v_fma_f32 v69, -v69, v72, v71
	v_div_fmas_f32 v69, v69, v70, v72
	v_div_fixup_f32 v66, v69, v66, 1.0
.LBB112_767:
	s_or_b64 exec, exec, s[0:1]
	v_cmp_ne_u32_e32 vcc, v67, v64
	s_and_saveexec_b64 s[0:1], vcc
	s_xor_b64 s[0:1], exec, s[0:1]
	s_cbranch_execz .LBB112_773
; %bb.768:
	v_cmp_eq_u32_e32 vcc, 45, v67
	s_and_saveexec_b64 s[2:3], vcc
	s_cbranch_execz .LBB112_772
; %bb.769:
	v_cmp_ne_u32_e32 vcc, 45, v64
	s_xor_b64 s[12:13], s[20:21], -1
	s_and_b64 s[14:15], s[12:13], vcc
	s_and_saveexec_b64 s[12:13], s[14:15]
	s_cbranch_execz .LBB112_771
; %bb.770:
	v_ashrrev_i32_e32 v65, 31, v64
	v_lshl_add_u64 v[70:71], v[64:65], 2, v[4:5]
	global_load_dword v65, v[70:71], off
	global_load_dword v67, v[4:5], off offset:180
	s_waitcnt vmcnt(1)
	global_store_dword v[4:5], v65, off offset:180
	s_waitcnt vmcnt(1)
	global_store_dword v[70:71], v67, off
.LBB112_771:
	s_or_b64 exec, exec, s[12:13]
	v_mov_b32_e32 v65, v64
	v_mov_b32_e32 v67, v64
.LBB112_772:
	s_or_b64 exec, exec, s[2:3]
.LBB112_773:
	s_andn2_saveexec_b64 s[0:1], s[0:1]
	s_cbranch_execz .LBB112_775
; %bb.774:
	v_pk_mov_b32 v[70:71], v[18:19], v[8:9] op_sel:[1,0]
	ds_write2_b32 v63, v70, v71 offset0:46 offset1:47
	v_pk_mov_b32 v[70:71], v[8:9], v[14:15] op_sel:[1,0]
	ds_write2_b32 v63, v70, v71 offset0:48 offset1:49
	;; [unrolled: 2-line block ×4, first 2 shown]
	v_pk_mov_b32 v[70:71], v[0:1], v[10:11] op_sel:[1,0]
	v_mov_b32_e32 v67, 45
	ds_write2_b32 v63, v70, v71 offset0:54 offset1:55
	ds_write_b32 v63, v11 offset:224
.LBB112_775:
	s_or_b64 exec, exec, s[0:1]
	v_cmp_lt_i32_e32 vcc, 45, v67
	s_waitcnt lgkmcnt(0)
	s_barrier
	s_and_saveexec_b64 s[0:1], vcc
	s_cbranch_execz .LBB112_777
; %bb.776:
	ds_read_b32 v64, v63 offset:184
	ds_read2_b32 v[70:71], v63 offset0:47 offset1:48
	ds_read2_b32 v[72:73], v63 offset0:49 offset1:50
	;; [unrolled: 1-line block ×5, first 2 shown]
	v_mul_f32_e32 v18, v66, v18
	s_waitcnt lgkmcnt(5)
	v_fma_f32 v19, -v18, v64, v19
	s_waitcnt lgkmcnt(4)
	v_pk_fma_f32 v[8:9], v[18:19], v[70:71], v[8:9] op_sel_hi:[0,1,1] neg_lo:[1,0,0] neg_hi:[1,0,0]
	s_waitcnt lgkmcnt(3)
	v_pk_fma_f32 v[14:15], v[18:19], v[72:73], v[14:15] op_sel_hi:[0,1,1] neg_lo:[1,0,0] neg_hi:[1,0,0]
	;; [unrolled: 2-line block ×5, first 2 shown]
.LBB112_777:
	s_or_b64 exec, exec, s[0:1]
	v_lshl_add_u32 v64, v67, 2, v63
	s_barrier
	ds_write_b32 v64, v19
	s_waitcnt lgkmcnt(0)
	s_barrier
	ds_read_b32 v66, v63 offset:184
	s_cmp_lt_i32 s22, 48
	v_mov_b32_e32 v64, 46
	s_cbranch_scc1 .LBB112_780
; %bb.778:
	v_add_u32_e32 v69, 0xbc, v63
	v_mov_b32_e32 v64, 46
	s_mov_b32 s0, 47
.LBB112_779:                            ; =>This Inner Loop Header: Depth=1
	ds_read_b32 v70, v69
	v_mov_b32_e32 v71, s0
	s_add_i32 s0, s0, 1
	v_add_u32_e32 v69, 4, v69
	s_cmp_lg_u32 s22, s0
	s_waitcnt lgkmcnt(0)
	v_cmp_lt_f32_e64 vcc, |v66|, |v70|
	s_nop 1
	v_cndmask_b32_e32 v66, v66, v70, vcc
	v_cndmask_b32_e32 v64, v64, v71, vcc
	s_cbranch_scc1 .LBB112_779
.LBB112_780:
	s_waitcnt lgkmcnt(0)
	v_cmp_eq_f32_e32 vcc, 0, v66
	s_and_saveexec_b64 s[0:1], vcc
	s_xor_b64 s[0:1], exec, s[0:1]
; %bb.781:
	v_cmp_ne_u32_e32 vcc, 0, v68
	s_nop 1
	v_cndmask_b32_e32 v68, 47, v68, vcc
; %bb.782:
	s_andn2_saveexec_b64 s[0:1], s[0:1]
	s_cbranch_execz .LBB112_784
; %bb.783:
	v_div_scale_f32 v69, s[2:3], v66, v66, 1.0
	v_rcp_f32_e32 v70, v69
	v_div_scale_f32 v71, vcc, 1.0, v66, 1.0
	v_fma_f32 v72, -v69, v70, 1.0
	v_fmac_f32_e32 v70, v72, v70
	v_mul_f32_e32 v72, v71, v70
	v_fma_f32 v73, -v69, v72, v71
	v_fmac_f32_e32 v72, v73, v70
	v_fma_f32 v69, -v69, v72, v71
	v_div_fmas_f32 v69, v69, v70, v72
	v_div_fixup_f32 v66, v69, v66, 1.0
.LBB112_784:
	s_or_b64 exec, exec, s[0:1]
	v_cmp_ne_u32_e32 vcc, v67, v64
	s_and_saveexec_b64 s[0:1], vcc
	s_xor_b64 s[0:1], exec, s[0:1]
	s_cbranch_execz .LBB112_790
; %bb.785:
	v_cmp_eq_u32_e32 vcc, 46, v67
	s_and_saveexec_b64 s[2:3], vcc
	s_cbranch_execz .LBB112_789
; %bb.786:
	v_cmp_ne_u32_e32 vcc, 46, v64
	s_xor_b64 s[12:13], s[20:21], -1
	s_and_b64 s[14:15], s[12:13], vcc
	s_and_saveexec_b64 s[12:13], s[14:15]
	s_cbranch_execz .LBB112_788
; %bb.787:
	v_ashrrev_i32_e32 v65, 31, v64
	v_lshl_add_u64 v[70:71], v[64:65], 2, v[4:5]
	global_load_dword v65, v[70:71], off
	global_load_dword v67, v[4:5], off offset:184
	s_waitcnt vmcnt(1)
	global_store_dword v[4:5], v65, off offset:184
	s_waitcnt vmcnt(1)
	global_store_dword v[70:71], v67, off
.LBB112_788:
	s_or_b64 exec, exec, s[12:13]
	v_mov_b32_e32 v65, v64
	v_mov_b32_e32 v67, v64
.LBB112_789:
	s_or_b64 exec, exec, s[2:3]
.LBB112_790:
	s_andn2_saveexec_b64 s[0:1], s[0:1]
	s_cbranch_execz .LBB112_792
; %bb.791:
	v_mov_b32_e32 v67, 46
	ds_write2_b32 v63, v8, v9 offset0:47 offset1:48
	ds_write2_b32 v63, v14, v15 offset0:49 offset1:50
	;; [unrolled: 1-line block ×5, first 2 shown]
.LBB112_792:
	s_or_b64 exec, exec, s[0:1]
	v_cmp_lt_i32_e32 vcc, 46, v67
	s_waitcnt lgkmcnt(0)
	s_barrier
	s_and_saveexec_b64 s[0:1], vcc
	s_cbranch_execz .LBB112_794
; %bb.793:
	ds_read2_b32 v[70:71], v63 offset0:47 offset1:48
	ds_read2_b32 v[72:73], v63 offset0:49 offset1:50
	;; [unrolled: 1-line block ×5, first 2 shown]
	v_mul_f32_e32 v64, v66, v19
	s_waitcnt lgkmcnt(4)
	v_pk_fma_f32 v[8:9], v[64:65], v[70:71], v[8:9] op_sel_hi:[0,1,1] neg_lo:[1,0,0] neg_hi:[1,0,0]
	s_waitcnt lgkmcnt(3)
	v_pk_fma_f32 v[14:15], v[64:65], v[72:73], v[14:15] op_sel_hi:[0,1,1] neg_lo:[1,0,0] neg_hi:[1,0,0]
	;; [unrolled: 2-line block ×5, first 2 shown]
	v_mov_b32_e32 v19, v64
.LBB112_794:
	s_or_b64 exec, exec, s[0:1]
	v_lshl_add_u32 v64, v67, 2, v63
	s_barrier
	ds_write_b32 v64, v8
	s_waitcnt lgkmcnt(0)
	s_barrier
	ds_read_b32 v66, v63 offset:188
	s_cmp_lt_i32 s22, 49
	v_mov_b32_e32 v64, 47
	s_cbranch_scc1 .LBB112_797
; %bb.795:
	v_add_u32_e32 v69, 0xc0, v63
	v_mov_b32_e32 v64, 47
	s_mov_b32 s0, 48
.LBB112_796:                            ; =>This Inner Loop Header: Depth=1
	ds_read_b32 v70, v69
	v_mov_b32_e32 v71, s0
	s_add_i32 s0, s0, 1
	v_add_u32_e32 v69, 4, v69
	s_cmp_lg_u32 s22, s0
	s_waitcnt lgkmcnt(0)
	v_cmp_lt_f32_e64 vcc, |v66|, |v70|
	s_nop 1
	v_cndmask_b32_e32 v66, v66, v70, vcc
	v_cndmask_b32_e32 v64, v64, v71, vcc
	s_cbranch_scc1 .LBB112_796
.LBB112_797:
	s_waitcnt lgkmcnt(0)
	v_cmp_eq_f32_e32 vcc, 0, v66
	s_and_saveexec_b64 s[0:1], vcc
	s_xor_b64 s[0:1], exec, s[0:1]
; %bb.798:
	v_cmp_ne_u32_e32 vcc, 0, v68
	s_nop 1
	v_cndmask_b32_e32 v68, 48, v68, vcc
; %bb.799:
	s_andn2_saveexec_b64 s[0:1], s[0:1]
	s_cbranch_execz .LBB112_801
; %bb.800:
	v_div_scale_f32 v69, s[2:3], v66, v66, 1.0
	v_rcp_f32_e32 v70, v69
	v_div_scale_f32 v71, vcc, 1.0, v66, 1.0
	v_fma_f32 v72, -v69, v70, 1.0
	v_fmac_f32_e32 v70, v72, v70
	v_mul_f32_e32 v72, v71, v70
	v_fma_f32 v73, -v69, v72, v71
	v_fmac_f32_e32 v72, v73, v70
	v_fma_f32 v69, -v69, v72, v71
	v_div_fmas_f32 v69, v69, v70, v72
	v_div_fixup_f32 v66, v69, v66, 1.0
.LBB112_801:
	s_or_b64 exec, exec, s[0:1]
	v_cmp_ne_u32_e32 vcc, v67, v64
	s_and_saveexec_b64 s[0:1], vcc
	s_xor_b64 s[0:1], exec, s[0:1]
	s_cbranch_execz .LBB112_807
; %bb.802:
	v_cmp_eq_u32_e32 vcc, 47, v67
	s_and_saveexec_b64 s[2:3], vcc
	s_cbranch_execz .LBB112_806
; %bb.803:
	v_cmp_ne_u32_e32 vcc, 47, v64
	s_xor_b64 s[12:13], s[20:21], -1
	s_and_b64 s[14:15], s[12:13], vcc
	s_and_saveexec_b64 s[12:13], s[14:15]
	s_cbranch_execz .LBB112_805
; %bb.804:
	v_ashrrev_i32_e32 v65, 31, v64
	v_lshl_add_u64 v[70:71], v[64:65], 2, v[4:5]
	global_load_dword v65, v[70:71], off
	global_load_dword v67, v[4:5], off offset:188
	s_waitcnt vmcnt(1)
	global_store_dword v[4:5], v65, off offset:188
	s_waitcnt vmcnt(1)
	global_store_dword v[70:71], v67, off
.LBB112_805:
	s_or_b64 exec, exec, s[12:13]
	v_mov_b32_e32 v65, v64
	v_mov_b32_e32 v67, v64
.LBB112_806:
	s_or_b64 exec, exec, s[2:3]
.LBB112_807:
	s_andn2_saveexec_b64 s[0:1], s[0:1]
	s_cbranch_execz .LBB112_809
; %bb.808:
	v_pk_mov_b32 v[70:71], v[8:9], v[14:15] op_sel:[1,0]
	ds_write2_b32 v63, v70, v71 offset0:48 offset1:49
	v_pk_mov_b32 v[70:71], v[14:15], v[12:13] op_sel:[1,0]
	ds_write2_b32 v63, v70, v71 offset0:50 offset1:51
	;; [unrolled: 2-line block ×3, first 2 shown]
	v_pk_mov_b32 v[70:71], v[0:1], v[10:11] op_sel:[1,0]
	v_mov_b32_e32 v67, 47
	ds_write2_b32 v63, v70, v71 offset0:54 offset1:55
	ds_write_b32 v63, v11 offset:224
.LBB112_809:
	s_or_b64 exec, exec, s[0:1]
	v_cmp_lt_i32_e32 vcc, 47, v67
	s_waitcnt lgkmcnt(0)
	s_barrier
	s_and_saveexec_b64 s[0:1], vcc
	s_cbranch_execz .LBB112_811
; %bb.810:
	ds_read_b32 v64, v63 offset:192
	ds_read2_b32 v[70:71], v63 offset0:49 offset1:50
	ds_read2_b32 v[72:73], v63 offset0:51 offset1:52
	;; [unrolled: 1-line block ×4, first 2 shown]
	v_mul_f32_e32 v8, v66, v8
	s_waitcnt lgkmcnt(4)
	v_fma_f32 v9, -v8, v64, v9
	s_waitcnt lgkmcnt(3)
	v_pk_fma_f32 v[14:15], v[8:9], v[70:71], v[14:15] op_sel_hi:[0,1,1] neg_lo:[1,0,0] neg_hi:[1,0,0]
	s_waitcnt lgkmcnt(2)
	v_pk_fma_f32 v[12:13], v[8:9], v[72:73], v[12:13] op_sel_hi:[0,1,1] neg_lo:[1,0,0] neg_hi:[1,0,0]
	;; [unrolled: 2-line block ×4, first 2 shown]
.LBB112_811:
	s_or_b64 exec, exec, s[0:1]
	v_lshl_add_u32 v64, v67, 2, v63
	s_barrier
	ds_write_b32 v64, v9
	s_waitcnt lgkmcnt(0)
	s_barrier
	ds_read_b32 v66, v63 offset:192
	s_cmp_lt_i32 s22, 50
	v_mov_b32_e32 v64, 48
	s_cbranch_scc1 .LBB112_814
; %bb.812:
	v_add_u32_e32 v69, 0xc4, v63
	v_mov_b32_e32 v64, 48
	s_mov_b32 s0, 49
.LBB112_813:                            ; =>This Inner Loop Header: Depth=1
	ds_read_b32 v70, v69
	v_mov_b32_e32 v71, s0
	s_add_i32 s0, s0, 1
	v_add_u32_e32 v69, 4, v69
	s_cmp_lg_u32 s22, s0
	s_waitcnt lgkmcnt(0)
	v_cmp_lt_f32_e64 vcc, |v66|, |v70|
	s_nop 1
	v_cndmask_b32_e32 v66, v66, v70, vcc
	v_cndmask_b32_e32 v64, v64, v71, vcc
	s_cbranch_scc1 .LBB112_813
.LBB112_814:
	s_waitcnt lgkmcnt(0)
	v_cmp_eq_f32_e32 vcc, 0, v66
	s_and_saveexec_b64 s[0:1], vcc
	s_xor_b64 s[0:1], exec, s[0:1]
; %bb.815:
	v_cmp_ne_u32_e32 vcc, 0, v68
	s_nop 1
	v_cndmask_b32_e32 v68, 49, v68, vcc
; %bb.816:
	s_andn2_saveexec_b64 s[0:1], s[0:1]
	s_cbranch_execz .LBB112_818
; %bb.817:
	v_div_scale_f32 v69, s[2:3], v66, v66, 1.0
	v_rcp_f32_e32 v70, v69
	v_div_scale_f32 v71, vcc, 1.0, v66, 1.0
	v_fma_f32 v72, -v69, v70, 1.0
	v_fmac_f32_e32 v70, v72, v70
	v_mul_f32_e32 v72, v71, v70
	v_fma_f32 v73, -v69, v72, v71
	v_fmac_f32_e32 v72, v73, v70
	v_fma_f32 v69, -v69, v72, v71
	v_div_fmas_f32 v69, v69, v70, v72
	v_div_fixup_f32 v66, v69, v66, 1.0
.LBB112_818:
	s_or_b64 exec, exec, s[0:1]
	v_cmp_ne_u32_e32 vcc, v67, v64
	s_and_saveexec_b64 s[0:1], vcc
	s_xor_b64 s[0:1], exec, s[0:1]
	s_cbranch_execz .LBB112_824
; %bb.819:
	v_cmp_eq_u32_e32 vcc, 48, v67
	s_and_saveexec_b64 s[2:3], vcc
	s_cbranch_execz .LBB112_823
; %bb.820:
	v_cmp_ne_u32_e32 vcc, 48, v64
	s_xor_b64 s[12:13], s[20:21], -1
	s_and_b64 s[14:15], s[12:13], vcc
	s_and_saveexec_b64 s[12:13], s[14:15]
	s_cbranch_execz .LBB112_822
; %bb.821:
	v_ashrrev_i32_e32 v65, 31, v64
	v_lshl_add_u64 v[70:71], v[64:65], 2, v[4:5]
	global_load_dword v65, v[70:71], off
	global_load_dword v67, v[4:5], off offset:192
	s_waitcnt vmcnt(1)
	global_store_dword v[4:5], v65, off offset:192
	s_waitcnt vmcnt(1)
	global_store_dword v[70:71], v67, off
.LBB112_822:
	s_or_b64 exec, exec, s[12:13]
	v_mov_b32_e32 v65, v64
	v_mov_b32_e32 v67, v64
.LBB112_823:
	s_or_b64 exec, exec, s[2:3]
.LBB112_824:
	s_andn2_saveexec_b64 s[0:1], s[0:1]
	s_cbranch_execz .LBB112_826
; %bb.825:
	v_mov_b32_e32 v67, 48
	ds_write2_b32 v63, v14, v15 offset0:49 offset1:50
	ds_write2_b32 v63, v12, v13 offset0:51 offset1:52
	;; [unrolled: 1-line block ×4, first 2 shown]
.LBB112_826:
	s_or_b64 exec, exec, s[0:1]
	v_cmp_lt_i32_e32 vcc, 48, v67
	s_waitcnt lgkmcnt(0)
	s_barrier
	s_and_saveexec_b64 s[0:1], vcc
	s_cbranch_execz .LBB112_828
; %bb.827:
	ds_read2_b32 v[70:71], v63 offset0:49 offset1:50
	ds_read2_b32 v[72:73], v63 offset0:51 offset1:52
	;; [unrolled: 1-line block ×4, first 2 shown]
	v_mul_f32_e32 v64, v66, v9
	s_waitcnt lgkmcnt(3)
	v_pk_fma_f32 v[14:15], v[64:65], v[70:71], v[14:15] op_sel_hi:[0,1,1] neg_lo:[1,0,0] neg_hi:[1,0,0]
	s_waitcnt lgkmcnt(2)
	v_pk_fma_f32 v[12:13], v[64:65], v[72:73], v[12:13] op_sel_hi:[0,1,1] neg_lo:[1,0,0] neg_hi:[1,0,0]
	;; [unrolled: 2-line block ×4, first 2 shown]
	v_mov_b32_e32 v9, v64
.LBB112_828:
	s_or_b64 exec, exec, s[0:1]
	v_lshl_add_u32 v64, v67, 2, v63
	s_barrier
	ds_write_b32 v64, v14
	s_waitcnt lgkmcnt(0)
	s_barrier
	ds_read_b32 v66, v63 offset:196
	s_cmp_lt_i32 s22, 51
	v_mov_b32_e32 v64, 49
	s_cbranch_scc1 .LBB112_831
; %bb.829:
	v_add_u32_e32 v69, 0xc8, v63
	v_mov_b32_e32 v64, 49
	s_mov_b32 s0, 50
.LBB112_830:                            ; =>This Inner Loop Header: Depth=1
	ds_read_b32 v70, v69
	v_mov_b32_e32 v71, s0
	s_add_i32 s0, s0, 1
	v_add_u32_e32 v69, 4, v69
	s_cmp_lg_u32 s22, s0
	s_waitcnt lgkmcnt(0)
	v_cmp_lt_f32_e64 vcc, |v66|, |v70|
	s_nop 1
	v_cndmask_b32_e32 v66, v66, v70, vcc
	v_cndmask_b32_e32 v64, v64, v71, vcc
	s_cbranch_scc1 .LBB112_830
.LBB112_831:
	s_waitcnt lgkmcnt(0)
	v_cmp_eq_f32_e32 vcc, 0, v66
	s_and_saveexec_b64 s[0:1], vcc
	s_xor_b64 s[0:1], exec, s[0:1]
; %bb.832:
	v_cmp_ne_u32_e32 vcc, 0, v68
	s_nop 1
	v_cndmask_b32_e32 v68, 50, v68, vcc
; %bb.833:
	s_andn2_saveexec_b64 s[0:1], s[0:1]
	s_cbranch_execz .LBB112_835
; %bb.834:
	v_div_scale_f32 v69, s[2:3], v66, v66, 1.0
	v_rcp_f32_e32 v70, v69
	v_div_scale_f32 v71, vcc, 1.0, v66, 1.0
	v_fma_f32 v72, -v69, v70, 1.0
	v_fmac_f32_e32 v70, v72, v70
	v_mul_f32_e32 v72, v71, v70
	v_fma_f32 v73, -v69, v72, v71
	v_fmac_f32_e32 v72, v73, v70
	v_fma_f32 v69, -v69, v72, v71
	v_div_fmas_f32 v69, v69, v70, v72
	v_div_fixup_f32 v66, v69, v66, 1.0
.LBB112_835:
	s_or_b64 exec, exec, s[0:1]
	v_cmp_ne_u32_e32 vcc, v67, v64
	s_and_saveexec_b64 s[0:1], vcc
	s_xor_b64 s[0:1], exec, s[0:1]
	s_cbranch_execz .LBB112_841
; %bb.836:
	v_cmp_eq_u32_e32 vcc, 49, v67
	s_and_saveexec_b64 s[2:3], vcc
	s_cbranch_execz .LBB112_840
; %bb.837:
	v_cmp_ne_u32_e32 vcc, 49, v64
	s_xor_b64 s[12:13], s[20:21], -1
	s_and_b64 s[14:15], s[12:13], vcc
	s_and_saveexec_b64 s[12:13], s[14:15]
	s_cbranch_execz .LBB112_839
; %bb.838:
	v_ashrrev_i32_e32 v65, 31, v64
	v_lshl_add_u64 v[70:71], v[64:65], 2, v[4:5]
	global_load_dword v65, v[70:71], off
	global_load_dword v67, v[4:5], off offset:196
	s_waitcnt vmcnt(1)
	global_store_dword v[4:5], v65, off offset:196
	s_waitcnt vmcnt(1)
	global_store_dword v[70:71], v67, off
.LBB112_839:
	s_or_b64 exec, exec, s[12:13]
	v_mov_b32_e32 v65, v64
	v_mov_b32_e32 v67, v64
.LBB112_840:
	s_or_b64 exec, exec, s[2:3]
.LBB112_841:
	s_andn2_saveexec_b64 s[0:1], s[0:1]
	s_cbranch_execz .LBB112_843
; %bb.842:
	v_pk_mov_b32 v[70:71], v[14:15], v[12:13] op_sel:[1,0]
	ds_write2_b32 v63, v70, v71 offset0:50 offset1:51
	v_pk_mov_b32 v[70:71], v[12:13], v[0:1] op_sel:[1,0]
	ds_write2_b32 v63, v70, v71 offset0:52 offset1:53
	v_pk_mov_b32 v[70:71], v[0:1], v[10:11] op_sel:[1,0]
	v_mov_b32_e32 v67, 49
	ds_write2_b32 v63, v70, v71 offset0:54 offset1:55
	ds_write_b32 v63, v11 offset:224
.LBB112_843:
	s_or_b64 exec, exec, s[0:1]
	v_cmp_lt_i32_e32 vcc, 49, v67
	s_waitcnt lgkmcnt(0)
	s_barrier
	s_and_saveexec_b64 s[0:1], vcc
	s_cbranch_execz .LBB112_845
; %bb.844:
	ds_read_b32 v64, v63 offset:200
	ds_read2_b32 v[70:71], v63 offset0:51 offset1:52
	ds_read2_b32 v[72:73], v63 offset0:53 offset1:54
	;; [unrolled: 1-line block ×3, first 2 shown]
	v_mul_f32_e32 v14, v66, v14
	s_waitcnt lgkmcnt(3)
	v_fma_f32 v15, -v14, v64, v15
	s_waitcnt lgkmcnt(2)
	v_pk_fma_f32 v[12:13], v[14:15], v[70:71], v[12:13] op_sel_hi:[0,1,1] neg_lo:[1,0,0] neg_hi:[1,0,0]
	s_waitcnt lgkmcnt(1)
	v_pk_fma_f32 v[0:1], v[14:15], v[72:73], v[0:1] op_sel_hi:[0,1,1] neg_lo:[1,0,0] neg_hi:[1,0,0]
	;; [unrolled: 2-line block ×3, first 2 shown]
.LBB112_845:
	s_or_b64 exec, exec, s[0:1]
	v_lshl_add_u32 v64, v67, 2, v63
	s_barrier
	ds_write_b32 v64, v15
	s_waitcnt lgkmcnt(0)
	s_barrier
	ds_read_b32 v66, v63 offset:200
	s_cmp_lt_i32 s22, 52
	v_mov_b32_e32 v64, 50
	s_cbranch_scc1 .LBB112_848
; %bb.846:
	v_add_u32_e32 v69, 0xcc, v63
	v_mov_b32_e32 v64, 50
	s_mov_b32 s0, 51
.LBB112_847:                            ; =>This Inner Loop Header: Depth=1
	ds_read_b32 v70, v69
	v_mov_b32_e32 v71, s0
	s_add_i32 s0, s0, 1
	v_add_u32_e32 v69, 4, v69
	s_cmp_lg_u32 s22, s0
	s_waitcnt lgkmcnt(0)
	v_cmp_lt_f32_e64 vcc, |v66|, |v70|
	s_nop 1
	v_cndmask_b32_e32 v66, v66, v70, vcc
	v_cndmask_b32_e32 v64, v64, v71, vcc
	s_cbranch_scc1 .LBB112_847
.LBB112_848:
	s_waitcnt lgkmcnt(0)
	v_cmp_eq_f32_e32 vcc, 0, v66
	s_and_saveexec_b64 s[0:1], vcc
	s_xor_b64 s[0:1], exec, s[0:1]
; %bb.849:
	v_cmp_ne_u32_e32 vcc, 0, v68
	s_nop 1
	v_cndmask_b32_e32 v68, 51, v68, vcc
; %bb.850:
	s_andn2_saveexec_b64 s[0:1], s[0:1]
	s_cbranch_execz .LBB112_852
; %bb.851:
	v_div_scale_f32 v69, s[2:3], v66, v66, 1.0
	v_rcp_f32_e32 v70, v69
	v_div_scale_f32 v71, vcc, 1.0, v66, 1.0
	v_fma_f32 v72, -v69, v70, 1.0
	v_fmac_f32_e32 v70, v72, v70
	v_mul_f32_e32 v72, v71, v70
	v_fma_f32 v73, -v69, v72, v71
	v_fmac_f32_e32 v72, v73, v70
	v_fma_f32 v69, -v69, v72, v71
	v_div_fmas_f32 v69, v69, v70, v72
	v_div_fixup_f32 v66, v69, v66, 1.0
.LBB112_852:
	s_or_b64 exec, exec, s[0:1]
	v_cmp_ne_u32_e32 vcc, v67, v64
	s_and_saveexec_b64 s[0:1], vcc
	s_xor_b64 s[0:1], exec, s[0:1]
	s_cbranch_execz .LBB112_858
; %bb.853:
	v_cmp_eq_u32_e32 vcc, 50, v67
	s_and_saveexec_b64 s[2:3], vcc
	s_cbranch_execz .LBB112_857
; %bb.854:
	v_cmp_ne_u32_e32 vcc, 50, v64
	s_xor_b64 s[12:13], s[20:21], -1
	s_and_b64 s[14:15], s[12:13], vcc
	s_and_saveexec_b64 s[12:13], s[14:15]
	s_cbranch_execz .LBB112_856
; %bb.855:
	v_ashrrev_i32_e32 v65, 31, v64
	v_lshl_add_u64 v[70:71], v[64:65], 2, v[4:5]
	global_load_dword v65, v[70:71], off
	global_load_dword v67, v[4:5], off offset:200
	s_waitcnt vmcnt(1)
	global_store_dword v[4:5], v65, off offset:200
	s_waitcnt vmcnt(1)
	global_store_dword v[70:71], v67, off
.LBB112_856:
	s_or_b64 exec, exec, s[12:13]
	v_mov_b32_e32 v65, v64
	v_mov_b32_e32 v67, v64
.LBB112_857:
	s_or_b64 exec, exec, s[2:3]
.LBB112_858:
	s_andn2_saveexec_b64 s[0:1], s[0:1]
	s_cbranch_execz .LBB112_860
; %bb.859:
	v_mov_b32_e32 v67, 50
	ds_write2_b32 v63, v12, v13 offset0:51 offset1:52
	ds_write2_b32 v63, v0, v1 offset0:53 offset1:54
	ds_write2_b32 v63, v10, v11 offset0:55 offset1:56
.LBB112_860:
	s_or_b64 exec, exec, s[0:1]
	v_cmp_lt_i32_e32 vcc, 50, v67
	s_waitcnt lgkmcnt(0)
	s_barrier
	s_and_saveexec_b64 s[0:1], vcc
	s_cbranch_execz .LBB112_862
; %bb.861:
	ds_read2_b32 v[70:71], v63 offset0:51 offset1:52
	ds_read2_b32 v[72:73], v63 offset0:53 offset1:54
	;; [unrolled: 1-line block ×3, first 2 shown]
	v_mul_f32_e32 v64, v66, v15
	v_mov_b32_e32 v15, v64
	s_waitcnt lgkmcnt(2)
	v_pk_fma_f32 v[12:13], v[64:65], v[70:71], v[12:13] op_sel_hi:[0,1,1] neg_lo:[1,0,0] neg_hi:[1,0,0]
	s_waitcnt lgkmcnt(1)
	v_pk_fma_f32 v[0:1], v[64:65], v[72:73], v[0:1] op_sel_hi:[0,1,1] neg_lo:[1,0,0] neg_hi:[1,0,0]
	;; [unrolled: 2-line block ×3, first 2 shown]
.LBB112_862:
	s_or_b64 exec, exec, s[0:1]
	v_lshl_add_u32 v64, v67, 2, v63
	s_barrier
	ds_write_b32 v64, v12
	s_waitcnt lgkmcnt(0)
	s_barrier
	ds_read_b32 v66, v63 offset:204
	s_cmp_lt_i32 s22, 53
	v_mov_b32_e32 v64, 51
	s_cbranch_scc1 .LBB112_865
; %bb.863:
	v_add_u32_e32 v69, 0xd0, v63
	v_mov_b32_e32 v64, 51
	s_mov_b32 s0, 52
.LBB112_864:                            ; =>This Inner Loop Header: Depth=1
	ds_read_b32 v70, v69
	v_mov_b32_e32 v71, s0
	s_add_i32 s0, s0, 1
	v_add_u32_e32 v69, 4, v69
	s_cmp_lg_u32 s22, s0
	s_waitcnt lgkmcnt(0)
	v_cmp_lt_f32_e64 vcc, |v66|, |v70|
	s_nop 1
	v_cndmask_b32_e32 v66, v66, v70, vcc
	v_cndmask_b32_e32 v64, v64, v71, vcc
	s_cbranch_scc1 .LBB112_864
.LBB112_865:
	s_waitcnt lgkmcnt(0)
	v_cmp_eq_f32_e32 vcc, 0, v66
	s_and_saveexec_b64 s[0:1], vcc
	s_xor_b64 s[0:1], exec, s[0:1]
; %bb.866:
	v_cmp_ne_u32_e32 vcc, 0, v68
	s_nop 1
	v_cndmask_b32_e32 v68, 52, v68, vcc
; %bb.867:
	s_andn2_saveexec_b64 s[0:1], s[0:1]
	s_cbranch_execz .LBB112_869
; %bb.868:
	v_div_scale_f32 v69, s[2:3], v66, v66, 1.0
	v_rcp_f32_e32 v70, v69
	v_div_scale_f32 v71, vcc, 1.0, v66, 1.0
	v_fma_f32 v72, -v69, v70, 1.0
	v_fmac_f32_e32 v70, v72, v70
	v_mul_f32_e32 v72, v71, v70
	v_fma_f32 v73, -v69, v72, v71
	v_fmac_f32_e32 v72, v73, v70
	v_fma_f32 v69, -v69, v72, v71
	v_div_fmas_f32 v69, v69, v70, v72
	v_div_fixup_f32 v66, v69, v66, 1.0
.LBB112_869:
	s_or_b64 exec, exec, s[0:1]
	v_cmp_ne_u32_e32 vcc, v67, v64
	s_and_saveexec_b64 s[0:1], vcc
	s_xor_b64 s[0:1], exec, s[0:1]
	s_cbranch_execz .LBB112_875
; %bb.870:
	v_cmp_eq_u32_e32 vcc, 51, v67
	s_and_saveexec_b64 s[2:3], vcc
	s_cbranch_execz .LBB112_874
; %bb.871:
	v_cmp_ne_u32_e32 vcc, 51, v64
	s_xor_b64 s[12:13], s[20:21], -1
	s_and_b64 s[14:15], s[12:13], vcc
	s_and_saveexec_b64 s[12:13], s[14:15]
	s_cbranch_execz .LBB112_873
; %bb.872:
	v_ashrrev_i32_e32 v65, 31, v64
	v_lshl_add_u64 v[70:71], v[64:65], 2, v[4:5]
	global_load_dword v65, v[70:71], off
	global_load_dword v67, v[4:5], off offset:204
	s_waitcnt vmcnt(1)
	global_store_dword v[4:5], v65, off offset:204
	s_waitcnt vmcnt(1)
	global_store_dword v[70:71], v67, off
.LBB112_873:
	s_or_b64 exec, exec, s[12:13]
	v_mov_b32_e32 v65, v64
	v_mov_b32_e32 v67, v64
.LBB112_874:
	s_or_b64 exec, exec, s[2:3]
.LBB112_875:
	s_andn2_saveexec_b64 s[0:1], s[0:1]
	s_cbranch_execz .LBB112_877
; %bb.876:
	v_pk_mov_b32 v[70:71], v[12:13], v[0:1] op_sel:[1,0]
	ds_write2_b32 v63, v70, v71 offset0:52 offset1:53
	v_pk_mov_b32 v[70:71], v[0:1], v[10:11] op_sel:[1,0]
	v_mov_b32_e32 v67, 51
	ds_write2_b32 v63, v70, v71 offset0:54 offset1:55
	ds_write_b32 v63, v11 offset:224
.LBB112_877:
	s_or_b64 exec, exec, s[0:1]
	v_cmp_lt_i32_e32 vcc, 51, v67
	s_waitcnt lgkmcnt(0)
	s_barrier
	s_and_saveexec_b64 s[0:1], vcc
	s_cbranch_execz .LBB112_879
; %bb.878:
	ds_read_b32 v64, v63 offset:208
	ds_read2_b32 v[70:71], v63 offset0:53 offset1:54
	ds_read2_b32 v[72:73], v63 offset0:55 offset1:56
	v_mul_f32_e32 v12, v66, v12
	s_waitcnt lgkmcnt(2)
	v_fma_f32 v13, -v12, v64, v13
	s_waitcnt lgkmcnt(1)
	v_pk_fma_f32 v[0:1], v[12:13], v[70:71], v[0:1] op_sel_hi:[0,1,1] neg_lo:[1,0,0] neg_hi:[1,0,0]
	s_waitcnt lgkmcnt(0)
	v_pk_fma_f32 v[10:11], v[12:13], v[72:73], v[10:11] op_sel_hi:[0,1,1] neg_lo:[1,0,0] neg_hi:[1,0,0]
.LBB112_879:
	s_or_b64 exec, exec, s[0:1]
	v_lshl_add_u32 v64, v67, 2, v63
	s_barrier
	ds_write_b32 v64, v13
	s_waitcnt lgkmcnt(0)
	s_barrier
	ds_read_b32 v66, v63 offset:208
	s_cmp_lt_i32 s22, 54
	v_mov_b32_e32 v64, 52
	s_cbranch_scc1 .LBB112_882
; %bb.880:
	v_add_u32_e32 v69, 0xd4, v63
	v_mov_b32_e32 v64, 52
	s_mov_b32 s0, 53
.LBB112_881:                            ; =>This Inner Loop Header: Depth=1
	ds_read_b32 v70, v69
	v_mov_b32_e32 v71, s0
	s_add_i32 s0, s0, 1
	v_add_u32_e32 v69, 4, v69
	s_cmp_lg_u32 s22, s0
	s_waitcnt lgkmcnt(0)
	v_cmp_lt_f32_e64 vcc, |v66|, |v70|
	s_nop 1
	v_cndmask_b32_e32 v66, v66, v70, vcc
	v_cndmask_b32_e32 v64, v64, v71, vcc
	s_cbranch_scc1 .LBB112_881
.LBB112_882:
	s_waitcnt lgkmcnt(0)
	v_cmp_eq_f32_e32 vcc, 0, v66
	s_and_saveexec_b64 s[0:1], vcc
	s_xor_b64 s[0:1], exec, s[0:1]
; %bb.883:
	v_cmp_ne_u32_e32 vcc, 0, v68
	s_nop 1
	v_cndmask_b32_e32 v68, 53, v68, vcc
; %bb.884:
	s_andn2_saveexec_b64 s[0:1], s[0:1]
	s_cbranch_execz .LBB112_886
; %bb.885:
	v_div_scale_f32 v69, s[2:3], v66, v66, 1.0
	v_rcp_f32_e32 v70, v69
	v_div_scale_f32 v71, vcc, 1.0, v66, 1.0
	v_fma_f32 v72, -v69, v70, 1.0
	v_fmac_f32_e32 v70, v72, v70
	v_mul_f32_e32 v72, v71, v70
	v_fma_f32 v73, -v69, v72, v71
	v_fmac_f32_e32 v72, v73, v70
	v_fma_f32 v69, -v69, v72, v71
	v_div_fmas_f32 v69, v69, v70, v72
	v_div_fixup_f32 v66, v69, v66, 1.0
.LBB112_886:
	s_or_b64 exec, exec, s[0:1]
	v_cmp_ne_u32_e32 vcc, v67, v64
	s_and_saveexec_b64 s[0:1], vcc
	s_xor_b64 s[0:1], exec, s[0:1]
	s_cbranch_execz .LBB112_892
; %bb.887:
	v_cmp_eq_u32_e32 vcc, 52, v67
	s_and_saveexec_b64 s[2:3], vcc
	s_cbranch_execz .LBB112_891
; %bb.888:
	v_cmp_ne_u32_e32 vcc, 52, v64
	s_xor_b64 s[12:13], s[20:21], -1
	s_and_b64 s[14:15], s[12:13], vcc
	s_and_saveexec_b64 s[12:13], s[14:15]
	s_cbranch_execz .LBB112_890
; %bb.889:
	v_ashrrev_i32_e32 v65, 31, v64
	v_lshl_add_u64 v[70:71], v[64:65], 2, v[4:5]
	global_load_dword v65, v[70:71], off
	global_load_dword v67, v[4:5], off offset:208
	s_waitcnt vmcnt(1)
	global_store_dword v[4:5], v65, off offset:208
	s_waitcnt vmcnt(1)
	global_store_dword v[70:71], v67, off
.LBB112_890:
	s_or_b64 exec, exec, s[12:13]
	v_mov_b32_e32 v65, v64
	v_mov_b32_e32 v67, v64
.LBB112_891:
	s_or_b64 exec, exec, s[2:3]
.LBB112_892:
	s_andn2_saveexec_b64 s[0:1], s[0:1]
	s_cbranch_execz .LBB112_894
; %bb.893:
	v_mov_b32_e32 v67, 52
	ds_write2_b32 v63, v0, v1 offset0:53 offset1:54
	ds_write2_b32 v63, v10, v11 offset0:55 offset1:56
.LBB112_894:
	s_or_b64 exec, exec, s[0:1]
	v_cmp_lt_i32_e32 vcc, 52, v67
	s_waitcnt lgkmcnt(0)
	s_barrier
	s_and_saveexec_b64 s[0:1], vcc
	s_cbranch_execz .LBB112_896
; %bb.895:
	ds_read2_b32 v[70:71], v63 offset0:53 offset1:54
	ds_read2_b32 v[72:73], v63 offset0:55 offset1:56
	v_mul_f32_e32 v64, v66, v13
	v_mov_b32_e32 v13, v64
	s_waitcnt lgkmcnt(1)
	v_pk_fma_f32 v[0:1], v[64:65], v[70:71], v[0:1] op_sel_hi:[0,1,1] neg_lo:[1,0,0] neg_hi:[1,0,0]
	s_waitcnt lgkmcnt(0)
	v_pk_fma_f32 v[10:11], v[64:65], v[72:73], v[10:11] op_sel_hi:[0,1,1] neg_lo:[1,0,0] neg_hi:[1,0,0]
.LBB112_896:
	s_or_b64 exec, exec, s[0:1]
	v_lshl_add_u32 v64, v67, 2, v63
	s_barrier
	ds_write_b32 v64, v0
	s_waitcnt lgkmcnt(0)
	s_barrier
	ds_read_b32 v66, v63 offset:212
	s_cmp_lt_i32 s22, 55
	v_mov_b32_e32 v64, 53
	s_cbranch_scc1 .LBB112_899
; %bb.897:
	v_add_u32_e32 v69, 0xd8, v63
	v_mov_b32_e32 v64, 53
	s_mov_b32 s0, 54
.LBB112_898:                            ; =>This Inner Loop Header: Depth=1
	ds_read_b32 v70, v69
	v_mov_b32_e32 v71, s0
	s_add_i32 s0, s0, 1
	v_add_u32_e32 v69, 4, v69
	s_cmp_lg_u32 s22, s0
	s_waitcnt lgkmcnt(0)
	v_cmp_lt_f32_e64 vcc, |v66|, |v70|
	s_nop 1
	v_cndmask_b32_e32 v66, v66, v70, vcc
	v_cndmask_b32_e32 v64, v64, v71, vcc
	s_cbranch_scc1 .LBB112_898
.LBB112_899:
	s_waitcnt lgkmcnt(0)
	v_cmp_eq_f32_e32 vcc, 0, v66
	s_and_saveexec_b64 s[0:1], vcc
	s_xor_b64 s[0:1], exec, s[0:1]
; %bb.900:
	v_cmp_ne_u32_e32 vcc, 0, v68
	s_nop 1
	v_cndmask_b32_e32 v68, 54, v68, vcc
; %bb.901:
	s_andn2_saveexec_b64 s[0:1], s[0:1]
	s_cbranch_execz .LBB112_903
; %bb.902:
	v_div_scale_f32 v69, s[2:3], v66, v66, 1.0
	v_rcp_f32_e32 v70, v69
	v_div_scale_f32 v71, vcc, 1.0, v66, 1.0
	v_fma_f32 v72, -v69, v70, 1.0
	v_fmac_f32_e32 v70, v72, v70
	v_mul_f32_e32 v72, v71, v70
	v_fma_f32 v73, -v69, v72, v71
	v_fmac_f32_e32 v72, v73, v70
	v_fma_f32 v69, -v69, v72, v71
	v_div_fmas_f32 v69, v69, v70, v72
	v_div_fixup_f32 v66, v69, v66, 1.0
.LBB112_903:
	s_or_b64 exec, exec, s[0:1]
	v_cmp_ne_u32_e32 vcc, v67, v64
	s_and_saveexec_b64 s[0:1], vcc
	s_xor_b64 s[0:1], exec, s[0:1]
	s_cbranch_execz .LBB112_909
; %bb.904:
	v_cmp_eq_u32_e32 vcc, 53, v67
	s_and_saveexec_b64 s[2:3], vcc
	s_cbranch_execz .LBB112_908
; %bb.905:
	v_cmp_ne_u32_e32 vcc, 53, v64
	s_xor_b64 s[12:13], s[20:21], -1
	s_and_b64 s[14:15], s[12:13], vcc
	s_and_saveexec_b64 s[12:13], s[14:15]
	s_cbranch_execz .LBB112_907
; %bb.906:
	v_ashrrev_i32_e32 v65, 31, v64
	v_lshl_add_u64 v[70:71], v[64:65], 2, v[4:5]
	global_load_dword v65, v[70:71], off
	global_load_dword v67, v[4:5], off offset:212
	s_waitcnt vmcnt(1)
	global_store_dword v[4:5], v65, off offset:212
	s_waitcnt vmcnt(1)
	global_store_dword v[70:71], v67, off
.LBB112_907:
	s_or_b64 exec, exec, s[12:13]
	v_mov_b32_e32 v65, v64
	v_mov_b32_e32 v67, v64
.LBB112_908:
	s_or_b64 exec, exec, s[2:3]
.LBB112_909:
	s_andn2_saveexec_b64 s[0:1], s[0:1]
	s_cbranch_execz .LBB112_911
; %bb.910:
	v_pk_mov_b32 v[70:71], v[0:1], v[10:11] op_sel:[1,0]
	v_mov_b32_e32 v67, 53
	ds_write2_b32 v63, v70, v71 offset0:54 offset1:55
	ds_write_b32 v63, v11 offset:224
.LBB112_911:
	s_or_b64 exec, exec, s[0:1]
	v_cmp_lt_i32_e32 vcc, 53, v67
	s_waitcnt lgkmcnt(0)
	s_barrier
	s_and_saveexec_b64 s[0:1], vcc
	s_cbranch_execz .LBB112_913
; %bb.912:
	ds_read_b32 v64, v63 offset:216
	ds_read2_b32 v[70:71], v63 offset0:55 offset1:56
	v_mul_f32_e32 v0, v66, v0
	s_waitcnt lgkmcnt(1)
	v_fma_f32 v1, -v0, v64, v1
	s_waitcnt lgkmcnt(0)
	v_pk_fma_f32 v[10:11], v[0:1], v[70:71], v[10:11] op_sel_hi:[0,1,1] neg_lo:[1,0,0] neg_hi:[1,0,0]
.LBB112_913:
	s_or_b64 exec, exec, s[0:1]
	v_lshl_add_u32 v64, v67, 2, v63
	s_barrier
	ds_write_b32 v64, v1
	s_waitcnt lgkmcnt(0)
	s_barrier
	ds_read_b32 v66, v63 offset:216
	s_cmp_lt_i32 s22, 56
	v_mov_b32_e32 v64, 54
	s_cbranch_scc1 .LBB112_916
; %bb.914:
	v_add_u32_e32 v69, 0xdc, v63
	v_mov_b32_e32 v64, 54
	s_mov_b32 s0, 55
.LBB112_915:                            ; =>This Inner Loop Header: Depth=1
	ds_read_b32 v70, v69
	v_mov_b32_e32 v71, s0
	s_add_i32 s0, s0, 1
	v_add_u32_e32 v69, 4, v69
	s_cmp_lg_u32 s22, s0
	s_waitcnt lgkmcnt(0)
	v_cmp_lt_f32_e64 vcc, |v66|, |v70|
	s_nop 1
	v_cndmask_b32_e32 v66, v66, v70, vcc
	v_cndmask_b32_e32 v64, v64, v71, vcc
	s_cbranch_scc1 .LBB112_915
.LBB112_916:
	s_waitcnt lgkmcnt(0)
	v_cmp_eq_f32_e32 vcc, 0, v66
	s_and_saveexec_b64 s[0:1], vcc
	s_xor_b64 s[0:1], exec, s[0:1]
; %bb.917:
	v_cmp_ne_u32_e32 vcc, 0, v68
	s_nop 1
	v_cndmask_b32_e32 v68, 55, v68, vcc
; %bb.918:
	s_andn2_saveexec_b64 s[0:1], s[0:1]
	s_cbranch_execz .LBB112_920
; %bb.919:
	v_div_scale_f32 v69, s[2:3], v66, v66, 1.0
	v_rcp_f32_e32 v70, v69
	v_div_scale_f32 v71, vcc, 1.0, v66, 1.0
	v_fma_f32 v72, -v69, v70, 1.0
	v_fmac_f32_e32 v70, v72, v70
	v_mul_f32_e32 v72, v71, v70
	v_fma_f32 v73, -v69, v72, v71
	v_fmac_f32_e32 v72, v73, v70
	v_fma_f32 v69, -v69, v72, v71
	v_div_fmas_f32 v69, v69, v70, v72
	v_div_fixup_f32 v66, v69, v66, 1.0
.LBB112_920:
	s_or_b64 exec, exec, s[0:1]
	v_cmp_ne_u32_e32 vcc, v67, v64
	s_and_saveexec_b64 s[0:1], vcc
	s_xor_b64 s[0:1], exec, s[0:1]
	s_cbranch_execz .LBB112_926
; %bb.921:
	v_cmp_eq_u32_e32 vcc, 54, v67
	s_and_saveexec_b64 s[2:3], vcc
	s_cbranch_execz .LBB112_925
; %bb.922:
	v_cmp_ne_u32_e32 vcc, 54, v64
	s_xor_b64 s[12:13], s[20:21], -1
	s_and_b64 s[14:15], s[12:13], vcc
	s_and_saveexec_b64 s[12:13], s[14:15]
	s_cbranch_execz .LBB112_924
; %bb.923:
	v_ashrrev_i32_e32 v65, 31, v64
	v_lshl_add_u64 v[70:71], v[64:65], 2, v[4:5]
	global_load_dword v65, v[70:71], off
	global_load_dword v67, v[4:5], off offset:216
	s_waitcnt vmcnt(1)
	global_store_dword v[4:5], v65, off offset:216
	s_waitcnt vmcnt(1)
	global_store_dword v[70:71], v67, off
.LBB112_924:
	s_or_b64 exec, exec, s[12:13]
	v_mov_b32_e32 v65, v64
	v_mov_b32_e32 v67, v64
.LBB112_925:
	s_or_b64 exec, exec, s[2:3]
.LBB112_926:
	s_andn2_saveexec_b64 s[0:1], s[0:1]
; %bb.927:
	v_mov_b32_e32 v67, 54
	ds_write2_b32 v63, v10, v11 offset0:55 offset1:56
; %bb.928:
	s_or_b64 exec, exec, s[0:1]
	v_cmp_lt_i32_e32 vcc, 54, v67
	s_waitcnt lgkmcnt(0)
	s_barrier
	s_and_saveexec_b64 s[0:1], vcc
	s_cbranch_execz .LBB112_930
; %bb.929:
	ds_read2_b32 v[70:71], v63 offset0:55 offset1:56
	v_mul_f32_e32 v64, v66, v1
	v_mov_b32_e32 v1, v64
	s_waitcnt lgkmcnt(0)
	v_pk_fma_f32 v[10:11], v[64:65], v[70:71], v[10:11] op_sel_hi:[0,1,1] neg_lo:[1,0,0] neg_hi:[1,0,0]
.LBB112_930:
	s_or_b64 exec, exec, s[0:1]
	v_lshl_add_u32 v64, v67, 2, v63
	s_barrier
	ds_write_b32 v64, v10
	s_waitcnt lgkmcnt(0)
	s_barrier
	ds_read_b32 v66, v63 offset:220
	s_cmp_lt_i32 s22, 57
	v_mov_b32_e32 v64, 55
	s_cbranch_scc1 .LBB112_933
; %bb.931:
	v_add_u32_e32 v69, 0xe0, v63
	v_mov_b32_e32 v64, 55
	s_mov_b32 s0, 56
.LBB112_932:                            ; =>This Inner Loop Header: Depth=1
	ds_read_b32 v70, v69
	v_mov_b32_e32 v71, s0
	s_add_i32 s0, s0, 1
	v_add_u32_e32 v69, 4, v69
	s_cmp_lg_u32 s22, s0
	s_waitcnt lgkmcnt(0)
	v_cmp_lt_f32_e64 vcc, |v66|, |v70|
	s_nop 1
	v_cndmask_b32_e32 v66, v66, v70, vcc
	v_cndmask_b32_e32 v64, v64, v71, vcc
	s_cbranch_scc1 .LBB112_932
.LBB112_933:
	s_waitcnt lgkmcnt(0)
	v_cmp_eq_f32_e32 vcc, 0, v66
	s_and_saveexec_b64 s[0:1], vcc
	s_xor_b64 s[0:1], exec, s[0:1]
; %bb.934:
	v_cmp_ne_u32_e32 vcc, 0, v68
	s_nop 1
	v_cndmask_b32_e32 v68, 56, v68, vcc
; %bb.935:
	s_andn2_saveexec_b64 s[0:1], s[0:1]
	s_cbranch_execz .LBB112_937
; %bb.936:
	v_div_scale_f32 v69, s[2:3], v66, v66, 1.0
	v_rcp_f32_e32 v70, v69
	v_div_scale_f32 v71, vcc, 1.0, v66, 1.0
	v_fma_f32 v72, -v69, v70, 1.0
	v_fmac_f32_e32 v70, v72, v70
	v_mul_f32_e32 v72, v71, v70
	v_fma_f32 v73, -v69, v72, v71
	v_fmac_f32_e32 v72, v73, v70
	v_fma_f32 v69, -v69, v72, v71
	v_div_fmas_f32 v69, v69, v70, v72
	v_div_fixup_f32 v66, v69, v66, 1.0
.LBB112_937:
	s_or_b64 exec, exec, s[0:1]
	v_cmp_ne_u32_e32 vcc, v67, v64
	s_and_saveexec_b64 s[0:1], vcc
	s_xor_b64 s[0:1], exec, s[0:1]
	s_cbranch_execz .LBB112_943
; %bb.938:
	v_cmp_eq_u32_e32 vcc, 55, v67
	s_and_saveexec_b64 s[2:3], vcc
	s_cbranch_execz .LBB112_942
; %bb.939:
	v_cmp_ne_u32_e32 vcc, 55, v64
	s_xor_b64 s[12:13], s[20:21], -1
	s_and_b64 s[14:15], s[12:13], vcc
	s_and_saveexec_b64 s[12:13], s[14:15]
	s_cbranch_execz .LBB112_941
; %bb.940:
	v_ashrrev_i32_e32 v65, 31, v64
	v_lshl_add_u64 v[70:71], v[64:65], 2, v[4:5]
	global_load_dword v65, v[70:71], off
	global_load_dword v67, v[4:5], off offset:220
	s_waitcnt vmcnt(1)
	global_store_dword v[4:5], v65, off offset:220
	s_waitcnt vmcnt(1)
	global_store_dword v[70:71], v67, off
.LBB112_941:
	s_or_b64 exec, exec, s[12:13]
	v_mov_b32_e32 v65, v64
	v_mov_b32_e32 v67, v64
.LBB112_942:
	s_or_b64 exec, exec, s[2:3]
.LBB112_943:
	s_andn2_saveexec_b64 s[0:1], s[0:1]
; %bb.944:
	v_mov_b32_e32 v67, 55
	ds_write_b32 v63, v11 offset:224
; %bb.945:
	s_or_b64 exec, exec, s[0:1]
	v_cmp_lt_i32_e32 vcc, 55, v67
	s_waitcnt lgkmcnt(0)
	s_barrier
	s_and_saveexec_b64 s[0:1], vcc
	s_cbranch_execz .LBB112_947
; %bb.946:
	ds_read_b32 v64, v63 offset:224
	v_mul_f32_e32 v10, v66, v10
	s_waitcnt lgkmcnt(0)
	v_fma_f32 v11, -v10, v64, v11
.LBB112_947:
	s_or_b64 exec, exec, s[0:1]
	v_lshl_add_u32 v64, v67, 2, v63
	s_barrier
	ds_write_b32 v64, v11
	s_waitcnt lgkmcnt(0)
	s_barrier
	ds_read_b32 v69, v63 offset:224
	s_cmp_lt_i32 s22, 58
	v_mov_b32_e32 v64, 56
	s_cbranch_scc1 .LBB112_950
; %bb.948:
	v_add_u32_e32 v63, 0xe4, v63
	v_mov_b32_e32 v64, 56
	s_mov_b32 s0, 57
.LBB112_949:                            ; =>This Inner Loop Header: Depth=1
	ds_read_b32 v66, v63
	v_mov_b32_e32 v70, s0
	s_add_i32 s0, s0, 1
	v_add_u32_e32 v63, 4, v63
	s_cmp_lg_u32 s22, s0
	s_waitcnt lgkmcnt(0)
	v_cmp_lt_f32_e64 vcc, |v69|, |v66|
	s_nop 1
	v_cndmask_b32_e32 v69, v69, v66, vcc
	v_cndmask_b32_e32 v64, v64, v70, vcc
	s_cbranch_scc1 .LBB112_949
.LBB112_950:
	s_waitcnt lgkmcnt(0)
	v_cmp_eq_f32_e32 vcc, 0, v69
	s_and_saveexec_b64 s[0:1], vcc
	s_xor_b64 s[0:1], exec, s[0:1]
; %bb.951:
	v_cmp_ne_u32_e32 vcc, 0, v68
	s_nop 1
	v_cndmask_b32_e32 v68, 57, v68, vcc
; %bb.952:
	s_andn2_saveexec_b64 s[0:1], s[0:1]
	s_cbranch_execz .LBB112_954
; %bb.953:
	v_div_scale_f32 v63, s[2:3], v69, v69, 1.0
	v_rcp_f32_e32 v66, v63
	v_div_scale_f32 v70, vcc, 1.0, v69, 1.0
	v_fma_f32 v71, -v63, v66, 1.0
	v_fmac_f32_e32 v66, v71, v66
	v_mul_f32_e32 v71, v70, v66
	v_fma_f32 v72, -v63, v71, v70
	v_fmac_f32_e32 v71, v72, v66
	v_fma_f32 v63, -v63, v71, v70
	v_div_fmas_f32 v63, v63, v66, v71
	v_div_fixup_f32 v69, v63, v69, 1.0
.LBB112_954:
	s_or_b64 exec, exec, s[0:1]
	v_cmp_ne_u32_e32 vcc, v67, v64
	v_mov_b32_e32 v66, 56
	s_and_saveexec_b64 s[0:1], vcc
	s_cbranch_execz .LBB112_960
; %bb.955:
	v_cmp_eq_u32_e32 vcc, 56, v67
	s_and_saveexec_b64 s[2:3], vcc
	s_cbranch_execz .LBB112_959
; %bb.956:
	v_cmp_ne_u32_e32 vcc, 56, v64
	s_xor_b64 s[12:13], s[20:21], -1
	s_and_b64 s[14:15], s[12:13], vcc
	s_and_saveexec_b64 s[12:13], s[14:15]
	s_cbranch_execz .LBB112_958
; %bb.957:
	v_ashrrev_i32_e32 v65, 31, v64
	v_lshl_add_u64 v[66:67], v[64:65], 2, v[4:5]
	global_load_dword v63, v[66:67], off
	global_load_dword v65, v[4:5], off offset:224
	s_waitcnt vmcnt(1)
	global_store_dword v[4:5], v63, off offset:224
	s_waitcnt vmcnt(1)
	global_store_dword v[66:67], v65, off
.LBB112_958:
	s_or_b64 exec, exec, s[12:13]
	v_mov_b32_e32 v65, v64
	v_mov_b32_e32 v67, v64
.LBB112_959:
	s_or_b64 exec, exec, s[2:3]
	v_mov_b32_e32 v66, v67
.LBB112_960:
	s_or_b64 exec, exec, s[0:1]
	v_cmp_gt_i32_e32 vcc, 57, v66
	v_ashrrev_i32_e32 v67, 31, v66
	s_barrier
	s_barrier
	s_and_saveexec_b64 s[0:1], vcc
	s_cbranch_execz .LBB112_962
; %bb.961:
	v_mul_lo_u32 v63, s11, v2
	v_mul_lo_u32 v64, s10, v3
	v_mad_u64_u32 v[70:71], s[2:3], s10, v2, 0
	v_mov_b32_e32 v4, s6
	v_mov_b32_e32 v5, s7
	v_add3_u32 v71, v71, v64, v63
	v_lshl_add_u64 v[4:5], v[70:71], 2, v[4:5]
	v_lshl_add_u64 v[4:5], s[8:9], 2, v[4:5]
	;; [unrolled: 1-line block ×3, first 2 shown]
	v_add3_u32 v63, v65, s19, 1
	global_store_dword v[4:5], v63, off
.LBB112_962:
	s_or_b64 exec, exec, s[0:1]
	v_cmp_eq_u32_e32 vcc, 0, v66
	s_and_saveexec_b64 s[2:3], vcc
	s_cbranch_execz .LBB112_965
; %bb.963:
	v_mov_b32_e32 v4, s4
	v_mov_b32_e32 v5, s5
	v_lshl_add_u64 v[2:3], v[2:3], 2, v[4:5]
	global_load_dword v4, v[2:3], off
	v_cmp_ne_u32_e64 s[0:1], 0, v68
	s_waitcnt vmcnt(0)
	v_cmp_eq_u32_e32 vcc, 0, v4
	s_and_b64 s[0:1], vcc, s[0:1]
	s_and_b64 exec, exec, s[0:1]
	s_cbranch_execz .LBB112_965
; %bb.964:
	v_add_u32_e32 v4, s19, v68
	global_store_dword v[2:3], v4, off
.LBB112_965:
	s_or_b64 exec, exec, s[2:3]
	v_mul_f32_e32 v2, v69, v11
	v_cmp_lt_i32_e32 vcc, 56, v66
	s_nop 1
	v_cndmask_b32_e32 v11, v11, v2, vcc
	v_lshl_add_u64 v[2:3], v[66:67], 2, v[6:7]
	global_store_dword v[2:3], v62, off
	v_lshl_add_u64 v[2:3], s[16:17], 2, v[2:3]
	global_store_dword v[2:3], v50, off
	v_add_u32_e32 v2, s18, v66
	v_ashrrev_i32_e32 v3, 31, v2
	v_lshl_add_u64 v[4:5], v[2:3], 2, v[6:7]
	v_add_u32_e32 v2, s16, v2
	v_ashrrev_i32_e32 v3, 31, v2
	global_store_dword v[4:5], v51, off
	v_lshl_add_u64 v[4:5], v[2:3], 2, v[6:7]
	v_add_u32_e32 v2, s16, v2
	v_ashrrev_i32_e32 v3, 31, v2
	global_store_dword v[4:5], v48, off
	;; [unrolled: 4-line block ×52, first 2 shown]
	v_lshl_add_u64 v[4:5], v[2:3], 2, v[6:7]
	v_add_u32_e32 v0, s16, v2
	global_store_dword v[4:5], v1, off
	v_ashrrev_i32_e32 v1, 31, v0
	v_lshl_add_u64 v[2:3], v[0:1], 2, v[6:7]
	v_add_u32_e32 v0, s16, v0
	v_ashrrev_i32_e32 v1, 31, v0
	v_lshl_add_u64 v[0:1], v[0:1], 2, v[6:7]
	global_store_dword v[2:3], v10, off
	global_store_dword v[0:1], v11, off
.LBB112_966:
	s_endpgm
	.section	.rodata,"a",@progbits
	.p2align	6, 0x0
	.amdhsa_kernel _ZN9rocsolver6v33100L18getf2_small_kernelILi57EfiiPfEEvT1_T3_lS3_lPS3_llPT2_S3_S3_S5_l
		.amdhsa_group_segment_fixed_size 0
		.amdhsa_private_segment_fixed_size 0
		.amdhsa_kernarg_size 352
		.amdhsa_user_sgpr_count 2
		.amdhsa_user_sgpr_dispatch_ptr 0
		.amdhsa_user_sgpr_queue_ptr 0
		.amdhsa_user_sgpr_kernarg_segment_ptr 1
		.amdhsa_user_sgpr_dispatch_id 0
		.amdhsa_user_sgpr_kernarg_preload_length 0
		.amdhsa_user_sgpr_kernarg_preload_offset 0
		.amdhsa_user_sgpr_private_segment_size 0
		.amdhsa_uses_dynamic_stack 0
		.amdhsa_enable_private_segment 0
		.amdhsa_system_sgpr_workgroup_id_x 1
		.amdhsa_system_sgpr_workgroup_id_y 1
		.amdhsa_system_sgpr_workgroup_id_z 0
		.amdhsa_system_sgpr_workgroup_info 0
		.amdhsa_system_vgpr_workitem_id 1
		.amdhsa_next_free_vgpr 88
		.amdhsa_next_free_sgpr 26
		.amdhsa_accum_offset 88
		.amdhsa_reserve_vcc 1
		.amdhsa_float_round_mode_32 0
		.amdhsa_float_round_mode_16_64 0
		.amdhsa_float_denorm_mode_32 3
		.amdhsa_float_denorm_mode_16_64 3
		.amdhsa_dx10_clamp 1
		.amdhsa_ieee_mode 1
		.amdhsa_fp16_overflow 0
		.amdhsa_tg_split 0
		.amdhsa_exception_fp_ieee_invalid_op 0
		.amdhsa_exception_fp_denorm_src 0
		.amdhsa_exception_fp_ieee_div_zero 0
		.amdhsa_exception_fp_ieee_overflow 0
		.amdhsa_exception_fp_ieee_underflow 0
		.amdhsa_exception_fp_ieee_inexact 0
		.amdhsa_exception_int_div_zero 0
	.end_amdhsa_kernel
	.section	.text._ZN9rocsolver6v33100L18getf2_small_kernelILi57EfiiPfEEvT1_T3_lS3_lPS3_llPT2_S3_S3_S5_l,"axG",@progbits,_ZN9rocsolver6v33100L18getf2_small_kernelILi57EfiiPfEEvT1_T3_lS3_lPS3_llPT2_S3_S3_S5_l,comdat
.Lfunc_end112:
	.size	_ZN9rocsolver6v33100L18getf2_small_kernelILi57EfiiPfEEvT1_T3_lS3_lPS3_llPT2_S3_S3_S5_l, .Lfunc_end112-_ZN9rocsolver6v33100L18getf2_small_kernelILi57EfiiPfEEvT1_T3_lS3_lPS3_llPT2_S3_S3_S5_l
                                        ; -- End function
	.set _ZN9rocsolver6v33100L18getf2_small_kernelILi57EfiiPfEEvT1_T3_lS3_lPS3_llPT2_S3_S3_S5_l.num_vgpr, 88
	.set _ZN9rocsolver6v33100L18getf2_small_kernelILi57EfiiPfEEvT1_T3_lS3_lPS3_llPT2_S3_S3_S5_l.num_agpr, 0
	.set _ZN9rocsolver6v33100L18getf2_small_kernelILi57EfiiPfEEvT1_T3_lS3_lPS3_llPT2_S3_S3_S5_l.numbered_sgpr, 26
	.set _ZN9rocsolver6v33100L18getf2_small_kernelILi57EfiiPfEEvT1_T3_lS3_lPS3_llPT2_S3_S3_S5_l.num_named_barrier, 0
	.set _ZN9rocsolver6v33100L18getf2_small_kernelILi57EfiiPfEEvT1_T3_lS3_lPS3_llPT2_S3_S3_S5_l.private_seg_size, 0
	.set _ZN9rocsolver6v33100L18getf2_small_kernelILi57EfiiPfEEvT1_T3_lS3_lPS3_llPT2_S3_S3_S5_l.uses_vcc, 1
	.set _ZN9rocsolver6v33100L18getf2_small_kernelILi57EfiiPfEEvT1_T3_lS3_lPS3_llPT2_S3_S3_S5_l.uses_flat_scratch, 0
	.set _ZN9rocsolver6v33100L18getf2_small_kernelILi57EfiiPfEEvT1_T3_lS3_lPS3_llPT2_S3_S3_S5_l.has_dyn_sized_stack, 0
	.set _ZN9rocsolver6v33100L18getf2_small_kernelILi57EfiiPfEEvT1_T3_lS3_lPS3_llPT2_S3_S3_S5_l.has_recursion, 0
	.set _ZN9rocsolver6v33100L18getf2_small_kernelILi57EfiiPfEEvT1_T3_lS3_lPS3_llPT2_S3_S3_S5_l.has_indirect_call, 0
	.section	.AMDGPU.csdata,"",@progbits
; Kernel info:
; codeLenInByte = 51144
; TotalNumSgprs: 32
; NumVgprs: 88
; NumAgprs: 0
; TotalNumVgprs: 88
; ScratchSize: 0
; MemoryBound: 0
; FloatMode: 240
; IeeeMode: 1
; LDSByteSize: 0 bytes/workgroup (compile time only)
; SGPRBlocks: 3
; VGPRBlocks: 10
; NumSGPRsForWavesPerEU: 32
; NumVGPRsForWavesPerEU: 88
; AccumOffset: 88
; Occupancy: 5
; WaveLimiterHint : 0
; COMPUTE_PGM_RSRC2:SCRATCH_EN: 0
; COMPUTE_PGM_RSRC2:USER_SGPR: 2
; COMPUTE_PGM_RSRC2:TRAP_HANDLER: 0
; COMPUTE_PGM_RSRC2:TGID_X_EN: 1
; COMPUTE_PGM_RSRC2:TGID_Y_EN: 1
; COMPUTE_PGM_RSRC2:TGID_Z_EN: 0
; COMPUTE_PGM_RSRC2:TIDIG_COMP_CNT: 1
; COMPUTE_PGM_RSRC3_GFX90A:ACCUM_OFFSET: 21
; COMPUTE_PGM_RSRC3_GFX90A:TG_SPLIT: 0
	.section	.text._ZN9rocsolver6v33100L23getf2_npvt_small_kernelILi57EfiiPfEEvT1_T3_lS3_lPT2_S3_S3_,"axG",@progbits,_ZN9rocsolver6v33100L23getf2_npvt_small_kernelILi57EfiiPfEEvT1_T3_lS3_lPT2_S3_S3_,comdat
	.globl	_ZN9rocsolver6v33100L23getf2_npvt_small_kernelILi57EfiiPfEEvT1_T3_lS3_lPT2_S3_S3_ ; -- Begin function _ZN9rocsolver6v33100L23getf2_npvt_small_kernelILi57EfiiPfEEvT1_T3_lS3_lPT2_S3_S3_
	.p2align	8
	.type	_ZN9rocsolver6v33100L23getf2_npvt_small_kernelILi57EfiiPfEEvT1_T3_lS3_lPT2_S3_S3_,@function
_ZN9rocsolver6v33100L23getf2_npvt_small_kernelILi57EfiiPfEEvT1_T3_lS3_lPT2_S3_S3_: ; @_ZN9rocsolver6v33100L23getf2_npvt_small_kernelILi57EfiiPfEEvT1_T3_lS3_lPT2_S3_S3_
; %bb.0:
	s_load_dword s2, s[0:1], 0x44
	s_load_dwordx2 s[8:9], s[0:1], 0x30
	v_bfe_u32 v174, v0, 10, 10
	s_waitcnt lgkmcnt(0)
	s_lshr_b32 s10, s2, 16
	s_mul_i32 s3, s3, s10
	v_add_u32_e32 v34, s3, v174
	v_cmp_gt_i32_e32 vcc, s8, v34
	s_and_saveexec_b64 s[2:3], vcc
	s_cbranch_execz .LBB113_316
; %bb.1:
	s_load_dwordx4 s[12:15], s[0:1], 0x8
	s_load_dword s2, s[0:1], 0x18
	s_load_dwordx4 s[4:7], s[0:1], 0x20
	v_and_b32_e32 v25, 0x3ff, v0
	v_ashrrev_i32_e32 v35, 31, v34
	s_waitcnt lgkmcnt(0)
	v_mov_b32_e32 v2, s12
	v_mov_b32_e32 v3, s13
	v_mad_u64_u32 v[0:1], s[0:1], s4, v34, 0
	s_add_i32 s0, s2, s2
	s_nop 0
	v_add_u32_e32 v6, s0, v25
	v_add_u32_e32 v8, s2, v6
	v_add_u32_e32 v10, s2, v8
	v_add_u32_e32 v12, s2, v10
	v_add_u32_e32 v14, s2, v12
	v_add_u32_e32 v26, s2, v14
	v_add_u32_e32 v28, s2, v26
	v_add_u32_e32 v30, s2, v28
	v_add_u32_e32 v32, s2, v30
	v_add_u32_e32 v36, s2, v32
	v_add_u32_e32 v38, s2, v36
	v_add_u32_e32 v40, s2, v38
	v_add_u32_e32 v42, s2, v40
	v_add_u32_e32 v52, s2, v42
	v_add_u32_e32 v54, s2, v52
	v_add_u32_e32 v56, s2, v54
	v_add_u32_e32 v58, s2, v56
	v_add_u32_e32 v60, s2, v58
	v_add_u32_e32 v62, s2, v60
	v_add_u32_e32 v64, s2, v62
	v_add_u32_e32 v66, s2, v64
	v_add_u32_e32 v76, s2, v66
	v_add_u32_e32 v78, s2, v76
	v_add_u32_e32 v80, s2, v78
	v_add_u32_e32 v82, s2, v80
	v_add_u32_e32 v84, s2, v82
	v_add_u32_e32 v86, s2, v84
	v_add_u32_e32 v88, s2, v86
	v_add_u32_e32 v90, s2, v88
	v_add_u32_e32 v100, s2, v90
	v_add_u32_e32 v102, s2, v100
	v_add_u32_e32 v104, s2, v102
	v_add_u32_e32 v106, s2, v104
	v_add_u32_e32 v108, s2, v106
	v_add_u32_e32 v110, s2, v108
	v_add_u32_e32 v112, s2, v110
	v_add_u32_e32 v114, s2, v112
	v_add_u32_e32 v124, s2, v114
	v_add_u32_e32 v126, s2, v124
	v_add_u32_e32 v128, s2, v126
	v_add_u32_e32 v130, s2, v128
	v_add_u32_e32 v132, s2, v130
	v_add_u32_e32 v134, s2, v132
	v_add_u32_e32 v136, s2, v134
	v_add_u32_e32 v138, s2, v136
	v_add_u32_e32 v148, s2, v138
	v_add_u32_e32 v150, s2, v148
	v_add_u32_e32 v152, s2, v150
	v_add_u32_e32 v154, s2, v152
	v_add_u32_e32 v156, s2, v154
	v_mul_lo_u32 v4, s5, v34
	v_mul_lo_u32 v5, s4, v35
	v_add_u32_e32 v158, s2, v156
	v_add3_u32 v1, v1, v5, v4
	v_add_u32_e32 v160, s2, v158
	v_lshl_add_u64 v[0:1], v[0:1], 2, v[2:3]
	v_add_u32_e32 v162, s2, v160
	v_lshl_add_u64 v[172:173], s[14:15], 2, v[0:1]
	v_lshlrev_b32_e32 v0, 2, v25
	v_mov_b32_e32 v1, 0
	v_ashrrev_i32_e32 v7, 31, v6
	v_ashrrev_i32_e32 v9, 31, v8
	;; [unrolled: 1-line block ×47, first 2 shown]
	v_add_u32_e32 v176, s2, v162
	s_ashr_i32 s3, s2, 31
	v_lshl_add_u64 v[0:1], v[172:173], 0, v[0:1]
	v_lshl_add_u64 v[4:5], v[6:7], 2, v[172:173]
	;; [unrolled: 1-line block ×48, first 2 shown]
	v_ashrrev_i32_e32 v153, 31, v152
	v_ashrrev_i32_e32 v155, 31, v154
	;; [unrolled: 1-line block ×7, first 2 shown]
	v_lshl_add_u64 v[2:3], s[2:3], 2, v[0:1]
	global_load_dword v24, v[0:1], off
	global_load_dword v18, v[2:3], off
	;; [unrolled: 1-line block ×48, first 2 shown]
	v_lshl_add_u64 v[150:151], v[152:153], 2, v[172:173]
	v_lshl_add_u64 v[152:153], v[154:155], 2, v[172:173]
	;; [unrolled: 1-line block ×7, first 2 shown]
	global_load_dword v145, v[148:149], off
	global_load_dword v164, v[150:151], off
	;; [unrolled: 1-line block ×8, first 2 shown]
	v_add_u32_e32 v176, s2, v176
	v_ashrrev_i32_e32 v177, 31, v176
	v_lshl_add_u64 v[172:173], v[176:177], 2, v[172:173]
	global_load_dword v171, v[172:173], off
	s_mulk_i32 s10, 0xe4
	v_cmp_eq_u32_e64 s[0:1], 0, v25
	v_cmp_ne_u32_e64 s[2:3], 0, v25
	s_movk_i32 s11, 0xe4
	s_add_i32 s8, s10, 0
	s_and_saveexec_b64 s[4:5], s[2:3]
	s_xor_b64 s[4:5], exec, s[4:5]
	s_or_saveexec_b64 s[4:5], s[4:5]
	v_mad_u32_u24 v175, v174, s11, 0
	v_lshl_add_u32 v174, v174, 2, s8
	s_xor_b64 exec, exec, s[4:5]
	s_cbranch_execz .LBB113_5
; %bb.2:
	s_waitcnt vmcnt(56)
	ds_write_b32 v174, v24
	s_waitcnt vmcnt(54)
	ds_write2_b32 v175, v18, v19 offset0:1 offset1:2
	s_waitcnt vmcnt(52)
	ds_write2_b32 v175, v20, v21 offset0:3 offset1:4
	;; [unrolled: 2-line block ×28, first 2 shown]
	ds_read_b32 v176, v174
	s_waitcnt lgkmcnt(0)
	v_cmp_neq_f32_e32 vcc, 0, v176
	s_and_saveexec_b64 s[10:11], vcc
	s_cbranch_execz .LBB113_4
; %bb.3:
	v_div_scale_f32 v177, s[12:13], v176, v176, 1.0
	v_rcp_f32_e32 v178, v177
	v_div_scale_f32 v179, vcc, 1.0, v176, 1.0
	v_fma_f32 v180, -v177, v178, 1.0
	v_fmac_f32_e32 v178, v180, v178
	v_mul_f32_e32 v180, v179, v178
	v_fma_f32 v181, -v177, v180, v179
	v_fmac_f32_e32 v180, v181, v178
	v_fma_f32 v177, -v177, v180, v179
	v_div_fmas_f32 v177, v177, v178, v180
	v_div_fixup_f32 v176, v177, v176, 1.0
	ds_write_b32 v174, v176
.LBB113_4:
	s_or_b64 exec, exec, s[10:11]
.LBB113_5:
	s_or_b64 exec, exec, s[4:5]
	s_waitcnt lgkmcnt(0)
	s_barrier
	ds_read_b32 v176, v174
	s_and_saveexec_b64 s[4:5], s[2:3]
	s_cbranch_execz .LBB113_7
; %bb.6:
	ds_read2_b32 v[178:179], v175 offset0:1 offset1:2
	ds_read2_b32 v[180:181], v175 offset0:3 offset1:4
	;; [unrolled: 1-line block ×3, first 2 shown]
	s_waitcnt vmcnt(56) lgkmcnt(3)
	v_mul_f32_e32 v24, v176, v24
	ds_read2_b32 v[184:185], v175 offset0:7 offset1:8
	s_waitcnt vmcnt(54) lgkmcnt(3)
	v_pk_fma_f32 v[18:19], v[24:25], v[178:179], v[18:19] op_sel_hi:[0,1,1] neg_lo:[1,0,0] neg_hi:[1,0,0]
	s_waitcnt vmcnt(52) lgkmcnt(2)
	v_pk_fma_f32 v[20:21], v[24:25], v[180:181], v[20:21] op_sel_hi:[0,1,1] neg_lo:[1,0,0] neg_hi:[1,0,0]
	s_waitcnt vmcnt(50) lgkmcnt(1)
	v_pk_fma_f32 v[22:23], v[24:25], v[182:183], v[22:23] op_sel_hi:[0,1,1] neg_lo:[1,0,0] neg_hi:[1,0,0]
	ds_read2_b32 v[178:179], v175 offset0:9 offset1:10
	ds_read2_b32 v[180:181], v175 offset0:11 offset1:12
	ds_read2_b32 v[182:183], v175 offset0:13 offset1:14
	s_waitcnt vmcnt(48) lgkmcnt(3)
	v_pk_fma_f32 v[16:17], v[24:25], v[184:185], v[16:17] op_sel_hi:[0,1,1] neg_lo:[1,0,0] neg_hi:[1,0,0]
	ds_read2_b32 v[184:185], v175 offset0:15 offset1:16
	s_waitcnt vmcnt(46) lgkmcnt(3)
	v_pk_fma_f32 v[46:47], v[24:25], v[178:179], v[46:47] op_sel_hi:[0,1,1] neg_lo:[1,0,0] neg_hi:[1,0,0]
	s_waitcnt vmcnt(44) lgkmcnt(2)
	v_pk_fma_f32 v[50:51], v[24:25], v[180:181], v[50:51] op_sel_hi:[0,1,1] neg_lo:[1,0,0] neg_hi:[1,0,0]
	s_waitcnt vmcnt(42) lgkmcnt(1)
	v_pk_fma_f32 v[44:45], v[24:25], v[182:183], v[44:45] op_sel_hi:[0,1,1] neg_lo:[1,0,0] neg_hi:[1,0,0]
	ds_read2_b32 v[178:179], v175 offset0:17 offset1:18
	ds_read2_b32 v[180:181], v175 offset0:19 offset1:20
	ds_read2_b32 v[182:183], v175 offset0:21 offset1:22
	s_waitcnt vmcnt(40) lgkmcnt(3)
	v_pk_fma_f32 v[48:49], v[24:25], v[184:185], v[48:49] op_sel_hi:[0,1,1] neg_lo:[1,0,0] neg_hi:[1,0,0]
	;; [unrolled: 12-line block ×5, first 2 shown]
	ds_read2_b32 v[184:185], v175 offset0:47 offset1:48
	s_waitcnt vmcnt(14) lgkmcnt(3)
	v_pk_fma_f32 v[146:147], v[24:25], v[178:179], v[146:147] op_sel_hi:[0,1,1] neg_lo:[1,0,0] neg_hi:[1,0,0]
	s_waitcnt vmcnt(12) lgkmcnt(2)
	v_pk_fma_f32 v[140:141], v[24:25], v[180:181], v[140:141] op_sel_hi:[0,1,1] neg_lo:[1,0,0] neg_hi:[1,0,0]
	;; [unrolled: 2-line block ×3, first 2 shown]
	ds_read2_b32 v[178:179], v175 offset0:49 offset1:50
	ds_read2_b32 v[180:181], v175 offset0:51 offset1:52
	;; [unrolled: 1-line block ×4, first 2 shown]
	s_waitcnt vmcnt(8) lgkmcnt(4)
	v_pk_fma_f32 v[144:145], v[24:25], v[184:185], v[144:145] op_sel_hi:[0,1,1] neg_lo:[1,0,0] neg_hi:[1,0,0]
	s_waitcnt vmcnt(6) lgkmcnt(3)
	v_pk_fma_f32 v[164:165], v[24:25], v[178:179], v[164:165] op_sel_hi:[0,1,1] neg_lo:[1,0,0] neg_hi:[1,0,0]
	;; [unrolled: 2-line block ×5, first 2 shown]
.LBB113_7:
	s_or_b64 exec, exec, s[4:5]
	v_cmp_eq_u32_e32 vcc, 1, v25
	s_waitcnt lgkmcnt(0)
	s_barrier
	s_and_saveexec_b64 s[2:3], vcc
	s_cbranch_execz .LBB113_10
; %bb.8:
	s_waitcnt vmcnt(52)
	v_pk_mov_b32 v[178:179], v[18:19], v[20:21] op_sel:[1,0]
	ds_write_b32 v174, v18
	ds_write2_b32 v175, v178, v179 offset0:2 offset1:3
	s_waitcnt vmcnt(50)
	v_pk_mov_b32 v[178:179], v[20:21], v[22:23] op_sel:[1,0]
	ds_write2_b32 v175, v178, v179 offset0:4 offset1:5
	s_waitcnt vmcnt(48)
	v_pk_mov_b32 v[178:179], v[22:23], v[16:17] op_sel:[1,0]
	;; [unrolled: 3-line block ×26, first 2 shown]
	ds_write2_b32 v175, v178, v179 offset0:54 offset1:55
	ds_write_b32 v175, v171 offset:224
	ds_read_b32 v177, v174
	s_waitcnt lgkmcnt(0)
	v_cmp_neq_f32_e32 vcc, 0, v177
	s_and_b64 exec, exec, vcc
	s_cbranch_execz .LBB113_10
; %bb.9:
	v_div_scale_f32 v178, s[4:5], v177, v177, 1.0
	v_rcp_f32_e32 v179, v178
	v_div_scale_f32 v180, vcc, 1.0, v177, 1.0
	v_fma_f32 v181, -v178, v179, 1.0
	v_fmac_f32_e32 v179, v181, v179
	v_mul_f32_e32 v181, v180, v179
	v_fma_f32 v182, -v178, v181, v180
	v_fmac_f32_e32 v181, v182, v179
	v_fma_f32 v178, -v178, v181, v180
	v_div_fmas_f32 v178, v178, v179, v181
	v_div_fixup_f32 v177, v178, v177, 1.0
	ds_write_b32 v174, v177
.LBB113_10:
	s_or_b64 exec, exec, s[2:3]
	s_waitcnt lgkmcnt(0)
	s_barrier
	ds_read_b32 v177, v174
	v_cmp_lt_u32_e32 vcc, 1, v25
	s_and_saveexec_b64 s[2:3], vcc
	s_cbranch_execz .LBB113_12
; %bb.11:
	ds_read_b32 v184, v175 offset:8
	ds_read2_b32 v[178:179], v175 offset0:3 offset1:4
	ds_read2_b32 v[180:181], v175 offset0:5 offset1:6
	s_waitcnt vmcnt(55) lgkmcnt(3)
	v_mul_f32_e32 v18, v177, v18
	ds_read2_b32 v[182:183], v175 offset0:7 offset1:8
	s_waitcnt vmcnt(54) lgkmcnt(3)
	v_fma_f32 v19, -v18, v184, v19
	s_waitcnt vmcnt(52) lgkmcnt(2)
	v_pk_fma_f32 v[20:21], v[18:19], v[178:179], v[20:21] op_sel_hi:[0,1,1] neg_lo:[1,0,0] neg_hi:[1,0,0]
	s_waitcnt vmcnt(50) lgkmcnt(1)
	v_pk_fma_f32 v[22:23], v[18:19], v[180:181], v[22:23] op_sel_hi:[0,1,1] neg_lo:[1,0,0] neg_hi:[1,0,0]
	ds_read2_b32 v[178:179], v175 offset0:9 offset1:10
	ds_read2_b32 v[180:181], v175 offset0:11 offset1:12
	ds_read2_b32 v[184:185], v175 offset0:13 offset1:14
	s_waitcnt vmcnt(48) lgkmcnt(3)
	v_pk_fma_f32 v[16:17], v[18:19], v[182:183], v[16:17] op_sel_hi:[0,1,1] neg_lo:[1,0,0] neg_hi:[1,0,0]
	ds_read2_b32 v[182:183], v175 offset0:15 offset1:16
	s_waitcnt vmcnt(46) lgkmcnt(3)
	v_pk_fma_f32 v[46:47], v[18:19], v[178:179], v[46:47] op_sel_hi:[0,1,1] neg_lo:[1,0,0] neg_hi:[1,0,0]
	s_waitcnt vmcnt(44) lgkmcnt(2)
	v_pk_fma_f32 v[50:51], v[18:19], v[180:181], v[50:51] op_sel_hi:[0,1,1] neg_lo:[1,0,0] neg_hi:[1,0,0]
	s_waitcnt vmcnt(42) lgkmcnt(1)
	v_pk_fma_f32 v[44:45], v[18:19], v[184:185], v[44:45] op_sel_hi:[0,1,1] neg_lo:[1,0,0] neg_hi:[1,0,0]
	ds_read2_b32 v[178:179], v175 offset0:17 offset1:18
	ds_read2_b32 v[180:181], v175 offset0:19 offset1:20
	ds_read2_b32 v[184:185], v175 offset0:21 offset1:22
	s_waitcnt vmcnt(40) lgkmcnt(3)
	v_pk_fma_f32 v[48:49], v[18:19], v[182:183], v[48:49] op_sel_hi:[0,1,1] neg_lo:[1,0,0] neg_hi:[1,0,0]
	ds_read2_b32 v[182:183], v175 offset0:23 offset1:24
	s_waitcnt vmcnt(38) lgkmcnt(3)
	v_pk_fma_f32 v[74:75], v[18:19], v[178:179], v[74:75] op_sel_hi:[0,1,1] neg_lo:[1,0,0] neg_hi:[1,0,0]
	;; [unrolled: 12-line block ×5, first 2 shown]
	s_waitcnt vmcnt(12) lgkmcnt(2)
	v_pk_fma_f32 v[140:141], v[18:19], v[180:181], v[140:141] op_sel_hi:[0,1,1] neg_lo:[1,0,0] neg_hi:[1,0,0]
	s_waitcnt vmcnt(10) lgkmcnt(1)
	v_pk_fma_f32 v[142:143], v[18:19], v[184:185], v[142:143] op_sel_hi:[0,1,1] neg_lo:[1,0,0] neg_hi:[1,0,0]
	ds_read2_b32 v[178:179], v175 offset0:49 offset1:50
	ds_read2_b32 v[180:181], v175 offset0:51 offset1:52
	;; [unrolled: 1-line block ×4, first 2 shown]
	s_waitcnt vmcnt(8) lgkmcnt(4)
	v_pk_fma_f32 v[144:145], v[18:19], v[182:183], v[144:145] op_sel_hi:[0,1,1] neg_lo:[1,0,0] neg_hi:[1,0,0]
	s_waitcnt vmcnt(6) lgkmcnt(3)
	v_pk_fma_f32 v[164:165], v[18:19], v[178:179], v[164:165] op_sel_hi:[0,1,1] neg_lo:[1,0,0] neg_hi:[1,0,0]
	;; [unrolled: 2-line block ×5, first 2 shown]
.LBB113_12:
	s_or_b64 exec, exec, s[2:3]
	v_cmp_eq_u32_e32 vcc, 2, v25
	s_waitcnt lgkmcnt(0)
	s_barrier
	s_and_saveexec_b64 s[2:3], vcc
	s_cbranch_execz .LBB113_15
; %bb.13:
	s_waitcnt vmcnt(54)
	ds_write_b32 v174, v19
	s_waitcnt vmcnt(52)
	ds_write2_b32 v175, v20, v21 offset0:3 offset1:4
	s_waitcnt vmcnt(50)
	ds_write2_b32 v175, v22, v23 offset0:5 offset1:6
	;; [unrolled: 2-line block ×27, first 2 shown]
	ds_read_b32 v178, v174
	s_waitcnt lgkmcnt(0)
	v_cmp_neq_f32_e32 vcc, 0, v178
	s_and_b64 exec, exec, vcc
	s_cbranch_execz .LBB113_15
; %bb.14:
	v_div_scale_f32 v179, s[4:5], v178, v178, 1.0
	v_rcp_f32_e32 v180, v179
	v_div_scale_f32 v181, vcc, 1.0, v178, 1.0
	v_fma_f32 v182, -v179, v180, 1.0
	v_fmac_f32_e32 v180, v182, v180
	v_mul_f32_e32 v182, v181, v180
	v_fma_f32 v183, -v179, v182, v181
	v_fmac_f32_e32 v182, v183, v180
	v_fma_f32 v179, -v179, v182, v181
	v_div_fmas_f32 v179, v179, v180, v182
	v_div_fixup_f32 v178, v179, v178, 1.0
	ds_write_b32 v174, v178
.LBB113_15:
	s_or_b64 exec, exec, s[2:3]
	s_waitcnt lgkmcnt(0)
	s_barrier
	ds_read_b32 v178, v174
	v_cmp_lt_u32_e32 vcc, 2, v25
	s_and_saveexec_b64 s[2:3], vcc
	s_cbranch_execz .LBB113_17
; %bb.16:
	ds_read2_b32 v[180:181], v175 offset0:3 offset1:4
	ds_read2_b32 v[182:183], v175 offset0:5 offset1:6
	;; [unrolled: 1-line block ×3, first 2 shown]
	s_waitcnt vmcnt(54) lgkmcnt(3)
	v_mul_f32_e32 v186, v178, v19
	ds_read2_b32 v[188:189], v175 offset0:9 offset1:10
	s_waitcnt vmcnt(52) lgkmcnt(3)
	v_pk_fma_f32 v[20:21], v[186:187], v[180:181], v[20:21] op_sel_hi:[0,1,1] neg_lo:[1,0,0] neg_hi:[1,0,0]
	s_waitcnt vmcnt(50) lgkmcnt(2)
	v_pk_fma_f32 v[22:23], v[186:187], v[182:183], v[22:23] op_sel_hi:[0,1,1] neg_lo:[1,0,0] neg_hi:[1,0,0]
	s_waitcnt vmcnt(48) lgkmcnt(1)
	v_pk_fma_f32 v[16:17], v[186:187], v[184:185], v[16:17] op_sel_hi:[0,1,1] neg_lo:[1,0,0] neg_hi:[1,0,0]
	ds_read2_b32 v[180:181], v175 offset0:11 offset1:12
	ds_read2_b32 v[182:183], v175 offset0:13 offset1:14
	ds_read2_b32 v[184:185], v175 offset0:15 offset1:16
	s_waitcnt vmcnt(46) lgkmcnt(3)
	v_pk_fma_f32 v[46:47], v[186:187], v[188:189], v[46:47] op_sel_hi:[0,1,1] neg_lo:[1,0,0] neg_hi:[1,0,0]
	ds_read2_b32 v[188:189], v175 offset0:17 offset1:18
	s_waitcnt vmcnt(44) lgkmcnt(3)
	v_pk_fma_f32 v[50:51], v[186:187], v[180:181], v[50:51] op_sel_hi:[0,1,1] neg_lo:[1,0,0] neg_hi:[1,0,0]
	s_waitcnt vmcnt(42) lgkmcnt(2)
	v_pk_fma_f32 v[44:45], v[186:187], v[182:183], v[44:45] op_sel_hi:[0,1,1] neg_lo:[1,0,0] neg_hi:[1,0,0]
	s_waitcnt vmcnt(40) lgkmcnt(1)
	v_pk_fma_f32 v[48:49], v[186:187], v[184:185], v[48:49] op_sel_hi:[0,1,1] neg_lo:[1,0,0] neg_hi:[1,0,0]
	ds_read2_b32 v[180:181], v175 offset0:19 offset1:20
	ds_read2_b32 v[182:183], v175 offset0:21 offset1:22
	ds_read2_b32 v[184:185], v175 offset0:23 offset1:24
	s_waitcnt vmcnt(38) lgkmcnt(3)
	v_pk_fma_f32 v[74:75], v[186:187], v[188:189], v[74:75] op_sel_hi:[0,1,1] neg_lo:[1,0,0] neg_hi:[1,0,0]
	ds_read2_b32 v[188:189], v175 offset0:25 offset1:26
	s_waitcnt vmcnt(36) lgkmcnt(3)
	v_pk_fma_f32 v[68:69], v[186:187], v[180:181], v[68:69] op_sel_hi:[0,1,1] neg_lo:[1,0,0] neg_hi:[1,0,0]
	s_waitcnt vmcnt(34) lgkmcnt(2)
	v_pk_fma_f32 v[70:71], v[186:187], v[182:183], v[70:71] op_sel_hi:[0,1,1] neg_lo:[1,0,0] neg_hi:[1,0,0]
	s_waitcnt vmcnt(32) lgkmcnt(1)
	v_pk_fma_f32 v[72:73], v[186:187], v[184:185], v[72:73] op_sel_hi:[0,1,1] neg_lo:[1,0,0] neg_hi:[1,0,0]
	ds_read2_b32 v[180:181], v175 offset0:27 offset1:28
	ds_read2_b32 v[182:183], v175 offset0:29 offset1:30
	ds_read2_b32 v[184:185], v175 offset0:31 offset1:32
	s_waitcnt vmcnt(30) lgkmcnt(3)
	v_pk_fma_f32 v[94:95], v[186:187], v[188:189], v[94:95] op_sel_hi:[0,1,1] neg_lo:[1,0,0] neg_hi:[1,0,0]
	ds_read2_b32 v[188:189], v175 offset0:33 offset1:34
	s_waitcnt vmcnt(28) lgkmcnt(3)
	v_pk_fma_f32 v[96:97], v[186:187], v[180:181], v[96:97] op_sel_hi:[0,1,1] neg_lo:[1,0,0] neg_hi:[1,0,0]
	s_waitcnt vmcnt(26) lgkmcnt(2)
	v_pk_fma_f32 v[98:99], v[186:187], v[182:183], v[98:99] op_sel_hi:[0,1,1] neg_lo:[1,0,0] neg_hi:[1,0,0]
	s_waitcnt vmcnt(24) lgkmcnt(1)
	v_pk_fma_f32 v[92:93], v[186:187], v[184:185], v[92:93] op_sel_hi:[0,1,1] neg_lo:[1,0,0] neg_hi:[1,0,0]
	ds_read2_b32 v[180:181], v175 offset0:35 offset1:36
	ds_read2_b32 v[182:183], v175 offset0:37 offset1:38
	ds_read2_b32 v[184:185], v175 offset0:39 offset1:40
	s_waitcnt vmcnt(22) lgkmcnt(3)
	v_pk_fma_f32 v[118:119], v[186:187], v[188:189], v[118:119] op_sel_hi:[0,1,1] neg_lo:[1,0,0] neg_hi:[1,0,0]
	ds_read2_b32 v[188:189], v175 offset0:41 offset1:42
	s_waitcnt vmcnt(20) lgkmcnt(3)
	v_pk_fma_f32 v[122:123], v[186:187], v[180:181], v[122:123] op_sel_hi:[0,1,1] neg_lo:[1,0,0] neg_hi:[1,0,0]
	s_waitcnt vmcnt(18) lgkmcnt(2)
	v_pk_fma_f32 v[116:117], v[186:187], v[182:183], v[116:117] op_sel_hi:[0,1,1] neg_lo:[1,0,0] neg_hi:[1,0,0]
	ds_read2_b32 v[180:181], v175 offset0:43 offset1:44
	ds_read2_b32 v[182:183], v175 offset0:45 offset1:46
	s_waitcnt vmcnt(16) lgkmcnt(3)
	v_pk_fma_f32 v[120:121], v[186:187], v[184:185], v[120:121] op_sel_hi:[0,1,1] neg_lo:[1,0,0] neg_hi:[1,0,0]
	s_waitcnt vmcnt(14) lgkmcnt(2)
	v_pk_fma_f32 v[146:147], v[186:187], v[188:189], v[146:147] op_sel_hi:[0,1,1] neg_lo:[1,0,0] neg_hi:[1,0,0]
	ds_read2_b32 v[184:185], v175 offset0:47 offset1:48
	;; [unrolled: 6-line block ×3, first 2 shown]
	ds_read2_b32 v[182:183], v175 offset0:53 offset1:54
	ds_read2_b32 v[190:191], v175 offset0:55 offset1:56
	s_waitcnt vmcnt(8) lgkmcnt(4)
	v_pk_fma_f32 v[144:145], v[186:187], v[184:185], v[144:145] op_sel_hi:[0,1,1] neg_lo:[1,0,0] neg_hi:[1,0,0]
	s_waitcnt vmcnt(6) lgkmcnt(3)
	v_pk_fma_f32 v[164:165], v[186:187], v[188:189], v[164:165] op_sel_hi:[0,1,1] neg_lo:[1,0,0] neg_hi:[1,0,0]
	;; [unrolled: 2-line block ×5, first 2 shown]
	v_mov_b32_e32 v19, v186
.LBB113_17:
	s_or_b64 exec, exec, s[2:3]
	v_cmp_eq_u32_e32 vcc, 3, v25
	s_waitcnt lgkmcnt(0)
	s_barrier
	s_and_saveexec_b64 s[2:3], vcc
	s_cbranch_execz .LBB113_20
; %bb.18:
	s_waitcnt vmcnt(50)
	v_pk_mov_b32 v[180:181], v[20:21], v[22:23] op_sel:[1,0]
	ds_write_b32 v174, v20
	ds_write2_b32 v175, v180, v181 offset0:4 offset1:5
	s_waitcnt vmcnt(48)
	v_pk_mov_b32 v[180:181], v[22:23], v[16:17] op_sel:[1,0]
	ds_write2_b32 v175, v180, v181 offset0:6 offset1:7
	s_waitcnt vmcnt(46)
	v_pk_mov_b32 v[180:181], v[16:17], v[46:47] op_sel:[1,0]
	;; [unrolled: 3-line block ×25, first 2 shown]
	ds_write2_b32 v175, v180, v181 offset0:54 offset1:55
	ds_write_b32 v175, v171 offset:224
	ds_read_b32 v179, v174
	s_waitcnt lgkmcnt(0)
	v_cmp_neq_f32_e32 vcc, 0, v179
	s_and_b64 exec, exec, vcc
	s_cbranch_execz .LBB113_20
; %bb.19:
	v_div_scale_f32 v180, s[4:5], v179, v179, 1.0
	v_rcp_f32_e32 v181, v180
	v_div_scale_f32 v182, vcc, 1.0, v179, 1.0
	v_fma_f32 v183, -v180, v181, 1.0
	v_fmac_f32_e32 v181, v183, v181
	v_mul_f32_e32 v183, v182, v181
	v_fma_f32 v184, -v180, v183, v182
	v_fmac_f32_e32 v183, v184, v181
	v_fma_f32 v180, -v180, v183, v182
	v_div_fmas_f32 v180, v180, v181, v183
	v_div_fixup_f32 v179, v180, v179, 1.0
	ds_write_b32 v174, v179
.LBB113_20:
	s_or_b64 exec, exec, s[2:3]
	s_waitcnt lgkmcnt(0)
	s_barrier
	ds_read_b32 v179, v174
	v_cmp_lt_u32_e32 vcc, 3, v25
	s_and_saveexec_b64 s[2:3], vcc
	s_cbranch_execz .LBB113_22
; %bb.21:
	ds_read_b32 v186, v175 offset:16
	ds_read2_b32 v[180:181], v175 offset0:5 offset1:6
	ds_read2_b32 v[182:183], v175 offset0:7 offset1:8
	s_waitcnt vmcnt(53) lgkmcnt(3)
	v_mul_f32_e32 v20, v179, v20
	ds_read2_b32 v[184:185], v175 offset0:9 offset1:10
	s_waitcnt vmcnt(52) lgkmcnt(3)
	v_fma_f32 v21, -v20, v186, v21
	s_waitcnt vmcnt(50) lgkmcnt(2)
	v_pk_fma_f32 v[22:23], v[20:21], v[180:181], v[22:23] op_sel_hi:[0,1,1] neg_lo:[1,0,0] neg_hi:[1,0,0]
	s_waitcnt vmcnt(48) lgkmcnt(1)
	v_pk_fma_f32 v[16:17], v[20:21], v[182:183], v[16:17] op_sel_hi:[0,1,1] neg_lo:[1,0,0] neg_hi:[1,0,0]
	ds_read2_b32 v[180:181], v175 offset0:11 offset1:12
	ds_read2_b32 v[182:183], v175 offset0:13 offset1:14
	ds_read2_b32 v[186:187], v175 offset0:15 offset1:16
	s_waitcnt vmcnt(46) lgkmcnt(3)
	v_pk_fma_f32 v[46:47], v[20:21], v[184:185], v[46:47] op_sel_hi:[0,1,1] neg_lo:[1,0,0] neg_hi:[1,0,0]
	ds_read2_b32 v[184:185], v175 offset0:17 offset1:18
	s_waitcnt vmcnt(44) lgkmcnt(3)
	v_pk_fma_f32 v[50:51], v[20:21], v[180:181], v[50:51] op_sel_hi:[0,1,1] neg_lo:[1,0,0] neg_hi:[1,0,0]
	s_waitcnt vmcnt(42) lgkmcnt(2)
	v_pk_fma_f32 v[44:45], v[20:21], v[182:183], v[44:45] op_sel_hi:[0,1,1] neg_lo:[1,0,0] neg_hi:[1,0,0]
	s_waitcnt vmcnt(40) lgkmcnt(1)
	v_pk_fma_f32 v[48:49], v[20:21], v[186:187], v[48:49] op_sel_hi:[0,1,1] neg_lo:[1,0,0] neg_hi:[1,0,0]
	ds_read2_b32 v[180:181], v175 offset0:19 offset1:20
	ds_read2_b32 v[182:183], v175 offset0:21 offset1:22
	ds_read2_b32 v[186:187], v175 offset0:23 offset1:24
	s_waitcnt vmcnt(38) lgkmcnt(3)
	v_pk_fma_f32 v[74:75], v[20:21], v[184:185], v[74:75] op_sel_hi:[0,1,1] neg_lo:[1,0,0] neg_hi:[1,0,0]
	ds_read2_b32 v[184:185], v175 offset0:25 offset1:26
	s_waitcnt vmcnt(36) lgkmcnt(3)
	v_pk_fma_f32 v[68:69], v[20:21], v[180:181], v[68:69] op_sel_hi:[0,1,1] neg_lo:[1,0,0] neg_hi:[1,0,0]
	;; [unrolled: 12-line block ×4, first 2 shown]
	s_waitcnt vmcnt(18) lgkmcnt(2)
	v_pk_fma_f32 v[116:117], v[20:21], v[182:183], v[116:117] op_sel_hi:[0,1,1] neg_lo:[1,0,0] neg_hi:[1,0,0]
	ds_read2_b32 v[180:181], v175 offset0:43 offset1:44
	ds_read2_b32 v[182:183], v175 offset0:45 offset1:46
	s_waitcnt vmcnt(16) lgkmcnt(3)
	v_pk_fma_f32 v[120:121], v[20:21], v[186:187], v[120:121] op_sel_hi:[0,1,1] neg_lo:[1,0,0] neg_hi:[1,0,0]
	s_waitcnt vmcnt(14) lgkmcnt(2)
	v_pk_fma_f32 v[146:147], v[20:21], v[184:185], v[146:147] op_sel_hi:[0,1,1] neg_lo:[1,0,0] neg_hi:[1,0,0]
	ds_read2_b32 v[184:185], v175 offset0:47 offset1:48
	ds_read2_b32 v[186:187], v175 offset0:49 offset1:50
	s_waitcnt vmcnt(12) lgkmcnt(3)
	v_pk_fma_f32 v[140:141], v[20:21], v[180:181], v[140:141] op_sel_hi:[0,1,1] neg_lo:[1,0,0] neg_hi:[1,0,0]
	s_waitcnt vmcnt(10) lgkmcnt(2)
	v_pk_fma_f32 v[142:143], v[20:21], v[182:183], v[142:143] op_sel_hi:[0,1,1] neg_lo:[1,0,0] neg_hi:[1,0,0]
	ds_read2_b32 v[180:181], v175 offset0:51 offset1:52
	ds_read2_b32 v[182:183], v175 offset0:53 offset1:54
	;; [unrolled: 1-line block ×3, first 2 shown]
	s_waitcnt vmcnt(8) lgkmcnt(4)
	v_pk_fma_f32 v[144:145], v[20:21], v[184:185], v[144:145] op_sel_hi:[0,1,1] neg_lo:[1,0,0] neg_hi:[1,0,0]
	s_waitcnt vmcnt(6) lgkmcnt(3)
	v_pk_fma_f32 v[164:165], v[20:21], v[186:187], v[164:165] op_sel_hi:[0,1,1] neg_lo:[1,0,0] neg_hi:[1,0,0]
	;; [unrolled: 2-line block ×5, first 2 shown]
.LBB113_22:
	s_or_b64 exec, exec, s[2:3]
	v_cmp_ne_u32_e32 vcc, 4, v25
	s_waitcnt lgkmcnt(0)
	s_barrier
	s_and_saveexec_b64 s[2:3], vcc
	s_xor_b64 s[2:3], exec, s[2:3]
	s_andn2_saveexec_b64 s[2:3], s[2:3]
	s_cbranch_execz .LBB113_26
; %bb.23:
	s_waitcnt vmcnt(52)
	ds_write_b32 v174, v21
	s_waitcnt vmcnt(50)
	ds_write2_b32 v175, v22, v23 offset0:5 offset1:6
	s_waitcnt vmcnt(48)
	ds_write2_b32 v175, v16, v17 offset0:7 offset1:8
	;; [unrolled: 2-line block ×26, first 2 shown]
	ds_read_b32 v180, v174
	s_waitcnt lgkmcnt(0)
	v_cmp_neq_f32_e32 vcc, 0, v180
	s_and_saveexec_b64 s[4:5], vcc
	s_cbranch_execz .LBB113_25
; %bb.24:
	v_div_scale_f32 v181, s[10:11], v180, v180, 1.0
	v_rcp_f32_e32 v182, v181
	v_div_scale_f32 v183, vcc, 1.0, v180, 1.0
	v_fma_f32 v184, -v181, v182, 1.0
	v_fmac_f32_e32 v182, v184, v182
	v_mul_f32_e32 v184, v183, v182
	v_fma_f32 v185, -v181, v184, v183
	v_fmac_f32_e32 v184, v185, v182
	v_fma_f32 v181, -v181, v184, v183
	v_div_fmas_f32 v181, v181, v182, v184
	v_div_fixup_f32 v180, v181, v180, 1.0
	ds_write_b32 v174, v180
.LBB113_25:
	s_or_b64 exec, exec, s[4:5]
.LBB113_26:
	s_or_b64 exec, exec, s[2:3]
	s_waitcnt lgkmcnt(0)
	s_barrier
	ds_read_b32 v180, v174
	v_cmp_lt_u32_e32 vcc, 4, v25
	s_and_saveexec_b64 s[2:3], vcc
	s_cbranch_execz .LBB113_28
; %bb.27:
	ds_read2_b32 v[182:183], v175 offset0:5 offset1:6
	ds_read2_b32 v[184:185], v175 offset0:7 offset1:8
	;; [unrolled: 1-line block ×4, first 2 shown]
	s_waitcnt vmcnt(52) lgkmcnt(4)
	v_mul_f32_e32 v188, v180, v21
	s_waitcnt vmcnt(50) lgkmcnt(3)
	v_pk_fma_f32 v[22:23], v[188:189], v[182:183], v[22:23] op_sel_hi:[0,1,1] neg_lo:[1,0,0] neg_hi:[1,0,0]
	s_waitcnt vmcnt(48) lgkmcnt(2)
	v_pk_fma_f32 v[16:17], v[188:189], v[184:185], v[16:17] op_sel_hi:[0,1,1] neg_lo:[1,0,0] neg_hi:[1,0,0]
	s_waitcnt vmcnt(46) lgkmcnt(1)
	v_pk_fma_f32 v[46:47], v[188:189], v[186:187], v[46:47] op_sel_hi:[0,1,1] neg_lo:[1,0,0] neg_hi:[1,0,0]
	ds_read2_b32 v[182:183], v175 offset0:13 offset1:14
	ds_read2_b32 v[184:185], v175 offset0:15 offset1:16
	ds_read2_b32 v[186:187], v175 offset0:17 offset1:18
	s_waitcnt vmcnt(44) lgkmcnt(3)
	v_pk_fma_f32 v[50:51], v[188:189], v[190:191], v[50:51] op_sel_hi:[0,1,1] neg_lo:[1,0,0] neg_hi:[1,0,0]
	ds_read2_b32 v[190:191], v175 offset0:19 offset1:20
	s_waitcnt vmcnt(42) lgkmcnt(3)
	v_pk_fma_f32 v[44:45], v[188:189], v[182:183], v[44:45] op_sel_hi:[0,1,1] neg_lo:[1,0,0] neg_hi:[1,0,0]
	s_waitcnt vmcnt(40) lgkmcnt(2)
	v_pk_fma_f32 v[48:49], v[188:189], v[184:185], v[48:49] op_sel_hi:[0,1,1] neg_lo:[1,0,0] neg_hi:[1,0,0]
	s_waitcnt vmcnt(38) lgkmcnt(1)
	v_pk_fma_f32 v[74:75], v[188:189], v[186:187], v[74:75] op_sel_hi:[0,1,1] neg_lo:[1,0,0] neg_hi:[1,0,0]
	ds_read2_b32 v[182:183], v175 offset0:21 offset1:22
	ds_read2_b32 v[184:185], v175 offset0:23 offset1:24
	ds_read2_b32 v[186:187], v175 offset0:25 offset1:26
	s_waitcnt vmcnt(36) lgkmcnt(3)
	v_pk_fma_f32 v[68:69], v[188:189], v[190:191], v[68:69] op_sel_hi:[0,1,1] neg_lo:[1,0,0] neg_hi:[1,0,0]
	ds_read2_b32 v[190:191], v175 offset0:27 offset1:28
	;; [unrolled: 12-line block ×4, first 2 shown]
	s_waitcnt vmcnt(18) lgkmcnt(3)
	v_pk_fma_f32 v[116:117], v[188:189], v[182:183], v[116:117] op_sel_hi:[0,1,1] neg_lo:[1,0,0] neg_hi:[1,0,0]
	ds_read2_b32 v[182:183], v175 offset0:45 offset1:46
	s_waitcnt vmcnt(16) lgkmcnt(3)
	v_pk_fma_f32 v[120:121], v[188:189], v[184:185], v[120:121] op_sel_hi:[0,1,1] neg_lo:[1,0,0] neg_hi:[1,0,0]
	s_waitcnt vmcnt(14) lgkmcnt(2)
	v_pk_fma_f32 v[146:147], v[188:189], v[186:187], v[146:147] op_sel_hi:[0,1,1] neg_lo:[1,0,0] neg_hi:[1,0,0]
	;; [unrolled: 2-line block ×3, first 2 shown]
	ds_read2_b32 v[184:185], v175 offset0:47 offset1:48
	ds_read2_b32 v[186:187], v175 offset0:49 offset1:50
	;; [unrolled: 1-line block ×3, first 2 shown]
	s_waitcnt vmcnt(10) lgkmcnt(3)
	v_pk_fma_f32 v[142:143], v[188:189], v[182:183], v[142:143] op_sel_hi:[0,1,1] neg_lo:[1,0,0] neg_hi:[1,0,0]
	ds_read2_b32 v[182:183], v175 offset0:53 offset1:54
	ds_read2_b32 v[192:193], v175 offset0:55 offset1:56
	s_waitcnt vmcnt(8) lgkmcnt(4)
	v_pk_fma_f32 v[144:145], v[188:189], v[184:185], v[144:145] op_sel_hi:[0,1,1] neg_lo:[1,0,0] neg_hi:[1,0,0]
	s_waitcnt vmcnt(6) lgkmcnt(3)
	v_pk_fma_f32 v[164:165], v[188:189], v[186:187], v[164:165] op_sel_hi:[0,1,1] neg_lo:[1,0,0] neg_hi:[1,0,0]
	;; [unrolled: 2-line block ×5, first 2 shown]
	v_mov_b32_e32 v21, v188
.LBB113_28:
	s_or_b64 exec, exec, s[2:3]
	v_cmp_eq_u32_e32 vcc, 5, v25
	s_waitcnt lgkmcnt(0)
	s_barrier
	s_and_saveexec_b64 s[2:3], vcc
	s_cbranch_execz .LBB113_31
; %bb.29:
	s_waitcnt vmcnt(48)
	v_pk_mov_b32 v[182:183], v[22:23], v[16:17] op_sel:[1,0]
	ds_write_b32 v174, v22
	ds_write2_b32 v175, v182, v183 offset0:6 offset1:7
	s_waitcnt vmcnt(46)
	v_pk_mov_b32 v[182:183], v[16:17], v[46:47] op_sel:[1,0]
	ds_write2_b32 v175, v182, v183 offset0:8 offset1:9
	s_waitcnt vmcnt(44)
	v_pk_mov_b32 v[182:183], v[46:47], v[50:51] op_sel:[1,0]
	ds_write2_b32 v175, v182, v183 offset0:10 offset1:11
	s_waitcnt vmcnt(42)
	v_pk_mov_b32 v[182:183], v[50:51], v[44:45] op_sel:[1,0]
	ds_write2_b32 v175, v182, v183 offset0:12 offset1:13
	s_waitcnt vmcnt(40)
	v_pk_mov_b32 v[182:183], v[44:45], v[48:49] op_sel:[1,0]
	ds_write2_b32 v175, v182, v183 offset0:14 offset1:15
	s_waitcnt vmcnt(38)
	v_pk_mov_b32 v[182:183], v[48:49], v[74:75] op_sel:[1,0]
	ds_write2_b32 v175, v182, v183 offset0:16 offset1:17
	s_waitcnt vmcnt(36)
	v_pk_mov_b32 v[182:183], v[74:75], v[68:69] op_sel:[1,0]
	ds_write2_b32 v175, v182, v183 offset0:18 offset1:19
	s_waitcnt vmcnt(34)
	v_pk_mov_b32 v[182:183], v[68:69], v[70:71] op_sel:[1,0]
	ds_write2_b32 v175, v182, v183 offset0:20 offset1:21
	s_waitcnt vmcnt(32)
	v_pk_mov_b32 v[182:183], v[70:71], v[72:73] op_sel:[1,0]
	ds_write2_b32 v175, v182, v183 offset0:22 offset1:23
	s_waitcnt vmcnt(30)
	v_pk_mov_b32 v[182:183], v[72:73], v[94:95] op_sel:[1,0]
	ds_write2_b32 v175, v182, v183 offset0:24 offset1:25
	s_waitcnt vmcnt(28)
	v_pk_mov_b32 v[182:183], v[94:95], v[96:97] op_sel:[1,0]
	ds_write2_b32 v175, v182, v183 offset0:26 offset1:27
	s_waitcnt vmcnt(26)
	v_pk_mov_b32 v[182:183], v[96:97], v[98:99] op_sel:[1,0]
	ds_write2_b32 v175, v182, v183 offset0:28 offset1:29
	s_waitcnt vmcnt(24)
	v_pk_mov_b32 v[182:183], v[98:99], v[92:93] op_sel:[1,0]
	ds_write2_b32 v175, v182, v183 offset0:30 offset1:31
	s_waitcnt vmcnt(22)
	v_pk_mov_b32 v[182:183], v[92:93], v[118:119] op_sel:[1,0]
	ds_write2_b32 v175, v182, v183 offset0:32 offset1:33
	s_waitcnt vmcnt(20)
	v_pk_mov_b32 v[182:183], v[118:119], v[122:123] op_sel:[1,0]
	ds_write2_b32 v175, v182, v183 offset0:34 offset1:35
	s_waitcnt vmcnt(18)
	v_pk_mov_b32 v[182:183], v[122:123], v[116:117] op_sel:[1,0]
	ds_write2_b32 v175, v182, v183 offset0:36 offset1:37
	s_waitcnt vmcnt(16)
	v_pk_mov_b32 v[182:183], v[116:117], v[120:121] op_sel:[1,0]
	ds_write2_b32 v175, v182, v183 offset0:38 offset1:39
	s_waitcnt vmcnt(14)
	v_pk_mov_b32 v[182:183], v[120:121], v[146:147] op_sel:[1,0]
	ds_write2_b32 v175, v182, v183 offset0:40 offset1:41
	s_waitcnt vmcnt(12)
	v_pk_mov_b32 v[182:183], v[146:147], v[140:141] op_sel:[1,0]
	ds_write2_b32 v175, v182, v183 offset0:42 offset1:43
	s_waitcnt vmcnt(10)
	v_pk_mov_b32 v[182:183], v[140:141], v[142:143] op_sel:[1,0]
	ds_write2_b32 v175, v182, v183 offset0:44 offset1:45
	s_waitcnt vmcnt(8)
	v_pk_mov_b32 v[182:183], v[142:143], v[144:145] op_sel:[1,0]
	ds_write2_b32 v175, v182, v183 offset0:46 offset1:47
	s_waitcnt vmcnt(6)
	v_pk_mov_b32 v[182:183], v[144:145], v[164:165] op_sel:[1,0]
	ds_write2_b32 v175, v182, v183 offset0:48 offset1:49
	s_waitcnt vmcnt(4)
	v_pk_mov_b32 v[182:183], v[164:165], v[166:167] op_sel:[1,0]
	ds_write2_b32 v175, v182, v183 offset0:50 offset1:51
	s_waitcnt vmcnt(2)
	v_pk_mov_b32 v[182:183], v[166:167], v[168:169] op_sel:[1,0]
	ds_write2_b32 v175, v182, v183 offset0:52 offset1:53
	s_waitcnt vmcnt(0)
	v_pk_mov_b32 v[182:183], v[168:169], v[170:171] op_sel:[1,0]
	ds_write2_b32 v175, v182, v183 offset0:54 offset1:55
	ds_write_b32 v175, v171 offset:224
	ds_read_b32 v181, v174
	s_waitcnt lgkmcnt(0)
	v_cmp_neq_f32_e32 vcc, 0, v181
	s_and_b64 exec, exec, vcc
	s_cbranch_execz .LBB113_31
; %bb.30:
	v_div_scale_f32 v182, s[4:5], v181, v181, 1.0
	v_rcp_f32_e32 v183, v182
	v_div_scale_f32 v184, vcc, 1.0, v181, 1.0
	v_fma_f32 v185, -v182, v183, 1.0
	v_fmac_f32_e32 v183, v185, v183
	v_mul_f32_e32 v185, v184, v183
	v_fma_f32 v186, -v182, v185, v184
	v_fmac_f32_e32 v185, v186, v183
	v_fma_f32 v182, -v182, v185, v184
	v_div_fmas_f32 v182, v182, v183, v185
	v_div_fixup_f32 v181, v182, v181, 1.0
	ds_write_b32 v174, v181
.LBB113_31:
	s_or_b64 exec, exec, s[2:3]
	s_waitcnt lgkmcnt(0)
	s_barrier
	ds_read_b32 v181, v174
	v_cmp_lt_u32_e32 vcc, 5, v25
	s_and_saveexec_b64 s[2:3], vcc
	s_cbranch_execz .LBB113_33
; %bb.32:
	ds_read_b32 v188, v175 offset:24
	ds_read2_b32 v[182:183], v175 offset0:7 offset1:8
	ds_read2_b32 v[184:185], v175 offset0:9 offset1:10
	s_waitcnt vmcnt(51) lgkmcnt(3)
	v_mul_f32_e32 v22, v181, v22
	ds_read2_b32 v[186:187], v175 offset0:11 offset1:12
	s_waitcnt vmcnt(50) lgkmcnt(3)
	v_fma_f32 v23, -v22, v188, v23
	s_waitcnt vmcnt(48) lgkmcnt(2)
	v_pk_fma_f32 v[16:17], v[22:23], v[182:183], v[16:17] op_sel_hi:[0,1,1] neg_lo:[1,0,0] neg_hi:[1,0,0]
	s_waitcnt vmcnt(46) lgkmcnt(1)
	v_pk_fma_f32 v[46:47], v[22:23], v[184:185], v[46:47] op_sel_hi:[0,1,1] neg_lo:[1,0,0] neg_hi:[1,0,0]
	ds_read2_b32 v[182:183], v175 offset0:13 offset1:14
	ds_read2_b32 v[184:185], v175 offset0:15 offset1:16
	ds_read2_b32 v[188:189], v175 offset0:17 offset1:18
	s_waitcnt vmcnt(44) lgkmcnt(3)
	v_pk_fma_f32 v[50:51], v[22:23], v[186:187], v[50:51] op_sel_hi:[0,1,1] neg_lo:[1,0,0] neg_hi:[1,0,0]
	ds_read2_b32 v[186:187], v175 offset0:19 offset1:20
	s_waitcnt vmcnt(42) lgkmcnt(3)
	v_pk_fma_f32 v[44:45], v[22:23], v[182:183], v[44:45] op_sel_hi:[0,1,1] neg_lo:[1,0,0] neg_hi:[1,0,0]
	s_waitcnt vmcnt(40) lgkmcnt(2)
	v_pk_fma_f32 v[48:49], v[22:23], v[184:185], v[48:49] op_sel_hi:[0,1,1] neg_lo:[1,0,0] neg_hi:[1,0,0]
	s_waitcnt vmcnt(38) lgkmcnt(1)
	v_pk_fma_f32 v[74:75], v[22:23], v[188:189], v[74:75] op_sel_hi:[0,1,1] neg_lo:[1,0,0] neg_hi:[1,0,0]
	ds_read2_b32 v[182:183], v175 offset0:21 offset1:22
	ds_read2_b32 v[184:185], v175 offset0:23 offset1:24
	ds_read2_b32 v[188:189], v175 offset0:25 offset1:26
	s_waitcnt vmcnt(36) lgkmcnt(3)
	v_pk_fma_f32 v[68:69], v[22:23], v[186:187], v[68:69] op_sel_hi:[0,1,1] neg_lo:[1,0,0] neg_hi:[1,0,0]
	ds_read2_b32 v[186:187], v175 offset0:27 offset1:28
	s_waitcnt vmcnt(34) lgkmcnt(3)
	v_pk_fma_f32 v[70:71], v[22:23], v[182:183], v[70:71] op_sel_hi:[0,1,1] neg_lo:[1,0,0] neg_hi:[1,0,0]
	;; [unrolled: 12-line block ×4, first 2 shown]
	ds_read2_b32 v[182:183], v175 offset0:45 offset1:46
	s_waitcnt vmcnt(16) lgkmcnt(3)
	v_pk_fma_f32 v[120:121], v[22:23], v[184:185], v[120:121] op_sel_hi:[0,1,1] neg_lo:[1,0,0] neg_hi:[1,0,0]
	s_waitcnt vmcnt(14) lgkmcnt(2)
	v_pk_fma_f32 v[146:147], v[22:23], v[188:189], v[146:147] op_sel_hi:[0,1,1] neg_lo:[1,0,0] neg_hi:[1,0,0]
	;; [unrolled: 2-line block ×3, first 2 shown]
	ds_read2_b32 v[184:185], v175 offset0:47 offset1:48
	ds_read2_b32 v[186:187], v175 offset0:49 offset1:50
	;; [unrolled: 1-line block ×3, first 2 shown]
	s_waitcnt vmcnt(10) lgkmcnt(3)
	v_pk_fma_f32 v[142:143], v[22:23], v[182:183], v[142:143] op_sel_hi:[0,1,1] neg_lo:[1,0,0] neg_hi:[1,0,0]
	ds_read2_b32 v[182:183], v175 offset0:53 offset1:54
	ds_read2_b32 v[190:191], v175 offset0:55 offset1:56
	s_waitcnt vmcnt(8) lgkmcnt(4)
	v_pk_fma_f32 v[144:145], v[22:23], v[184:185], v[144:145] op_sel_hi:[0,1,1] neg_lo:[1,0,0] neg_hi:[1,0,0]
	s_waitcnt vmcnt(6) lgkmcnt(3)
	v_pk_fma_f32 v[164:165], v[22:23], v[186:187], v[164:165] op_sel_hi:[0,1,1] neg_lo:[1,0,0] neg_hi:[1,0,0]
	;; [unrolled: 2-line block ×5, first 2 shown]
.LBB113_33:
	s_or_b64 exec, exec, s[2:3]
	v_cmp_ne_u32_e32 vcc, 6, v25
	s_waitcnt lgkmcnt(0)
	s_barrier
	s_and_saveexec_b64 s[2:3], vcc
	s_xor_b64 s[2:3], exec, s[2:3]
	s_andn2_saveexec_b64 s[2:3], s[2:3]
	s_cbranch_execz .LBB113_37
; %bb.34:
	s_waitcnt vmcnt(50)
	ds_write_b32 v174, v23
	s_waitcnt vmcnt(48)
	ds_write2_b32 v175, v16, v17 offset0:7 offset1:8
	s_waitcnt vmcnt(46)
	ds_write2_b32 v175, v46, v47 offset0:9 offset1:10
	;; [unrolled: 2-line block ×25, first 2 shown]
	ds_read_b32 v182, v174
	s_waitcnt lgkmcnt(0)
	v_cmp_neq_f32_e32 vcc, 0, v182
	s_and_saveexec_b64 s[4:5], vcc
	s_cbranch_execz .LBB113_36
; %bb.35:
	v_div_scale_f32 v183, s[10:11], v182, v182, 1.0
	v_rcp_f32_e32 v184, v183
	v_div_scale_f32 v185, vcc, 1.0, v182, 1.0
	v_fma_f32 v186, -v183, v184, 1.0
	v_fmac_f32_e32 v184, v186, v184
	v_mul_f32_e32 v186, v185, v184
	v_fma_f32 v187, -v183, v186, v185
	v_fmac_f32_e32 v186, v187, v184
	v_fma_f32 v183, -v183, v186, v185
	v_div_fmas_f32 v183, v183, v184, v186
	v_div_fixup_f32 v182, v183, v182, 1.0
	ds_write_b32 v174, v182
.LBB113_36:
	s_or_b64 exec, exec, s[4:5]
.LBB113_37:
	s_or_b64 exec, exec, s[2:3]
	s_waitcnt lgkmcnt(0)
	s_barrier
	ds_read_b32 v182, v174
	v_cmp_lt_u32_e32 vcc, 6, v25
	s_and_saveexec_b64 s[2:3], vcc
	s_cbranch_execz .LBB113_39
; %bb.38:
	ds_read2_b32 v[184:185], v175 offset0:7 offset1:8
	ds_read2_b32 v[186:187], v175 offset0:9 offset1:10
	;; [unrolled: 1-line block ×3, first 2 shown]
	s_waitcnt vmcnt(50) lgkmcnt(3)
	v_mul_f32_e32 v190, v182, v23
	ds_read2_b32 v[192:193], v175 offset0:13 offset1:14
	s_waitcnt vmcnt(48) lgkmcnt(3)
	v_pk_fma_f32 v[16:17], v[190:191], v[184:185], v[16:17] op_sel_hi:[0,1,1] neg_lo:[1,0,0] neg_hi:[1,0,0]
	s_waitcnt vmcnt(46) lgkmcnt(2)
	v_pk_fma_f32 v[46:47], v[190:191], v[186:187], v[46:47] op_sel_hi:[0,1,1] neg_lo:[1,0,0] neg_hi:[1,0,0]
	s_waitcnt vmcnt(44) lgkmcnt(1)
	v_pk_fma_f32 v[50:51], v[190:191], v[188:189], v[50:51] op_sel_hi:[0,1,1] neg_lo:[1,0,0] neg_hi:[1,0,0]
	ds_read2_b32 v[184:185], v175 offset0:15 offset1:16
	ds_read2_b32 v[186:187], v175 offset0:17 offset1:18
	ds_read2_b32 v[188:189], v175 offset0:19 offset1:20
	s_waitcnt vmcnt(42) lgkmcnt(3)
	v_pk_fma_f32 v[44:45], v[190:191], v[192:193], v[44:45] op_sel_hi:[0,1,1] neg_lo:[1,0,0] neg_hi:[1,0,0]
	ds_read2_b32 v[192:193], v175 offset0:21 offset1:22
	s_waitcnt vmcnt(40) lgkmcnt(3)
	v_pk_fma_f32 v[48:49], v[190:191], v[184:185], v[48:49] op_sel_hi:[0,1,1] neg_lo:[1,0,0] neg_hi:[1,0,0]
	s_waitcnt vmcnt(38) lgkmcnt(2)
	v_pk_fma_f32 v[74:75], v[190:191], v[186:187], v[74:75] op_sel_hi:[0,1,1] neg_lo:[1,0,0] neg_hi:[1,0,0]
	s_waitcnt vmcnt(36) lgkmcnt(1)
	v_pk_fma_f32 v[68:69], v[190:191], v[188:189], v[68:69] op_sel_hi:[0,1,1] neg_lo:[1,0,0] neg_hi:[1,0,0]
	ds_read2_b32 v[184:185], v175 offset0:23 offset1:24
	ds_read2_b32 v[186:187], v175 offset0:25 offset1:26
	ds_read2_b32 v[188:189], v175 offset0:27 offset1:28
	s_waitcnt vmcnt(34) lgkmcnt(3)
	v_pk_fma_f32 v[70:71], v[190:191], v[192:193], v[70:71] op_sel_hi:[0,1,1] neg_lo:[1,0,0] neg_hi:[1,0,0]
	ds_read2_b32 v[192:193], v175 offset0:29 offset1:30
	s_waitcnt vmcnt(32) lgkmcnt(3)
	v_pk_fma_f32 v[72:73], v[190:191], v[184:185], v[72:73] op_sel_hi:[0,1,1] neg_lo:[1,0,0] neg_hi:[1,0,0]
	s_waitcnt vmcnt(30) lgkmcnt(2)
	v_pk_fma_f32 v[94:95], v[190:191], v[186:187], v[94:95] op_sel_hi:[0,1,1] neg_lo:[1,0,0] neg_hi:[1,0,0]
	s_waitcnt vmcnt(28) lgkmcnt(1)
	v_pk_fma_f32 v[96:97], v[190:191], v[188:189], v[96:97] op_sel_hi:[0,1,1] neg_lo:[1,0,0] neg_hi:[1,0,0]
	ds_read2_b32 v[184:185], v175 offset0:31 offset1:32
	ds_read2_b32 v[186:187], v175 offset0:33 offset1:34
	ds_read2_b32 v[188:189], v175 offset0:35 offset1:36
	s_waitcnt vmcnt(26) lgkmcnt(3)
	v_pk_fma_f32 v[98:99], v[190:191], v[192:193], v[98:99] op_sel_hi:[0,1,1] neg_lo:[1,0,0] neg_hi:[1,0,0]
	ds_read2_b32 v[192:193], v175 offset0:37 offset1:38
	s_waitcnt vmcnt(24) lgkmcnt(3)
	v_pk_fma_f32 v[92:93], v[190:191], v[184:185], v[92:93] op_sel_hi:[0,1,1] neg_lo:[1,0,0] neg_hi:[1,0,0]
	s_waitcnt vmcnt(22) lgkmcnt(2)
	v_pk_fma_f32 v[118:119], v[190:191], v[186:187], v[118:119] op_sel_hi:[0,1,1] neg_lo:[1,0,0] neg_hi:[1,0,0]
	s_waitcnt vmcnt(20) lgkmcnt(1)
	v_pk_fma_f32 v[122:123], v[190:191], v[188:189], v[122:123] op_sel_hi:[0,1,1] neg_lo:[1,0,0] neg_hi:[1,0,0]
	ds_read2_b32 v[184:185], v175 offset0:39 offset1:40
	ds_read2_b32 v[186:187], v175 offset0:41 offset1:42
	;; [unrolled: 1-line block ×4, first 2 shown]
	s_waitcnt vmcnt(18) lgkmcnt(4)
	v_pk_fma_f32 v[116:117], v[190:191], v[192:193], v[116:117] op_sel_hi:[0,1,1] neg_lo:[1,0,0] neg_hi:[1,0,0]
	s_waitcnt vmcnt(16) lgkmcnt(3)
	v_pk_fma_f32 v[120:121], v[190:191], v[184:185], v[120:121] op_sel_hi:[0,1,1] neg_lo:[1,0,0] neg_hi:[1,0,0]
	;; [unrolled: 2-line block ×5, first 2 shown]
	ds_read2_b32 v[184:185], v175 offset0:47 offset1:48
	ds_read2_b32 v[186:187], v175 offset0:49 offset1:50
	;; [unrolled: 1-line block ×5, first 2 shown]
	s_waitcnt vmcnt(8) lgkmcnt(4)
	v_pk_fma_f32 v[144:145], v[190:191], v[184:185], v[144:145] op_sel_hi:[0,1,1] neg_lo:[1,0,0] neg_hi:[1,0,0]
	s_waitcnt vmcnt(6) lgkmcnt(3)
	v_pk_fma_f32 v[164:165], v[190:191], v[186:187], v[164:165] op_sel_hi:[0,1,1] neg_lo:[1,0,0] neg_hi:[1,0,0]
	;; [unrolled: 2-line block ×5, first 2 shown]
	v_mov_b32_e32 v23, v190
.LBB113_39:
	s_or_b64 exec, exec, s[2:3]
	v_cmp_eq_u32_e32 vcc, 7, v25
	s_waitcnt lgkmcnt(0)
	s_barrier
	s_and_saveexec_b64 s[2:3], vcc
	s_cbranch_execz .LBB113_42
; %bb.40:
	s_waitcnt vmcnt(46)
	v_pk_mov_b32 v[184:185], v[16:17], v[46:47] op_sel:[1,0]
	ds_write_b32 v174, v16
	ds_write2_b32 v175, v184, v185 offset0:8 offset1:9
	s_waitcnt vmcnt(44)
	v_pk_mov_b32 v[184:185], v[46:47], v[50:51] op_sel:[1,0]
	ds_write2_b32 v175, v184, v185 offset0:10 offset1:11
	s_waitcnt vmcnt(42)
	v_pk_mov_b32 v[184:185], v[50:51], v[44:45] op_sel:[1,0]
	;; [unrolled: 3-line block ×23, first 2 shown]
	ds_write2_b32 v175, v184, v185 offset0:54 offset1:55
	ds_write_b32 v175, v171 offset:224
	ds_read_b32 v183, v174
	s_waitcnt lgkmcnt(0)
	v_cmp_neq_f32_e32 vcc, 0, v183
	s_and_b64 exec, exec, vcc
	s_cbranch_execz .LBB113_42
; %bb.41:
	v_div_scale_f32 v184, s[4:5], v183, v183, 1.0
	v_rcp_f32_e32 v185, v184
	v_div_scale_f32 v186, vcc, 1.0, v183, 1.0
	v_fma_f32 v187, -v184, v185, 1.0
	v_fmac_f32_e32 v185, v187, v185
	v_mul_f32_e32 v187, v186, v185
	v_fma_f32 v188, -v184, v187, v186
	v_fmac_f32_e32 v187, v188, v185
	v_fma_f32 v184, -v184, v187, v186
	v_div_fmas_f32 v184, v184, v185, v187
	v_div_fixup_f32 v183, v184, v183, 1.0
	ds_write_b32 v174, v183
.LBB113_42:
	s_or_b64 exec, exec, s[2:3]
	s_waitcnt lgkmcnt(0)
	s_barrier
	ds_read_b32 v183, v174
	v_cmp_lt_u32_e32 vcc, 7, v25
	s_and_saveexec_b64 s[2:3], vcc
	s_cbranch_execz .LBB113_44
; %bb.43:
	ds_read_b32 v190, v175 offset:32
	ds_read2_b32 v[184:185], v175 offset0:9 offset1:10
	ds_read2_b32 v[186:187], v175 offset0:11 offset1:12
	s_waitcnt vmcnt(49) lgkmcnt(3)
	v_mul_f32_e32 v16, v183, v16
	ds_read2_b32 v[188:189], v175 offset0:13 offset1:14
	s_waitcnt vmcnt(48) lgkmcnt(3)
	v_fma_f32 v17, -v16, v190, v17
	s_waitcnt vmcnt(46) lgkmcnt(2)
	v_pk_fma_f32 v[46:47], v[16:17], v[184:185], v[46:47] op_sel_hi:[0,1,1] neg_lo:[1,0,0] neg_hi:[1,0,0]
	s_waitcnt vmcnt(44) lgkmcnt(1)
	v_pk_fma_f32 v[50:51], v[16:17], v[186:187], v[50:51] op_sel_hi:[0,1,1] neg_lo:[1,0,0] neg_hi:[1,0,0]
	ds_read2_b32 v[184:185], v175 offset0:15 offset1:16
	ds_read2_b32 v[186:187], v175 offset0:17 offset1:18
	ds_read2_b32 v[190:191], v175 offset0:19 offset1:20
	s_waitcnt vmcnt(42) lgkmcnt(3)
	v_pk_fma_f32 v[44:45], v[16:17], v[188:189], v[44:45] op_sel_hi:[0,1,1] neg_lo:[1,0,0] neg_hi:[1,0,0]
	ds_read2_b32 v[188:189], v175 offset0:21 offset1:22
	s_waitcnt vmcnt(40) lgkmcnt(3)
	v_pk_fma_f32 v[48:49], v[16:17], v[184:185], v[48:49] op_sel_hi:[0,1,1] neg_lo:[1,0,0] neg_hi:[1,0,0]
	s_waitcnt vmcnt(38) lgkmcnt(2)
	v_pk_fma_f32 v[74:75], v[16:17], v[186:187], v[74:75] op_sel_hi:[0,1,1] neg_lo:[1,0,0] neg_hi:[1,0,0]
	s_waitcnt vmcnt(36) lgkmcnt(1)
	v_pk_fma_f32 v[68:69], v[16:17], v[190:191], v[68:69] op_sel_hi:[0,1,1] neg_lo:[1,0,0] neg_hi:[1,0,0]
	ds_read2_b32 v[184:185], v175 offset0:23 offset1:24
	ds_read2_b32 v[186:187], v175 offset0:25 offset1:26
	ds_read2_b32 v[190:191], v175 offset0:27 offset1:28
	s_waitcnt vmcnt(34) lgkmcnt(3)
	v_pk_fma_f32 v[70:71], v[16:17], v[188:189], v[70:71] op_sel_hi:[0,1,1] neg_lo:[1,0,0] neg_hi:[1,0,0]
	ds_read2_b32 v[188:189], v175 offset0:29 offset1:30
	s_waitcnt vmcnt(32) lgkmcnt(3)
	v_pk_fma_f32 v[72:73], v[16:17], v[184:185], v[72:73] op_sel_hi:[0,1,1] neg_lo:[1,0,0] neg_hi:[1,0,0]
	;; [unrolled: 12-line block ×3, first 2 shown]
	s_waitcnt vmcnt(22) lgkmcnt(2)
	v_pk_fma_f32 v[118:119], v[16:17], v[186:187], v[118:119] op_sel_hi:[0,1,1] neg_lo:[1,0,0] neg_hi:[1,0,0]
	s_waitcnt vmcnt(20) lgkmcnt(1)
	v_pk_fma_f32 v[122:123], v[16:17], v[190:191], v[122:123] op_sel_hi:[0,1,1] neg_lo:[1,0,0] neg_hi:[1,0,0]
	ds_read2_b32 v[184:185], v175 offset0:39 offset1:40
	ds_read2_b32 v[186:187], v175 offset0:41 offset1:42
	ds_read2_b32 v[190:191], v175 offset0:43 offset1:44
	ds_read2_b32 v[192:193], v175 offset0:45 offset1:46
	s_waitcnt vmcnt(18) lgkmcnt(4)
	v_pk_fma_f32 v[116:117], v[16:17], v[188:189], v[116:117] op_sel_hi:[0,1,1] neg_lo:[1,0,0] neg_hi:[1,0,0]
	s_waitcnt vmcnt(16) lgkmcnt(3)
	v_pk_fma_f32 v[120:121], v[16:17], v[184:185], v[120:121] op_sel_hi:[0,1,1] neg_lo:[1,0,0] neg_hi:[1,0,0]
	;; [unrolled: 2-line block ×5, first 2 shown]
	ds_read2_b32 v[184:185], v175 offset0:47 offset1:48
	ds_read2_b32 v[186:187], v175 offset0:49 offset1:50
	;; [unrolled: 1-line block ×5, first 2 shown]
	s_waitcnt vmcnt(8) lgkmcnt(4)
	v_pk_fma_f32 v[144:145], v[16:17], v[184:185], v[144:145] op_sel_hi:[0,1,1] neg_lo:[1,0,0] neg_hi:[1,0,0]
	s_waitcnt vmcnt(6) lgkmcnt(3)
	v_pk_fma_f32 v[164:165], v[16:17], v[186:187], v[164:165] op_sel_hi:[0,1,1] neg_lo:[1,0,0] neg_hi:[1,0,0]
	;; [unrolled: 2-line block ×5, first 2 shown]
.LBB113_44:
	s_or_b64 exec, exec, s[2:3]
	v_cmp_ne_u32_e32 vcc, 8, v25
	s_waitcnt lgkmcnt(0)
	s_barrier
	s_and_saveexec_b64 s[2:3], vcc
	s_xor_b64 s[2:3], exec, s[2:3]
	s_andn2_saveexec_b64 s[2:3], s[2:3]
	s_cbranch_execz .LBB113_48
; %bb.45:
	s_waitcnt vmcnt(48)
	ds_write_b32 v174, v17
	s_waitcnt vmcnt(46)
	ds_write2_b32 v175, v46, v47 offset0:9 offset1:10
	s_waitcnt vmcnt(44)
	ds_write2_b32 v175, v50, v51 offset0:11 offset1:12
	s_waitcnt vmcnt(42)
	ds_write2_b32 v175, v44, v45 offset0:13 offset1:14
	s_waitcnt vmcnt(40)
	ds_write2_b32 v175, v48, v49 offset0:15 offset1:16
	s_waitcnt vmcnt(38)
	ds_write2_b32 v175, v74, v75 offset0:17 offset1:18
	s_waitcnt vmcnt(36)
	ds_write2_b32 v175, v68, v69 offset0:19 offset1:20
	s_waitcnt vmcnt(34)
	ds_write2_b32 v175, v70, v71 offset0:21 offset1:22
	s_waitcnt vmcnt(32)
	ds_write2_b32 v175, v72, v73 offset0:23 offset1:24
	s_waitcnt vmcnt(30)
	ds_write2_b32 v175, v94, v95 offset0:25 offset1:26
	s_waitcnt vmcnt(28)
	ds_write2_b32 v175, v96, v97 offset0:27 offset1:28
	s_waitcnt vmcnt(26)
	ds_write2_b32 v175, v98, v99 offset0:29 offset1:30
	s_waitcnt vmcnt(24)
	ds_write2_b32 v175, v92, v93 offset0:31 offset1:32
	s_waitcnt vmcnt(22)
	ds_write2_b32 v175, v118, v119 offset0:33 offset1:34
	s_waitcnt vmcnt(20)
	ds_write2_b32 v175, v122, v123 offset0:35 offset1:36
	s_waitcnt vmcnt(18)
	ds_write2_b32 v175, v116, v117 offset0:37 offset1:38
	s_waitcnt vmcnt(16)
	ds_write2_b32 v175, v120, v121 offset0:39 offset1:40
	s_waitcnt vmcnt(14)
	ds_write2_b32 v175, v146, v147 offset0:41 offset1:42
	s_waitcnt vmcnt(12)
	ds_write2_b32 v175, v140, v141 offset0:43 offset1:44
	s_waitcnt vmcnt(10)
	ds_write2_b32 v175, v142, v143 offset0:45 offset1:46
	s_waitcnt vmcnt(8)
	ds_write2_b32 v175, v144, v145 offset0:47 offset1:48
	s_waitcnt vmcnt(6)
	ds_write2_b32 v175, v164, v165 offset0:49 offset1:50
	s_waitcnt vmcnt(4)
	ds_write2_b32 v175, v166, v167 offset0:51 offset1:52
	s_waitcnt vmcnt(2)
	ds_write2_b32 v175, v168, v169 offset0:53 offset1:54
	s_waitcnt vmcnt(0)
	ds_write2_b32 v175, v170, v171 offset0:55 offset1:56
	ds_read_b32 v184, v174
	s_waitcnt lgkmcnt(0)
	v_cmp_neq_f32_e32 vcc, 0, v184
	s_and_saveexec_b64 s[4:5], vcc
	s_cbranch_execz .LBB113_47
; %bb.46:
	v_div_scale_f32 v185, s[10:11], v184, v184, 1.0
	v_rcp_f32_e32 v186, v185
	v_div_scale_f32 v187, vcc, 1.0, v184, 1.0
	v_fma_f32 v188, -v185, v186, 1.0
	v_fmac_f32_e32 v186, v188, v186
	v_mul_f32_e32 v188, v187, v186
	v_fma_f32 v189, -v185, v188, v187
	v_fmac_f32_e32 v188, v189, v186
	v_fma_f32 v185, -v185, v188, v187
	v_div_fmas_f32 v185, v185, v186, v188
	v_div_fixup_f32 v184, v185, v184, 1.0
	ds_write_b32 v174, v184
.LBB113_47:
	s_or_b64 exec, exec, s[4:5]
.LBB113_48:
	s_or_b64 exec, exec, s[2:3]
	s_waitcnt lgkmcnt(0)
	s_barrier
	ds_read_b32 v184, v174
	v_cmp_lt_u32_e32 vcc, 8, v25
	s_and_saveexec_b64 s[2:3], vcc
	s_cbranch_execz .LBB113_50
; %bb.49:
	ds_read2_b32 v[186:187], v175 offset0:9 offset1:10
	ds_read2_b32 v[188:189], v175 offset0:11 offset1:12
	;; [unrolled: 1-line block ×3, first 2 shown]
	s_waitcnt vmcnt(48) lgkmcnt(3)
	v_mul_f32_e32 v192, v184, v17
	ds_read2_b32 v[194:195], v175 offset0:15 offset1:16
	s_waitcnt vmcnt(46) lgkmcnt(3)
	v_pk_fma_f32 v[46:47], v[192:193], v[186:187], v[46:47] op_sel_hi:[0,1,1] neg_lo:[1,0,0] neg_hi:[1,0,0]
	s_waitcnt vmcnt(44) lgkmcnt(2)
	v_pk_fma_f32 v[50:51], v[192:193], v[188:189], v[50:51] op_sel_hi:[0,1,1] neg_lo:[1,0,0] neg_hi:[1,0,0]
	s_waitcnt vmcnt(42) lgkmcnt(1)
	v_pk_fma_f32 v[44:45], v[192:193], v[190:191], v[44:45] op_sel_hi:[0,1,1] neg_lo:[1,0,0] neg_hi:[1,0,0]
	ds_read2_b32 v[186:187], v175 offset0:17 offset1:18
	ds_read2_b32 v[188:189], v175 offset0:19 offset1:20
	ds_read2_b32 v[190:191], v175 offset0:21 offset1:22
	s_waitcnt vmcnt(40) lgkmcnt(3)
	v_pk_fma_f32 v[48:49], v[192:193], v[194:195], v[48:49] op_sel_hi:[0,1,1] neg_lo:[1,0,0] neg_hi:[1,0,0]
	ds_read2_b32 v[194:195], v175 offset0:23 offset1:24
	s_waitcnt vmcnt(38) lgkmcnt(3)
	v_pk_fma_f32 v[74:75], v[192:193], v[186:187], v[74:75] op_sel_hi:[0,1,1] neg_lo:[1,0,0] neg_hi:[1,0,0]
	s_waitcnt vmcnt(36) lgkmcnt(2)
	v_pk_fma_f32 v[68:69], v[192:193], v[188:189], v[68:69] op_sel_hi:[0,1,1] neg_lo:[1,0,0] neg_hi:[1,0,0]
	s_waitcnt vmcnt(34) lgkmcnt(1)
	v_pk_fma_f32 v[70:71], v[192:193], v[190:191], v[70:71] op_sel_hi:[0,1,1] neg_lo:[1,0,0] neg_hi:[1,0,0]
	ds_read2_b32 v[186:187], v175 offset0:25 offset1:26
	ds_read2_b32 v[188:189], v175 offset0:27 offset1:28
	ds_read2_b32 v[190:191], v175 offset0:29 offset1:30
	s_waitcnt vmcnt(32) lgkmcnt(3)
	v_pk_fma_f32 v[72:73], v[192:193], v[194:195], v[72:73] op_sel_hi:[0,1,1] neg_lo:[1,0,0] neg_hi:[1,0,0]
	;; [unrolled: 12-line block ×4, first 2 shown]
	ds_read2_b32 v[194:195], v175 offset0:47 offset1:48
	s_waitcnt vmcnt(14) lgkmcnt(3)
	v_pk_fma_f32 v[146:147], v[192:193], v[186:187], v[146:147] op_sel_hi:[0,1,1] neg_lo:[1,0,0] neg_hi:[1,0,0]
	s_waitcnt vmcnt(12) lgkmcnt(2)
	v_pk_fma_f32 v[140:141], v[192:193], v[188:189], v[140:141] op_sel_hi:[0,1,1] neg_lo:[1,0,0] neg_hi:[1,0,0]
	;; [unrolled: 2-line block ×3, first 2 shown]
	ds_read2_b32 v[186:187], v175 offset0:49 offset1:50
	ds_read2_b32 v[188:189], v175 offset0:51 offset1:52
	;; [unrolled: 1-line block ×4, first 2 shown]
	s_waitcnt vmcnt(8) lgkmcnt(4)
	v_pk_fma_f32 v[144:145], v[192:193], v[194:195], v[144:145] op_sel_hi:[0,1,1] neg_lo:[1,0,0] neg_hi:[1,0,0]
	s_waitcnt vmcnt(6) lgkmcnt(3)
	v_pk_fma_f32 v[164:165], v[192:193], v[186:187], v[164:165] op_sel_hi:[0,1,1] neg_lo:[1,0,0] neg_hi:[1,0,0]
	;; [unrolled: 2-line block ×5, first 2 shown]
	v_mov_b32_e32 v17, v192
.LBB113_50:
	s_or_b64 exec, exec, s[2:3]
	v_cmp_eq_u32_e32 vcc, 9, v25
	s_waitcnt lgkmcnt(0)
	s_barrier
	s_and_saveexec_b64 s[2:3], vcc
	s_cbranch_execz .LBB113_53
; %bb.51:
	s_waitcnt vmcnt(44)
	v_pk_mov_b32 v[186:187], v[46:47], v[50:51] op_sel:[1,0]
	ds_write_b32 v174, v46
	ds_write2_b32 v175, v186, v187 offset0:10 offset1:11
	s_waitcnt vmcnt(42)
	v_pk_mov_b32 v[186:187], v[50:51], v[44:45] op_sel:[1,0]
	ds_write2_b32 v175, v186, v187 offset0:12 offset1:13
	s_waitcnt vmcnt(40)
	v_pk_mov_b32 v[186:187], v[44:45], v[48:49] op_sel:[1,0]
	;; [unrolled: 3-line block ×22, first 2 shown]
	ds_write2_b32 v175, v186, v187 offset0:54 offset1:55
	ds_write_b32 v175, v171 offset:224
	ds_read_b32 v185, v174
	s_waitcnt lgkmcnt(0)
	v_cmp_neq_f32_e32 vcc, 0, v185
	s_and_b64 exec, exec, vcc
	s_cbranch_execz .LBB113_53
; %bb.52:
	v_div_scale_f32 v186, s[4:5], v185, v185, 1.0
	v_rcp_f32_e32 v187, v186
	v_div_scale_f32 v188, vcc, 1.0, v185, 1.0
	v_fma_f32 v189, -v186, v187, 1.0
	v_fmac_f32_e32 v187, v189, v187
	v_mul_f32_e32 v189, v188, v187
	v_fma_f32 v190, -v186, v189, v188
	v_fmac_f32_e32 v189, v190, v187
	v_fma_f32 v186, -v186, v189, v188
	v_div_fmas_f32 v186, v186, v187, v189
	v_div_fixup_f32 v185, v186, v185, 1.0
	ds_write_b32 v174, v185
.LBB113_53:
	s_or_b64 exec, exec, s[2:3]
	s_waitcnt lgkmcnt(0)
	s_barrier
	ds_read_b32 v185, v174
	v_cmp_lt_u32_e32 vcc, 9, v25
	s_and_saveexec_b64 s[2:3], vcc
	s_cbranch_execz .LBB113_55
; %bb.54:
	ds_read_b32 v192, v175 offset:40
	ds_read2_b32 v[186:187], v175 offset0:11 offset1:12
	ds_read2_b32 v[188:189], v175 offset0:13 offset1:14
	s_waitcnt vmcnt(47) lgkmcnt(3)
	v_mul_f32_e32 v46, v185, v46
	ds_read2_b32 v[190:191], v175 offset0:15 offset1:16
	s_waitcnt vmcnt(46) lgkmcnt(3)
	v_fma_f32 v47, -v46, v192, v47
	s_waitcnt vmcnt(44) lgkmcnt(2)
	v_pk_fma_f32 v[50:51], v[46:47], v[186:187], v[50:51] op_sel_hi:[0,1,1] neg_lo:[1,0,0] neg_hi:[1,0,0]
	s_waitcnt vmcnt(42) lgkmcnt(1)
	v_pk_fma_f32 v[44:45], v[46:47], v[188:189], v[44:45] op_sel_hi:[0,1,1] neg_lo:[1,0,0] neg_hi:[1,0,0]
	ds_read2_b32 v[186:187], v175 offset0:17 offset1:18
	ds_read2_b32 v[188:189], v175 offset0:19 offset1:20
	ds_read2_b32 v[192:193], v175 offset0:21 offset1:22
	s_waitcnt vmcnt(40) lgkmcnt(3)
	v_pk_fma_f32 v[48:49], v[46:47], v[190:191], v[48:49] op_sel_hi:[0,1,1] neg_lo:[1,0,0] neg_hi:[1,0,0]
	ds_read2_b32 v[190:191], v175 offset0:23 offset1:24
	s_waitcnt vmcnt(38) lgkmcnt(3)
	v_pk_fma_f32 v[74:75], v[46:47], v[186:187], v[74:75] op_sel_hi:[0,1,1] neg_lo:[1,0,0] neg_hi:[1,0,0]
	s_waitcnt vmcnt(36) lgkmcnt(2)
	v_pk_fma_f32 v[68:69], v[46:47], v[188:189], v[68:69] op_sel_hi:[0,1,1] neg_lo:[1,0,0] neg_hi:[1,0,0]
	s_waitcnt vmcnt(34) lgkmcnt(1)
	v_pk_fma_f32 v[70:71], v[46:47], v[192:193], v[70:71] op_sel_hi:[0,1,1] neg_lo:[1,0,0] neg_hi:[1,0,0]
	ds_read2_b32 v[186:187], v175 offset0:25 offset1:26
	ds_read2_b32 v[188:189], v175 offset0:27 offset1:28
	ds_read2_b32 v[192:193], v175 offset0:29 offset1:30
	s_waitcnt vmcnt(32) lgkmcnt(3)
	v_pk_fma_f32 v[72:73], v[46:47], v[190:191], v[72:73] op_sel_hi:[0,1,1] neg_lo:[1,0,0] neg_hi:[1,0,0]
	ds_read2_b32 v[190:191], v175 offset0:31 offset1:32
	s_waitcnt vmcnt(30) lgkmcnt(3)
	v_pk_fma_f32 v[94:95], v[46:47], v[186:187], v[94:95] op_sel_hi:[0,1,1] neg_lo:[1,0,0] neg_hi:[1,0,0]
	;; [unrolled: 12-line block ×4, first 2 shown]
	s_waitcnt vmcnt(12) lgkmcnt(2)
	v_pk_fma_f32 v[140:141], v[46:47], v[188:189], v[140:141] op_sel_hi:[0,1,1] neg_lo:[1,0,0] neg_hi:[1,0,0]
	s_waitcnt vmcnt(10) lgkmcnt(1)
	v_pk_fma_f32 v[142:143], v[46:47], v[192:193], v[142:143] op_sel_hi:[0,1,1] neg_lo:[1,0,0] neg_hi:[1,0,0]
	ds_read2_b32 v[186:187], v175 offset0:49 offset1:50
	ds_read2_b32 v[188:189], v175 offset0:51 offset1:52
	;; [unrolled: 1-line block ×4, first 2 shown]
	s_waitcnt vmcnt(8) lgkmcnt(4)
	v_pk_fma_f32 v[144:145], v[46:47], v[190:191], v[144:145] op_sel_hi:[0,1,1] neg_lo:[1,0,0] neg_hi:[1,0,0]
	s_waitcnt vmcnt(6) lgkmcnt(3)
	v_pk_fma_f32 v[164:165], v[46:47], v[186:187], v[164:165] op_sel_hi:[0,1,1] neg_lo:[1,0,0] neg_hi:[1,0,0]
	;; [unrolled: 2-line block ×5, first 2 shown]
.LBB113_55:
	s_or_b64 exec, exec, s[2:3]
	v_cmp_ne_u32_e32 vcc, 10, v25
	s_waitcnt lgkmcnt(0)
	s_barrier
	s_and_saveexec_b64 s[2:3], vcc
	s_xor_b64 s[2:3], exec, s[2:3]
	s_andn2_saveexec_b64 s[2:3], s[2:3]
	s_cbranch_execz .LBB113_59
; %bb.56:
	s_waitcnt vmcnt(46)
	ds_write_b32 v174, v47
	s_waitcnt vmcnt(44)
	ds_write2_b32 v175, v50, v51 offset0:11 offset1:12
	s_waitcnt vmcnt(42)
	ds_write2_b32 v175, v44, v45 offset0:13 offset1:14
	s_waitcnt vmcnt(40)
	ds_write2_b32 v175, v48, v49 offset0:15 offset1:16
	s_waitcnt vmcnt(38)
	ds_write2_b32 v175, v74, v75 offset0:17 offset1:18
	s_waitcnt vmcnt(36)
	ds_write2_b32 v175, v68, v69 offset0:19 offset1:20
	s_waitcnt vmcnt(34)
	ds_write2_b32 v175, v70, v71 offset0:21 offset1:22
	s_waitcnt vmcnt(32)
	ds_write2_b32 v175, v72, v73 offset0:23 offset1:24
	s_waitcnt vmcnt(30)
	ds_write2_b32 v175, v94, v95 offset0:25 offset1:26
	s_waitcnt vmcnt(28)
	ds_write2_b32 v175, v96, v97 offset0:27 offset1:28
	s_waitcnt vmcnt(26)
	ds_write2_b32 v175, v98, v99 offset0:29 offset1:30
	s_waitcnt vmcnt(24)
	ds_write2_b32 v175, v92, v93 offset0:31 offset1:32
	s_waitcnt vmcnt(22)
	ds_write2_b32 v175, v118, v119 offset0:33 offset1:34
	s_waitcnt vmcnt(20)
	ds_write2_b32 v175, v122, v123 offset0:35 offset1:36
	s_waitcnt vmcnt(18)
	ds_write2_b32 v175, v116, v117 offset0:37 offset1:38
	s_waitcnt vmcnt(16)
	ds_write2_b32 v175, v120, v121 offset0:39 offset1:40
	s_waitcnt vmcnt(14)
	ds_write2_b32 v175, v146, v147 offset0:41 offset1:42
	s_waitcnt vmcnt(12)
	ds_write2_b32 v175, v140, v141 offset0:43 offset1:44
	s_waitcnt vmcnt(10)
	ds_write2_b32 v175, v142, v143 offset0:45 offset1:46
	s_waitcnt vmcnt(8)
	ds_write2_b32 v175, v144, v145 offset0:47 offset1:48
	s_waitcnt vmcnt(6)
	ds_write2_b32 v175, v164, v165 offset0:49 offset1:50
	s_waitcnt vmcnt(4)
	ds_write2_b32 v175, v166, v167 offset0:51 offset1:52
	s_waitcnt vmcnt(2)
	ds_write2_b32 v175, v168, v169 offset0:53 offset1:54
	s_waitcnt vmcnt(0)
	ds_write2_b32 v175, v170, v171 offset0:55 offset1:56
	ds_read_b32 v186, v174
	s_waitcnt lgkmcnt(0)
	v_cmp_neq_f32_e32 vcc, 0, v186
	s_and_saveexec_b64 s[4:5], vcc
	s_cbranch_execz .LBB113_58
; %bb.57:
	v_div_scale_f32 v187, s[10:11], v186, v186, 1.0
	v_rcp_f32_e32 v188, v187
	v_div_scale_f32 v189, vcc, 1.0, v186, 1.0
	v_fma_f32 v190, -v187, v188, 1.0
	v_fmac_f32_e32 v188, v190, v188
	v_mul_f32_e32 v190, v189, v188
	v_fma_f32 v191, -v187, v190, v189
	v_fmac_f32_e32 v190, v191, v188
	v_fma_f32 v187, -v187, v190, v189
	v_div_fmas_f32 v187, v187, v188, v190
	v_div_fixup_f32 v186, v187, v186, 1.0
	ds_write_b32 v174, v186
.LBB113_58:
	s_or_b64 exec, exec, s[4:5]
.LBB113_59:
	s_or_b64 exec, exec, s[2:3]
	s_waitcnt lgkmcnt(0)
	s_barrier
	ds_read_b32 v186, v174
	v_cmp_lt_u32_e32 vcc, 10, v25
	s_and_saveexec_b64 s[2:3], vcc
	s_cbranch_execz .LBB113_61
; %bb.60:
	ds_read2_b32 v[188:189], v175 offset0:11 offset1:12
	ds_read2_b32 v[190:191], v175 offset0:13 offset1:14
	;; [unrolled: 1-line block ×3, first 2 shown]
	s_waitcnt vmcnt(46) lgkmcnt(3)
	v_mul_f32_e32 v194, v186, v47
	ds_read2_b32 v[196:197], v175 offset0:17 offset1:18
	s_waitcnt vmcnt(44) lgkmcnt(3)
	v_pk_fma_f32 v[50:51], v[194:195], v[188:189], v[50:51] op_sel_hi:[0,1,1] neg_lo:[1,0,0] neg_hi:[1,0,0]
	s_waitcnt vmcnt(42) lgkmcnt(2)
	v_pk_fma_f32 v[44:45], v[194:195], v[190:191], v[44:45] op_sel_hi:[0,1,1] neg_lo:[1,0,0] neg_hi:[1,0,0]
	s_waitcnt vmcnt(40) lgkmcnt(1)
	v_pk_fma_f32 v[48:49], v[194:195], v[192:193], v[48:49] op_sel_hi:[0,1,1] neg_lo:[1,0,0] neg_hi:[1,0,0]
	ds_read2_b32 v[188:189], v175 offset0:19 offset1:20
	ds_read2_b32 v[190:191], v175 offset0:21 offset1:22
	ds_read2_b32 v[192:193], v175 offset0:23 offset1:24
	s_waitcnt vmcnt(38) lgkmcnt(3)
	v_pk_fma_f32 v[74:75], v[194:195], v[196:197], v[74:75] op_sel_hi:[0,1,1] neg_lo:[1,0,0] neg_hi:[1,0,0]
	ds_read2_b32 v[196:197], v175 offset0:25 offset1:26
	s_waitcnt vmcnt(36) lgkmcnt(3)
	v_pk_fma_f32 v[68:69], v[194:195], v[188:189], v[68:69] op_sel_hi:[0,1,1] neg_lo:[1,0,0] neg_hi:[1,0,0]
	s_waitcnt vmcnt(34) lgkmcnt(2)
	v_pk_fma_f32 v[70:71], v[194:195], v[190:191], v[70:71] op_sel_hi:[0,1,1] neg_lo:[1,0,0] neg_hi:[1,0,0]
	s_waitcnt vmcnt(32) lgkmcnt(1)
	v_pk_fma_f32 v[72:73], v[194:195], v[192:193], v[72:73] op_sel_hi:[0,1,1] neg_lo:[1,0,0] neg_hi:[1,0,0]
	ds_read2_b32 v[188:189], v175 offset0:27 offset1:28
	ds_read2_b32 v[190:191], v175 offset0:29 offset1:30
	ds_read2_b32 v[192:193], v175 offset0:31 offset1:32
	s_waitcnt vmcnt(30) lgkmcnt(3)
	v_pk_fma_f32 v[94:95], v[194:195], v[196:197], v[94:95] op_sel_hi:[0,1,1] neg_lo:[1,0,0] neg_hi:[1,0,0]
	;; [unrolled: 12-line block ×3, first 2 shown]
	ds_read2_b32 v[196:197], v175 offset0:41 offset1:42
	s_waitcnt vmcnt(20) lgkmcnt(3)
	v_pk_fma_f32 v[122:123], v[194:195], v[188:189], v[122:123] op_sel_hi:[0,1,1] neg_lo:[1,0,0] neg_hi:[1,0,0]
	s_waitcnt vmcnt(18) lgkmcnt(2)
	v_pk_fma_f32 v[116:117], v[194:195], v[190:191], v[116:117] op_sel_hi:[0,1,1] neg_lo:[1,0,0] neg_hi:[1,0,0]
	ds_read2_b32 v[188:189], v175 offset0:43 offset1:44
	ds_read2_b32 v[190:191], v175 offset0:45 offset1:46
	s_waitcnt vmcnt(16) lgkmcnt(3)
	v_pk_fma_f32 v[120:121], v[194:195], v[192:193], v[120:121] op_sel_hi:[0,1,1] neg_lo:[1,0,0] neg_hi:[1,0,0]
	s_waitcnt vmcnt(14) lgkmcnt(2)
	v_pk_fma_f32 v[146:147], v[194:195], v[196:197], v[146:147] op_sel_hi:[0,1,1] neg_lo:[1,0,0] neg_hi:[1,0,0]
	ds_read2_b32 v[192:193], v175 offset0:47 offset1:48
	ds_read2_b32 v[196:197], v175 offset0:49 offset1:50
	s_waitcnt vmcnt(12) lgkmcnt(3)
	v_pk_fma_f32 v[140:141], v[194:195], v[188:189], v[140:141] op_sel_hi:[0,1,1] neg_lo:[1,0,0] neg_hi:[1,0,0]
	s_waitcnt vmcnt(10) lgkmcnt(2)
	v_pk_fma_f32 v[142:143], v[194:195], v[190:191], v[142:143] op_sel_hi:[0,1,1] neg_lo:[1,0,0] neg_hi:[1,0,0]
	ds_read2_b32 v[188:189], v175 offset0:51 offset1:52
	ds_read2_b32 v[190:191], v175 offset0:53 offset1:54
	ds_read2_b32 v[198:199], v175 offset0:55 offset1:56
	s_waitcnt vmcnt(8) lgkmcnt(4)
	v_pk_fma_f32 v[144:145], v[194:195], v[192:193], v[144:145] op_sel_hi:[0,1,1] neg_lo:[1,0,0] neg_hi:[1,0,0]
	s_waitcnt vmcnt(6) lgkmcnt(3)
	v_pk_fma_f32 v[164:165], v[194:195], v[196:197], v[164:165] op_sel_hi:[0,1,1] neg_lo:[1,0,0] neg_hi:[1,0,0]
	;; [unrolled: 2-line block ×5, first 2 shown]
	v_mov_b32_e32 v47, v194
.LBB113_61:
	s_or_b64 exec, exec, s[2:3]
	v_cmp_eq_u32_e32 vcc, 11, v25
	s_waitcnt lgkmcnt(0)
	s_barrier
	s_and_saveexec_b64 s[2:3], vcc
	s_cbranch_execz .LBB113_64
; %bb.62:
	s_waitcnt vmcnt(42)
	v_pk_mov_b32 v[188:189], v[50:51], v[44:45] op_sel:[1,0]
	ds_write_b32 v174, v50
	ds_write2_b32 v175, v188, v189 offset0:12 offset1:13
	s_waitcnt vmcnt(40)
	v_pk_mov_b32 v[188:189], v[44:45], v[48:49] op_sel:[1,0]
	ds_write2_b32 v175, v188, v189 offset0:14 offset1:15
	s_waitcnt vmcnt(38)
	v_pk_mov_b32 v[188:189], v[48:49], v[74:75] op_sel:[1,0]
	;; [unrolled: 3-line block ×21, first 2 shown]
	ds_write2_b32 v175, v188, v189 offset0:54 offset1:55
	ds_write_b32 v175, v171 offset:224
	ds_read_b32 v187, v174
	s_waitcnt lgkmcnt(0)
	v_cmp_neq_f32_e32 vcc, 0, v187
	s_and_b64 exec, exec, vcc
	s_cbranch_execz .LBB113_64
; %bb.63:
	v_div_scale_f32 v188, s[4:5], v187, v187, 1.0
	v_rcp_f32_e32 v189, v188
	v_div_scale_f32 v190, vcc, 1.0, v187, 1.0
	v_fma_f32 v191, -v188, v189, 1.0
	v_fmac_f32_e32 v189, v191, v189
	v_mul_f32_e32 v191, v190, v189
	v_fma_f32 v192, -v188, v191, v190
	v_fmac_f32_e32 v191, v192, v189
	v_fma_f32 v188, -v188, v191, v190
	v_div_fmas_f32 v188, v188, v189, v191
	v_div_fixup_f32 v187, v188, v187, 1.0
	ds_write_b32 v174, v187
.LBB113_64:
	s_or_b64 exec, exec, s[2:3]
	s_waitcnt lgkmcnt(0)
	s_barrier
	ds_read_b32 v187, v174
	v_cmp_lt_u32_e32 vcc, 11, v25
	s_and_saveexec_b64 s[2:3], vcc
	s_cbranch_execz .LBB113_66
; %bb.65:
	ds_read_b32 v194, v175 offset:48
	ds_read2_b32 v[188:189], v175 offset0:13 offset1:14
	ds_read2_b32 v[190:191], v175 offset0:15 offset1:16
	s_waitcnt vmcnt(45) lgkmcnt(3)
	v_mul_f32_e32 v50, v187, v50
	ds_read2_b32 v[192:193], v175 offset0:17 offset1:18
	s_waitcnt vmcnt(44) lgkmcnt(3)
	v_fma_f32 v51, -v50, v194, v51
	s_waitcnt vmcnt(42) lgkmcnt(2)
	v_pk_fma_f32 v[44:45], v[50:51], v[188:189], v[44:45] op_sel_hi:[0,1,1] neg_lo:[1,0,0] neg_hi:[1,0,0]
	s_waitcnt vmcnt(40) lgkmcnt(1)
	v_pk_fma_f32 v[48:49], v[50:51], v[190:191], v[48:49] op_sel_hi:[0,1,1] neg_lo:[1,0,0] neg_hi:[1,0,0]
	ds_read2_b32 v[188:189], v175 offset0:19 offset1:20
	ds_read2_b32 v[190:191], v175 offset0:21 offset1:22
	ds_read2_b32 v[194:195], v175 offset0:23 offset1:24
	s_waitcnt vmcnt(38) lgkmcnt(3)
	v_pk_fma_f32 v[74:75], v[50:51], v[192:193], v[74:75] op_sel_hi:[0,1,1] neg_lo:[1,0,0] neg_hi:[1,0,0]
	ds_read2_b32 v[192:193], v175 offset0:25 offset1:26
	s_waitcnt vmcnt(36) lgkmcnt(3)
	v_pk_fma_f32 v[68:69], v[50:51], v[188:189], v[68:69] op_sel_hi:[0,1,1] neg_lo:[1,0,0] neg_hi:[1,0,0]
	s_waitcnt vmcnt(34) lgkmcnt(2)
	v_pk_fma_f32 v[70:71], v[50:51], v[190:191], v[70:71] op_sel_hi:[0,1,1] neg_lo:[1,0,0] neg_hi:[1,0,0]
	s_waitcnt vmcnt(32) lgkmcnt(1)
	v_pk_fma_f32 v[72:73], v[50:51], v[194:195], v[72:73] op_sel_hi:[0,1,1] neg_lo:[1,0,0] neg_hi:[1,0,0]
	ds_read2_b32 v[188:189], v175 offset0:27 offset1:28
	ds_read2_b32 v[190:191], v175 offset0:29 offset1:30
	ds_read2_b32 v[194:195], v175 offset0:31 offset1:32
	s_waitcnt vmcnt(30) lgkmcnt(3)
	v_pk_fma_f32 v[94:95], v[50:51], v[192:193], v[94:95] op_sel_hi:[0,1,1] neg_lo:[1,0,0] neg_hi:[1,0,0]
	ds_read2_b32 v[192:193], v175 offset0:33 offset1:34
	s_waitcnt vmcnt(28) lgkmcnt(3)
	v_pk_fma_f32 v[96:97], v[50:51], v[188:189], v[96:97] op_sel_hi:[0,1,1] neg_lo:[1,0,0] neg_hi:[1,0,0]
	;; [unrolled: 12-line block ×3, first 2 shown]
	s_waitcnt vmcnt(18) lgkmcnt(2)
	v_pk_fma_f32 v[116:117], v[50:51], v[190:191], v[116:117] op_sel_hi:[0,1,1] neg_lo:[1,0,0] neg_hi:[1,0,0]
	ds_read2_b32 v[188:189], v175 offset0:43 offset1:44
	ds_read2_b32 v[190:191], v175 offset0:45 offset1:46
	s_waitcnt vmcnt(16) lgkmcnt(3)
	v_pk_fma_f32 v[120:121], v[50:51], v[194:195], v[120:121] op_sel_hi:[0,1,1] neg_lo:[1,0,0] neg_hi:[1,0,0]
	s_waitcnt vmcnt(14) lgkmcnt(2)
	v_pk_fma_f32 v[146:147], v[50:51], v[192:193], v[146:147] op_sel_hi:[0,1,1] neg_lo:[1,0,0] neg_hi:[1,0,0]
	ds_read2_b32 v[192:193], v175 offset0:47 offset1:48
	ds_read2_b32 v[194:195], v175 offset0:49 offset1:50
	s_waitcnt vmcnt(12) lgkmcnt(3)
	v_pk_fma_f32 v[140:141], v[50:51], v[188:189], v[140:141] op_sel_hi:[0,1,1] neg_lo:[1,0,0] neg_hi:[1,0,0]
	s_waitcnt vmcnt(10) lgkmcnt(2)
	v_pk_fma_f32 v[142:143], v[50:51], v[190:191], v[142:143] op_sel_hi:[0,1,1] neg_lo:[1,0,0] neg_hi:[1,0,0]
	ds_read2_b32 v[188:189], v175 offset0:51 offset1:52
	ds_read2_b32 v[190:191], v175 offset0:53 offset1:54
	;; [unrolled: 1-line block ×3, first 2 shown]
	s_waitcnt vmcnt(8) lgkmcnt(4)
	v_pk_fma_f32 v[144:145], v[50:51], v[192:193], v[144:145] op_sel_hi:[0,1,1] neg_lo:[1,0,0] neg_hi:[1,0,0]
	s_waitcnt vmcnt(6) lgkmcnt(3)
	v_pk_fma_f32 v[164:165], v[50:51], v[194:195], v[164:165] op_sel_hi:[0,1,1] neg_lo:[1,0,0] neg_hi:[1,0,0]
	;; [unrolled: 2-line block ×5, first 2 shown]
.LBB113_66:
	s_or_b64 exec, exec, s[2:3]
	v_cmp_ne_u32_e32 vcc, 12, v25
	s_waitcnt lgkmcnt(0)
	s_barrier
	s_and_saveexec_b64 s[2:3], vcc
	s_xor_b64 s[2:3], exec, s[2:3]
	s_andn2_saveexec_b64 s[2:3], s[2:3]
	s_cbranch_execz .LBB113_70
; %bb.67:
	s_waitcnt vmcnt(44)
	ds_write_b32 v174, v51
	s_waitcnt vmcnt(42)
	ds_write2_b32 v175, v44, v45 offset0:13 offset1:14
	s_waitcnt vmcnt(40)
	ds_write2_b32 v175, v48, v49 offset0:15 offset1:16
	;; [unrolled: 2-line block ×22, first 2 shown]
	ds_read_b32 v188, v174
	s_waitcnt lgkmcnt(0)
	v_cmp_neq_f32_e32 vcc, 0, v188
	s_and_saveexec_b64 s[4:5], vcc
	s_cbranch_execz .LBB113_69
; %bb.68:
	v_div_scale_f32 v189, s[10:11], v188, v188, 1.0
	v_rcp_f32_e32 v190, v189
	v_div_scale_f32 v191, vcc, 1.0, v188, 1.0
	v_fma_f32 v192, -v189, v190, 1.0
	v_fmac_f32_e32 v190, v192, v190
	v_mul_f32_e32 v192, v191, v190
	v_fma_f32 v193, -v189, v192, v191
	v_fmac_f32_e32 v192, v193, v190
	v_fma_f32 v189, -v189, v192, v191
	v_div_fmas_f32 v189, v189, v190, v192
	v_div_fixup_f32 v188, v189, v188, 1.0
	ds_write_b32 v174, v188
.LBB113_69:
	s_or_b64 exec, exec, s[4:5]
.LBB113_70:
	s_or_b64 exec, exec, s[2:3]
	s_waitcnt lgkmcnt(0)
	s_barrier
	ds_read_b32 v188, v174
	v_cmp_lt_u32_e32 vcc, 12, v25
	s_and_saveexec_b64 s[2:3], vcc
	s_cbranch_execz .LBB113_72
; %bb.71:
	ds_read2_b32 v[190:191], v175 offset0:13 offset1:14
	ds_read2_b32 v[192:193], v175 offset0:15 offset1:16
	;; [unrolled: 1-line block ×4, first 2 shown]
	s_waitcnt vmcnt(44) lgkmcnt(4)
	v_mul_f32_e32 v196, v188, v51
	s_waitcnt vmcnt(42) lgkmcnt(3)
	v_pk_fma_f32 v[44:45], v[196:197], v[190:191], v[44:45] op_sel_hi:[0,1,1] neg_lo:[1,0,0] neg_hi:[1,0,0]
	s_waitcnt vmcnt(40) lgkmcnt(2)
	v_pk_fma_f32 v[48:49], v[196:197], v[192:193], v[48:49] op_sel_hi:[0,1,1] neg_lo:[1,0,0] neg_hi:[1,0,0]
	s_waitcnt vmcnt(38) lgkmcnt(1)
	v_pk_fma_f32 v[74:75], v[196:197], v[194:195], v[74:75] op_sel_hi:[0,1,1] neg_lo:[1,0,0] neg_hi:[1,0,0]
	ds_read2_b32 v[190:191], v175 offset0:21 offset1:22
	ds_read2_b32 v[192:193], v175 offset0:23 offset1:24
	ds_read2_b32 v[194:195], v175 offset0:25 offset1:26
	s_waitcnt vmcnt(36) lgkmcnt(3)
	v_pk_fma_f32 v[68:69], v[196:197], v[198:199], v[68:69] op_sel_hi:[0,1,1] neg_lo:[1,0,0] neg_hi:[1,0,0]
	ds_read2_b32 v[198:199], v175 offset0:27 offset1:28
	s_waitcnt vmcnt(34) lgkmcnt(3)
	v_pk_fma_f32 v[70:71], v[196:197], v[190:191], v[70:71] op_sel_hi:[0,1,1] neg_lo:[1,0,0] neg_hi:[1,0,0]
	s_waitcnt vmcnt(32) lgkmcnt(2)
	v_pk_fma_f32 v[72:73], v[196:197], v[192:193], v[72:73] op_sel_hi:[0,1,1] neg_lo:[1,0,0] neg_hi:[1,0,0]
	s_waitcnt vmcnt(30) lgkmcnt(1)
	v_pk_fma_f32 v[94:95], v[196:197], v[194:195], v[94:95] op_sel_hi:[0,1,1] neg_lo:[1,0,0] neg_hi:[1,0,0]
	ds_read2_b32 v[190:191], v175 offset0:29 offset1:30
	ds_read2_b32 v[192:193], v175 offset0:31 offset1:32
	ds_read2_b32 v[194:195], v175 offset0:33 offset1:34
	s_waitcnt vmcnt(28) lgkmcnt(3)
	v_pk_fma_f32 v[96:97], v[196:197], v[198:199], v[96:97] op_sel_hi:[0,1,1] neg_lo:[1,0,0] neg_hi:[1,0,0]
	ds_read2_b32 v[198:199], v175 offset0:35 offset1:36
	s_waitcnt vmcnt(26) lgkmcnt(3)
	v_pk_fma_f32 v[98:99], v[196:197], v[190:191], v[98:99] op_sel_hi:[0,1,1] neg_lo:[1,0,0] neg_hi:[1,0,0]
	s_waitcnt vmcnt(24) lgkmcnt(2)
	v_pk_fma_f32 v[92:93], v[196:197], v[192:193], v[92:93] op_sel_hi:[0,1,1] neg_lo:[1,0,0] neg_hi:[1,0,0]
	s_waitcnt vmcnt(22) lgkmcnt(1)
	v_pk_fma_f32 v[118:119], v[196:197], v[194:195], v[118:119] op_sel_hi:[0,1,1] neg_lo:[1,0,0] neg_hi:[1,0,0]
	ds_read2_b32 v[190:191], v175 offset0:37 offset1:38
	ds_read2_b32 v[192:193], v175 offset0:39 offset1:40
	ds_read2_b32 v[194:195], v175 offset0:41 offset1:42
	s_waitcnt vmcnt(20) lgkmcnt(3)
	v_pk_fma_f32 v[122:123], v[196:197], v[198:199], v[122:123] op_sel_hi:[0,1,1] neg_lo:[1,0,0] neg_hi:[1,0,0]
	ds_read2_b32 v[198:199], v175 offset0:43 offset1:44
	s_waitcnt vmcnt(18) lgkmcnt(3)
	v_pk_fma_f32 v[116:117], v[196:197], v[190:191], v[116:117] op_sel_hi:[0,1,1] neg_lo:[1,0,0] neg_hi:[1,0,0]
	ds_read2_b32 v[190:191], v175 offset0:45 offset1:46
	s_waitcnt vmcnt(16) lgkmcnt(3)
	v_pk_fma_f32 v[120:121], v[196:197], v[192:193], v[120:121] op_sel_hi:[0,1,1] neg_lo:[1,0,0] neg_hi:[1,0,0]
	s_waitcnt vmcnt(14) lgkmcnt(2)
	v_pk_fma_f32 v[146:147], v[196:197], v[194:195], v[146:147] op_sel_hi:[0,1,1] neg_lo:[1,0,0] neg_hi:[1,0,0]
	;; [unrolled: 2-line block ×3, first 2 shown]
	ds_read2_b32 v[192:193], v175 offset0:47 offset1:48
	ds_read2_b32 v[194:195], v175 offset0:49 offset1:50
	;; [unrolled: 1-line block ×3, first 2 shown]
	s_waitcnt vmcnt(10) lgkmcnt(3)
	v_pk_fma_f32 v[142:143], v[196:197], v[190:191], v[142:143] op_sel_hi:[0,1,1] neg_lo:[1,0,0] neg_hi:[1,0,0]
	ds_read2_b32 v[190:191], v175 offset0:53 offset1:54
	ds_read2_b32 v[200:201], v175 offset0:55 offset1:56
	s_waitcnt vmcnt(8) lgkmcnt(4)
	v_pk_fma_f32 v[144:145], v[196:197], v[192:193], v[144:145] op_sel_hi:[0,1,1] neg_lo:[1,0,0] neg_hi:[1,0,0]
	s_waitcnt vmcnt(6) lgkmcnt(3)
	v_pk_fma_f32 v[164:165], v[196:197], v[194:195], v[164:165] op_sel_hi:[0,1,1] neg_lo:[1,0,0] neg_hi:[1,0,0]
	;; [unrolled: 2-line block ×5, first 2 shown]
	v_mov_b32_e32 v51, v196
.LBB113_72:
	s_or_b64 exec, exec, s[2:3]
	v_cmp_eq_u32_e32 vcc, 13, v25
	s_waitcnt lgkmcnt(0)
	s_barrier
	s_and_saveexec_b64 s[2:3], vcc
	s_cbranch_execz .LBB113_75
; %bb.73:
	s_waitcnt vmcnt(40)
	v_pk_mov_b32 v[190:191], v[44:45], v[48:49] op_sel:[1,0]
	ds_write_b32 v174, v44
	ds_write2_b32 v175, v190, v191 offset0:14 offset1:15
	s_waitcnt vmcnt(38)
	v_pk_mov_b32 v[190:191], v[48:49], v[74:75] op_sel:[1,0]
	ds_write2_b32 v175, v190, v191 offset0:16 offset1:17
	s_waitcnt vmcnt(36)
	v_pk_mov_b32 v[190:191], v[74:75], v[68:69] op_sel:[1,0]
	;; [unrolled: 3-line block ×20, first 2 shown]
	ds_write2_b32 v175, v190, v191 offset0:54 offset1:55
	ds_write_b32 v175, v171 offset:224
	ds_read_b32 v189, v174
	s_waitcnt lgkmcnt(0)
	v_cmp_neq_f32_e32 vcc, 0, v189
	s_and_b64 exec, exec, vcc
	s_cbranch_execz .LBB113_75
; %bb.74:
	v_div_scale_f32 v190, s[4:5], v189, v189, 1.0
	v_rcp_f32_e32 v191, v190
	v_div_scale_f32 v192, vcc, 1.0, v189, 1.0
	v_fma_f32 v193, -v190, v191, 1.0
	v_fmac_f32_e32 v191, v193, v191
	v_mul_f32_e32 v193, v192, v191
	v_fma_f32 v194, -v190, v193, v192
	v_fmac_f32_e32 v193, v194, v191
	v_fma_f32 v190, -v190, v193, v192
	v_div_fmas_f32 v190, v190, v191, v193
	v_div_fixup_f32 v189, v190, v189, 1.0
	ds_write_b32 v174, v189
.LBB113_75:
	s_or_b64 exec, exec, s[2:3]
	s_waitcnt lgkmcnt(0)
	s_barrier
	ds_read_b32 v189, v174
	v_cmp_lt_u32_e32 vcc, 13, v25
	s_and_saveexec_b64 s[2:3], vcc
	s_cbranch_execz .LBB113_77
; %bb.76:
	ds_read_b32 v196, v175 offset:56
	ds_read2_b32 v[190:191], v175 offset0:15 offset1:16
	ds_read2_b32 v[192:193], v175 offset0:17 offset1:18
	s_waitcnt vmcnt(43) lgkmcnt(3)
	v_mul_f32_e32 v44, v189, v44
	ds_read2_b32 v[194:195], v175 offset0:19 offset1:20
	s_waitcnt vmcnt(42) lgkmcnt(3)
	v_fma_f32 v45, -v44, v196, v45
	s_waitcnt vmcnt(40) lgkmcnt(2)
	v_pk_fma_f32 v[48:49], v[44:45], v[190:191], v[48:49] op_sel_hi:[0,1,1] neg_lo:[1,0,0] neg_hi:[1,0,0]
	s_waitcnt vmcnt(38) lgkmcnt(1)
	v_pk_fma_f32 v[74:75], v[44:45], v[192:193], v[74:75] op_sel_hi:[0,1,1] neg_lo:[1,0,0] neg_hi:[1,0,0]
	ds_read2_b32 v[190:191], v175 offset0:21 offset1:22
	ds_read2_b32 v[192:193], v175 offset0:23 offset1:24
	ds_read2_b32 v[196:197], v175 offset0:25 offset1:26
	s_waitcnt vmcnt(36) lgkmcnt(3)
	v_pk_fma_f32 v[68:69], v[44:45], v[194:195], v[68:69] op_sel_hi:[0,1,1] neg_lo:[1,0,0] neg_hi:[1,0,0]
	ds_read2_b32 v[194:195], v175 offset0:27 offset1:28
	s_waitcnt vmcnt(34) lgkmcnt(3)
	v_pk_fma_f32 v[70:71], v[44:45], v[190:191], v[70:71] op_sel_hi:[0,1,1] neg_lo:[1,0,0] neg_hi:[1,0,0]
	s_waitcnt vmcnt(32) lgkmcnt(2)
	v_pk_fma_f32 v[72:73], v[44:45], v[192:193], v[72:73] op_sel_hi:[0,1,1] neg_lo:[1,0,0] neg_hi:[1,0,0]
	s_waitcnt vmcnt(30) lgkmcnt(1)
	v_pk_fma_f32 v[94:95], v[44:45], v[196:197], v[94:95] op_sel_hi:[0,1,1] neg_lo:[1,0,0] neg_hi:[1,0,0]
	ds_read2_b32 v[190:191], v175 offset0:29 offset1:30
	ds_read2_b32 v[192:193], v175 offset0:31 offset1:32
	ds_read2_b32 v[196:197], v175 offset0:33 offset1:34
	s_waitcnt vmcnt(28) lgkmcnt(3)
	v_pk_fma_f32 v[96:97], v[44:45], v[194:195], v[96:97] op_sel_hi:[0,1,1] neg_lo:[1,0,0] neg_hi:[1,0,0]
	ds_read2_b32 v[194:195], v175 offset0:35 offset1:36
	s_waitcnt vmcnt(26) lgkmcnt(3)
	v_pk_fma_f32 v[98:99], v[44:45], v[190:191], v[98:99] op_sel_hi:[0,1,1] neg_lo:[1,0,0] neg_hi:[1,0,0]
	s_waitcnt vmcnt(24) lgkmcnt(2)
	v_pk_fma_f32 v[92:93], v[44:45], v[192:193], v[92:93] op_sel_hi:[0,1,1] neg_lo:[1,0,0] neg_hi:[1,0,0]
	s_waitcnt vmcnt(22) lgkmcnt(1)
	v_pk_fma_f32 v[118:119], v[44:45], v[196:197], v[118:119] op_sel_hi:[0,1,1] neg_lo:[1,0,0] neg_hi:[1,0,0]
	ds_read2_b32 v[190:191], v175 offset0:37 offset1:38
	ds_read2_b32 v[192:193], v175 offset0:39 offset1:40
	ds_read2_b32 v[196:197], v175 offset0:41 offset1:42
	s_waitcnt vmcnt(20) lgkmcnt(3)
	v_pk_fma_f32 v[122:123], v[44:45], v[194:195], v[122:123] op_sel_hi:[0,1,1] neg_lo:[1,0,0] neg_hi:[1,0,0]
	ds_read2_b32 v[194:195], v175 offset0:43 offset1:44
	s_waitcnt vmcnt(18) lgkmcnt(3)
	v_pk_fma_f32 v[116:117], v[44:45], v[190:191], v[116:117] op_sel_hi:[0,1,1] neg_lo:[1,0,0] neg_hi:[1,0,0]
	ds_read2_b32 v[190:191], v175 offset0:45 offset1:46
	s_waitcnt vmcnt(16) lgkmcnt(3)
	v_pk_fma_f32 v[120:121], v[44:45], v[192:193], v[120:121] op_sel_hi:[0,1,1] neg_lo:[1,0,0] neg_hi:[1,0,0]
	s_waitcnt vmcnt(14) lgkmcnt(2)
	v_pk_fma_f32 v[146:147], v[44:45], v[196:197], v[146:147] op_sel_hi:[0,1,1] neg_lo:[1,0,0] neg_hi:[1,0,0]
	;; [unrolled: 2-line block ×3, first 2 shown]
	ds_read2_b32 v[192:193], v175 offset0:47 offset1:48
	ds_read2_b32 v[194:195], v175 offset0:49 offset1:50
	;; [unrolled: 1-line block ×3, first 2 shown]
	s_waitcnt vmcnt(10) lgkmcnt(3)
	v_pk_fma_f32 v[142:143], v[44:45], v[190:191], v[142:143] op_sel_hi:[0,1,1] neg_lo:[1,0,0] neg_hi:[1,0,0]
	ds_read2_b32 v[190:191], v175 offset0:53 offset1:54
	ds_read2_b32 v[198:199], v175 offset0:55 offset1:56
	s_waitcnt vmcnt(8) lgkmcnt(4)
	v_pk_fma_f32 v[144:145], v[44:45], v[192:193], v[144:145] op_sel_hi:[0,1,1] neg_lo:[1,0,0] neg_hi:[1,0,0]
	s_waitcnt vmcnt(6) lgkmcnt(3)
	v_pk_fma_f32 v[164:165], v[44:45], v[194:195], v[164:165] op_sel_hi:[0,1,1] neg_lo:[1,0,0] neg_hi:[1,0,0]
	;; [unrolled: 2-line block ×5, first 2 shown]
.LBB113_77:
	s_or_b64 exec, exec, s[2:3]
	v_cmp_ne_u32_e32 vcc, 14, v25
	s_waitcnt lgkmcnt(0)
	s_barrier
	s_and_saveexec_b64 s[2:3], vcc
	s_xor_b64 s[2:3], exec, s[2:3]
	s_andn2_saveexec_b64 s[2:3], s[2:3]
	s_cbranch_execz .LBB113_81
; %bb.78:
	s_waitcnt vmcnt(42)
	ds_write_b32 v174, v45
	s_waitcnt vmcnt(40)
	ds_write2_b32 v175, v48, v49 offset0:15 offset1:16
	s_waitcnt vmcnt(38)
	ds_write2_b32 v175, v74, v75 offset0:17 offset1:18
	;; [unrolled: 2-line block ×21, first 2 shown]
	ds_read_b32 v190, v174
	s_waitcnt lgkmcnt(0)
	v_cmp_neq_f32_e32 vcc, 0, v190
	s_and_saveexec_b64 s[4:5], vcc
	s_cbranch_execz .LBB113_80
; %bb.79:
	v_div_scale_f32 v191, s[10:11], v190, v190, 1.0
	v_rcp_f32_e32 v192, v191
	v_div_scale_f32 v193, vcc, 1.0, v190, 1.0
	v_fma_f32 v194, -v191, v192, 1.0
	v_fmac_f32_e32 v192, v194, v192
	v_mul_f32_e32 v194, v193, v192
	v_fma_f32 v195, -v191, v194, v193
	v_fmac_f32_e32 v194, v195, v192
	v_fma_f32 v191, -v191, v194, v193
	v_div_fmas_f32 v191, v191, v192, v194
	v_div_fixup_f32 v190, v191, v190, 1.0
	ds_write_b32 v174, v190
.LBB113_80:
	s_or_b64 exec, exec, s[4:5]
.LBB113_81:
	s_or_b64 exec, exec, s[2:3]
	s_waitcnt lgkmcnt(0)
	s_barrier
	ds_read_b32 v190, v174
	v_cmp_lt_u32_e32 vcc, 14, v25
	s_and_saveexec_b64 s[2:3], vcc
	s_cbranch_execz .LBB113_83
; %bb.82:
	ds_read2_b32 v[192:193], v175 offset0:15 offset1:16
	ds_read2_b32 v[194:195], v175 offset0:17 offset1:18
	;; [unrolled: 1-line block ×3, first 2 shown]
	s_waitcnt vmcnt(42) lgkmcnt(3)
	v_mul_f32_e32 v198, v190, v45
	ds_read2_b32 v[200:201], v175 offset0:21 offset1:22
	s_waitcnt vmcnt(40) lgkmcnt(3)
	v_pk_fma_f32 v[48:49], v[198:199], v[192:193], v[48:49] op_sel_hi:[0,1,1] neg_lo:[1,0,0] neg_hi:[1,0,0]
	s_waitcnt vmcnt(38) lgkmcnt(2)
	v_pk_fma_f32 v[74:75], v[198:199], v[194:195], v[74:75] op_sel_hi:[0,1,1] neg_lo:[1,0,0] neg_hi:[1,0,0]
	;; [unrolled: 2-line block ×3, first 2 shown]
	ds_read2_b32 v[192:193], v175 offset0:23 offset1:24
	ds_read2_b32 v[194:195], v175 offset0:25 offset1:26
	;; [unrolled: 1-line block ×3, first 2 shown]
	s_waitcnt vmcnt(34) lgkmcnt(3)
	v_pk_fma_f32 v[70:71], v[198:199], v[200:201], v[70:71] op_sel_hi:[0,1,1] neg_lo:[1,0,0] neg_hi:[1,0,0]
	ds_read2_b32 v[200:201], v175 offset0:29 offset1:30
	s_waitcnt vmcnt(32) lgkmcnt(3)
	v_pk_fma_f32 v[72:73], v[198:199], v[192:193], v[72:73] op_sel_hi:[0,1,1] neg_lo:[1,0,0] neg_hi:[1,0,0]
	s_waitcnt vmcnt(30) lgkmcnt(2)
	v_pk_fma_f32 v[94:95], v[198:199], v[194:195], v[94:95] op_sel_hi:[0,1,1] neg_lo:[1,0,0] neg_hi:[1,0,0]
	;; [unrolled: 2-line block ×3, first 2 shown]
	ds_read2_b32 v[192:193], v175 offset0:31 offset1:32
	ds_read2_b32 v[194:195], v175 offset0:33 offset1:34
	;; [unrolled: 1-line block ×3, first 2 shown]
	s_waitcnt vmcnt(26) lgkmcnt(3)
	v_pk_fma_f32 v[98:99], v[198:199], v[200:201], v[98:99] op_sel_hi:[0,1,1] neg_lo:[1,0,0] neg_hi:[1,0,0]
	ds_read2_b32 v[200:201], v175 offset0:37 offset1:38
	s_waitcnt vmcnt(24) lgkmcnt(3)
	v_pk_fma_f32 v[92:93], v[198:199], v[192:193], v[92:93] op_sel_hi:[0,1,1] neg_lo:[1,0,0] neg_hi:[1,0,0]
	s_waitcnt vmcnt(22) lgkmcnt(2)
	v_pk_fma_f32 v[118:119], v[198:199], v[194:195], v[118:119] op_sel_hi:[0,1,1] neg_lo:[1,0,0] neg_hi:[1,0,0]
	;; [unrolled: 2-line block ×3, first 2 shown]
	ds_read2_b32 v[192:193], v175 offset0:39 offset1:40
	ds_read2_b32 v[194:195], v175 offset0:41 offset1:42
	;; [unrolled: 1-line block ×4, first 2 shown]
	s_waitcnt vmcnt(18) lgkmcnt(4)
	v_pk_fma_f32 v[116:117], v[198:199], v[200:201], v[116:117] op_sel_hi:[0,1,1] neg_lo:[1,0,0] neg_hi:[1,0,0]
	s_waitcnt vmcnt(16) lgkmcnt(3)
	v_pk_fma_f32 v[120:121], v[198:199], v[192:193], v[120:121] op_sel_hi:[0,1,1] neg_lo:[1,0,0] neg_hi:[1,0,0]
	;; [unrolled: 2-line block ×5, first 2 shown]
	ds_read2_b32 v[192:193], v175 offset0:47 offset1:48
	ds_read2_b32 v[194:195], v175 offset0:49 offset1:50
	;; [unrolled: 1-line block ×5, first 2 shown]
	s_waitcnt vmcnt(8) lgkmcnt(4)
	v_pk_fma_f32 v[144:145], v[198:199], v[192:193], v[144:145] op_sel_hi:[0,1,1] neg_lo:[1,0,0] neg_hi:[1,0,0]
	s_waitcnt vmcnt(6) lgkmcnt(3)
	v_pk_fma_f32 v[164:165], v[198:199], v[194:195], v[164:165] op_sel_hi:[0,1,1] neg_lo:[1,0,0] neg_hi:[1,0,0]
	;; [unrolled: 2-line block ×5, first 2 shown]
	v_mov_b32_e32 v45, v198
.LBB113_83:
	s_or_b64 exec, exec, s[2:3]
	v_cmp_eq_u32_e32 vcc, 15, v25
	s_waitcnt lgkmcnt(0)
	s_barrier
	s_and_saveexec_b64 s[2:3], vcc
	s_cbranch_execz .LBB113_86
; %bb.84:
	s_waitcnt vmcnt(38)
	v_pk_mov_b32 v[192:193], v[48:49], v[74:75] op_sel:[1,0]
	ds_write_b32 v174, v48
	ds_write2_b32 v175, v192, v193 offset0:16 offset1:17
	s_waitcnt vmcnt(36)
	v_pk_mov_b32 v[192:193], v[74:75], v[68:69] op_sel:[1,0]
	ds_write2_b32 v175, v192, v193 offset0:18 offset1:19
	s_waitcnt vmcnt(34)
	v_pk_mov_b32 v[192:193], v[68:69], v[70:71] op_sel:[1,0]
	;; [unrolled: 3-line block ×19, first 2 shown]
	ds_write2_b32 v175, v192, v193 offset0:54 offset1:55
	ds_write_b32 v175, v171 offset:224
	ds_read_b32 v191, v174
	s_waitcnt lgkmcnt(0)
	v_cmp_neq_f32_e32 vcc, 0, v191
	s_and_b64 exec, exec, vcc
	s_cbranch_execz .LBB113_86
; %bb.85:
	v_div_scale_f32 v192, s[4:5], v191, v191, 1.0
	v_rcp_f32_e32 v193, v192
	v_div_scale_f32 v194, vcc, 1.0, v191, 1.0
	v_fma_f32 v195, -v192, v193, 1.0
	v_fmac_f32_e32 v193, v195, v193
	v_mul_f32_e32 v195, v194, v193
	v_fma_f32 v196, -v192, v195, v194
	v_fmac_f32_e32 v195, v196, v193
	v_fma_f32 v192, -v192, v195, v194
	v_div_fmas_f32 v192, v192, v193, v195
	v_div_fixup_f32 v191, v192, v191, 1.0
	ds_write_b32 v174, v191
.LBB113_86:
	s_or_b64 exec, exec, s[2:3]
	s_waitcnt lgkmcnt(0)
	s_barrier
	ds_read_b32 v191, v174
	v_cmp_lt_u32_e32 vcc, 15, v25
	s_and_saveexec_b64 s[2:3], vcc
	s_cbranch_execz .LBB113_88
; %bb.87:
	ds_read_b32 v198, v175 offset:64
	ds_read2_b32 v[192:193], v175 offset0:17 offset1:18
	ds_read2_b32 v[194:195], v175 offset0:19 offset1:20
	s_waitcnt vmcnt(41) lgkmcnt(3)
	v_mul_f32_e32 v48, v191, v48
	ds_read2_b32 v[196:197], v175 offset0:21 offset1:22
	s_waitcnt vmcnt(40) lgkmcnt(3)
	v_fma_f32 v49, -v48, v198, v49
	s_waitcnt vmcnt(38) lgkmcnt(2)
	v_pk_fma_f32 v[74:75], v[48:49], v[192:193], v[74:75] op_sel_hi:[0,1,1] neg_lo:[1,0,0] neg_hi:[1,0,0]
	s_waitcnt vmcnt(36) lgkmcnt(1)
	v_pk_fma_f32 v[68:69], v[48:49], v[194:195], v[68:69] op_sel_hi:[0,1,1] neg_lo:[1,0,0] neg_hi:[1,0,0]
	ds_read2_b32 v[192:193], v175 offset0:23 offset1:24
	ds_read2_b32 v[194:195], v175 offset0:25 offset1:26
	;; [unrolled: 1-line block ×3, first 2 shown]
	s_waitcnt vmcnt(34) lgkmcnt(3)
	v_pk_fma_f32 v[70:71], v[48:49], v[196:197], v[70:71] op_sel_hi:[0,1,1] neg_lo:[1,0,0] neg_hi:[1,0,0]
	ds_read2_b32 v[196:197], v175 offset0:29 offset1:30
	s_waitcnt vmcnt(32) lgkmcnt(3)
	v_pk_fma_f32 v[72:73], v[48:49], v[192:193], v[72:73] op_sel_hi:[0,1,1] neg_lo:[1,0,0] neg_hi:[1,0,0]
	s_waitcnt vmcnt(30) lgkmcnt(2)
	v_pk_fma_f32 v[94:95], v[48:49], v[194:195], v[94:95] op_sel_hi:[0,1,1] neg_lo:[1,0,0] neg_hi:[1,0,0]
	;; [unrolled: 2-line block ×3, first 2 shown]
	ds_read2_b32 v[192:193], v175 offset0:31 offset1:32
	ds_read2_b32 v[194:195], v175 offset0:33 offset1:34
	;; [unrolled: 1-line block ×3, first 2 shown]
	s_waitcnt vmcnt(26) lgkmcnt(3)
	v_pk_fma_f32 v[98:99], v[48:49], v[196:197], v[98:99] op_sel_hi:[0,1,1] neg_lo:[1,0,0] neg_hi:[1,0,0]
	ds_read2_b32 v[196:197], v175 offset0:37 offset1:38
	s_waitcnt vmcnt(24) lgkmcnt(3)
	v_pk_fma_f32 v[92:93], v[48:49], v[192:193], v[92:93] op_sel_hi:[0,1,1] neg_lo:[1,0,0] neg_hi:[1,0,0]
	s_waitcnt vmcnt(22) lgkmcnt(2)
	v_pk_fma_f32 v[118:119], v[48:49], v[194:195], v[118:119] op_sel_hi:[0,1,1] neg_lo:[1,0,0] neg_hi:[1,0,0]
	;; [unrolled: 2-line block ×3, first 2 shown]
	ds_read2_b32 v[192:193], v175 offset0:39 offset1:40
	ds_read2_b32 v[194:195], v175 offset0:41 offset1:42
	;; [unrolled: 1-line block ×4, first 2 shown]
	s_waitcnt vmcnt(18) lgkmcnt(4)
	v_pk_fma_f32 v[116:117], v[48:49], v[196:197], v[116:117] op_sel_hi:[0,1,1] neg_lo:[1,0,0] neg_hi:[1,0,0]
	s_waitcnt vmcnt(16) lgkmcnt(3)
	v_pk_fma_f32 v[120:121], v[48:49], v[192:193], v[120:121] op_sel_hi:[0,1,1] neg_lo:[1,0,0] neg_hi:[1,0,0]
	;; [unrolled: 2-line block ×5, first 2 shown]
	ds_read2_b32 v[192:193], v175 offset0:47 offset1:48
	ds_read2_b32 v[194:195], v175 offset0:49 offset1:50
	ds_read2_b32 v[196:197], v175 offset0:51 offset1:52
	ds_read2_b32 v[198:199], v175 offset0:53 offset1:54
	ds_read2_b32 v[200:201], v175 offset0:55 offset1:56
	s_waitcnt vmcnt(8) lgkmcnt(4)
	v_pk_fma_f32 v[144:145], v[48:49], v[192:193], v[144:145] op_sel_hi:[0,1,1] neg_lo:[1,0,0] neg_hi:[1,0,0]
	s_waitcnt vmcnt(6) lgkmcnt(3)
	v_pk_fma_f32 v[164:165], v[48:49], v[194:195], v[164:165] op_sel_hi:[0,1,1] neg_lo:[1,0,0] neg_hi:[1,0,0]
	;; [unrolled: 2-line block ×5, first 2 shown]
.LBB113_88:
	s_or_b64 exec, exec, s[2:3]
	v_cmp_ne_u32_e32 vcc, 16, v25
	s_waitcnt lgkmcnt(0)
	s_barrier
	s_and_saveexec_b64 s[2:3], vcc
	s_xor_b64 s[2:3], exec, s[2:3]
	s_andn2_saveexec_b64 s[2:3], s[2:3]
	s_cbranch_execz .LBB113_92
; %bb.89:
	s_waitcnt vmcnt(40)
	ds_write_b32 v174, v49
	s_waitcnt vmcnt(38)
	ds_write2_b32 v175, v74, v75 offset0:17 offset1:18
	s_waitcnt vmcnt(36)
	ds_write2_b32 v175, v68, v69 offset0:19 offset1:20
	;; [unrolled: 2-line block ×20, first 2 shown]
	ds_read_b32 v192, v174
	s_waitcnt lgkmcnt(0)
	v_cmp_neq_f32_e32 vcc, 0, v192
	s_and_saveexec_b64 s[4:5], vcc
	s_cbranch_execz .LBB113_91
; %bb.90:
	v_div_scale_f32 v193, s[10:11], v192, v192, 1.0
	v_rcp_f32_e32 v194, v193
	v_div_scale_f32 v195, vcc, 1.0, v192, 1.0
	v_fma_f32 v196, -v193, v194, 1.0
	v_fmac_f32_e32 v194, v196, v194
	v_mul_f32_e32 v196, v195, v194
	v_fma_f32 v197, -v193, v196, v195
	v_fmac_f32_e32 v196, v197, v194
	v_fma_f32 v193, -v193, v196, v195
	v_div_fmas_f32 v193, v193, v194, v196
	v_div_fixup_f32 v192, v193, v192, 1.0
	ds_write_b32 v174, v192
.LBB113_91:
	s_or_b64 exec, exec, s[4:5]
.LBB113_92:
	s_or_b64 exec, exec, s[2:3]
	s_waitcnt lgkmcnt(0)
	s_barrier
	ds_read_b32 v192, v174
	v_cmp_lt_u32_e32 vcc, 16, v25
	s_and_saveexec_b64 s[2:3], vcc
	s_cbranch_execz .LBB113_94
; %bb.93:
	ds_read2_b32 v[194:195], v175 offset0:17 offset1:18
	ds_read2_b32 v[196:197], v175 offset0:19 offset1:20
	;; [unrolled: 1-line block ×3, first 2 shown]
	s_waitcnt vmcnt(40) lgkmcnt(3)
	v_mul_f32_e32 v200, v192, v49
	ds_read2_b32 v[202:203], v175 offset0:23 offset1:24
	s_waitcnt vmcnt(38) lgkmcnt(3)
	v_pk_fma_f32 v[74:75], v[200:201], v[194:195], v[74:75] op_sel_hi:[0,1,1] neg_lo:[1,0,0] neg_hi:[1,0,0]
	s_waitcnt vmcnt(36) lgkmcnt(2)
	v_pk_fma_f32 v[68:69], v[200:201], v[196:197], v[68:69] op_sel_hi:[0,1,1] neg_lo:[1,0,0] neg_hi:[1,0,0]
	s_waitcnt vmcnt(34) lgkmcnt(1)
	v_pk_fma_f32 v[70:71], v[200:201], v[198:199], v[70:71] op_sel_hi:[0,1,1] neg_lo:[1,0,0] neg_hi:[1,0,0]
	ds_read2_b32 v[194:195], v175 offset0:25 offset1:26
	ds_read2_b32 v[196:197], v175 offset0:27 offset1:28
	ds_read2_b32 v[198:199], v175 offset0:29 offset1:30
	s_waitcnt vmcnt(32) lgkmcnt(3)
	v_pk_fma_f32 v[72:73], v[200:201], v[202:203], v[72:73] op_sel_hi:[0,1,1] neg_lo:[1,0,0] neg_hi:[1,0,0]
	ds_read2_b32 v[202:203], v175 offset0:31 offset1:32
	s_waitcnt vmcnt(30) lgkmcnt(3)
	v_pk_fma_f32 v[94:95], v[200:201], v[194:195], v[94:95] op_sel_hi:[0,1,1] neg_lo:[1,0,0] neg_hi:[1,0,0]
	s_waitcnt vmcnt(28) lgkmcnt(2)
	v_pk_fma_f32 v[96:97], v[200:201], v[196:197], v[96:97] op_sel_hi:[0,1,1] neg_lo:[1,0,0] neg_hi:[1,0,0]
	s_waitcnt vmcnt(26) lgkmcnt(1)
	v_pk_fma_f32 v[98:99], v[200:201], v[198:199], v[98:99] op_sel_hi:[0,1,1] neg_lo:[1,0,0] neg_hi:[1,0,0]
	ds_read2_b32 v[194:195], v175 offset0:33 offset1:34
	ds_read2_b32 v[196:197], v175 offset0:35 offset1:36
	ds_read2_b32 v[198:199], v175 offset0:37 offset1:38
	s_waitcnt vmcnt(24) lgkmcnt(3)
	v_pk_fma_f32 v[92:93], v[200:201], v[202:203], v[92:93] op_sel_hi:[0,1,1] neg_lo:[1,0,0] neg_hi:[1,0,0]
	;; [unrolled: 12-line block ×3, first 2 shown]
	ds_read2_b32 v[202:203], v175 offset0:47 offset1:48
	s_waitcnt vmcnt(14) lgkmcnt(3)
	v_pk_fma_f32 v[146:147], v[200:201], v[194:195], v[146:147] op_sel_hi:[0,1,1] neg_lo:[1,0,0] neg_hi:[1,0,0]
	s_waitcnt vmcnt(12) lgkmcnt(2)
	v_pk_fma_f32 v[140:141], v[200:201], v[196:197], v[140:141] op_sel_hi:[0,1,1] neg_lo:[1,0,0] neg_hi:[1,0,0]
	;; [unrolled: 2-line block ×3, first 2 shown]
	ds_read2_b32 v[194:195], v175 offset0:49 offset1:50
	ds_read2_b32 v[196:197], v175 offset0:51 offset1:52
	ds_read2_b32 v[198:199], v175 offset0:53 offset1:54
	ds_read2_b32 v[204:205], v175 offset0:55 offset1:56
	s_waitcnt vmcnt(8) lgkmcnt(4)
	v_pk_fma_f32 v[144:145], v[200:201], v[202:203], v[144:145] op_sel_hi:[0,1,1] neg_lo:[1,0,0] neg_hi:[1,0,0]
	s_waitcnt vmcnt(6) lgkmcnt(3)
	v_pk_fma_f32 v[164:165], v[200:201], v[194:195], v[164:165] op_sel_hi:[0,1,1] neg_lo:[1,0,0] neg_hi:[1,0,0]
	;; [unrolled: 2-line block ×5, first 2 shown]
	v_mov_b32_e32 v49, v200
.LBB113_94:
	s_or_b64 exec, exec, s[2:3]
	v_cmp_eq_u32_e32 vcc, 17, v25
	s_waitcnt lgkmcnt(0)
	s_barrier
	s_and_saveexec_b64 s[2:3], vcc
	s_cbranch_execz .LBB113_97
; %bb.95:
	s_waitcnt vmcnt(36)
	v_pk_mov_b32 v[194:195], v[74:75], v[68:69] op_sel:[1,0]
	ds_write_b32 v174, v74
	ds_write2_b32 v175, v194, v195 offset0:18 offset1:19
	s_waitcnt vmcnt(34)
	v_pk_mov_b32 v[194:195], v[68:69], v[70:71] op_sel:[1,0]
	ds_write2_b32 v175, v194, v195 offset0:20 offset1:21
	s_waitcnt vmcnt(32)
	v_pk_mov_b32 v[194:195], v[70:71], v[72:73] op_sel:[1,0]
	;; [unrolled: 3-line block ×18, first 2 shown]
	ds_write2_b32 v175, v194, v195 offset0:54 offset1:55
	ds_write_b32 v175, v171 offset:224
	ds_read_b32 v193, v174
	s_waitcnt lgkmcnt(0)
	v_cmp_neq_f32_e32 vcc, 0, v193
	s_and_b64 exec, exec, vcc
	s_cbranch_execz .LBB113_97
; %bb.96:
	v_div_scale_f32 v194, s[4:5], v193, v193, 1.0
	v_rcp_f32_e32 v195, v194
	v_div_scale_f32 v196, vcc, 1.0, v193, 1.0
	v_fma_f32 v197, -v194, v195, 1.0
	v_fmac_f32_e32 v195, v197, v195
	v_mul_f32_e32 v197, v196, v195
	v_fma_f32 v198, -v194, v197, v196
	v_fmac_f32_e32 v197, v198, v195
	v_fma_f32 v194, -v194, v197, v196
	v_div_fmas_f32 v194, v194, v195, v197
	v_div_fixup_f32 v193, v194, v193, 1.0
	ds_write_b32 v174, v193
.LBB113_97:
	s_or_b64 exec, exec, s[2:3]
	s_waitcnt lgkmcnt(0)
	s_barrier
	ds_read_b32 v193, v174
	v_cmp_lt_u32_e32 vcc, 17, v25
	s_and_saveexec_b64 s[2:3], vcc
	s_cbranch_execz .LBB113_99
; %bb.98:
	ds_read_b32 v200, v175 offset:72
	ds_read2_b32 v[194:195], v175 offset0:19 offset1:20
	ds_read2_b32 v[196:197], v175 offset0:21 offset1:22
	s_waitcnt vmcnt(39) lgkmcnt(3)
	v_mul_f32_e32 v74, v193, v74
	ds_read2_b32 v[198:199], v175 offset0:23 offset1:24
	s_waitcnt vmcnt(38) lgkmcnt(3)
	v_fma_f32 v75, -v74, v200, v75
	s_waitcnt vmcnt(36) lgkmcnt(2)
	v_pk_fma_f32 v[68:69], v[74:75], v[194:195], v[68:69] op_sel_hi:[0,1,1] neg_lo:[1,0,0] neg_hi:[1,0,0]
	s_waitcnt vmcnt(34) lgkmcnt(1)
	v_pk_fma_f32 v[70:71], v[74:75], v[196:197], v[70:71] op_sel_hi:[0,1,1] neg_lo:[1,0,0] neg_hi:[1,0,0]
	ds_read2_b32 v[194:195], v175 offset0:25 offset1:26
	ds_read2_b32 v[196:197], v175 offset0:27 offset1:28
	ds_read2_b32 v[200:201], v175 offset0:29 offset1:30
	s_waitcnt vmcnt(32) lgkmcnt(3)
	v_pk_fma_f32 v[72:73], v[74:75], v[198:199], v[72:73] op_sel_hi:[0,1,1] neg_lo:[1,0,0] neg_hi:[1,0,0]
	ds_read2_b32 v[198:199], v175 offset0:31 offset1:32
	s_waitcnt vmcnt(30) lgkmcnt(3)
	v_pk_fma_f32 v[94:95], v[74:75], v[194:195], v[94:95] op_sel_hi:[0,1,1] neg_lo:[1,0,0] neg_hi:[1,0,0]
	s_waitcnt vmcnt(28) lgkmcnt(2)
	v_pk_fma_f32 v[96:97], v[74:75], v[196:197], v[96:97] op_sel_hi:[0,1,1] neg_lo:[1,0,0] neg_hi:[1,0,0]
	s_waitcnt vmcnt(26) lgkmcnt(1)
	v_pk_fma_f32 v[98:99], v[74:75], v[200:201], v[98:99] op_sel_hi:[0,1,1] neg_lo:[1,0,0] neg_hi:[1,0,0]
	ds_read2_b32 v[194:195], v175 offset0:33 offset1:34
	ds_read2_b32 v[196:197], v175 offset0:35 offset1:36
	ds_read2_b32 v[200:201], v175 offset0:37 offset1:38
	s_waitcnt vmcnt(24) lgkmcnt(3)
	v_pk_fma_f32 v[92:93], v[74:75], v[198:199], v[92:93] op_sel_hi:[0,1,1] neg_lo:[1,0,0] neg_hi:[1,0,0]
	ds_read2_b32 v[198:199], v175 offset0:39 offset1:40
	s_waitcnt vmcnt(22) lgkmcnt(3)
	v_pk_fma_f32 v[118:119], v[74:75], v[194:195], v[118:119] op_sel_hi:[0,1,1] neg_lo:[1,0,0] neg_hi:[1,0,0]
	;; [unrolled: 12-line block ×3, first 2 shown]
	s_waitcnt vmcnt(12) lgkmcnt(2)
	v_pk_fma_f32 v[140:141], v[74:75], v[196:197], v[140:141] op_sel_hi:[0,1,1] neg_lo:[1,0,0] neg_hi:[1,0,0]
	s_waitcnt vmcnt(10) lgkmcnt(1)
	v_pk_fma_f32 v[142:143], v[74:75], v[200:201], v[142:143] op_sel_hi:[0,1,1] neg_lo:[1,0,0] neg_hi:[1,0,0]
	ds_read2_b32 v[194:195], v175 offset0:49 offset1:50
	ds_read2_b32 v[196:197], v175 offset0:51 offset1:52
	ds_read2_b32 v[200:201], v175 offset0:53 offset1:54
	ds_read2_b32 v[202:203], v175 offset0:55 offset1:56
	s_waitcnt vmcnt(8) lgkmcnt(4)
	v_pk_fma_f32 v[144:145], v[74:75], v[198:199], v[144:145] op_sel_hi:[0,1,1] neg_lo:[1,0,0] neg_hi:[1,0,0]
	s_waitcnt vmcnt(6) lgkmcnt(3)
	v_pk_fma_f32 v[164:165], v[74:75], v[194:195], v[164:165] op_sel_hi:[0,1,1] neg_lo:[1,0,0] neg_hi:[1,0,0]
	;; [unrolled: 2-line block ×5, first 2 shown]
.LBB113_99:
	s_or_b64 exec, exec, s[2:3]
	v_cmp_ne_u32_e32 vcc, 18, v25
	s_waitcnt lgkmcnt(0)
	s_barrier
	s_and_saveexec_b64 s[2:3], vcc
	s_xor_b64 s[2:3], exec, s[2:3]
	s_andn2_saveexec_b64 s[2:3], s[2:3]
	s_cbranch_execz .LBB113_103
; %bb.100:
	s_waitcnt vmcnt(38)
	ds_write_b32 v174, v75
	s_waitcnt vmcnt(36)
	ds_write2_b32 v175, v68, v69 offset0:19 offset1:20
	s_waitcnt vmcnt(34)
	ds_write2_b32 v175, v70, v71 offset0:21 offset1:22
	;; [unrolled: 2-line block ×19, first 2 shown]
	ds_read_b32 v194, v174
	s_waitcnt lgkmcnt(0)
	v_cmp_neq_f32_e32 vcc, 0, v194
	s_and_saveexec_b64 s[4:5], vcc
	s_cbranch_execz .LBB113_102
; %bb.101:
	v_div_scale_f32 v195, s[10:11], v194, v194, 1.0
	v_rcp_f32_e32 v196, v195
	v_div_scale_f32 v197, vcc, 1.0, v194, 1.0
	v_fma_f32 v198, -v195, v196, 1.0
	v_fmac_f32_e32 v196, v198, v196
	v_mul_f32_e32 v198, v197, v196
	v_fma_f32 v199, -v195, v198, v197
	v_fmac_f32_e32 v198, v199, v196
	v_fma_f32 v195, -v195, v198, v197
	v_div_fmas_f32 v195, v195, v196, v198
	v_div_fixup_f32 v194, v195, v194, 1.0
	ds_write_b32 v174, v194
.LBB113_102:
	s_or_b64 exec, exec, s[4:5]
.LBB113_103:
	s_or_b64 exec, exec, s[2:3]
	s_waitcnt lgkmcnt(0)
	s_barrier
	ds_read_b32 v194, v174
	v_cmp_lt_u32_e32 vcc, 18, v25
	s_and_saveexec_b64 s[2:3], vcc
	s_cbranch_execz .LBB113_105
; %bb.104:
	ds_read2_b32 v[196:197], v175 offset0:19 offset1:20
	ds_read2_b32 v[198:199], v175 offset0:21 offset1:22
	ds_read2_b32 v[200:201], v175 offset0:23 offset1:24
	s_waitcnt vmcnt(38) lgkmcnt(3)
	v_mul_f32_e32 v202, v194, v75
	ds_read2_b32 v[204:205], v175 offset0:25 offset1:26
	s_waitcnt vmcnt(36) lgkmcnt(3)
	v_pk_fma_f32 v[68:69], v[202:203], v[196:197], v[68:69] op_sel_hi:[0,1,1] neg_lo:[1,0,0] neg_hi:[1,0,0]
	s_waitcnt vmcnt(34) lgkmcnt(2)
	v_pk_fma_f32 v[70:71], v[202:203], v[198:199], v[70:71] op_sel_hi:[0,1,1] neg_lo:[1,0,0] neg_hi:[1,0,0]
	s_waitcnt vmcnt(32) lgkmcnt(1)
	v_pk_fma_f32 v[72:73], v[202:203], v[200:201], v[72:73] op_sel_hi:[0,1,1] neg_lo:[1,0,0] neg_hi:[1,0,0]
	ds_read2_b32 v[196:197], v175 offset0:27 offset1:28
	ds_read2_b32 v[198:199], v175 offset0:29 offset1:30
	;; [unrolled: 1-line block ×3, first 2 shown]
	s_waitcnt vmcnt(30) lgkmcnt(3)
	v_pk_fma_f32 v[94:95], v[202:203], v[204:205], v[94:95] op_sel_hi:[0,1,1] neg_lo:[1,0,0] neg_hi:[1,0,0]
	ds_read2_b32 v[204:205], v175 offset0:33 offset1:34
	s_waitcnt vmcnt(28) lgkmcnt(3)
	v_pk_fma_f32 v[96:97], v[202:203], v[196:197], v[96:97] op_sel_hi:[0,1,1] neg_lo:[1,0,0] neg_hi:[1,0,0]
	s_waitcnt vmcnt(26) lgkmcnt(2)
	v_pk_fma_f32 v[98:99], v[202:203], v[198:199], v[98:99] op_sel_hi:[0,1,1] neg_lo:[1,0,0] neg_hi:[1,0,0]
	;; [unrolled: 2-line block ×3, first 2 shown]
	ds_read2_b32 v[196:197], v175 offset0:35 offset1:36
	ds_read2_b32 v[198:199], v175 offset0:37 offset1:38
	;; [unrolled: 1-line block ×3, first 2 shown]
	s_waitcnt vmcnt(22) lgkmcnt(3)
	v_pk_fma_f32 v[118:119], v[202:203], v[204:205], v[118:119] op_sel_hi:[0,1,1] neg_lo:[1,0,0] neg_hi:[1,0,0]
	ds_read2_b32 v[204:205], v175 offset0:41 offset1:42
	s_waitcnt vmcnt(20) lgkmcnt(3)
	v_pk_fma_f32 v[122:123], v[202:203], v[196:197], v[122:123] op_sel_hi:[0,1,1] neg_lo:[1,0,0] neg_hi:[1,0,0]
	s_waitcnt vmcnt(18) lgkmcnt(2)
	v_pk_fma_f32 v[116:117], v[202:203], v[198:199], v[116:117] op_sel_hi:[0,1,1] neg_lo:[1,0,0] neg_hi:[1,0,0]
	ds_read2_b32 v[196:197], v175 offset0:43 offset1:44
	ds_read2_b32 v[198:199], v175 offset0:45 offset1:46
	s_waitcnt vmcnt(16) lgkmcnt(3)
	v_pk_fma_f32 v[120:121], v[202:203], v[200:201], v[120:121] op_sel_hi:[0,1,1] neg_lo:[1,0,0] neg_hi:[1,0,0]
	s_waitcnt vmcnt(14) lgkmcnt(2)
	v_pk_fma_f32 v[146:147], v[202:203], v[204:205], v[146:147] op_sel_hi:[0,1,1] neg_lo:[1,0,0] neg_hi:[1,0,0]
	ds_read2_b32 v[200:201], v175 offset0:47 offset1:48
	ds_read2_b32 v[204:205], v175 offset0:49 offset1:50
	s_waitcnt vmcnt(12) lgkmcnt(3)
	v_pk_fma_f32 v[140:141], v[202:203], v[196:197], v[140:141] op_sel_hi:[0,1,1] neg_lo:[1,0,0] neg_hi:[1,0,0]
	s_waitcnt vmcnt(10) lgkmcnt(2)
	v_pk_fma_f32 v[142:143], v[202:203], v[198:199], v[142:143] op_sel_hi:[0,1,1] neg_lo:[1,0,0] neg_hi:[1,0,0]
	ds_read2_b32 v[196:197], v175 offset0:51 offset1:52
	ds_read2_b32 v[198:199], v175 offset0:53 offset1:54
	ds_read2_b32 v[206:207], v175 offset0:55 offset1:56
	s_waitcnt vmcnt(8) lgkmcnt(4)
	v_pk_fma_f32 v[144:145], v[202:203], v[200:201], v[144:145] op_sel_hi:[0,1,1] neg_lo:[1,0,0] neg_hi:[1,0,0]
	s_waitcnt vmcnt(6) lgkmcnt(3)
	v_pk_fma_f32 v[164:165], v[202:203], v[204:205], v[164:165] op_sel_hi:[0,1,1] neg_lo:[1,0,0] neg_hi:[1,0,0]
	;; [unrolled: 2-line block ×5, first 2 shown]
	v_mov_b32_e32 v75, v202
.LBB113_105:
	s_or_b64 exec, exec, s[2:3]
	v_cmp_eq_u32_e32 vcc, 19, v25
	s_waitcnt lgkmcnt(0)
	s_barrier
	s_and_saveexec_b64 s[2:3], vcc
	s_cbranch_execz .LBB113_108
; %bb.106:
	s_waitcnt vmcnt(34)
	v_pk_mov_b32 v[196:197], v[68:69], v[70:71] op_sel:[1,0]
	ds_write_b32 v174, v68
	ds_write2_b32 v175, v196, v197 offset0:20 offset1:21
	s_waitcnt vmcnt(32)
	v_pk_mov_b32 v[196:197], v[70:71], v[72:73] op_sel:[1,0]
	ds_write2_b32 v175, v196, v197 offset0:22 offset1:23
	s_waitcnt vmcnt(30)
	v_pk_mov_b32 v[196:197], v[72:73], v[94:95] op_sel:[1,0]
	;; [unrolled: 3-line block ×17, first 2 shown]
	ds_write2_b32 v175, v196, v197 offset0:54 offset1:55
	ds_write_b32 v175, v171 offset:224
	ds_read_b32 v195, v174
	s_waitcnt lgkmcnt(0)
	v_cmp_neq_f32_e32 vcc, 0, v195
	s_and_b64 exec, exec, vcc
	s_cbranch_execz .LBB113_108
; %bb.107:
	v_div_scale_f32 v196, s[4:5], v195, v195, 1.0
	v_rcp_f32_e32 v197, v196
	v_div_scale_f32 v198, vcc, 1.0, v195, 1.0
	v_fma_f32 v199, -v196, v197, 1.0
	v_fmac_f32_e32 v197, v199, v197
	v_mul_f32_e32 v199, v198, v197
	v_fma_f32 v200, -v196, v199, v198
	v_fmac_f32_e32 v199, v200, v197
	v_fma_f32 v196, -v196, v199, v198
	v_div_fmas_f32 v196, v196, v197, v199
	v_div_fixup_f32 v195, v196, v195, 1.0
	ds_write_b32 v174, v195
.LBB113_108:
	s_or_b64 exec, exec, s[2:3]
	s_waitcnt lgkmcnt(0)
	s_barrier
	ds_read_b32 v195, v174
	v_cmp_lt_u32_e32 vcc, 19, v25
	s_and_saveexec_b64 s[2:3], vcc
	s_cbranch_execz .LBB113_110
; %bb.109:
	ds_read_b32 v202, v175 offset:80
	ds_read2_b32 v[196:197], v175 offset0:21 offset1:22
	ds_read2_b32 v[198:199], v175 offset0:23 offset1:24
	s_waitcnt vmcnt(37) lgkmcnt(3)
	v_mul_f32_e32 v68, v195, v68
	ds_read2_b32 v[200:201], v175 offset0:25 offset1:26
	s_waitcnt vmcnt(36) lgkmcnt(3)
	v_fma_f32 v69, -v68, v202, v69
	s_waitcnt vmcnt(34) lgkmcnt(2)
	v_pk_fma_f32 v[70:71], v[68:69], v[196:197], v[70:71] op_sel_hi:[0,1,1] neg_lo:[1,0,0] neg_hi:[1,0,0]
	s_waitcnt vmcnt(32) lgkmcnt(1)
	v_pk_fma_f32 v[72:73], v[68:69], v[198:199], v[72:73] op_sel_hi:[0,1,1] neg_lo:[1,0,0] neg_hi:[1,0,0]
	ds_read2_b32 v[196:197], v175 offset0:27 offset1:28
	ds_read2_b32 v[198:199], v175 offset0:29 offset1:30
	;; [unrolled: 1-line block ×3, first 2 shown]
	s_waitcnt vmcnt(30) lgkmcnt(3)
	v_pk_fma_f32 v[94:95], v[68:69], v[200:201], v[94:95] op_sel_hi:[0,1,1] neg_lo:[1,0,0] neg_hi:[1,0,0]
	ds_read2_b32 v[200:201], v175 offset0:33 offset1:34
	s_waitcnt vmcnt(28) lgkmcnt(3)
	v_pk_fma_f32 v[96:97], v[68:69], v[196:197], v[96:97] op_sel_hi:[0,1,1] neg_lo:[1,0,0] neg_hi:[1,0,0]
	s_waitcnt vmcnt(26) lgkmcnt(2)
	v_pk_fma_f32 v[98:99], v[68:69], v[198:199], v[98:99] op_sel_hi:[0,1,1] neg_lo:[1,0,0] neg_hi:[1,0,0]
	;; [unrolled: 2-line block ×3, first 2 shown]
	ds_read2_b32 v[196:197], v175 offset0:35 offset1:36
	ds_read2_b32 v[198:199], v175 offset0:37 offset1:38
	;; [unrolled: 1-line block ×3, first 2 shown]
	s_waitcnt vmcnt(22) lgkmcnt(3)
	v_pk_fma_f32 v[118:119], v[68:69], v[200:201], v[118:119] op_sel_hi:[0,1,1] neg_lo:[1,0,0] neg_hi:[1,0,0]
	ds_read2_b32 v[200:201], v175 offset0:41 offset1:42
	s_waitcnt vmcnt(20) lgkmcnt(3)
	v_pk_fma_f32 v[122:123], v[68:69], v[196:197], v[122:123] op_sel_hi:[0,1,1] neg_lo:[1,0,0] neg_hi:[1,0,0]
	s_waitcnt vmcnt(18) lgkmcnt(2)
	v_pk_fma_f32 v[116:117], v[68:69], v[198:199], v[116:117] op_sel_hi:[0,1,1] neg_lo:[1,0,0] neg_hi:[1,0,0]
	ds_read2_b32 v[196:197], v175 offset0:43 offset1:44
	ds_read2_b32 v[198:199], v175 offset0:45 offset1:46
	s_waitcnt vmcnt(16) lgkmcnt(3)
	v_pk_fma_f32 v[120:121], v[68:69], v[202:203], v[120:121] op_sel_hi:[0,1,1] neg_lo:[1,0,0] neg_hi:[1,0,0]
	s_waitcnt vmcnt(14) lgkmcnt(2)
	v_pk_fma_f32 v[146:147], v[68:69], v[200:201], v[146:147] op_sel_hi:[0,1,1] neg_lo:[1,0,0] neg_hi:[1,0,0]
	ds_read2_b32 v[200:201], v175 offset0:47 offset1:48
	;; [unrolled: 6-line block ×3, first 2 shown]
	ds_read2_b32 v[198:199], v175 offset0:53 offset1:54
	ds_read2_b32 v[204:205], v175 offset0:55 offset1:56
	s_waitcnt vmcnt(8) lgkmcnt(4)
	v_pk_fma_f32 v[144:145], v[68:69], v[200:201], v[144:145] op_sel_hi:[0,1,1] neg_lo:[1,0,0] neg_hi:[1,0,0]
	s_waitcnt vmcnt(6) lgkmcnt(3)
	v_pk_fma_f32 v[164:165], v[68:69], v[202:203], v[164:165] op_sel_hi:[0,1,1] neg_lo:[1,0,0] neg_hi:[1,0,0]
	;; [unrolled: 2-line block ×5, first 2 shown]
.LBB113_110:
	s_or_b64 exec, exec, s[2:3]
	v_cmp_ne_u32_e32 vcc, 20, v25
	s_waitcnt lgkmcnt(0)
	s_barrier
	s_and_saveexec_b64 s[2:3], vcc
	s_xor_b64 s[2:3], exec, s[2:3]
	s_andn2_saveexec_b64 s[2:3], s[2:3]
	s_cbranch_execz .LBB113_114
; %bb.111:
	s_waitcnt vmcnt(36)
	ds_write_b32 v174, v69
	s_waitcnt vmcnt(34)
	ds_write2_b32 v175, v70, v71 offset0:21 offset1:22
	s_waitcnt vmcnt(32)
	ds_write2_b32 v175, v72, v73 offset0:23 offset1:24
	;; [unrolled: 2-line block ×18, first 2 shown]
	ds_read_b32 v196, v174
	s_waitcnt lgkmcnt(0)
	v_cmp_neq_f32_e32 vcc, 0, v196
	s_and_saveexec_b64 s[4:5], vcc
	s_cbranch_execz .LBB113_113
; %bb.112:
	v_div_scale_f32 v197, s[10:11], v196, v196, 1.0
	v_rcp_f32_e32 v198, v197
	v_div_scale_f32 v199, vcc, 1.0, v196, 1.0
	v_fma_f32 v200, -v197, v198, 1.0
	v_fmac_f32_e32 v198, v200, v198
	v_mul_f32_e32 v200, v199, v198
	v_fma_f32 v201, -v197, v200, v199
	v_fmac_f32_e32 v200, v201, v198
	v_fma_f32 v197, -v197, v200, v199
	v_div_fmas_f32 v197, v197, v198, v200
	v_div_fixup_f32 v196, v197, v196, 1.0
	ds_write_b32 v174, v196
.LBB113_113:
	s_or_b64 exec, exec, s[4:5]
.LBB113_114:
	s_or_b64 exec, exec, s[2:3]
	s_waitcnt lgkmcnt(0)
	s_barrier
	ds_read_b32 v196, v174
	v_cmp_lt_u32_e32 vcc, 20, v25
	s_and_saveexec_b64 s[2:3], vcc
	s_cbranch_execz .LBB113_116
; %bb.115:
	ds_read2_b32 v[198:199], v175 offset0:21 offset1:22
	ds_read2_b32 v[200:201], v175 offset0:23 offset1:24
	;; [unrolled: 1-line block ×4, first 2 shown]
	s_waitcnt vmcnt(36) lgkmcnt(4)
	v_mul_f32_e32 v204, v196, v69
	s_waitcnt vmcnt(34) lgkmcnt(3)
	v_pk_fma_f32 v[70:71], v[204:205], v[198:199], v[70:71] op_sel_hi:[0,1,1] neg_lo:[1,0,0] neg_hi:[1,0,0]
	s_waitcnt vmcnt(32) lgkmcnt(2)
	v_pk_fma_f32 v[72:73], v[204:205], v[200:201], v[72:73] op_sel_hi:[0,1,1] neg_lo:[1,0,0] neg_hi:[1,0,0]
	s_waitcnt vmcnt(30) lgkmcnt(1)
	v_pk_fma_f32 v[94:95], v[204:205], v[202:203], v[94:95] op_sel_hi:[0,1,1] neg_lo:[1,0,0] neg_hi:[1,0,0]
	ds_read2_b32 v[198:199], v175 offset0:29 offset1:30
	ds_read2_b32 v[200:201], v175 offset0:31 offset1:32
	;; [unrolled: 1-line block ×3, first 2 shown]
	s_waitcnt vmcnt(28) lgkmcnt(3)
	v_pk_fma_f32 v[96:97], v[204:205], v[206:207], v[96:97] op_sel_hi:[0,1,1] neg_lo:[1,0,0] neg_hi:[1,0,0]
	ds_read2_b32 v[206:207], v175 offset0:35 offset1:36
	s_waitcnt vmcnt(26) lgkmcnt(3)
	v_pk_fma_f32 v[98:99], v[204:205], v[198:199], v[98:99] op_sel_hi:[0,1,1] neg_lo:[1,0,0] neg_hi:[1,0,0]
	s_waitcnt vmcnt(24) lgkmcnt(2)
	v_pk_fma_f32 v[92:93], v[204:205], v[200:201], v[92:93] op_sel_hi:[0,1,1] neg_lo:[1,0,0] neg_hi:[1,0,0]
	;; [unrolled: 2-line block ×3, first 2 shown]
	ds_read2_b32 v[198:199], v175 offset0:37 offset1:38
	ds_read2_b32 v[200:201], v175 offset0:39 offset1:40
	ds_read2_b32 v[202:203], v175 offset0:41 offset1:42
	s_waitcnt vmcnt(20) lgkmcnt(3)
	v_pk_fma_f32 v[122:123], v[204:205], v[206:207], v[122:123] op_sel_hi:[0,1,1] neg_lo:[1,0,0] neg_hi:[1,0,0]
	ds_read2_b32 v[206:207], v175 offset0:43 offset1:44
	s_waitcnt vmcnt(18) lgkmcnt(3)
	v_pk_fma_f32 v[116:117], v[204:205], v[198:199], v[116:117] op_sel_hi:[0,1,1] neg_lo:[1,0,0] neg_hi:[1,0,0]
	ds_read2_b32 v[198:199], v175 offset0:45 offset1:46
	s_waitcnt vmcnt(16) lgkmcnt(3)
	v_pk_fma_f32 v[120:121], v[204:205], v[200:201], v[120:121] op_sel_hi:[0,1,1] neg_lo:[1,0,0] neg_hi:[1,0,0]
	s_waitcnt vmcnt(14) lgkmcnt(2)
	v_pk_fma_f32 v[146:147], v[204:205], v[202:203], v[146:147] op_sel_hi:[0,1,1] neg_lo:[1,0,0] neg_hi:[1,0,0]
	;; [unrolled: 2-line block ×3, first 2 shown]
	ds_read2_b32 v[200:201], v175 offset0:47 offset1:48
	ds_read2_b32 v[202:203], v175 offset0:49 offset1:50
	;; [unrolled: 1-line block ×3, first 2 shown]
	s_waitcnt vmcnt(10) lgkmcnt(3)
	v_pk_fma_f32 v[142:143], v[204:205], v[198:199], v[142:143] op_sel_hi:[0,1,1] neg_lo:[1,0,0] neg_hi:[1,0,0]
	ds_read2_b32 v[198:199], v175 offset0:53 offset1:54
	ds_read2_b32 v[208:209], v175 offset0:55 offset1:56
	s_waitcnt vmcnt(8) lgkmcnt(4)
	v_pk_fma_f32 v[144:145], v[204:205], v[200:201], v[144:145] op_sel_hi:[0,1,1] neg_lo:[1,0,0] neg_hi:[1,0,0]
	s_waitcnt vmcnt(6) lgkmcnt(3)
	v_pk_fma_f32 v[164:165], v[204:205], v[202:203], v[164:165] op_sel_hi:[0,1,1] neg_lo:[1,0,0] neg_hi:[1,0,0]
	;; [unrolled: 2-line block ×5, first 2 shown]
	v_mov_b32_e32 v69, v204
.LBB113_116:
	s_or_b64 exec, exec, s[2:3]
	v_cmp_eq_u32_e32 vcc, 21, v25
	s_waitcnt lgkmcnt(0)
	s_barrier
	s_and_saveexec_b64 s[2:3], vcc
	s_cbranch_execz .LBB113_119
; %bb.117:
	s_waitcnt vmcnt(32)
	v_pk_mov_b32 v[198:199], v[70:71], v[72:73] op_sel:[1,0]
	ds_write_b32 v174, v70
	ds_write2_b32 v175, v198, v199 offset0:22 offset1:23
	s_waitcnt vmcnt(30)
	v_pk_mov_b32 v[198:199], v[72:73], v[94:95] op_sel:[1,0]
	ds_write2_b32 v175, v198, v199 offset0:24 offset1:25
	s_waitcnt vmcnt(28)
	v_pk_mov_b32 v[198:199], v[94:95], v[96:97] op_sel:[1,0]
	;; [unrolled: 3-line block ×16, first 2 shown]
	ds_write2_b32 v175, v198, v199 offset0:54 offset1:55
	ds_write_b32 v175, v171 offset:224
	ds_read_b32 v197, v174
	s_waitcnt lgkmcnt(0)
	v_cmp_neq_f32_e32 vcc, 0, v197
	s_and_b64 exec, exec, vcc
	s_cbranch_execz .LBB113_119
; %bb.118:
	v_div_scale_f32 v198, s[4:5], v197, v197, 1.0
	v_rcp_f32_e32 v199, v198
	v_div_scale_f32 v200, vcc, 1.0, v197, 1.0
	v_fma_f32 v201, -v198, v199, 1.0
	v_fmac_f32_e32 v199, v201, v199
	v_mul_f32_e32 v201, v200, v199
	v_fma_f32 v202, -v198, v201, v200
	v_fmac_f32_e32 v201, v202, v199
	v_fma_f32 v198, -v198, v201, v200
	v_div_fmas_f32 v198, v198, v199, v201
	v_div_fixup_f32 v197, v198, v197, 1.0
	ds_write_b32 v174, v197
.LBB113_119:
	s_or_b64 exec, exec, s[2:3]
	s_waitcnt lgkmcnt(0)
	s_barrier
	ds_read_b32 v197, v174
	v_cmp_lt_u32_e32 vcc, 21, v25
	s_and_saveexec_b64 s[2:3], vcc
	s_cbranch_execz .LBB113_121
; %bb.120:
	ds_read_b32 v204, v175 offset:88
	ds_read2_b32 v[198:199], v175 offset0:23 offset1:24
	ds_read2_b32 v[200:201], v175 offset0:25 offset1:26
	s_waitcnt vmcnt(35) lgkmcnt(3)
	v_mul_f32_e32 v70, v197, v70
	ds_read2_b32 v[202:203], v175 offset0:27 offset1:28
	s_waitcnt vmcnt(34) lgkmcnt(3)
	v_fma_f32 v71, -v70, v204, v71
	s_waitcnt vmcnt(32) lgkmcnt(2)
	v_pk_fma_f32 v[72:73], v[70:71], v[198:199], v[72:73] op_sel_hi:[0,1,1] neg_lo:[1,0,0] neg_hi:[1,0,0]
	s_waitcnt vmcnt(30) lgkmcnt(1)
	v_pk_fma_f32 v[94:95], v[70:71], v[200:201], v[94:95] op_sel_hi:[0,1,1] neg_lo:[1,0,0] neg_hi:[1,0,0]
	ds_read2_b32 v[198:199], v175 offset0:29 offset1:30
	ds_read2_b32 v[200:201], v175 offset0:31 offset1:32
	;; [unrolled: 1-line block ×3, first 2 shown]
	s_waitcnt vmcnt(28) lgkmcnt(3)
	v_pk_fma_f32 v[96:97], v[70:71], v[202:203], v[96:97] op_sel_hi:[0,1,1] neg_lo:[1,0,0] neg_hi:[1,0,0]
	ds_read2_b32 v[202:203], v175 offset0:35 offset1:36
	s_waitcnt vmcnt(26) lgkmcnt(3)
	v_pk_fma_f32 v[98:99], v[70:71], v[198:199], v[98:99] op_sel_hi:[0,1,1] neg_lo:[1,0,0] neg_hi:[1,0,0]
	s_waitcnt vmcnt(24) lgkmcnt(2)
	v_pk_fma_f32 v[92:93], v[70:71], v[200:201], v[92:93] op_sel_hi:[0,1,1] neg_lo:[1,0,0] neg_hi:[1,0,0]
	s_waitcnt vmcnt(22) lgkmcnt(1)
	v_pk_fma_f32 v[118:119], v[70:71], v[204:205], v[118:119] op_sel_hi:[0,1,1] neg_lo:[1,0,0] neg_hi:[1,0,0]
	ds_read2_b32 v[198:199], v175 offset0:37 offset1:38
	ds_read2_b32 v[200:201], v175 offset0:39 offset1:40
	;; [unrolled: 1-line block ×3, first 2 shown]
	s_waitcnt vmcnt(20) lgkmcnt(3)
	v_pk_fma_f32 v[122:123], v[70:71], v[202:203], v[122:123] op_sel_hi:[0,1,1] neg_lo:[1,0,0] neg_hi:[1,0,0]
	ds_read2_b32 v[202:203], v175 offset0:43 offset1:44
	s_waitcnt vmcnt(18) lgkmcnt(3)
	v_pk_fma_f32 v[116:117], v[70:71], v[198:199], v[116:117] op_sel_hi:[0,1,1] neg_lo:[1,0,0] neg_hi:[1,0,0]
	ds_read2_b32 v[198:199], v175 offset0:45 offset1:46
	s_waitcnt vmcnt(16) lgkmcnt(3)
	v_pk_fma_f32 v[120:121], v[70:71], v[200:201], v[120:121] op_sel_hi:[0,1,1] neg_lo:[1,0,0] neg_hi:[1,0,0]
	s_waitcnt vmcnt(14) lgkmcnt(2)
	v_pk_fma_f32 v[146:147], v[70:71], v[204:205], v[146:147] op_sel_hi:[0,1,1] neg_lo:[1,0,0] neg_hi:[1,0,0]
	;; [unrolled: 2-line block ×3, first 2 shown]
	ds_read2_b32 v[200:201], v175 offset0:47 offset1:48
	ds_read2_b32 v[202:203], v175 offset0:49 offset1:50
	;; [unrolled: 1-line block ×3, first 2 shown]
	s_waitcnt vmcnt(10) lgkmcnt(3)
	v_pk_fma_f32 v[142:143], v[70:71], v[198:199], v[142:143] op_sel_hi:[0,1,1] neg_lo:[1,0,0] neg_hi:[1,0,0]
	ds_read2_b32 v[198:199], v175 offset0:53 offset1:54
	ds_read2_b32 v[206:207], v175 offset0:55 offset1:56
	s_waitcnt vmcnt(8) lgkmcnt(4)
	v_pk_fma_f32 v[144:145], v[70:71], v[200:201], v[144:145] op_sel_hi:[0,1,1] neg_lo:[1,0,0] neg_hi:[1,0,0]
	s_waitcnt vmcnt(6) lgkmcnt(3)
	v_pk_fma_f32 v[164:165], v[70:71], v[202:203], v[164:165] op_sel_hi:[0,1,1] neg_lo:[1,0,0] neg_hi:[1,0,0]
	;; [unrolled: 2-line block ×5, first 2 shown]
.LBB113_121:
	s_or_b64 exec, exec, s[2:3]
	v_cmp_ne_u32_e32 vcc, 22, v25
	s_waitcnt lgkmcnt(0)
	s_barrier
	s_and_saveexec_b64 s[2:3], vcc
	s_xor_b64 s[2:3], exec, s[2:3]
	s_andn2_saveexec_b64 s[2:3], s[2:3]
	s_cbranch_execz .LBB113_125
; %bb.122:
	s_waitcnt vmcnt(34)
	ds_write_b32 v174, v71
	s_waitcnt vmcnt(32)
	ds_write2_b32 v175, v72, v73 offset0:23 offset1:24
	s_waitcnt vmcnt(30)
	ds_write2_b32 v175, v94, v95 offset0:25 offset1:26
	;; [unrolled: 2-line block ×17, first 2 shown]
	ds_read_b32 v198, v174
	s_waitcnt lgkmcnt(0)
	v_cmp_neq_f32_e32 vcc, 0, v198
	s_and_saveexec_b64 s[4:5], vcc
	s_cbranch_execz .LBB113_124
; %bb.123:
	v_div_scale_f32 v199, s[10:11], v198, v198, 1.0
	v_rcp_f32_e32 v200, v199
	v_div_scale_f32 v201, vcc, 1.0, v198, 1.0
	v_fma_f32 v202, -v199, v200, 1.0
	v_fmac_f32_e32 v200, v202, v200
	v_mul_f32_e32 v202, v201, v200
	v_fma_f32 v203, -v199, v202, v201
	v_fmac_f32_e32 v202, v203, v200
	v_fma_f32 v199, -v199, v202, v201
	v_div_fmas_f32 v199, v199, v200, v202
	v_div_fixup_f32 v198, v199, v198, 1.0
	ds_write_b32 v174, v198
.LBB113_124:
	s_or_b64 exec, exec, s[4:5]
.LBB113_125:
	s_or_b64 exec, exec, s[2:3]
	s_waitcnt lgkmcnt(0)
	s_barrier
	ds_read_b32 v198, v174
	v_cmp_lt_u32_e32 vcc, 22, v25
	s_and_saveexec_b64 s[2:3], vcc
	s_cbranch_execz .LBB113_127
; %bb.126:
	ds_read2_b32 v[200:201], v175 offset0:23 offset1:24
	ds_read2_b32 v[202:203], v175 offset0:25 offset1:26
	;; [unrolled: 1-line block ×3, first 2 shown]
	s_waitcnt vmcnt(34) lgkmcnt(3)
	v_mul_f32_e32 v206, v198, v71
	ds_read2_b32 v[208:209], v175 offset0:29 offset1:30
	s_waitcnt vmcnt(32) lgkmcnt(3)
	v_pk_fma_f32 v[72:73], v[206:207], v[200:201], v[72:73] op_sel_hi:[0,1,1] neg_lo:[1,0,0] neg_hi:[1,0,0]
	s_waitcnt vmcnt(30) lgkmcnt(2)
	v_pk_fma_f32 v[94:95], v[206:207], v[202:203], v[94:95] op_sel_hi:[0,1,1] neg_lo:[1,0,0] neg_hi:[1,0,0]
	;; [unrolled: 2-line block ×3, first 2 shown]
	ds_read2_b32 v[200:201], v175 offset0:31 offset1:32
	ds_read2_b32 v[202:203], v175 offset0:33 offset1:34
	;; [unrolled: 1-line block ×3, first 2 shown]
	s_waitcnt vmcnt(26) lgkmcnt(3)
	v_pk_fma_f32 v[98:99], v[206:207], v[208:209], v[98:99] op_sel_hi:[0,1,1] neg_lo:[1,0,0] neg_hi:[1,0,0]
	ds_read2_b32 v[208:209], v175 offset0:37 offset1:38
	s_waitcnt vmcnt(24) lgkmcnt(3)
	v_pk_fma_f32 v[92:93], v[206:207], v[200:201], v[92:93] op_sel_hi:[0,1,1] neg_lo:[1,0,0] neg_hi:[1,0,0]
	s_waitcnt vmcnt(22) lgkmcnt(2)
	v_pk_fma_f32 v[118:119], v[206:207], v[202:203], v[118:119] op_sel_hi:[0,1,1] neg_lo:[1,0,0] neg_hi:[1,0,0]
	;; [unrolled: 2-line block ×3, first 2 shown]
	ds_read2_b32 v[200:201], v175 offset0:39 offset1:40
	ds_read2_b32 v[202:203], v175 offset0:41 offset1:42
	;; [unrolled: 1-line block ×4, first 2 shown]
	s_waitcnt vmcnt(18) lgkmcnt(4)
	v_pk_fma_f32 v[116:117], v[206:207], v[208:209], v[116:117] op_sel_hi:[0,1,1] neg_lo:[1,0,0] neg_hi:[1,0,0]
	s_waitcnt vmcnt(16) lgkmcnt(3)
	v_pk_fma_f32 v[120:121], v[206:207], v[200:201], v[120:121] op_sel_hi:[0,1,1] neg_lo:[1,0,0] neg_hi:[1,0,0]
	;; [unrolled: 2-line block ×5, first 2 shown]
	ds_read2_b32 v[200:201], v175 offset0:47 offset1:48
	ds_read2_b32 v[202:203], v175 offset0:49 offset1:50
	;; [unrolled: 1-line block ×5, first 2 shown]
	s_waitcnt vmcnt(8) lgkmcnt(4)
	v_pk_fma_f32 v[144:145], v[206:207], v[200:201], v[144:145] op_sel_hi:[0,1,1] neg_lo:[1,0,0] neg_hi:[1,0,0]
	s_waitcnt vmcnt(6) lgkmcnt(3)
	v_pk_fma_f32 v[164:165], v[206:207], v[202:203], v[164:165] op_sel_hi:[0,1,1] neg_lo:[1,0,0] neg_hi:[1,0,0]
	;; [unrolled: 2-line block ×5, first 2 shown]
	v_mov_b32_e32 v71, v206
.LBB113_127:
	s_or_b64 exec, exec, s[2:3]
	v_cmp_eq_u32_e32 vcc, 23, v25
	s_waitcnt lgkmcnt(0)
	s_barrier
	s_and_saveexec_b64 s[2:3], vcc
	s_cbranch_execz .LBB113_130
; %bb.128:
	s_waitcnt vmcnt(30)
	v_pk_mov_b32 v[200:201], v[72:73], v[94:95] op_sel:[1,0]
	ds_write_b32 v174, v72
	ds_write2_b32 v175, v200, v201 offset0:24 offset1:25
	s_waitcnt vmcnt(28)
	v_pk_mov_b32 v[200:201], v[94:95], v[96:97] op_sel:[1,0]
	ds_write2_b32 v175, v200, v201 offset0:26 offset1:27
	s_waitcnt vmcnt(26)
	v_pk_mov_b32 v[200:201], v[96:97], v[98:99] op_sel:[1,0]
	ds_write2_b32 v175, v200, v201 offset0:28 offset1:29
	s_waitcnt vmcnt(24)
	v_pk_mov_b32 v[200:201], v[98:99], v[92:93] op_sel:[1,0]
	ds_write2_b32 v175, v200, v201 offset0:30 offset1:31
	s_waitcnt vmcnt(22)
	v_pk_mov_b32 v[200:201], v[92:93], v[118:119] op_sel:[1,0]
	ds_write2_b32 v175, v200, v201 offset0:32 offset1:33
	s_waitcnt vmcnt(20)
	v_pk_mov_b32 v[200:201], v[118:119], v[122:123] op_sel:[1,0]
	ds_write2_b32 v175, v200, v201 offset0:34 offset1:35
	s_waitcnt vmcnt(18)
	v_pk_mov_b32 v[200:201], v[122:123], v[116:117] op_sel:[1,0]
	ds_write2_b32 v175, v200, v201 offset0:36 offset1:37
	s_waitcnt vmcnt(16)
	v_pk_mov_b32 v[200:201], v[116:117], v[120:121] op_sel:[1,0]
	ds_write2_b32 v175, v200, v201 offset0:38 offset1:39
	s_waitcnt vmcnt(14)
	v_pk_mov_b32 v[200:201], v[120:121], v[146:147] op_sel:[1,0]
	ds_write2_b32 v175, v200, v201 offset0:40 offset1:41
	s_waitcnt vmcnt(12)
	v_pk_mov_b32 v[200:201], v[146:147], v[140:141] op_sel:[1,0]
	ds_write2_b32 v175, v200, v201 offset0:42 offset1:43
	s_waitcnt vmcnt(10)
	v_pk_mov_b32 v[200:201], v[140:141], v[142:143] op_sel:[1,0]
	ds_write2_b32 v175, v200, v201 offset0:44 offset1:45
	s_waitcnt vmcnt(8)
	v_pk_mov_b32 v[200:201], v[142:143], v[144:145] op_sel:[1,0]
	ds_write2_b32 v175, v200, v201 offset0:46 offset1:47
	s_waitcnt vmcnt(6)
	v_pk_mov_b32 v[200:201], v[144:145], v[164:165] op_sel:[1,0]
	ds_write2_b32 v175, v200, v201 offset0:48 offset1:49
	s_waitcnt vmcnt(4)
	v_pk_mov_b32 v[200:201], v[164:165], v[166:167] op_sel:[1,0]
	ds_write2_b32 v175, v200, v201 offset0:50 offset1:51
	s_waitcnt vmcnt(2)
	v_pk_mov_b32 v[200:201], v[166:167], v[168:169] op_sel:[1,0]
	ds_write2_b32 v175, v200, v201 offset0:52 offset1:53
	s_waitcnt vmcnt(0)
	v_pk_mov_b32 v[200:201], v[168:169], v[170:171] op_sel:[1,0]
	ds_write2_b32 v175, v200, v201 offset0:54 offset1:55
	ds_write_b32 v175, v171 offset:224
	ds_read_b32 v199, v174
	s_waitcnt lgkmcnt(0)
	v_cmp_neq_f32_e32 vcc, 0, v199
	s_and_b64 exec, exec, vcc
	s_cbranch_execz .LBB113_130
; %bb.129:
	v_div_scale_f32 v200, s[4:5], v199, v199, 1.0
	v_rcp_f32_e32 v201, v200
	v_div_scale_f32 v202, vcc, 1.0, v199, 1.0
	v_fma_f32 v203, -v200, v201, 1.0
	v_fmac_f32_e32 v201, v203, v201
	v_mul_f32_e32 v203, v202, v201
	v_fma_f32 v204, -v200, v203, v202
	v_fmac_f32_e32 v203, v204, v201
	v_fma_f32 v200, -v200, v203, v202
	v_div_fmas_f32 v200, v200, v201, v203
	v_div_fixup_f32 v199, v200, v199, 1.0
	ds_write_b32 v174, v199
.LBB113_130:
	s_or_b64 exec, exec, s[2:3]
	s_waitcnt lgkmcnt(0)
	s_barrier
	ds_read_b32 v199, v174
	v_cmp_lt_u32_e32 vcc, 23, v25
	s_and_saveexec_b64 s[2:3], vcc
	s_cbranch_execz .LBB113_132
; %bb.131:
	ds_read_b32 v206, v175 offset:96
	ds_read2_b32 v[200:201], v175 offset0:25 offset1:26
	ds_read2_b32 v[202:203], v175 offset0:27 offset1:28
	s_waitcnt vmcnt(33) lgkmcnt(3)
	v_mul_f32_e32 v72, v199, v72
	ds_read2_b32 v[204:205], v175 offset0:29 offset1:30
	s_waitcnt vmcnt(32) lgkmcnt(3)
	v_fma_f32 v73, -v72, v206, v73
	s_waitcnt vmcnt(30) lgkmcnt(2)
	v_pk_fma_f32 v[94:95], v[72:73], v[200:201], v[94:95] op_sel_hi:[0,1,1] neg_lo:[1,0,0] neg_hi:[1,0,0]
	s_waitcnt vmcnt(28) lgkmcnt(1)
	v_pk_fma_f32 v[96:97], v[72:73], v[202:203], v[96:97] op_sel_hi:[0,1,1] neg_lo:[1,0,0] neg_hi:[1,0,0]
	ds_read2_b32 v[200:201], v175 offset0:31 offset1:32
	ds_read2_b32 v[202:203], v175 offset0:33 offset1:34
	;; [unrolled: 1-line block ×3, first 2 shown]
	s_waitcnt vmcnt(26) lgkmcnt(3)
	v_pk_fma_f32 v[98:99], v[72:73], v[204:205], v[98:99] op_sel_hi:[0,1,1] neg_lo:[1,0,0] neg_hi:[1,0,0]
	ds_read2_b32 v[204:205], v175 offset0:37 offset1:38
	s_waitcnt vmcnt(24) lgkmcnt(3)
	v_pk_fma_f32 v[92:93], v[72:73], v[200:201], v[92:93] op_sel_hi:[0,1,1] neg_lo:[1,0,0] neg_hi:[1,0,0]
	s_waitcnt vmcnt(22) lgkmcnt(2)
	v_pk_fma_f32 v[118:119], v[72:73], v[202:203], v[118:119] op_sel_hi:[0,1,1] neg_lo:[1,0,0] neg_hi:[1,0,0]
	;; [unrolled: 2-line block ×3, first 2 shown]
	ds_read2_b32 v[200:201], v175 offset0:39 offset1:40
	ds_read2_b32 v[202:203], v175 offset0:41 offset1:42
	ds_read2_b32 v[206:207], v175 offset0:43 offset1:44
	ds_read2_b32 v[208:209], v175 offset0:45 offset1:46
	s_waitcnt vmcnt(18) lgkmcnt(4)
	v_pk_fma_f32 v[116:117], v[72:73], v[204:205], v[116:117] op_sel_hi:[0,1,1] neg_lo:[1,0,0] neg_hi:[1,0,0]
	s_waitcnt vmcnt(16) lgkmcnt(3)
	v_pk_fma_f32 v[120:121], v[72:73], v[200:201], v[120:121] op_sel_hi:[0,1,1] neg_lo:[1,0,0] neg_hi:[1,0,0]
	;; [unrolled: 2-line block ×5, first 2 shown]
	ds_read2_b32 v[200:201], v175 offset0:47 offset1:48
	ds_read2_b32 v[202:203], v175 offset0:49 offset1:50
	ds_read2_b32 v[204:205], v175 offset0:51 offset1:52
	ds_read2_b32 v[206:207], v175 offset0:53 offset1:54
	ds_read2_b32 v[208:209], v175 offset0:55 offset1:56
	s_waitcnt vmcnt(8) lgkmcnt(4)
	v_pk_fma_f32 v[144:145], v[72:73], v[200:201], v[144:145] op_sel_hi:[0,1,1] neg_lo:[1,0,0] neg_hi:[1,0,0]
	s_waitcnt vmcnt(6) lgkmcnt(3)
	v_pk_fma_f32 v[164:165], v[72:73], v[202:203], v[164:165] op_sel_hi:[0,1,1] neg_lo:[1,0,0] neg_hi:[1,0,0]
	;; [unrolled: 2-line block ×5, first 2 shown]
.LBB113_132:
	s_or_b64 exec, exec, s[2:3]
	v_cmp_ne_u32_e32 vcc, 24, v25
	s_waitcnt lgkmcnt(0)
	s_barrier
	s_and_saveexec_b64 s[2:3], vcc
	s_xor_b64 s[2:3], exec, s[2:3]
	s_andn2_saveexec_b64 s[2:3], s[2:3]
	s_cbranch_execz .LBB113_136
; %bb.133:
	s_waitcnt vmcnt(32)
	ds_write_b32 v174, v73
	s_waitcnt vmcnt(30)
	ds_write2_b32 v175, v94, v95 offset0:25 offset1:26
	s_waitcnt vmcnt(28)
	ds_write2_b32 v175, v96, v97 offset0:27 offset1:28
	;; [unrolled: 2-line block ×16, first 2 shown]
	ds_read_b32 v200, v174
	s_waitcnt lgkmcnt(0)
	v_cmp_neq_f32_e32 vcc, 0, v200
	s_and_saveexec_b64 s[4:5], vcc
	s_cbranch_execz .LBB113_135
; %bb.134:
	v_div_scale_f32 v201, s[10:11], v200, v200, 1.0
	v_rcp_f32_e32 v202, v201
	v_div_scale_f32 v203, vcc, 1.0, v200, 1.0
	v_fma_f32 v204, -v201, v202, 1.0
	v_fmac_f32_e32 v202, v204, v202
	v_mul_f32_e32 v204, v203, v202
	v_fma_f32 v205, -v201, v204, v203
	v_fmac_f32_e32 v204, v205, v202
	v_fma_f32 v201, -v201, v204, v203
	v_div_fmas_f32 v201, v201, v202, v204
	v_div_fixup_f32 v200, v201, v200, 1.0
	ds_write_b32 v174, v200
.LBB113_135:
	s_or_b64 exec, exec, s[4:5]
.LBB113_136:
	s_or_b64 exec, exec, s[2:3]
	s_waitcnt lgkmcnt(0)
	s_barrier
	ds_read_b32 v200, v174
	v_cmp_lt_u32_e32 vcc, 24, v25
	s_and_saveexec_b64 s[2:3], vcc
	s_cbranch_execz .LBB113_138
; %bb.137:
	ds_read2_b32 v[202:203], v175 offset0:25 offset1:26
	ds_read2_b32 v[204:205], v175 offset0:27 offset1:28
	;; [unrolled: 1-line block ×3, first 2 shown]
	s_waitcnt vmcnt(32) lgkmcnt(3)
	v_mul_f32_e32 v208, v200, v73
	ds_read2_b32 v[210:211], v175 offset0:31 offset1:32
	s_waitcnt vmcnt(30) lgkmcnt(3)
	v_pk_fma_f32 v[94:95], v[208:209], v[202:203], v[94:95] op_sel_hi:[0,1,1] neg_lo:[1,0,0] neg_hi:[1,0,0]
	s_waitcnt vmcnt(28) lgkmcnt(2)
	v_pk_fma_f32 v[96:97], v[208:209], v[204:205], v[96:97] op_sel_hi:[0,1,1] neg_lo:[1,0,0] neg_hi:[1,0,0]
	;; [unrolled: 2-line block ×3, first 2 shown]
	ds_read2_b32 v[202:203], v175 offset0:33 offset1:34
	ds_read2_b32 v[204:205], v175 offset0:35 offset1:36
	;; [unrolled: 1-line block ×3, first 2 shown]
	s_waitcnt vmcnt(24) lgkmcnt(3)
	v_pk_fma_f32 v[92:93], v[208:209], v[210:211], v[92:93] op_sel_hi:[0,1,1] neg_lo:[1,0,0] neg_hi:[1,0,0]
	ds_read2_b32 v[210:211], v175 offset0:39 offset1:40
	s_waitcnt vmcnt(22) lgkmcnt(3)
	v_pk_fma_f32 v[118:119], v[208:209], v[202:203], v[118:119] op_sel_hi:[0,1,1] neg_lo:[1,0,0] neg_hi:[1,0,0]
	s_waitcnt vmcnt(20) lgkmcnt(2)
	v_pk_fma_f32 v[122:123], v[208:209], v[204:205], v[122:123] op_sel_hi:[0,1,1] neg_lo:[1,0,0] neg_hi:[1,0,0]
	s_waitcnt vmcnt(18) lgkmcnt(1)
	v_pk_fma_f32 v[116:117], v[208:209], v[206:207], v[116:117] op_sel_hi:[0,1,1] neg_lo:[1,0,0] neg_hi:[1,0,0]
	ds_read2_b32 v[202:203], v175 offset0:41 offset1:42
	ds_read2_b32 v[204:205], v175 offset0:43 offset1:44
	ds_read2_b32 v[206:207], v175 offset0:45 offset1:46
	s_waitcnt vmcnt(16) lgkmcnt(3)
	v_pk_fma_f32 v[120:121], v[208:209], v[210:211], v[120:121] op_sel_hi:[0,1,1] neg_lo:[1,0,0] neg_hi:[1,0,0]
	ds_read2_b32 v[210:211], v175 offset0:47 offset1:48
	s_waitcnt vmcnt(14) lgkmcnt(3)
	v_pk_fma_f32 v[146:147], v[208:209], v[202:203], v[146:147] op_sel_hi:[0,1,1] neg_lo:[1,0,0] neg_hi:[1,0,0]
	s_waitcnt vmcnt(12) lgkmcnt(2)
	v_pk_fma_f32 v[140:141], v[208:209], v[204:205], v[140:141] op_sel_hi:[0,1,1] neg_lo:[1,0,0] neg_hi:[1,0,0]
	;; [unrolled: 2-line block ×3, first 2 shown]
	ds_read2_b32 v[202:203], v175 offset0:49 offset1:50
	ds_read2_b32 v[204:205], v175 offset0:51 offset1:52
	;; [unrolled: 1-line block ×4, first 2 shown]
	s_waitcnt vmcnt(8) lgkmcnt(4)
	v_pk_fma_f32 v[144:145], v[208:209], v[210:211], v[144:145] op_sel_hi:[0,1,1] neg_lo:[1,0,0] neg_hi:[1,0,0]
	s_waitcnt vmcnt(6) lgkmcnt(3)
	v_pk_fma_f32 v[164:165], v[208:209], v[202:203], v[164:165] op_sel_hi:[0,1,1] neg_lo:[1,0,0] neg_hi:[1,0,0]
	;; [unrolled: 2-line block ×5, first 2 shown]
	v_mov_b32_e32 v73, v208
.LBB113_138:
	s_or_b64 exec, exec, s[2:3]
	v_cmp_eq_u32_e32 vcc, 25, v25
	s_waitcnt lgkmcnt(0)
	s_barrier
	s_and_saveexec_b64 s[2:3], vcc
	s_cbranch_execz .LBB113_141
; %bb.139:
	s_waitcnt vmcnt(28)
	v_pk_mov_b32 v[202:203], v[94:95], v[96:97] op_sel:[1,0]
	ds_write_b32 v174, v94
	ds_write2_b32 v175, v202, v203 offset0:26 offset1:27
	s_waitcnt vmcnt(26)
	v_pk_mov_b32 v[202:203], v[96:97], v[98:99] op_sel:[1,0]
	ds_write2_b32 v175, v202, v203 offset0:28 offset1:29
	s_waitcnt vmcnt(24)
	v_pk_mov_b32 v[202:203], v[98:99], v[92:93] op_sel:[1,0]
	;; [unrolled: 3-line block ×14, first 2 shown]
	ds_write2_b32 v175, v202, v203 offset0:54 offset1:55
	ds_write_b32 v175, v171 offset:224
	ds_read_b32 v201, v174
	s_waitcnt lgkmcnt(0)
	v_cmp_neq_f32_e32 vcc, 0, v201
	s_and_b64 exec, exec, vcc
	s_cbranch_execz .LBB113_141
; %bb.140:
	v_div_scale_f32 v202, s[4:5], v201, v201, 1.0
	v_rcp_f32_e32 v203, v202
	v_div_scale_f32 v204, vcc, 1.0, v201, 1.0
	v_fma_f32 v205, -v202, v203, 1.0
	v_fmac_f32_e32 v203, v205, v203
	v_mul_f32_e32 v205, v204, v203
	v_fma_f32 v206, -v202, v205, v204
	v_fmac_f32_e32 v205, v206, v203
	v_fma_f32 v202, -v202, v205, v204
	v_div_fmas_f32 v202, v202, v203, v205
	v_div_fixup_f32 v201, v202, v201, 1.0
	ds_write_b32 v174, v201
.LBB113_141:
	s_or_b64 exec, exec, s[2:3]
	s_waitcnt lgkmcnt(0)
	s_barrier
	ds_read_b32 v201, v174
	v_cmp_lt_u32_e32 vcc, 25, v25
	s_and_saveexec_b64 s[2:3], vcc
	s_cbranch_execz .LBB113_143
; %bb.142:
	ds_read_b32 v208, v175 offset:104
	ds_read2_b32 v[202:203], v175 offset0:27 offset1:28
	ds_read2_b32 v[204:205], v175 offset0:29 offset1:30
	s_waitcnt vmcnt(31) lgkmcnt(3)
	v_mul_f32_e32 v94, v201, v94
	ds_read2_b32 v[206:207], v175 offset0:31 offset1:32
	s_waitcnt vmcnt(30) lgkmcnt(3)
	v_fma_f32 v95, -v94, v208, v95
	s_waitcnt vmcnt(28) lgkmcnt(2)
	v_pk_fma_f32 v[96:97], v[94:95], v[202:203], v[96:97] op_sel_hi:[0,1,1] neg_lo:[1,0,0] neg_hi:[1,0,0]
	s_waitcnt vmcnt(26) lgkmcnt(1)
	v_pk_fma_f32 v[98:99], v[94:95], v[204:205], v[98:99] op_sel_hi:[0,1,1] neg_lo:[1,0,0] neg_hi:[1,0,0]
	ds_read2_b32 v[202:203], v175 offset0:33 offset1:34
	ds_read2_b32 v[204:205], v175 offset0:35 offset1:36
	;; [unrolled: 1-line block ×3, first 2 shown]
	s_waitcnt vmcnt(24) lgkmcnt(3)
	v_pk_fma_f32 v[92:93], v[94:95], v[206:207], v[92:93] op_sel_hi:[0,1,1] neg_lo:[1,0,0] neg_hi:[1,0,0]
	ds_read2_b32 v[206:207], v175 offset0:39 offset1:40
	s_waitcnt vmcnt(22) lgkmcnt(3)
	v_pk_fma_f32 v[118:119], v[94:95], v[202:203], v[118:119] op_sel_hi:[0,1,1] neg_lo:[1,0,0] neg_hi:[1,0,0]
	s_waitcnt vmcnt(20) lgkmcnt(2)
	v_pk_fma_f32 v[122:123], v[94:95], v[204:205], v[122:123] op_sel_hi:[0,1,1] neg_lo:[1,0,0] neg_hi:[1,0,0]
	;; [unrolled: 2-line block ×3, first 2 shown]
	ds_read2_b32 v[202:203], v175 offset0:41 offset1:42
	ds_read2_b32 v[204:205], v175 offset0:43 offset1:44
	;; [unrolled: 1-line block ×3, first 2 shown]
	s_waitcnt vmcnt(16) lgkmcnt(3)
	v_pk_fma_f32 v[120:121], v[94:95], v[206:207], v[120:121] op_sel_hi:[0,1,1] neg_lo:[1,0,0] neg_hi:[1,0,0]
	ds_read2_b32 v[206:207], v175 offset0:47 offset1:48
	s_waitcnt vmcnt(14) lgkmcnt(3)
	v_pk_fma_f32 v[146:147], v[94:95], v[202:203], v[146:147] op_sel_hi:[0,1,1] neg_lo:[1,0,0] neg_hi:[1,0,0]
	s_waitcnt vmcnt(12) lgkmcnt(2)
	v_pk_fma_f32 v[140:141], v[94:95], v[204:205], v[140:141] op_sel_hi:[0,1,1] neg_lo:[1,0,0] neg_hi:[1,0,0]
	;; [unrolled: 2-line block ×3, first 2 shown]
	ds_read2_b32 v[202:203], v175 offset0:49 offset1:50
	ds_read2_b32 v[204:205], v175 offset0:51 offset1:52
	;; [unrolled: 1-line block ×4, first 2 shown]
	s_waitcnt vmcnt(8) lgkmcnt(4)
	v_pk_fma_f32 v[144:145], v[94:95], v[206:207], v[144:145] op_sel_hi:[0,1,1] neg_lo:[1,0,0] neg_hi:[1,0,0]
	s_waitcnt vmcnt(6) lgkmcnt(3)
	v_pk_fma_f32 v[164:165], v[94:95], v[202:203], v[164:165] op_sel_hi:[0,1,1] neg_lo:[1,0,0] neg_hi:[1,0,0]
	;; [unrolled: 2-line block ×5, first 2 shown]
.LBB113_143:
	s_or_b64 exec, exec, s[2:3]
	v_cmp_ne_u32_e32 vcc, 26, v25
	s_waitcnt lgkmcnt(0)
	s_barrier
	s_and_saveexec_b64 s[2:3], vcc
	s_xor_b64 s[2:3], exec, s[2:3]
	s_andn2_saveexec_b64 s[2:3], s[2:3]
	s_cbranch_execz .LBB113_147
; %bb.144:
	s_waitcnt vmcnt(30)
	ds_write_b32 v174, v95
	s_waitcnt vmcnt(28)
	ds_write2_b32 v175, v96, v97 offset0:27 offset1:28
	s_waitcnt vmcnt(26)
	ds_write2_b32 v175, v98, v99 offset0:29 offset1:30
	;; [unrolled: 2-line block ×15, first 2 shown]
	ds_read_b32 v202, v174
	s_waitcnt lgkmcnt(0)
	v_cmp_neq_f32_e32 vcc, 0, v202
	s_and_saveexec_b64 s[4:5], vcc
	s_cbranch_execz .LBB113_146
; %bb.145:
	v_div_scale_f32 v203, s[10:11], v202, v202, 1.0
	v_rcp_f32_e32 v204, v203
	v_div_scale_f32 v205, vcc, 1.0, v202, 1.0
	v_fma_f32 v206, -v203, v204, 1.0
	v_fmac_f32_e32 v204, v206, v204
	v_mul_f32_e32 v206, v205, v204
	v_fma_f32 v207, -v203, v206, v205
	v_fmac_f32_e32 v206, v207, v204
	v_fma_f32 v203, -v203, v206, v205
	v_div_fmas_f32 v203, v203, v204, v206
	v_div_fixup_f32 v202, v203, v202, 1.0
	ds_write_b32 v174, v202
.LBB113_146:
	s_or_b64 exec, exec, s[4:5]
.LBB113_147:
	s_or_b64 exec, exec, s[2:3]
	s_waitcnt lgkmcnt(0)
	s_barrier
	ds_read_b32 v202, v174
	v_cmp_lt_u32_e32 vcc, 26, v25
	s_and_saveexec_b64 s[2:3], vcc
	s_cbranch_execz .LBB113_149
; %bb.148:
	ds_read2_b32 v[204:205], v175 offset0:27 offset1:28
	ds_read2_b32 v[206:207], v175 offset0:29 offset1:30
	;; [unrolled: 1-line block ×3, first 2 shown]
	s_waitcnt vmcnt(30) lgkmcnt(3)
	v_mul_f32_e32 v210, v202, v95
	ds_read2_b32 v[212:213], v175 offset0:33 offset1:34
	s_waitcnt vmcnt(28) lgkmcnt(3)
	v_pk_fma_f32 v[96:97], v[210:211], v[204:205], v[96:97] op_sel_hi:[0,1,1] neg_lo:[1,0,0] neg_hi:[1,0,0]
	s_waitcnt vmcnt(26) lgkmcnt(2)
	v_pk_fma_f32 v[98:99], v[210:211], v[206:207], v[98:99] op_sel_hi:[0,1,1] neg_lo:[1,0,0] neg_hi:[1,0,0]
	;; [unrolled: 2-line block ×3, first 2 shown]
	ds_read2_b32 v[204:205], v175 offset0:35 offset1:36
	ds_read2_b32 v[206:207], v175 offset0:37 offset1:38
	;; [unrolled: 1-line block ×3, first 2 shown]
	s_waitcnt vmcnt(22) lgkmcnt(3)
	v_pk_fma_f32 v[118:119], v[210:211], v[212:213], v[118:119] op_sel_hi:[0,1,1] neg_lo:[1,0,0] neg_hi:[1,0,0]
	ds_read2_b32 v[212:213], v175 offset0:41 offset1:42
	s_waitcnt vmcnt(20) lgkmcnt(3)
	v_pk_fma_f32 v[122:123], v[210:211], v[204:205], v[122:123] op_sel_hi:[0,1,1] neg_lo:[1,0,0] neg_hi:[1,0,0]
	s_waitcnt vmcnt(18) lgkmcnt(2)
	v_pk_fma_f32 v[116:117], v[210:211], v[206:207], v[116:117] op_sel_hi:[0,1,1] neg_lo:[1,0,0] neg_hi:[1,0,0]
	ds_read2_b32 v[204:205], v175 offset0:43 offset1:44
	ds_read2_b32 v[206:207], v175 offset0:45 offset1:46
	s_waitcnt vmcnt(16) lgkmcnt(3)
	v_pk_fma_f32 v[120:121], v[210:211], v[208:209], v[120:121] op_sel_hi:[0,1,1] neg_lo:[1,0,0] neg_hi:[1,0,0]
	s_waitcnt vmcnt(14) lgkmcnt(2)
	v_pk_fma_f32 v[146:147], v[210:211], v[212:213], v[146:147] op_sel_hi:[0,1,1] neg_lo:[1,0,0] neg_hi:[1,0,0]
	ds_read2_b32 v[208:209], v175 offset0:47 offset1:48
	;; [unrolled: 6-line block ×3, first 2 shown]
	ds_read2_b32 v[206:207], v175 offset0:53 offset1:54
	ds_read2_b32 v[214:215], v175 offset0:55 offset1:56
	s_waitcnt vmcnt(8) lgkmcnt(4)
	v_pk_fma_f32 v[144:145], v[210:211], v[208:209], v[144:145] op_sel_hi:[0,1,1] neg_lo:[1,0,0] neg_hi:[1,0,0]
	s_waitcnt vmcnt(6) lgkmcnt(3)
	v_pk_fma_f32 v[164:165], v[210:211], v[212:213], v[164:165] op_sel_hi:[0,1,1] neg_lo:[1,0,0] neg_hi:[1,0,0]
	s_waitcnt vmcnt(4) lgkmcnt(2)
	v_pk_fma_f32 v[166:167], v[210:211], v[204:205], v[166:167] op_sel_hi:[0,1,1] neg_lo:[1,0,0] neg_hi:[1,0,0]
	s_waitcnt vmcnt(2) lgkmcnt(1)
	v_pk_fma_f32 v[168:169], v[210:211], v[206:207], v[168:169] op_sel_hi:[0,1,1] neg_lo:[1,0,0] neg_hi:[1,0,0]
	s_waitcnt vmcnt(0) lgkmcnt(0)
	v_pk_fma_f32 v[170:171], v[210:211], v[214:215], v[170:171] op_sel_hi:[0,1,1] neg_lo:[1,0,0] neg_hi:[1,0,0]
	v_mov_b32_e32 v95, v210
.LBB113_149:
	s_or_b64 exec, exec, s[2:3]
	v_cmp_eq_u32_e32 vcc, 27, v25
	s_waitcnt lgkmcnt(0)
	s_barrier
	s_and_saveexec_b64 s[2:3], vcc
	s_cbranch_execz .LBB113_152
; %bb.150:
	s_waitcnt vmcnt(26)
	v_pk_mov_b32 v[204:205], v[96:97], v[98:99] op_sel:[1,0]
	ds_write_b32 v174, v96
	ds_write2_b32 v175, v204, v205 offset0:28 offset1:29
	s_waitcnt vmcnt(24)
	v_pk_mov_b32 v[204:205], v[98:99], v[92:93] op_sel:[1,0]
	ds_write2_b32 v175, v204, v205 offset0:30 offset1:31
	s_waitcnt vmcnt(22)
	v_pk_mov_b32 v[204:205], v[92:93], v[118:119] op_sel:[1,0]
	;; [unrolled: 3-line block ×13, first 2 shown]
	ds_write2_b32 v175, v204, v205 offset0:54 offset1:55
	ds_write_b32 v175, v171 offset:224
	ds_read_b32 v203, v174
	s_waitcnt lgkmcnt(0)
	v_cmp_neq_f32_e32 vcc, 0, v203
	s_and_b64 exec, exec, vcc
	s_cbranch_execz .LBB113_152
; %bb.151:
	v_div_scale_f32 v204, s[4:5], v203, v203, 1.0
	v_rcp_f32_e32 v205, v204
	v_div_scale_f32 v206, vcc, 1.0, v203, 1.0
	v_fma_f32 v207, -v204, v205, 1.0
	v_fmac_f32_e32 v205, v207, v205
	v_mul_f32_e32 v207, v206, v205
	v_fma_f32 v208, -v204, v207, v206
	v_fmac_f32_e32 v207, v208, v205
	v_fma_f32 v204, -v204, v207, v206
	v_div_fmas_f32 v204, v204, v205, v207
	v_div_fixup_f32 v203, v204, v203, 1.0
	ds_write_b32 v174, v203
.LBB113_152:
	s_or_b64 exec, exec, s[2:3]
	s_waitcnt lgkmcnt(0)
	s_barrier
	ds_read_b32 v203, v174
	v_cmp_lt_u32_e32 vcc, 27, v25
	s_and_saveexec_b64 s[2:3], vcc
	s_cbranch_execz .LBB113_154
; %bb.153:
	ds_read_b32 v210, v175 offset:112
	ds_read2_b32 v[204:205], v175 offset0:29 offset1:30
	ds_read2_b32 v[206:207], v175 offset0:31 offset1:32
	s_waitcnt vmcnt(29) lgkmcnt(3)
	v_mul_f32_e32 v96, v203, v96
	ds_read2_b32 v[208:209], v175 offset0:33 offset1:34
	s_waitcnt vmcnt(28) lgkmcnt(3)
	v_fma_f32 v97, -v96, v210, v97
	s_waitcnt vmcnt(26) lgkmcnt(2)
	v_pk_fma_f32 v[98:99], v[96:97], v[204:205], v[98:99] op_sel_hi:[0,1,1] neg_lo:[1,0,0] neg_hi:[1,0,0]
	s_waitcnt vmcnt(24) lgkmcnt(1)
	v_pk_fma_f32 v[92:93], v[96:97], v[206:207], v[92:93] op_sel_hi:[0,1,1] neg_lo:[1,0,0] neg_hi:[1,0,0]
	ds_read2_b32 v[204:205], v175 offset0:35 offset1:36
	ds_read2_b32 v[206:207], v175 offset0:37 offset1:38
	;; [unrolled: 1-line block ×3, first 2 shown]
	s_waitcnt vmcnt(22) lgkmcnt(3)
	v_pk_fma_f32 v[118:119], v[96:97], v[208:209], v[118:119] op_sel_hi:[0,1,1] neg_lo:[1,0,0] neg_hi:[1,0,0]
	ds_read2_b32 v[208:209], v175 offset0:41 offset1:42
	s_waitcnt vmcnt(20) lgkmcnt(3)
	v_pk_fma_f32 v[122:123], v[96:97], v[204:205], v[122:123] op_sel_hi:[0,1,1] neg_lo:[1,0,0] neg_hi:[1,0,0]
	s_waitcnt vmcnt(18) lgkmcnt(2)
	v_pk_fma_f32 v[116:117], v[96:97], v[206:207], v[116:117] op_sel_hi:[0,1,1] neg_lo:[1,0,0] neg_hi:[1,0,0]
	ds_read2_b32 v[204:205], v175 offset0:43 offset1:44
	ds_read2_b32 v[206:207], v175 offset0:45 offset1:46
	s_waitcnt vmcnt(16) lgkmcnt(3)
	v_pk_fma_f32 v[120:121], v[96:97], v[210:211], v[120:121] op_sel_hi:[0,1,1] neg_lo:[1,0,0] neg_hi:[1,0,0]
	s_waitcnt vmcnt(14) lgkmcnt(2)
	v_pk_fma_f32 v[146:147], v[96:97], v[208:209], v[146:147] op_sel_hi:[0,1,1] neg_lo:[1,0,0] neg_hi:[1,0,0]
	ds_read2_b32 v[208:209], v175 offset0:47 offset1:48
	;; [unrolled: 6-line block ×3, first 2 shown]
	ds_read2_b32 v[206:207], v175 offset0:53 offset1:54
	ds_read2_b32 v[212:213], v175 offset0:55 offset1:56
	s_waitcnt vmcnt(8) lgkmcnt(4)
	v_pk_fma_f32 v[144:145], v[96:97], v[208:209], v[144:145] op_sel_hi:[0,1,1] neg_lo:[1,0,0] neg_hi:[1,0,0]
	s_waitcnt vmcnt(6) lgkmcnt(3)
	v_pk_fma_f32 v[164:165], v[96:97], v[210:211], v[164:165] op_sel_hi:[0,1,1] neg_lo:[1,0,0] neg_hi:[1,0,0]
	;; [unrolled: 2-line block ×5, first 2 shown]
.LBB113_154:
	s_or_b64 exec, exec, s[2:3]
	v_cmp_ne_u32_e32 vcc, 28, v25
	s_waitcnt lgkmcnt(0)
	s_barrier
	s_and_saveexec_b64 s[2:3], vcc
	s_xor_b64 s[2:3], exec, s[2:3]
	s_andn2_saveexec_b64 s[2:3], s[2:3]
	s_cbranch_execz .LBB113_158
; %bb.155:
	s_waitcnt vmcnt(28)
	ds_write_b32 v174, v97
	s_waitcnt vmcnt(26)
	ds_write2_b32 v175, v98, v99 offset0:29 offset1:30
	s_waitcnt vmcnt(24)
	ds_write2_b32 v175, v92, v93 offset0:31 offset1:32
	;; [unrolled: 2-line block ×14, first 2 shown]
	ds_read_b32 v204, v174
	s_waitcnt lgkmcnt(0)
	v_cmp_neq_f32_e32 vcc, 0, v204
	s_and_saveexec_b64 s[4:5], vcc
	s_cbranch_execz .LBB113_157
; %bb.156:
	v_div_scale_f32 v205, s[10:11], v204, v204, 1.0
	v_rcp_f32_e32 v206, v205
	v_div_scale_f32 v207, vcc, 1.0, v204, 1.0
	v_fma_f32 v208, -v205, v206, 1.0
	v_fmac_f32_e32 v206, v208, v206
	v_mul_f32_e32 v208, v207, v206
	v_fma_f32 v209, -v205, v208, v207
	v_fmac_f32_e32 v208, v209, v206
	v_fma_f32 v205, -v205, v208, v207
	v_div_fmas_f32 v205, v205, v206, v208
	v_div_fixup_f32 v204, v205, v204, 1.0
	ds_write_b32 v174, v204
.LBB113_157:
	s_or_b64 exec, exec, s[4:5]
.LBB113_158:
	s_or_b64 exec, exec, s[2:3]
	s_waitcnt lgkmcnt(0)
	s_barrier
	ds_read_b32 v204, v174
	v_cmp_lt_u32_e32 vcc, 28, v25
	s_and_saveexec_b64 s[2:3], vcc
	s_cbranch_execz .LBB113_160
; %bb.159:
	ds_read2_b32 v[206:207], v175 offset0:29 offset1:30
	ds_read2_b32 v[208:209], v175 offset0:31 offset1:32
	;; [unrolled: 1-line block ×4, first 2 shown]
	s_waitcnt vmcnt(28) lgkmcnt(4)
	v_mul_f32_e32 v212, v204, v97
	s_waitcnt vmcnt(26) lgkmcnt(3)
	v_pk_fma_f32 v[98:99], v[212:213], v[206:207], v[98:99] op_sel_hi:[0,1,1] neg_lo:[1,0,0] neg_hi:[1,0,0]
	s_waitcnt vmcnt(24) lgkmcnt(2)
	v_pk_fma_f32 v[92:93], v[212:213], v[208:209], v[92:93] op_sel_hi:[0,1,1] neg_lo:[1,0,0] neg_hi:[1,0,0]
	;; [unrolled: 2-line block ×3, first 2 shown]
	ds_read2_b32 v[206:207], v175 offset0:37 offset1:38
	ds_read2_b32 v[208:209], v175 offset0:39 offset1:40
	ds_read2_b32 v[210:211], v175 offset0:41 offset1:42
	s_waitcnt vmcnt(20) lgkmcnt(3)
	v_pk_fma_f32 v[122:123], v[212:213], v[214:215], v[122:123] op_sel_hi:[0,1,1] neg_lo:[1,0,0] neg_hi:[1,0,0]
	ds_read2_b32 v[214:215], v175 offset0:43 offset1:44
	s_waitcnt vmcnt(18) lgkmcnt(3)
	v_pk_fma_f32 v[116:117], v[212:213], v[206:207], v[116:117] op_sel_hi:[0,1,1] neg_lo:[1,0,0] neg_hi:[1,0,0]
	ds_read2_b32 v[206:207], v175 offset0:45 offset1:46
	s_waitcnt vmcnt(16) lgkmcnt(3)
	v_pk_fma_f32 v[120:121], v[212:213], v[208:209], v[120:121] op_sel_hi:[0,1,1] neg_lo:[1,0,0] neg_hi:[1,0,0]
	s_waitcnt vmcnt(14) lgkmcnt(2)
	v_pk_fma_f32 v[146:147], v[212:213], v[210:211], v[146:147] op_sel_hi:[0,1,1] neg_lo:[1,0,0] neg_hi:[1,0,0]
	;; [unrolled: 2-line block ×3, first 2 shown]
	ds_read2_b32 v[208:209], v175 offset0:47 offset1:48
	ds_read2_b32 v[210:211], v175 offset0:49 offset1:50
	;; [unrolled: 1-line block ×3, first 2 shown]
	s_waitcnt vmcnt(10) lgkmcnt(3)
	v_pk_fma_f32 v[142:143], v[212:213], v[206:207], v[142:143] op_sel_hi:[0,1,1] neg_lo:[1,0,0] neg_hi:[1,0,0]
	ds_read2_b32 v[206:207], v175 offset0:53 offset1:54
	ds_read2_b32 v[216:217], v175 offset0:55 offset1:56
	s_waitcnt vmcnt(8) lgkmcnt(4)
	v_pk_fma_f32 v[144:145], v[212:213], v[208:209], v[144:145] op_sel_hi:[0,1,1] neg_lo:[1,0,0] neg_hi:[1,0,0]
	s_waitcnt vmcnt(6) lgkmcnt(3)
	v_pk_fma_f32 v[164:165], v[212:213], v[210:211], v[164:165] op_sel_hi:[0,1,1] neg_lo:[1,0,0] neg_hi:[1,0,0]
	s_waitcnt vmcnt(4) lgkmcnt(2)
	v_pk_fma_f32 v[166:167], v[212:213], v[214:215], v[166:167] op_sel_hi:[0,1,1] neg_lo:[1,0,0] neg_hi:[1,0,0]
	s_waitcnt vmcnt(2) lgkmcnt(1)
	v_pk_fma_f32 v[168:169], v[212:213], v[206:207], v[168:169] op_sel_hi:[0,1,1] neg_lo:[1,0,0] neg_hi:[1,0,0]
	s_waitcnt vmcnt(0) lgkmcnt(0)
	v_pk_fma_f32 v[170:171], v[212:213], v[216:217], v[170:171] op_sel_hi:[0,1,1] neg_lo:[1,0,0] neg_hi:[1,0,0]
	v_mov_b32_e32 v97, v212
.LBB113_160:
	s_or_b64 exec, exec, s[2:3]
	v_cmp_eq_u32_e32 vcc, 29, v25
	s_waitcnt lgkmcnt(0)
	s_barrier
	s_and_saveexec_b64 s[2:3], vcc
	s_cbranch_execz .LBB113_163
; %bb.161:
	s_waitcnt vmcnt(24)
	v_pk_mov_b32 v[206:207], v[98:99], v[92:93] op_sel:[1,0]
	ds_write_b32 v174, v98
	ds_write2_b32 v175, v206, v207 offset0:30 offset1:31
	s_waitcnt vmcnt(22)
	v_pk_mov_b32 v[206:207], v[92:93], v[118:119] op_sel:[1,0]
	ds_write2_b32 v175, v206, v207 offset0:32 offset1:33
	s_waitcnt vmcnt(20)
	v_pk_mov_b32 v[206:207], v[118:119], v[122:123] op_sel:[1,0]
	;; [unrolled: 3-line block ×12, first 2 shown]
	ds_write2_b32 v175, v206, v207 offset0:54 offset1:55
	ds_write_b32 v175, v171 offset:224
	ds_read_b32 v205, v174
	s_waitcnt lgkmcnt(0)
	v_cmp_neq_f32_e32 vcc, 0, v205
	s_and_b64 exec, exec, vcc
	s_cbranch_execz .LBB113_163
; %bb.162:
	v_div_scale_f32 v206, s[4:5], v205, v205, 1.0
	v_rcp_f32_e32 v207, v206
	v_div_scale_f32 v208, vcc, 1.0, v205, 1.0
	v_fma_f32 v209, -v206, v207, 1.0
	v_fmac_f32_e32 v207, v209, v207
	v_mul_f32_e32 v209, v208, v207
	v_fma_f32 v210, -v206, v209, v208
	v_fmac_f32_e32 v209, v210, v207
	v_fma_f32 v206, -v206, v209, v208
	v_div_fmas_f32 v206, v206, v207, v209
	v_div_fixup_f32 v205, v206, v205, 1.0
	ds_write_b32 v174, v205
.LBB113_163:
	s_or_b64 exec, exec, s[2:3]
	s_waitcnt lgkmcnt(0)
	s_barrier
	ds_read_b32 v205, v174
	v_cmp_lt_u32_e32 vcc, 29, v25
	s_and_saveexec_b64 s[2:3], vcc
	s_cbranch_execz .LBB113_165
; %bb.164:
	ds_read_b32 v212, v175 offset:120
	ds_read2_b32 v[206:207], v175 offset0:31 offset1:32
	ds_read2_b32 v[208:209], v175 offset0:33 offset1:34
	s_waitcnt vmcnt(27) lgkmcnt(3)
	v_mul_f32_e32 v98, v205, v98
	ds_read2_b32 v[210:211], v175 offset0:35 offset1:36
	s_waitcnt vmcnt(26) lgkmcnt(3)
	v_fma_f32 v99, -v98, v212, v99
	s_waitcnt vmcnt(24) lgkmcnt(2)
	v_pk_fma_f32 v[92:93], v[98:99], v[206:207], v[92:93] op_sel_hi:[0,1,1] neg_lo:[1,0,0] neg_hi:[1,0,0]
	s_waitcnt vmcnt(22) lgkmcnt(1)
	v_pk_fma_f32 v[118:119], v[98:99], v[208:209], v[118:119] op_sel_hi:[0,1,1] neg_lo:[1,0,0] neg_hi:[1,0,0]
	ds_read2_b32 v[206:207], v175 offset0:37 offset1:38
	ds_read2_b32 v[208:209], v175 offset0:39 offset1:40
	;; [unrolled: 1-line block ×3, first 2 shown]
	s_waitcnt vmcnt(20) lgkmcnt(3)
	v_pk_fma_f32 v[122:123], v[98:99], v[210:211], v[122:123] op_sel_hi:[0,1,1] neg_lo:[1,0,0] neg_hi:[1,0,0]
	ds_read2_b32 v[210:211], v175 offset0:43 offset1:44
	s_waitcnt vmcnt(18) lgkmcnt(3)
	v_pk_fma_f32 v[116:117], v[98:99], v[206:207], v[116:117] op_sel_hi:[0,1,1] neg_lo:[1,0,0] neg_hi:[1,0,0]
	ds_read2_b32 v[206:207], v175 offset0:45 offset1:46
	s_waitcnt vmcnt(16) lgkmcnt(3)
	v_pk_fma_f32 v[120:121], v[98:99], v[208:209], v[120:121] op_sel_hi:[0,1,1] neg_lo:[1,0,0] neg_hi:[1,0,0]
	s_waitcnt vmcnt(14) lgkmcnt(2)
	v_pk_fma_f32 v[146:147], v[98:99], v[212:213], v[146:147] op_sel_hi:[0,1,1] neg_lo:[1,0,0] neg_hi:[1,0,0]
	;; [unrolled: 2-line block ×3, first 2 shown]
	ds_read2_b32 v[208:209], v175 offset0:47 offset1:48
	ds_read2_b32 v[210:211], v175 offset0:49 offset1:50
	;; [unrolled: 1-line block ×3, first 2 shown]
	s_waitcnt vmcnt(10) lgkmcnt(3)
	v_pk_fma_f32 v[142:143], v[98:99], v[206:207], v[142:143] op_sel_hi:[0,1,1] neg_lo:[1,0,0] neg_hi:[1,0,0]
	ds_read2_b32 v[206:207], v175 offset0:53 offset1:54
	ds_read2_b32 v[214:215], v175 offset0:55 offset1:56
	s_waitcnt vmcnt(8) lgkmcnt(4)
	v_pk_fma_f32 v[144:145], v[98:99], v[208:209], v[144:145] op_sel_hi:[0,1,1] neg_lo:[1,0,0] neg_hi:[1,0,0]
	s_waitcnt vmcnt(6) lgkmcnt(3)
	v_pk_fma_f32 v[164:165], v[98:99], v[210:211], v[164:165] op_sel_hi:[0,1,1] neg_lo:[1,0,0] neg_hi:[1,0,0]
	;; [unrolled: 2-line block ×5, first 2 shown]
.LBB113_165:
	s_or_b64 exec, exec, s[2:3]
	v_cmp_ne_u32_e32 vcc, 30, v25
	s_waitcnt lgkmcnt(0)
	s_barrier
	s_and_saveexec_b64 s[2:3], vcc
	s_xor_b64 s[2:3], exec, s[2:3]
	s_andn2_saveexec_b64 s[2:3], s[2:3]
	s_cbranch_execz .LBB113_169
; %bb.166:
	s_waitcnt vmcnt(26)
	ds_write_b32 v174, v99
	s_waitcnt vmcnt(24)
	ds_write2_b32 v175, v92, v93 offset0:31 offset1:32
	s_waitcnt vmcnt(22)
	ds_write2_b32 v175, v118, v119 offset0:33 offset1:34
	;; [unrolled: 2-line block ×13, first 2 shown]
	ds_read_b32 v206, v174
	s_waitcnt lgkmcnt(0)
	v_cmp_neq_f32_e32 vcc, 0, v206
	s_and_saveexec_b64 s[4:5], vcc
	s_cbranch_execz .LBB113_168
; %bb.167:
	v_div_scale_f32 v207, s[10:11], v206, v206, 1.0
	v_rcp_f32_e32 v208, v207
	v_div_scale_f32 v209, vcc, 1.0, v206, 1.0
	v_fma_f32 v210, -v207, v208, 1.0
	v_fmac_f32_e32 v208, v210, v208
	v_mul_f32_e32 v210, v209, v208
	v_fma_f32 v211, -v207, v210, v209
	v_fmac_f32_e32 v210, v211, v208
	v_fma_f32 v207, -v207, v210, v209
	v_div_fmas_f32 v207, v207, v208, v210
	v_div_fixup_f32 v206, v207, v206, 1.0
	ds_write_b32 v174, v206
.LBB113_168:
	s_or_b64 exec, exec, s[4:5]
.LBB113_169:
	s_or_b64 exec, exec, s[2:3]
	s_waitcnt lgkmcnt(0)
	s_barrier
	ds_read_b32 v206, v174
	v_cmp_lt_u32_e32 vcc, 30, v25
	s_and_saveexec_b64 s[2:3], vcc
	s_cbranch_execz .LBB113_171
; %bb.170:
	ds_read2_b32 v[208:209], v175 offset0:31 offset1:32
	ds_read2_b32 v[210:211], v175 offset0:33 offset1:34
	;; [unrolled: 1-line block ×3, first 2 shown]
	s_waitcnt vmcnt(26) lgkmcnt(3)
	v_mul_f32_e32 v214, v206, v99
	ds_read2_b32 v[216:217], v175 offset0:37 offset1:38
	s_waitcnt vmcnt(24) lgkmcnt(3)
	v_pk_fma_f32 v[92:93], v[214:215], v[208:209], v[92:93] op_sel_hi:[0,1,1] neg_lo:[1,0,0] neg_hi:[1,0,0]
	s_waitcnt vmcnt(22) lgkmcnt(2)
	v_pk_fma_f32 v[118:119], v[214:215], v[210:211], v[118:119] op_sel_hi:[0,1,1] neg_lo:[1,0,0] neg_hi:[1,0,0]
	;; [unrolled: 2-line block ×3, first 2 shown]
	ds_read2_b32 v[208:209], v175 offset0:39 offset1:40
	ds_read2_b32 v[210:211], v175 offset0:41 offset1:42
	;; [unrolled: 1-line block ×4, first 2 shown]
	s_waitcnt vmcnt(18) lgkmcnt(4)
	v_pk_fma_f32 v[116:117], v[214:215], v[216:217], v[116:117] op_sel_hi:[0,1,1] neg_lo:[1,0,0] neg_hi:[1,0,0]
	s_waitcnt vmcnt(16) lgkmcnt(3)
	v_pk_fma_f32 v[120:121], v[214:215], v[208:209], v[120:121] op_sel_hi:[0,1,1] neg_lo:[1,0,0] neg_hi:[1,0,0]
	s_waitcnt vmcnt(14) lgkmcnt(2)
	v_pk_fma_f32 v[146:147], v[214:215], v[210:211], v[146:147] op_sel_hi:[0,1,1] neg_lo:[1,0,0] neg_hi:[1,0,0]
	s_waitcnt vmcnt(12) lgkmcnt(1)
	v_pk_fma_f32 v[140:141], v[214:215], v[212:213], v[140:141] op_sel_hi:[0,1,1] neg_lo:[1,0,0] neg_hi:[1,0,0]
	s_waitcnt vmcnt(10) lgkmcnt(0)
	v_pk_fma_f32 v[142:143], v[214:215], v[218:219], v[142:143] op_sel_hi:[0,1,1] neg_lo:[1,0,0] neg_hi:[1,0,0]
	ds_read2_b32 v[208:209], v175 offset0:47 offset1:48
	ds_read2_b32 v[210:211], v175 offset0:49 offset1:50
	;; [unrolled: 1-line block ×5, first 2 shown]
	s_waitcnt vmcnt(8) lgkmcnt(4)
	v_pk_fma_f32 v[144:145], v[214:215], v[208:209], v[144:145] op_sel_hi:[0,1,1] neg_lo:[1,0,0] neg_hi:[1,0,0]
	s_waitcnt vmcnt(6) lgkmcnt(3)
	v_pk_fma_f32 v[164:165], v[214:215], v[210:211], v[164:165] op_sel_hi:[0,1,1] neg_lo:[1,0,0] neg_hi:[1,0,0]
	;; [unrolled: 2-line block ×5, first 2 shown]
	v_mov_b32_e32 v99, v214
.LBB113_171:
	s_or_b64 exec, exec, s[2:3]
	v_cmp_eq_u32_e32 vcc, 31, v25
	s_waitcnt lgkmcnt(0)
	s_barrier
	s_and_saveexec_b64 s[2:3], vcc
	s_cbranch_execz .LBB113_174
; %bb.172:
	s_waitcnt vmcnt(22)
	v_pk_mov_b32 v[208:209], v[92:93], v[118:119] op_sel:[1,0]
	ds_write_b32 v174, v92
	ds_write2_b32 v175, v208, v209 offset0:32 offset1:33
	s_waitcnt vmcnt(20)
	v_pk_mov_b32 v[208:209], v[118:119], v[122:123] op_sel:[1,0]
	ds_write2_b32 v175, v208, v209 offset0:34 offset1:35
	s_waitcnt vmcnt(18)
	v_pk_mov_b32 v[208:209], v[122:123], v[116:117] op_sel:[1,0]
	ds_write2_b32 v175, v208, v209 offset0:36 offset1:37
	s_waitcnt vmcnt(16)
	v_pk_mov_b32 v[208:209], v[116:117], v[120:121] op_sel:[1,0]
	ds_write2_b32 v175, v208, v209 offset0:38 offset1:39
	s_waitcnt vmcnt(14)
	v_pk_mov_b32 v[208:209], v[120:121], v[146:147] op_sel:[1,0]
	ds_write2_b32 v175, v208, v209 offset0:40 offset1:41
	s_waitcnt vmcnt(12)
	v_pk_mov_b32 v[208:209], v[146:147], v[140:141] op_sel:[1,0]
	ds_write2_b32 v175, v208, v209 offset0:42 offset1:43
	s_waitcnt vmcnt(10)
	v_pk_mov_b32 v[208:209], v[140:141], v[142:143] op_sel:[1,0]
	ds_write2_b32 v175, v208, v209 offset0:44 offset1:45
	s_waitcnt vmcnt(8)
	v_pk_mov_b32 v[208:209], v[142:143], v[144:145] op_sel:[1,0]
	ds_write2_b32 v175, v208, v209 offset0:46 offset1:47
	s_waitcnt vmcnt(6)
	v_pk_mov_b32 v[208:209], v[144:145], v[164:165] op_sel:[1,0]
	ds_write2_b32 v175, v208, v209 offset0:48 offset1:49
	s_waitcnt vmcnt(4)
	v_pk_mov_b32 v[208:209], v[164:165], v[166:167] op_sel:[1,0]
	ds_write2_b32 v175, v208, v209 offset0:50 offset1:51
	s_waitcnt vmcnt(2)
	v_pk_mov_b32 v[208:209], v[166:167], v[168:169] op_sel:[1,0]
	ds_write2_b32 v175, v208, v209 offset0:52 offset1:53
	s_waitcnt vmcnt(0)
	v_pk_mov_b32 v[208:209], v[168:169], v[170:171] op_sel:[1,0]
	ds_write2_b32 v175, v208, v209 offset0:54 offset1:55
	ds_write_b32 v175, v171 offset:224
	ds_read_b32 v207, v174
	s_waitcnt lgkmcnt(0)
	v_cmp_neq_f32_e32 vcc, 0, v207
	s_and_b64 exec, exec, vcc
	s_cbranch_execz .LBB113_174
; %bb.173:
	v_div_scale_f32 v208, s[4:5], v207, v207, 1.0
	v_rcp_f32_e32 v209, v208
	v_div_scale_f32 v210, vcc, 1.0, v207, 1.0
	v_fma_f32 v211, -v208, v209, 1.0
	v_fmac_f32_e32 v209, v211, v209
	v_mul_f32_e32 v211, v210, v209
	v_fma_f32 v212, -v208, v211, v210
	v_fmac_f32_e32 v211, v212, v209
	v_fma_f32 v208, -v208, v211, v210
	v_div_fmas_f32 v208, v208, v209, v211
	v_div_fixup_f32 v207, v208, v207, 1.0
	ds_write_b32 v174, v207
.LBB113_174:
	s_or_b64 exec, exec, s[2:3]
	s_waitcnt lgkmcnt(0)
	s_barrier
	ds_read_b32 v207, v174
	v_cmp_lt_u32_e32 vcc, 31, v25
	s_and_saveexec_b64 s[2:3], vcc
	s_cbranch_execz .LBB113_176
; %bb.175:
	ds_read_b32 v214, v175 offset:128
	ds_read2_b32 v[208:209], v175 offset0:33 offset1:34
	ds_read2_b32 v[210:211], v175 offset0:35 offset1:36
	s_waitcnt vmcnt(25) lgkmcnt(3)
	v_mul_f32_e32 v92, v207, v92
	ds_read2_b32 v[212:213], v175 offset0:37 offset1:38
	s_waitcnt vmcnt(24) lgkmcnt(3)
	v_fma_f32 v93, -v92, v214, v93
	s_waitcnt vmcnt(22) lgkmcnt(2)
	v_pk_fma_f32 v[118:119], v[92:93], v[208:209], v[118:119] op_sel_hi:[0,1,1] neg_lo:[1,0,0] neg_hi:[1,0,0]
	s_waitcnt vmcnt(20) lgkmcnt(1)
	v_pk_fma_f32 v[122:123], v[92:93], v[210:211], v[122:123] op_sel_hi:[0,1,1] neg_lo:[1,0,0] neg_hi:[1,0,0]
	ds_read2_b32 v[208:209], v175 offset0:39 offset1:40
	ds_read2_b32 v[210:211], v175 offset0:41 offset1:42
	;; [unrolled: 1-line block ×4, first 2 shown]
	s_waitcnt vmcnt(18) lgkmcnt(4)
	v_pk_fma_f32 v[116:117], v[92:93], v[212:213], v[116:117] op_sel_hi:[0,1,1] neg_lo:[1,0,0] neg_hi:[1,0,0]
	s_waitcnt vmcnt(16) lgkmcnt(3)
	v_pk_fma_f32 v[120:121], v[92:93], v[208:209], v[120:121] op_sel_hi:[0,1,1] neg_lo:[1,0,0] neg_hi:[1,0,0]
	;; [unrolled: 2-line block ×5, first 2 shown]
	ds_read2_b32 v[208:209], v175 offset0:47 offset1:48
	ds_read2_b32 v[210:211], v175 offset0:49 offset1:50
	;; [unrolled: 1-line block ×5, first 2 shown]
	s_waitcnt vmcnt(8) lgkmcnt(4)
	v_pk_fma_f32 v[144:145], v[92:93], v[208:209], v[144:145] op_sel_hi:[0,1,1] neg_lo:[1,0,0] neg_hi:[1,0,0]
	s_waitcnt vmcnt(6) lgkmcnt(3)
	v_pk_fma_f32 v[164:165], v[92:93], v[210:211], v[164:165] op_sel_hi:[0,1,1] neg_lo:[1,0,0] neg_hi:[1,0,0]
	;; [unrolled: 2-line block ×5, first 2 shown]
.LBB113_176:
	s_or_b64 exec, exec, s[2:3]
	v_cmp_ne_u32_e32 vcc, 32, v25
	s_waitcnt lgkmcnt(0)
	s_barrier
	s_and_saveexec_b64 s[2:3], vcc
	s_xor_b64 s[2:3], exec, s[2:3]
	s_andn2_saveexec_b64 s[2:3], s[2:3]
	s_cbranch_execz .LBB113_180
; %bb.177:
	s_waitcnt vmcnt(24)
	ds_write_b32 v174, v93
	s_waitcnt vmcnt(22)
	ds_write2_b32 v175, v118, v119 offset0:33 offset1:34
	s_waitcnt vmcnt(20)
	ds_write2_b32 v175, v122, v123 offset0:35 offset1:36
	;; [unrolled: 2-line block ×12, first 2 shown]
	ds_read_b32 v208, v174
	s_waitcnt lgkmcnt(0)
	v_cmp_neq_f32_e32 vcc, 0, v208
	s_and_saveexec_b64 s[4:5], vcc
	s_cbranch_execz .LBB113_179
; %bb.178:
	v_div_scale_f32 v209, s[10:11], v208, v208, 1.0
	v_rcp_f32_e32 v210, v209
	v_div_scale_f32 v211, vcc, 1.0, v208, 1.0
	v_fma_f32 v212, -v209, v210, 1.0
	v_fmac_f32_e32 v210, v212, v210
	v_mul_f32_e32 v212, v211, v210
	v_fma_f32 v213, -v209, v212, v211
	v_fmac_f32_e32 v212, v213, v210
	v_fma_f32 v209, -v209, v212, v211
	v_div_fmas_f32 v209, v209, v210, v212
	v_div_fixup_f32 v208, v209, v208, 1.0
	ds_write_b32 v174, v208
.LBB113_179:
	s_or_b64 exec, exec, s[4:5]
.LBB113_180:
	s_or_b64 exec, exec, s[2:3]
	s_waitcnt lgkmcnt(0)
	s_barrier
	ds_read_b32 v208, v174
	v_cmp_lt_u32_e32 vcc, 32, v25
	s_and_saveexec_b64 s[2:3], vcc
	s_cbranch_execz .LBB113_182
; %bb.181:
	ds_read2_b32 v[210:211], v175 offset0:33 offset1:34
	ds_read2_b32 v[212:213], v175 offset0:35 offset1:36
	ds_read2_b32 v[214:215], v175 offset0:37 offset1:38
	s_waitcnt vmcnt(24) lgkmcnt(3)
	v_mul_f32_e32 v216, v208, v93
	ds_read2_b32 v[218:219], v175 offset0:39 offset1:40
	s_waitcnt vmcnt(22) lgkmcnt(3)
	v_pk_fma_f32 v[118:119], v[216:217], v[210:211], v[118:119] op_sel_hi:[0,1,1] neg_lo:[1,0,0] neg_hi:[1,0,0]
	s_waitcnt vmcnt(20) lgkmcnt(2)
	v_pk_fma_f32 v[122:123], v[216:217], v[212:213], v[122:123] op_sel_hi:[0,1,1] neg_lo:[1,0,0] neg_hi:[1,0,0]
	;; [unrolled: 2-line block ×3, first 2 shown]
	ds_read2_b32 v[210:211], v175 offset0:41 offset1:42
	ds_read2_b32 v[212:213], v175 offset0:43 offset1:44
	;; [unrolled: 1-line block ×3, first 2 shown]
	s_waitcnt vmcnt(16) lgkmcnt(3)
	v_pk_fma_f32 v[120:121], v[216:217], v[218:219], v[120:121] op_sel_hi:[0,1,1] neg_lo:[1,0,0] neg_hi:[1,0,0]
	ds_read2_b32 v[218:219], v175 offset0:47 offset1:48
	s_waitcnt vmcnt(14) lgkmcnt(3)
	v_pk_fma_f32 v[146:147], v[216:217], v[210:211], v[146:147] op_sel_hi:[0,1,1] neg_lo:[1,0,0] neg_hi:[1,0,0]
	s_waitcnt vmcnt(12) lgkmcnt(2)
	v_pk_fma_f32 v[140:141], v[216:217], v[212:213], v[140:141] op_sel_hi:[0,1,1] neg_lo:[1,0,0] neg_hi:[1,0,0]
	;; [unrolled: 2-line block ×3, first 2 shown]
	ds_read2_b32 v[210:211], v175 offset0:49 offset1:50
	ds_read2_b32 v[212:213], v175 offset0:51 offset1:52
	;; [unrolled: 1-line block ×4, first 2 shown]
	s_waitcnt vmcnt(8) lgkmcnt(4)
	v_pk_fma_f32 v[144:145], v[216:217], v[218:219], v[144:145] op_sel_hi:[0,1,1] neg_lo:[1,0,0] neg_hi:[1,0,0]
	s_waitcnt vmcnt(6) lgkmcnt(3)
	v_pk_fma_f32 v[164:165], v[216:217], v[210:211], v[164:165] op_sel_hi:[0,1,1] neg_lo:[1,0,0] neg_hi:[1,0,0]
	;; [unrolled: 2-line block ×5, first 2 shown]
	v_mov_b32_e32 v93, v216
.LBB113_182:
	s_or_b64 exec, exec, s[2:3]
	v_cmp_eq_u32_e32 vcc, 33, v25
	s_waitcnt lgkmcnt(0)
	s_barrier
	s_and_saveexec_b64 s[2:3], vcc
	s_cbranch_execz .LBB113_185
; %bb.183:
	s_waitcnt vmcnt(20)
	v_pk_mov_b32 v[210:211], v[118:119], v[122:123] op_sel:[1,0]
	ds_write_b32 v174, v118
	ds_write2_b32 v175, v210, v211 offset0:34 offset1:35
	s_waitcnt vmcnt(18)
	v_pk_mov_b32 v[210:211], v[122:123], v[116:117] op_sel:[1,0]
	ds_write2_b32 v175, v210, v211 offset0:36 offset1:37
	s_waitcnt vmcnt(16)
	v_pk_mov_b32 v[210:211], v[116:117], v[120:121] op_sel:[1,0]
	;; [unrolled: 3-line block ×10, first 2 shown]
	ds_write2_b32 v175, v210, v211 offset0:54 offset1:55
	ds_write_b32 v175, v171 offset:224
	ds_read_b32 v209, v174
	s_waitcnt lgkmcnt(0)
	v_cmp_neq_f32_e32 vcc, 0, v209
	s_and_b64 exec, exec, vcc
	s_cbranch_execz .LBB113_185
; %bb.184:
	v_div_scale_f32 v210, s[4:5], v209, v209, 1.0
	v_rcp_f32_e32 v211, v210
	v_div_scale_f32 v212, vcc, 1.0, v209, 1.0
	v_fma_f32 v213, -v210, v211, 1.0
	v_fmac_f32_e32 v211, v213, v211
	v_mul_f32_e32 v213, v212, v211
	v_fma_f32 v214, -v210, v213, v212
	v_fmac_f32_e32 v213, v214, v211
	v_fma_f32 v210, -v210, v213, v212
	v_div_fmas_f32 v210, v210, v211, v213
	v_div_fixup_f32 v209, v210, v209, 1.0
	ds_write_b32 v174, v209
.LBB113_185:
	s_or_b64 exec, exec, s[2:3]
	s_waitcnt lgkmcnt(0)
	s_barrier
	ds_read_b32 v209, v174
	v_cmp_lt_u32_e32 vcc, 33, v25
	s_and_saveexec_b64 s[2:3], vcc
	s_cbranch_execz .LBB113_187
; %bb.186:
	ds_read_b32 v216, v175 offset:136
	ds_read2_b32 v[210:211], v175 offset0:35 offset1:36
	ds_read2_b32 v[212:213], v175 offset0:37 offset1:38
	s_waitcnt vmcnt(23) lgkmcnt(3)
	v_mul_f32_e32 v118, v209, v118
	ds_read2_b32 v[214:215], v175 offset0:39 offset1:40
	s_waitcnt vmcnt(22) lgkmcnt(3)
	v_fma_f32 v119, -v118, v216, v119
	s_waitcnt vmcnt(20) lgkmcnt(2)
	v_pk_fma_f32 v[122:123], v[118:119], v[210:211], v[122:123] op_sel_hi:[0,1,1] neg_lo:[1,0,0] neg_hi:[1,0,0]
	s_waitcnt vmcnt(18) lgkmcnt(1)
	v_pk_fma_f32 v[116:117], v[118:119], v[212:213], v[116:117] op_sel_hi:[0,1,1] neg_lo:[1,0,0] neg_hi:[1,0,0]
	ds_read2_b32 v[210:211], v175 offset0:41 offset1:42
	ds_read2_b32 v[212:213], v175 offset0:43 offset1:44
	ds_read2_b32 v[216:217], v175 offset0:45 offset1:46
	s_waitcnt vmcnt(16) lgkmcnt(3)
	v_pk_fma_f32 v[120:121], v[118:119], v[214:215], v[120:121] op_sel_hi:[0,1,1] neg_lo:[1,0,0] neg_hi:[1,0,0]
	ds_read2_b32 v[214:215], v175 offset0:47 offset1:48
	s_waitcnt vmcnt(14) lgkmcnt(3)
	v_pk_fma_f32 v[146:147], v[118:119], v[210:211], v[146:147] op_sel_hi:[0,1,1] neg_lo:[1,0,0] neg_hi:[1,0,0]
	s_waitcnt vmcnt(12) lgkmcnt(2)
	v_pk_fma_f32 v[140:141], v[118:119], v[212:213], v[140:141] op_sel_hi:[0,1,1] neg_lo:[1,0,0] neg_hi:[1,0,0]
	;; [unrolled: 2-line block ×3, first 2 shown]
	ds_read2_b32 v[210:211], v175 offset0:49 offset1:50
	ds_read2_b32 v[212:213], v175 offset0:51 offset1:52
	;; [unrolled: 1-line block ×4, first 2 shown]
	s_waitcnt vmcnt(8) lgkmcnt(4)
	v_pk_fma_f32 v[144:145], v[118:119], v[214:215], v[144:145] op_sel_hi:[0,1,1] neg_lo:[1,0,0] neg_hi:[1,0,0]
	s_waitcnt vmcnt(6) lgkmcnt(3)
	v_pk_fma_f32 v[164:165], v[118:119], v[210:211], v[164:165] op_sel_hi:[0,1,1] neg_lo:[1,0,0] neg_hi:[1,0,0]
	;; [unrolled: 2-line block ×5, first 2 shown]
.LBB113_187:
	s_or_b64 exec, exec, s[2:3]
	v_cmp_ne_u32_e32 vcc, 34, v25
	s_waitcnt lgkmcnt(0)
	s_barrier
	s_and_saveexec_b64 s[2:3], vcc
	s_xor_b64 s[2:3], exec, s[2:3]
	s_andn2_saveexec_b64 s[2:3], s[2:3]
	s_cbranch_execz .LBB113_191
; %bb.188:
	s_waitcnt vmcnt(22)
	ds_write_b32 v174, v119
	s_waitcnt vmcnt(20)
	ds_write2_b32 v175, v122, v123 offset0:35 offset1:36
	s_waitcnt vmcnt(18)
	ds_write2_b32 v175, v116, v117 offset0:37 offset1:38
	;; [unrolled: 2-line block ×11, first 2 shown]
	ds_read_b32 v210, v174
	s_waitcnt lgkmcnt(0)
	v_cmp_neq_f32_e32 vcc, 0, v210
	s_and_saveexec_b64 s[4:5], vcc
	s_cbranch_execz .LBB113_190
; %bb.189:
	v_div_scale_f32 v211, s[10:11], v210, v210, 1.0
	v_rcp_f32_e32 v212, v211
	v_div_scale_f32 v213, vcc, 1.0, v210, 1.0
	v_fma_f32 v214, -v211, v212, 1.0
	v_fmac_f32_e32 v212, v214, v212
	v_mul_f32_e32 v214, v213, v212
	v_fma_f32 v215, -v211, v214, v213
	v_fmac_f32_e32 v214, v215, v212
	v_fma_f32 v211, -v211, v214, v213
	v_div_fmas_f32 v211, v211, v212, v214
	v_div_fixup_f32 v210, v211, v210, 1.0
	ds_write_b32 v174, v210
.LBB113_190:
	s_or_b64 exec, exec, s[4:5]
.LBB113_191:
	s_or_b64 exec, exec, s[2:3]
	s_waitcnt lgkmcnt(0)
	s_barrier
	ds_read_b32 v210, v174
	v_cmp_lt_u32_e32 vcc, 34, v25
	s_and_saveexec_b64 s[2:3], vcc
	s_cbranch_execz .LBB113_193
; %bb.192:
	ds_read2_b32 v[212:213], v175 offset0:35 offset1:36
	ds_read2_b32 v[214:215], v175 offset0:37 offset1:38
	;; [unrolled: 1-line block ×3, first 2 shown]
	s_waitcnt vmcnt(22) lgkmcnt(3)
	v_mul_f32_e32 v218, v210, v119
	ds_read2_b32 v[220:221], v175 offset0:41 offset1:42
	s_waitcnt vmcnt(20) lgkmcnt(3)
	v_pk_fma_f32 v[122:123], v[218:219], v[212:213], v[122:123] op_sel_hi:[0,1,1] neg_lo:[1,0,0] neg_hi:[1,0,0]
	s_waitcnt vmcnt(18) lgkmcnt(2)
	v_pk_fma_f32 v[116:117], v[218:219], v[214:215], v[116:117] op_sel_hi:[0,1,1] neg_lo:[1,0,0] neg_hi:[1,0,0]
	ds_read2_b32 v[212:213], v175 offset0:43 offset1:44
	ds_read2_b32 v[214:215], v175 offset0:45 offset1:46
	s_waitcnt vmcnt(16) lgkmcnt(3)
	v_pk_fma_f32 v[120:121], v[218:219], v[216:217], v[120:121] op_sel_hi:[0,1,1] neg_lo:[1,0,0] neg_hi:[1,0,0]
	s_waitcnt vmcnt(14) lgkmcnt(2)
	v_pk_fma_f32 v[146:147], v[218:219], v[220:221], v[146:147] op_sel_hi:[0,1,1] neg_lo:[1,0,0] neg_hi:[1,0,0]
	ds_read2_b32 v[216:217], v175 offset0:47 offset1:48
	ds_read2_b32 v[220:221], v175 offset0:49 offset1:50
	s_waitcnt vmcnt(12) lgkmcnt(3)
	v_pk_fma_f32 v[140:141], v[218:219], v[212:213], v[140:141] op_sel_hi:[0,1,1] neg_lo:[1,0,0] neg_hi:[1,0,0]
	s_waitcnt vmcnt(10) lgkmcnt(2)
	v_pk_fma_f32 v[142:143], v[218:219], v[214:215], v[142:143] op_sel_hi:[0,1,1] neg_lo:[1,0,0] neg_hi:[1,0,0]
	ds_read2_b32 v[212:213], v175 offset0:51 offset1:52
	ds_read2_b32 v[214:215], v175 offset0:53 offset1:54
	ds_read2_b32 v[222:223], v175 offset0:55 offset1:56
	s_waitcnt vmcnt(8) lgkmcnt(4)
	v_pk_fma_f32 v[144:145], v[218:219], v[216:217], v[144:145] op_sel_hi:[0,1,1] neg_lo:[1,0,0] neg_hi:[1,0,0]
	s_waitcnt vmcnt(6) lgkmcnt(3)
	v_pk_fma_f32 v[164:165], v[218:219], v[220:221], v[164:165] op_sel_hi:[0,1,1] neg_lo:[1,0,0] neg_hi:[1,0,0]
	;; [unrolled: 2-line block ×5, first 2 shown]
	v_mov_b32_e32 v119, v218
.LBB113_193:
	s_or_b64 exec, exec, s[2:3]
	v_cmp_eq_u32_e32 vcc, 35, v25
	s_waitcnt lgkmcnt(0)
	s_barrier
	s_and_saveexec_b64 s[2:3], vcc
	s_cbranch_execz .LBB113_196
; %bb.194:
	s_waitcnt vmcnt(18)
	v_pk_mov_b32 v[212:213], v[122:123], v[116:117] op_sel:[1,0]
	ds_write_b32 v174, v122
	ds_write2_b32 v175, v212, v213 offset0:36 offset1:37
	s_waitcnt vmcnt(16)
	v_pk_mov_b32 v[212:213], v[116:117], v[120:121] op_sel:[1,0]
	ds_write2_b32 v175, v212, v213 offset0:38 offset1:39
	s_waitcnt vmcnt(14)
	v_pk_mov_b32 v[212:213], v[120:121], v[146:147] op_sel:[1,0]
	ds_write2_b32 v175, v212, v213 offset0:40 offset1:41
	s_waitcnt vmcnt(12)
	v_pk_mov_b32 v[212:213], v[146:147], v[140:141] op_sel:[1,0]
	ds_write2_b32 v175, v212, v213 offset0:42 offset1:43
	s_waitcnt vmcnt(10)
	v_pk_mov_b32 v[212:213], v[140:141], v[142:143] op_sel:[1,0]
	ds_write2_b32 v175, v212, v213 offset0:44 offset1:45
	s_waitcnt vmcnt(8)
	v_pk_mov_b32 v[212:213], v[142:143], v[144:145] op_sel:[1,0]
	ds_write2_b32 v175, v212, v213 offset0:46 offset1:47
	s_waitcnt vmcnt(6)
	v_pk_mov_b32 v[212:213], v[144:145], v[164:165] op_sel:[1,0]
	ds_write2_b32 v175, v212, v213 offset0:48 offset1:49
	s_waitcnt vmcnt(4)
	v_pk_mov_b32 v[212:213], v[164:165], v[166:167] op_sel:[1,0]
	ds_write2_b32 v175, v212, v213 offset0:50 offset1:51
	s_waitcnt vmcnt(2)
	v_pk_mov_b32 v[212:213], v[166:167], v[168:169] op_sel:[1,0]
	ds_write2_b32 v175, v212, v213 offset0:52 offset1:53
	s_waitcnt vmcnt(0)
	v_pk_mov_b32 v[212:213], v[168:169], v[170:171] op_sel:[1,0]
	ds_write2_b32 v175, v212, v213 offset0:54 offset1:55
	ds_write_b32 v175, v171 offset:224
	ds_read_b32 v211, v174
	s_waitcnt lgkmcnt(0)
	v_cmp_neq_f32_e32 vcc, 0, v211
	s_and_b64 exec, exec, vcc
	s_cbranch_execz .LBB113_196
; %bb.195:
	v_div_scale_f32 v212, s[4:5], v211, v211, 1.0
	v_rcp_f32_e32 v213, v212
	v_div_scale_f32 v214, vcc, 1.0, v211, 1.0
	v_fma_f32 v215, -v212, v213, 1.0
	v_fmac_f32_e32 v213, v215, v213
	v_mul_f32_e32 v215, v214, v213
	v_fma_f32 v216, -v212, v215, v214
	v_fmac_f32_e32 v215, v216, v213
	v_fma_f32 v212, -v212, v215, v214
	v_div_fmas_f32 v212, v212, v213, v215
	v_div_fixup_f32 v211, v212, v211, 1.0
	ds_write_b32 v174, v211
.LBB113_196:
	s_or_b64 exec, exec, s[2:3]
	s_waitcnt lgkmcnt(0)
	s_barrier
	ds_read_b32 v211, v174
	v_cmp_lt_u32_e32 vcc, 35, v25
	s_and_saveexec_b64 s[2:3], vcc
	s_cbranch_execz .LBB113_198
; %bb.197:
	ds_read_b32 v218, v175 offset:144
	ds_read2_b32 v[212:213], v175 offset0:37 offset1:38
	ds_read2_b32 v[214:215], v175 offset0:39 offset1:40
	s_waitcnt vmcnt(21) lgkmcnt(3)
	v_mul_f32_e32 v122, v211, v122
	ds_read2_b32 v[216:217], v175 offset0:41 offset1:42
	s_waitcnt vmcnt(20) lgkmcnt(3)
	v_fma_f32 v123, -v122, v218, v123
	s_waitcnt vmcnt(18) lgkmcnt(2)
	v_pk_fma_f32 v[116:117], v[122:123], v[212:213], v[116:117] op_sel_hi:[0,1,1] neg_lo:[1,0,0] neg_hi:[1,0,0]
	s_waitcnt vmcnt(16) lgkmcnt(1)
	v_pk_fma_f32 v[120:121], v[122:123], v[214:215], v[120:121] op_sel_hi:[0,1,1] neg_lo:[1,0,0] neg_hi:[1,0,0]
	ds_read2_b32 v[212:213], v175 offset0:43 offset1:44
	ds_read2_b32 v[214:215], v175 offset0:45 offset1:46
	s_waitcnt vmcnt(14) lgkmcnt(2)
	v_pk_fma_f32 v[146:147], v[122:123], v[216:217], v[146:147] op_sel_hi:[0,1,1] neg_lo:[1,0,0] neg_hi:[1,0,0]
	ds_read2_b32 v[216:217], v175 offset0:47 offset1:48
	ds_read2_b32 v[218:219], v175 offset0:49 offset1:50
	s_waitcnt vmcnt(12) lgkmcnt(3)
	v_pk_fma_f32 v[140:141], v[122:123], v[212:213], v[140:141] op_sel_hi:[0,1,1] neg_lo:[1,0,0] neg_hi:[1,0,0]
	s_waitcnt vmcnt(10) lgkmcnt(2)
	v_pk_fma_f32 v[142:143], v[122:123], v[214:215], v[142:143] op_sel_hi:[0,1,1] neg_lo:[1,0,0] neg_hi:[1,0,0]
	ds_read2_b32 v[212:213], v175 offset0:51 offset1:52
	ds_read2_b32 v[214:215], v175 offset0:53 offset1:54
	;; [unrolled: 1-line block ×3, first 2 shown]
	s_waitcnt vmcnt(8) lgkmcnt(4)
	v_pk_fma_f32 v[144:145], v[122:123], v[216:217], v[144:145] op_sel_hi:[0,1,1] neg_lo:[1,0,0] neg_hi:[1,0,0]
	s_waitcnt vmcnt(6) lgkmcnt(3)
	v_pk_fma_f32 v[164:165], v[122:123], v[218:219], v[164:165] op_sel_hi:[0,1,1] neg_lo:[1,0,0] neg_hi:[1,0,0]
	;; [unrolled: 2-line block ×5, first 2 shown]
.LBB113_198:
	s_or_b64 exec, exec, s[2:3]
	v_cmp_ne_u32_e32 vcc, 36, v25
	s_waitcnt lgkmcnt(0)
	s_barrier
	s_and_saveexec_b64 s[2:3], vcc
	s_xor_b64 s[2:3], exec, s[2:3]
	s_andn2_saveexec_b64 s[2:3], s[2:3]
	s_cbranch_execz .LBB113_202
; %bb.199:
	s_waitcnt vmcnt(20)
	ds_write_b32 v174, v123
	s_waitcnt vmcnt(18)
	ds_write2_b32 v175, v116, v117 offset0:37 offset1:38
	s_waitcnt vmcnt(16)
	ds_write2_b32 v175, v120, v121 offset0:39 offset1:40
	;; [unrolled: 2-line block ×10, first 2 shown]
	ds_read_b32 v212, v174
	s_waitcnt lgkmcnt(0)
	v_cmp_neq_f32_e32 vcc, 0, v212
	s_and_saveexec_b64 s[4:5], vcc
	s_cbranch_execz .LBB113_201
; %bb.200:
	v_div_scale_f32 v213, s[10:11], v212, v212, 1.0
	v_rcp_f32_e32 v214, v213
	v_div_scale_f32 v215, vcc, 1.0, v212, 1.0
	v_fma_f32 v216, -v213, v214, 1.0
	v_fmac_f32_e32 v214, v216, v214
	v_mul_f32_e32 v216, v215, v214
	v_fma_f32 v217, -v213, v216, v215
	v_fmac_f32_e32 v216, v217, v214
	v_fma_f32 v213, -v213, v216, v215
	v_div_fmas_f32 v213, v213, v214, v216
	v_div_fixup_f32 v212, v213, v212, 1.0
	ds_write_b32 v174, v212
.LBB113_201:
	s_or_b64 exec, exec, s[4:5]
.LBB113_202:
	s_or_b64 exec, exec, s[2:3]
	s_waitcnt lgkmcnt(0)
	s_barrier
	ds_read_b32 v212, v174
	v_cmp_lt_u32_e32 vcc, 36, v25
	s_and_saveexec_b64 s[2:3], vcc
	s_cbranch_execz .LBB113_204
; %bb.203:
	ds_read2_b32 v[214:215], v175 offset0:37 offset1:38
	ds_read2_b32 v[216:217], v175 offset0:39 offset1:40
	;; [unrolled: 1-line block ×3, first 2 shown]
	s_waitcnt vmcnt(20) lgkmcnt(3)
	v_mul_f32_e32 v220, v212, v123
	ds_read2_b32 v[222:223], v175 offset0:43 offset1:44
	s_waitcnt vmcnt(18) lgkmcnt(3)
	v_pk_fma_f32 v[116:117], v[220:221], v[214:215], v[116:117] op_sel_hi:[0,1,1] neg_lo:[1,0,0] neg_hi:[1,0,0]
	ds_read2_b32 v[214:215], v175 offset0:45 offset1:46
	s_waitcnt vmcnt(16) lgkmcnt(3)
	v_pk_fma_f32 v[120:121], v[220:221], v[216:217], v[120:121] op_sel_hi:[0,1,1] neg_lo:[1,0,0] neg_hi:[1,0,0]
	s_waitcnt vmcnt(14) lgkmcnt(2)
	v_pk_fma_f32 v[146:147], v[220:221], v[218:219], v[146:147] op_sel_hi:[0,1,1] neg_lo:[1,0,0] neg_hi:[1,0,0]
	;; [unrolled: 2-line block ×3, first 2 shown]
	ds_read2_b32 v[216:217], v175 offset0:47 offset1:48
	ds_read2_b32 v[218:219], v175 offset0:49 offset1:50
	;; [unrolled: 1-line block ×3, first 2 shown]
	s_waitcnt vmcnt(10) lgkmcnt(3)
	v_pk_fma_f32 v[142:143], v[220:221], v[214:215], v[142:143] op_sel_hi:[0,1,1] neg_lo:[1,0,0] neg_hi:[1,0,0]
	ds_read2_b32 v[214:215], v175 offset0:53 offset1:54
	ds_read2_b32 v[224:225], v175 offset0:55 offset1:56
	s_waitcnt vmcnt(8) lgkmcnt(4)
	v_pk_fma_f32 v[144:145], v[220:221], v[216:217], v[144:145] op_sel_hi:[0,1,1] neg_lo:[1,0,0] neg_hi:[1,0,0]
	s_waitcnt vmcnt(6) lgkmcnt(3)
	v_pk_fma_f32 v[164:165], v[220:221], v[218:219], v[164:165] op_sel_hi:[0,1,1] neg_lo:[1,0,0] neg_hi:[1,0,0]
	;; [unrolled: 2-line block ×5, first 2 shown]
	v_mov_b32_e32 v123, v220
.LBB113_204:
	s_or_b64 exec, exec, s[2:3]
	v_cmp_eq_u32_e32 vcc, 37, v25
	s_waitcnt lgkmcnt(0)
	s_barrier
	s_and_saveexec_b64 s[2:3], vcc
	s_cbranch_execz .LBB113_207
; %bb.205:
	s_waitcnt vmcnt(16)
	v_pk_mov_b32 v[214:215], v[116:117], v[120:121] op_sel:[1,0]
	ds_write_b32 v174, v116
	ds_write2_b32 v175, v214, v215 offset0:38 offset1:39
	s_waitcnt vmcnt(14)
	v_pk_mov_b32 v[214:215], v[120:121], v[146:147] op_sel:[1,0]
	ds_write2_b32 v175, v214, v215 offset0:40 offset1:41
	s_waitcnt vmcnt(12)
	v_pk_mov_b32 v[214:215], v[146:147], v[140:141] op_sel:[1,0]
	;; [unrolled: 3-line block ×8, first 2 shown]
	ds_write2_b32 v175, v214, v215 offset0:54 offset1:55
	ds_write_b32 v175, v171 offset:224
	ds_read_b32 v213, v174
	s_waitcnt lgkmcnt(0)
	v_cmp_neq_f32_e32 vcc, 0, v213
	s_and_b64 exec, exec, vcc
	s_cbranch_execz .LBB113_207
; %bb.206:
	v_div_scale_f32 v214, s[4:5], v213, v213, 1.0
	v_rcp_f32_e32 v215, v214
	v_div_scale_f32 v216, vcc, 1.0, v213, 1.0
	v_fma_f32 v217, -v214, v215, 1.0
	v_fmac_f32_e32 v215, v217, v215
	v_mul_f32_e32 v217, v216, v215
	v_fma_f32 v218, -v214, v217, v216
	v_fmac_f32_e32 v217, v218, v215
	v_fma_f32 v214, -v214, v217, v216
	v_div_fmas_f32 v214, v214, v215, v217
	v_div_fixup_f32 v213, v214, v213, 1.0
	ds_write_b32 v174, v213
.LBB113_207:
	s_or_b64 exec, exec, s[2:3]
	s_waitcnt lgkmcnt(0)
	s_barrier
	ds_read_b32 v213, v174
	v_cmp_lt_u32_e32 vcc, 37, v25
	s_and_saveexec_b64 s[2:3], vcc
	s_cbranch_execz .LBB113_209
; %bb.208:
	ds_read_b32 v220, v175 offset:152
	ds_read2_b32 v[214:215], v175 offset0:39 offset1:40
	ds_read2_b32 v[216:217], v175 offset0:41 offset1:42
	s_waitcnt vmcnt(19) lgkmcnt(3)
	v_mul_f32_e32 v116, v213, v116
	ds_read2_b32 v[218:219], v175 offset0:43 offset1:44
	s_waitcnt vmcnt(18) lgkmcnt(3)
	v_fma_f32 v117, -v116, v220, v117
	s_waitcnt vmcnt(16) lgkmcnt(2)
	v_pk_fma_f32 v[120:121], v[116:117], v[214:215], v[120:121] op_sel_hi:[0,1,1] neg_lo:[1,0,0] neg_hi:[1,0,0]
	ds_read2_b32 v[214:215], v175 offset0:45 offset1:46
	s_waitcnt vmcnt(14) lgkmcnt(2)
	v_pk_fma_f32 v[146:147], v[116:117], v[216:217], v[146:147] op_sel_hi:[0,1,1] neg_lo:[1,0,0] neg_hi:[1,0,0]
	s_waitcnt vmcnt(12) lgkmcnt(1)
	v_pk_fma_f32 v[140:141], v[116:117], v[218:219], v[140:141] op_sel_hi:[0,1,1] neg_lo:[1,0,0] neg_hi:[1,0,0]
	ds_read2_b32 v[216:217], v175 offset0:47 offset1:48
	ds_read2_b32 v[218:219], v175 offset0:49 offset1:50
	ds_read2_b32 v[220:221], v175 offset0:51 offset1:52
	s_waitcnt vmcnt(10) lgkmcnt(3)
	v_pk_fma_f32 v[142:143], v[116:117], v[214:215], v[142:143] op_sel_hi:[0,1,1] neg_lo:[1,0,0] neg_hi:[1,0,0]
	ds_read2_b32 v[214:215], v175 offset0:53 offset1:54
	ds_read2_b32 v[222:223], v175 offset0:55 offset1:56
	s_waitcnt vmcnt(8) lgkmcnt(4)
	v_pk_fma_f32 v[144:145], v[116:117], v[216:217], v[144:145] op_sel_hi:[0,1,1] neg_lo:[1,0,0] neg_hi:[1,0,0]
	s_waitcnt vmcnt(6) lgkmcnt(3)
	v_pk_fma_f32 v[164:165], v[116:117], v[218:219], v[164:165] op_sel_hi:[0,1,1] neg_lo:[1,0,0] neg_hi:[1,0,0]
	;; [unrolled: 2-line block ×5, first 2 shown]
.LBB113_209:
	s_or_b64 exec, exec, s[2:3]
	v_cmp_ne_u32_e32 vcc, 38, v25
	s_waitcnt lgkmcnt(0)
	s_barrier
	s_and_saveexec_b64 s[2:3], vcc
	s_xor_b64 s[2:3], exec, s[2:3]
	s_andn2_saveexec_b64 s[2:3], s[2:3]
	s_cbranch_execz .LBB113_213
; %bb.210:
	s_waitcnt vmcnt(18)
	ds_write_b32 v174, v117
	s_waitcnt vmcnt(16)
	ds_write2_b32 v175, v120, v121 offset0:39 offset1:40
	s_waitcnt vmcnt(14)
	ds_write2_b32 v175, v146, v147 offset0:41 offset1:42
	;; [unrolled: 2-line block ×9, first 2 shown]
	ds_read_b32 v214, v174
	s_waitcnt lgkmcnt(0)
	v_cmp_neq_f32_e32 vcc, 0, v214
	s_and_saveexec_b64 s[4:5], vcc
	s_cbranch_execz .LBB113_212
; %bb.211:
	v_div_scale_f32 v215, s[10:11], v214, v214, 1.0
	v_rcp_f32_e32 v216, v215
	v_div_scale_f32 v217, vcc, 1.0, v214, 1.0
	v_fma_f32 v218, -v215, v216, 1.0
	v_fmac_f32_e32 v216, v218, v216
	v_mul_f32_e32 v218, v217, v216
	v_fma_f32 v219, -v215, v218, v217
	v_fmac_f32_e32 v218, v219, v216
	v_fma_f32 v215, -v215, v218, v217
	v_div_fmas_f32 v215, v215, v216, v218
	v_div_fixup_f32 v214, v215, v214, 1.0
	ds_write_b32 v174, v214
.LBB113_212:
	s_or_b64 exec, exec, s[4:5]
.LBB113_213:
	s_or_b64 exec, exec, s[2:3]
	s_waitcnt lgkmcnt(0)
	s_barrier
	ds_read_b32 v214, v174
	v_cmp_lt_u32_e32 vcc, 38, v25
	s_and_saveexec_b64 s[2:3], vcc
	s_cbranch_execz .LBB113_215
; %bb.214:
	ds_read2_b32 v[216:217], v175 offset0:39 offset1:40
	ds_read2_b32 v[218:219], v175 offset0:41 offset1:42
	;; [unrolled: 1-line block ×4, first 2 shown]
	s_waitcnt vmcnt(18) lgkmcnt(4)
	v_mul_f32_e32 v224, v214, v117
	s_waitcnt vmcnt(16) lgkmcnt(3)
	v_pk_fma_f32 v[120:121], v[224:225], v[216:217], v[120:121] op_sel_hi:[0,1,1] neg_lo:[1,0,0] neg_hi:[1,0,0]
	s_waitcnt vmcnt(14) lgkmcnt(2)
	v_pk_fma_f32 v[146:147], v[224:225], v[218:219], v[146:147] op_sel_hi:[0,1,1] neg_lo:[1,0,0] neg_hi:[1,0,0]
	s_waitcnt vmcnt(12) lgkmcnt(1)
	v_pk_fma_f32 v[140:141], v[224:225], v[220:221], v[140:141] op_sel_hi:[0,1,1] neg_lo:[1,0,0] neg_hi:[1,0,0]
	s_waitcnt vmcnt(10) lgkmcnt(0)
	v_pk_fma_f32 v[142:143], v[224:225], v[222:223], v[142:143] op_sel_hi:[0,1,1] neg_lo:[1,0,0] neg_hi:[1,0,0]
	ds_read2_b32 v[216:217], v175 offset0:47 offset1:48
	ds_read2_b32 v[218:219], v175 offset0:49 offset1:50
	;; [unrolled: 1-line block ×5, first 2 shown]
	s_waitcnt vmcnt(8) lgkmcnt(4)
	v_pk_fma_f32 v[144:145], v[224:225], v[216:217], v[144:145] op_sel_hi:[0,1,1] neg_lo:[1,0,0] neg_hi:[1,0,0]
	s_waitcnt vmcnt(6) lgkmcnt(3)
	v_pk_fma_f32 v[164:165], v[224:225], v[218:219], v[164:165] op_sel_hi:[0,1,1] neg_lo:[1,0,0] neg_hi:[1,0,0]
	;; [unrolled: 2-line block ×5, first 2 shown]
	v_mov_b32_e32 v117, v224
.LBB113_215:
	s_or_b64 exec, exec, s[2:3]
	v_cmp_eq_u32_e32 vcc, 39, v25
	s_waitcnt lgkmcnt(0)
	s_barrier
	s_and_saveexec_b64 s[2:3], vcc
	s_cbranch_execz .LBB113_218
; %bb.216:
	s_waitcnt vmcnt(14)
	v_pk_mov_b32 v[216:217], v[120:121], v[146:147] op_sel:[1,0]
	ds_write_b32 v174, v120
	ds_write2_b32 v175, v216, v217 offset0:40 offset1:41
	s_waitcnt vmcnt(12)
	v_pk_mov_b32 v[216:217], v[146:147], v[140:141] op_sel:[1,0]
	ds_write2_b32 v175, v216, v217 offset0:42 offset1:43
	s_waitcnt vmcnt(10)
	v_pk_mov_b32 v[216:217], v[140:141], v[142:143] op_sel:[1,0]
	;; [unrolled: 3-line block ×7, first 2 shown]
	ds_write2_b32 v175, v216, v217 offset0:54 offset1:55
	ds_write_b32 v175, v171 offset:224
	ds_read_b32 v215, v174
	s_waitcnt lgkmcnt(0)
	v_cmp_neq_f32_e32 vcc, 0, v215
	s_and_b64 exec, exec, vcc
	s_cbranch_execz .LBB113_218
; %bb.217:
	v_div_scale_f32 v216, s[4:5], v215, v215, 1.0
	v_rcp_f32_e32 v217, v216
	v_div_scale_f32 v218, vcc, 1.0, v215, 1.0
	v_fma_f32 v219, -v216, v217, 1.0
	v_fmac_f32_e32 v217, v219, v217
	v_mul_f32_e32 v219, v218, v217
	v_fma_f32 v220, -v216, v219, v218
	v_fmac_f32_e32 v219, v220, v217
	v_fma_f32 v216, -v216, v219, v218
	v_div_fmas_f32 v216, v216, v217, v219
	v_div_fixup_f32 v215, v216, v215, 1.0
	ds_write_b32 v174, v215
.LBB113_218:
	s_or_b64 exec, exec, s[2:3]
	s_waitcnt lgkmcnt(0)
	s_barrier
	ds_read_b32 v215, v174
	v_cmp_lt_u32_e32 vcc, 39, v25
	s_and_saveexec_b64 s[2:3], vcc
	s_cbranch_execz .LBB113_220
; %bb.219:
	ds_read_b32 v222, v175 offset:160
	ds_read2_b32 v[216:217], v175 offset0:41 offset1:42
	ds_read2_b32 v[218:219], v175 offset0:43 offset1:44
	;; [unrolled: 1-line block ×3, first 2 shown]
	s_waitcnt vmcnt(17) lgkmcnt(4)
	v_mul_f32_e32 v120, v215, v120
	s_waitcnt vmcnt(16) lgkmcnt(3)
	v_fma_f32 v121, -v120, v222, v121
	s_waitcnt vmcnt(14) lgkmcnt(2)
	v_pk_fma_f32 v[146:147], v[120:121], v[216:217], v[146:147] op_sel_hi:[0,1,1] neg_lo:[1,0,0] neg_hi:[1,0,0]
	s_waitcnt vmcnt(12) lgkmcnt(1)
	v_pk_fma_f32 v[140:141], v[120:121], v[218:219], v[140:141] op_sel_hi:[0,1,1] neg_lo:[1,0,0] neg_hi:[1,0,0]
	;; [unrolled: 2-line block ×3, first 2 shown]
	ds_read2_b32 v[216:217], v175 offset0:47 offset1:48
	ds_read2_b32 v[218:219], v175 offset0:49 offset1:50
	;; [unrolled: 1-line block ×5, first 2 shown]
	s_waitcnt vmcnt(8) lgkmcnt(4)
	v_pk_fma_f32 v[144:145], v[120:121], v[216:217], v[144:145] op_sel_hi:[0,1,1] neg_lo:[1,0,0] neg_hi:[1,0,0]
	s_waitcnt vmcnt(6) lgkmcnt(3)
	v_pk_fma_f32 v[164:165], v[120:121], v[218:219], v[164:165] op_sel_hi:[0,1,1] neg_lo:[1,0,0] neg_hi:[1,0,0]
	;; [unrolled: 2-line block ×5, first 2 shown]
.LBB113_220:
	s_or_b64 exec, exec, s[2:3]
	v_cmp_ne_u32_e32 vcc, 40, v25
	s_waitcnt lgkmcnt(0)
	s_barrier
	s_and_saveexec_b64 s[2:3], vcc
	s_xor_b64 s[2:3], exec, s[2:3]
	s_andn2_saveexec_b64 s[2:3], s[2:3]
	s_cbranch_execz .LBB113_224
; %bb.221:
	s_waitcnt vmcnt(16)
	ds_write_b32 v174, v121
	s_waitcnt vmcnt(14)
	ds_write2_b32 v175, v146, v147 offset0:41 offset1:42
	s_waitcnt vmcnt(12)
	ds_write2_b32 v175, v140, v141 offset0:43 offset1:44
	;; [unrolled: 2-line block ×8, first 2 shown]
	ds_read_b32 v216, v174
	s_waitcnt lgkmcnt(0)
	v_cmp_neq_f32_e32 vcc, 0, v216
	s_and_saveexec_b64 s[4:5], vcc
	s_cbranch_execz .LBB113_223
; %bb.222:
	v_div_scale_f32 v217, s[10:11], v216, v216, 1.0
	v_rcp_f32_e32 v218, v217
	v_div_scale_f32 v219, vcc, 1.0, v216, 1.0
	v_fma_f32 v220, -v217, v218, 1.0
	v_fmac_f32_e32 v218, v220, v218
	v_mul_f32_e32 v220, v219, v218
	v_fma_f32 v221, -v217, v220, v219
	v_fmac_f32_e32 v220, v221, v218
	v_fma_f32 v217, -v217, v220, v219
	v_div_fmas_f32 v217, v217, v218, v220
	v_div_fixup_f32 v216, v217, v216, 1.0
	ds_write_b32 v174, v216
.LBB113_223:
	s_or_b64 exec, exec, s[4:5]
.LBB113_224:
	s_or_b64 exec, exec, s[2:3]
	s_waitcnt lgkmcnt(0)
	s_barrier
	ds_read_b32 v216, v174
	v_cmp_lt_u32_e32 vcc, 40, v25
	s_and_saveexec_b64 s[2:3], vcc
	s_cbranch_execz .LBB113_226
; %bb.225:
	ds_read2_b32 v[218:219], v175 offset0:41 offset1:42
	ds_read2_b32 v[220:221], v175 offset0:43 offset1:44
	ds_read2_b32 v[222:223], v175 offset0:45 offset1:46
	s_waitcnt vmcnt(16) lgkmcnt(3)
	v_mul_f32_e32 v224, v216, v121
	ds_read2_b32 v[226:227], v175 offset0:47 offset1:48
	s_waitcnt vmcnt(14) lgkmcnt(3)
	v_pk_fma_f32 v[146:147], v[224:225], v[218:219], v[146:147] op_sel_hi:[0,1,1] neg_lo:[1,0,0] neg_hi:[1,0,0]
	s_waitcnt vmcnt(12) lgkmcnt(2)
	v_pk_fma_f32 v[140:141], v[224:225], v[220:221], v[140:141] op_sel_hi:[0,1,1] neg_lo:[1,0,0] neg_hi:[1,0,0]
	;; [unrolled: 2-line block ×3, first 2 shown]
	ds_read2_b32 v[218:219], v175 offset0:49 offset1:50
	ds_read2_b32 v[220:221], v175 offset0:51 offset1:52
	;; [unrolled: 1-line block ×4, first 2 shown]
	s_waitcnt vmcnt(8) lgkmcnt(4)
	v_pk_fma_f32 v[144:145], v[224:225], v[226:227], v[144:145] op_sel_hi:[0,1,1] neg_lo:[1,0,0] neg_hi:[1,0,0]
	s_waitcnt vmcnt(6) lgkmcnt(3)
	v_pk_fma_f32 v[164:165], v[224:225], v[218:219], v[164:165] op_sel_hi:[0,1,1] neg_lo:[1,0,0] neg_hi:[1,0,0]
	;; [unrolled: 2-line block ×5, first 2 shown]
	v_mov_b32_e32 v121, v224
.LBB113_226:
	s_or_b64 exec, exec, s[2:3]
	v_cmp_eq_u32_e32 vcc, 41, v25
	s_waitcnt lgkmcnt(0)
	s_barrier
	s_and_saveexec_b64 s[2:3], vcc
	s_cbranch_execz .LBB113_229
; %bb.227:
	s_waitcnt vmcnt(12)
	v_pk_mov_b32 v[218:219], v[146:147], v[140:141] op_sel:[1,0]
	ds_write_b32 v174, v146
	ds_write2_b32 v175, v218, v219 offset0:42 offset1:43
	s_waitcnt vmcnt(10)
	v_pk_mov_b32 v[218:219], v[140:141], v[142:143] op_sel:[1,0]
	ds_write2_b32 v175, v218, v219 offset0:44 offset1:45
	s_waitcnt vmcnt(8)
	v_pk_mov_b32 v[218:219], v[142:143], v[144:145] op_sel:[1,0]
	;; [unrolled: 3-line block ×6, first 2 shown]
	ds_write2_b32 v175, v218, v219 offset0:54 offset1:55
	ds_write_b32 v175, v171 offset:224
	ds_read_b32 v217, v174
	s_waitcnt lgkmcnt(0)
	v_cmp_neq_f32_e32 vcc, 0, v217
	s_and_b64 exec, exec, vcc
	s_cbranch_execz .LBB113_229
; %bb.228:
	v_div_scale_f32 v218, s[4:5], v217, v217, 1.0
	v_rcp_f32_e32 v219, v218
	v_div_scale_f32 v220, vcc, 1.0, v217, 1.0
	v_fma_f32 v221, -v218, v219, 1.0
	v_fmac_f32_e32 v219, v221, v219
	v_mul_f32_e32 v221, v220, v219
	v_fma_f32 v222, -v218, v221, v220
	v_fmac_f32_e32 v221, v222, v219
	v_fma_f32 v218, -v218, v221, v220
	v_div_fmas_f32 v218, v218, v219, v221
	v_div_fixup_f32 v217, v218, v217, 1.0
	ds_write_b32 v174, v217
.LBB113_229:
	s_or_b64 exec, exec, s[2:3]
	s_waitcnt lgkmcnt(0)
	s_barrier
	ds_read_b32 v217, v174
	v_cmp_lt_u32_e32 vcc, 41, v25
	s_and_saveexec_b64 s[2:3], vcc
	s_cbranch_execz .LBB113_231
; %bb.230:
	ds_read_b32 v224, v175 offset:168
	ds_read2_b32 v[218:219], v175 offset0:43 offset1:44
	ds_read2_b32 v[220:221], v175 offset0:45 offset1:46
	s_waitcnt vmcnt(15) lgkmcnt(3)
	v_mul_f32_e32 v146, v217, v146
	ds_read2_b32 v[222:223], v175 offset0:47 offset1:48
	s_waitcnt vmcnt(14) lgkmcnt(3)
	v_fma_f32 v147, -v146, v224, v147
	s_waitcnt vmcnt(12) lgkmcnt(2)
	v_pk_fma_f32 v[140:141], v[146:147], v[218:219], v[140:141] op_sel_hi:[0,1,1] neg_lo:[1,0,0] neg_hi:[1,0,0]
	s_waitcnt vmcnt(10) lgkmcnt(1)
	v_pk_fma_f32 v[142:143], v[146:147], v[220:221], v[142:143] op_sel_hi:[0,1,1] neg_lo:[1,0,0] neg_hi:[1,0,0]
	ds_read2_b32 v[218:219], v175 offset0:49 offset1:50
	ds_read2_b32 v[220:221], v175 offset0:51 offset1:52
	;; [unrolled: 1-line block ×4, first 2 shown]
	s_waitcnt vmcnt(8) lgkmcnt(4)
	v_pk_fma_f32 v[144:145], v[146:147], v[222:223], v[144:145] op_sel_hi:[0,1,1] neg_lo:[1,0,0] neg_hi:[1,0,0]
	s_waitcnt vmcnt(6) lgkmcnt(3)
	v_pk_fma_f32 v[164:165], v[146:147], v[218:219], v[164:165] op_sel_hi:[0,1,1] neg_lo:[1,0,0] neg_hi:[1,0,0]
	;; [unrolled: 2-line block ×5, first 2 shown]
.LBB113_231:
	s_or_b64 exec, exec, s[2:3]
	v_cmp_ne_u32_e32 vcc, 42, v25
	s_waitcnt lgkmcnt(0)
	s_barrier
	s_and_saveexec_b64 s[2:3], vcc
	s_xor_b64 s[2:3], exec, s[2:3]
	s_andn2_saveexec_b64 s[2:3], s[2:3]
	s_cbranch_execz .LBB113_235
; %bb.232:
	s_waitcnt vmcnt(14)
	ds_write_b32 v174, v147
	s_waitcnt vmcnt(12)
	ds_write2_b32 v175, v140, v141 offset0:43 offset1:44
	s_waitcnt vmcnt(10)
	ds_write2_b32 v175, v142, v143 offset0:45 offset1:46
	;; [unrolled: 2-line block ×7, first 2 shown]
	ds_read_b32 v218, v174
	s_waitcnt lgkmcnt(0)
	v_cmp_neq_f32_e32 vcc, 0, v218
	s_and_saveexec_b64 s[4:5], vcc
	s_cbranch_execz .LBB113_234
; %bb.233:
	v_div_scale_f32 v219, s[10:11], v218, v218, 1.0
	v_rcp_f32_e32 v220, v219
	v_div_scale_f32 v221, vcc, 1.0, v218, 1.0
	v_fma_f32 v222, -v219, v220, 1.0
	v_fmac_f32_e32 v220, v222, v220
	v_mul_f32_e32 v222, v221, v220
	v_fma_f32 v223, -v219, v222, v221
	v_fmac_f32_e32 v222, v223, v220
	v_fma_f32 v219, -v219, v222, v221
	v_div_fmas_f32 v219, v219, v220, v222
	v_div_fixup_f32 v218, v219, v218, 1.0
	ds_write_b32 v174, v218
.LBB113_234:
	s_or_b64 exec, exec, s[4:5]
.LBB113_235:
	s_or_b64 exec, exec, s[2:3]
	s_waitcnt lgkmcnt(0)
	s_barrier
	ds_read_b32 v218, v174
	v_cmp_lt_u32_e32 vcc, 42, v25
	s_and_saveexec_b64 s[2:3], vcc
	s_cbranch_execz .LBB113_237
; %bb.236:
	ds_read2_b32 v[220:221], v175 offset0:43 offset1:44
	ds_read2_b32 v[222:223], v175 offset0:45 offset1:46
	s_waitcnt vmcnt(14) lgkmcnt(2)
	v_mul_f32_e32 v224, v218, v147
	ds_read2_b32 v[226:227], v175 offset0:47 offset1:48
	ds_read2_b32 v[228:229], v175 offset0:49 offset1:50
	v_mov_b32_e32 v147, v224
	s_waitcnt vmcnt(12) lgkmcnt(3)
	v_pk_fma_f32 v[140:141], v[224:225], v[220:221], v[140:141] op_sel_hi:[0,1,1] neg_lo:[1,0,0] neg_hi:[1,0,0]
	s_waitcnt vmcnt(10) lgkmcnt(2)
	v_pk_fma_f32 v[142:143], v[224:225], v[222:223], v[142:143] op_sel_hi:[0,1,1] neg_lo:[1,0,0] neg_hi:[1,0,0]
	ds_read2_b32 v[220:221], v175 offset0:51 offset1:52
	ds_read2_b32 v[222:223], v175 offset0:53 offset1:54
	;; [unrolled: 1-line block ×3, first 2 shown]
	s_waitcnt vmcnt(8) lgkmcnt(4)
	v_pk_fma_f32 v[144:145], v[224:225], v[226:227], v[144:145] op_sel_hi:[0,1,1] neg_lo:[1,0,0] neg_hi:[1,0,0]
	s_waitcnt vmcnt(6) lgkmcnt(3)
	v_pk_fma_f32 v[164:165], v[224:225], v[228:229], v[164:165] op_sel_hi:[0,1,1] neg_lo:[1,0,0] neg_hi:[1,0,0]
	;; [unrolled: 2-line block ×5, first 2 shown]
.LBB113_237:
	s_or_b64 exec, exec, s[2:3]
	v_cmp_eq_u32_e32 vcc, 43, v25
	s_waitcnt lgkmcnt(0)
	s_barrier
	s_and_saveexec_b64 s[2:3], vcc
	s_cbranch_execz .LBB113_240
; %bb.238:
	s_waitcnt vmcnt(10)
	v_pk_mov_b32 v[220:221], v[140:141], v[142:143] op_sel:[1,0]
	ds_write_b32 v174, v140
	ds_write2_b32 v175, v220, v221 offset0:44 offset1:45
	s_waitcnt vmcnt(8)
	v_pk_mov_b32 v[220:221], v[142:143], v[144:145] op_sel:[1,0]
	ds_write2_b32 v175, v220, v221 offset0:46 offset1:47
	s_waitcnt vmcnt(6)
	v_pk_mov_b32 v[220:221], v[144:145], v[164:165] op_sel:[1,0]
	;; [unrolled: 3-line block ×5, first 2 shown]
	ds_write2_b32 v175, v220, v221 offset0:54 offset1:55
	ds_write_b32 v175, v171 offset:224
	ds_read_b32 v219, v174
	s_waitcnt lgkmcnt(0)
	v_cmp_neq_f32_e32 vcc, 0, v219
	s_and_b64 exec, exec, vcc
	s_cbranch_execz .LBB113_240
; %bb.239:
	v_div_scale_f32 v220, s[4:5], v219, v219, 1.0
	v_rcp_f32_e32 v221, v220
	v_div_scale_f32 v222, vcc, 1.0, v219, 1.0
	v_fma_f32 v223, -v220, v221, 1.0
	v_fmac_f32_e32 v221, v223, v221
	v_mul_f32_e32 v223, v222, v221
	v_fma_f32 v224, -v220, v223, v222
	v_fmac_f32_e32 v223, v224, v221
	v_fma_f32 v220, -v220, v223, v222
	v_div_fmas_f32 v220, v220, v221, v223
	v_div_fixup_f32 v219, v220, v219, 1.0
	ds_write_b32 v174, v219
.LBB113_240:
	s_or_b64 exec, exec, s[2:3]
	s_waitcnt lgkmcnt(0)
	s_barrier
	ds_read_b32 v219, v174
	v_cmp_lt_u32_e32 vcc, 43, v25
	s_and_saveexec_b64 s[2:3], vcc
	s_cbranch_execz .LBB113_242
; %bb.241:
	ds_read_b32 v226, v175 offset:176
	ds_read2_b32 v[220:221], v175 offset0:45 offset1:46
	s_waitcnt vmcnt(13) lgkmcnt(2)
	v_mul_f32_e32 v140, v219, v140
	ds_read2_b32 v[222:223], v175 offset0:47 offset1:48
	ds_read2_b32 v[224:225], v175 offset0:49 offset1:50
	s_waitcnt vmcnt(12) lgkmcnt(3)
	v_fma_f32 v141, -v140, v226, v141
	s_waitcnt vmcnt(10) lgkmcnt(2)
	v_pk_fma_f32 v[142:143], v[140:141], v[220:221], v[142:143] op_sel_hi:[0,1,1] neg_lo:[1,0,0] neg_hi:[1,0,0]
	ds_read2_b32 v[220:221], v175 offset0:51 offset1:52
	ds_read2_b32 v[226:227], v175 offset0:53 offset1:54
	;; [unrolled: 1-line block ×3, first 2 shown]
	s_waitcnt vmcnt(8) lgkmcnt(4)
	v_pk_fma_f32 v[144:145], v[140:141], v[222:223], v[144:145] op_sel_hi:[0,1,1] neg_lo:[1,0,0] neg_hi:[1,0,0]
	s_waitcnt vmcnt(6) lgkmcnt(3)
	v_pk_fma_f32 v[164:165], v[140:141], v[224:225], v[164:165] op_sel_hi:[0,1,1] neg_lo:[1,0,0] neg_hi:[1,0,0]
	s_waitcnt vmcnt(4) lgkmcnt(2)
	v_pk_fma_f32 v[166:167], v[140:141], v[220:221], v[166:167] op_sel_hi:[0,1,1] neg_lo:[1,0,0] neg_hi:[1,0,0]
	s_waitcnt vmcnt(2) lgkmcnt(1)
	v_pk_fma_f32 v[168:169], v[140:141], v[226:227], v[168:169] op_sel_hi:[0,1,1] neg_lo:[1,0,0] neg_hi:[1,0,0]
	s_waitcnt vmcnt(0) lgkmcnt(0)
	v_pk_fma_f32 v[170:171], v[140:141], v[228:229], v[170:171] op_sel_hi:[0,1,1] neg_lo:[1,0,0] neg_hi:[1,0,0]
.LBB113_242:
	s_or_b64 exec, exec, s[2:3]
	v_cmp_ne_u32_e32 vcc, 44, v25
	s_waitcnt lgkmcnt(0)
	s_barrier
	s_and_saveexec_b64 s[2:3], vcc
	s_xor_b64 s[2:3], exec, s[2:3]
	s_andn2_saveexec_b64 s[2:3], s[2:3]
	s_cbranch_execz .LBB113_246
; %bb.243:
	s_waitcnt vmcnt(12)
	ds_write_b32 v174, v141
	s_waitcnt vmcnt(10)
	ds_write2_b32 v175, v142, v143 offset0:45 offset1:46
	s_waitcnt vmcnt(8)
	ds_write2_b32 v175, v144, v145 offset0:47 offset1:48
	;; [unrolled: 2-line block ×6, first 2 shown]
	ds_read_b32 v220, v174
	s_waitcnt lgkmcnt(0)
	v_cmp_neq_f32_e32 vcc, 0, v220
	s_and_saveexec_b64 s[4:5], vcc
	s_cbranch_execz .LBB113_245
; %bb.244:
	v_div_scale_f32 v221, s[10:11], v220, v220, 1.0
	v_rcp_f32_e32 v222, v221
	v_div_scale_f32 v223, vcc, 1.0, v220, 1.0
	v_fma_f32 v224, -v221, v222, 1.0
	v_fmac_f32_e32 v222, v224, v222
	v_mul_f32_e32 v224, v223, v222
	v_fma_f32 v225, -v221, v224, v223
	v_fmac_f32_e32 v224, v225, v222
	v_fma_f32 v221, -v221, v224, v223
	v_div_fmas_f32 v221, v221, v222, v224
	v_div_fixup_f32 v220, v221, v220, 1.0
	ds_write_b32 v174, v220
.LBB113_245:
	s_or_b64 exec, exec, s[4:5]
.LBB113_246:
	s_or_b64 exec, exec, s[2:3]
	s_waitcnt lgkmcnt(0)
	s_barrier
	ds_read_b32 v220, v174
	v_cmp_lt_u32_e32 vcc, 44, v25
	s_and_saveexec_b64 s[2:3], vcc
	s_cbranch_execz .LBB113_248
; %bb.247:
	ds_read2_b32 v[222:223], v175 offset0:45 offset1:46
	s_waitcnt vmcnt(12) lgkmcnt(1)
	v_mul_f32_e32 v224, v220, v141
	ds_read2_b32 v[226:227], v175 offset0:47 offset1:48
	ds_read2_b32 v[228:229], v175 offset0:49 offset1:50
	;; [unrolled: 1-line block ×3, first 2 shown]
	v_mov_b32_e32 v141, v224
	s_waitcnt vmcnt(8) lgkmcnt(2)
	v_pk_fma_f32 v[144:145], v[224:225], v[226:227], v[144:145] op_sel_hi:[0,1,1] neg_lo:[1,0,0] neg_hi:[1,0,0]
	v_pk_fma_f32 v[142:143], v[224:225], v[222:223], v[142:143] op_sel_hi:[0,1,1] neg_lo:[1,0,0] neg_hi:[1,0,0]
	ds_read2_b32 v[222:223], v175 offset0:53 offset1:54
	ds_read2_b32 v[232:233], v175 offset0:55 offset1:56
	s_waitcnt vmcnt(6) lgkmcnt(3)
	v_pk_fma_f32 v[164:165], v[224:225], v[228:229], v[164:165] op_sel_hi:[0,1,1] neg_lo:[1,0,0] neg_hi:[1,0,0]
	s_waitcnt vmcnt(4) lgkmcnt(2)
	v_pk_fma_f32 v[166:167], v[224:225], v[230:231], v[166:167] op_sel_hi:[0,1,1] neg_lo:[1,0,0] neg_hi:[1,0,0]
	;; [unrolled: 2-line block ×4, first 2 shown]
.LBB113_248:
	s_or_b64 exec, exec, s[2:3]
	v_cmp_eq_u32_e32 vcc, 45, v25
	s_waitcnt lgkmcnt(0)
	s_barrier
	s_and_saveexec_b64 s[2:3], vcc
	s_cbranch_execz .LBB113_251
; %bb.249:
	s_waitcnt vmcnt(8)
	v_pk_mov_b32 v[222:223], v[142:143], v[144:145] op_sel:[1,0]
	ds_write_b32 v174, v142
	ds_write2_b32 v175, v222, v223 offset0:46 offset1:47
	s_waitcnt vmcnt(6)
	v_pk_mov_b32 v[222:223], v[144:145], v[164:165] op_sel:[1,0]
	ds_write2_b32 v175, v222, v223 offset0:48 offset1:49
	s_waitcnt vmcnt(4)
	v_pk_mov_b32 v[222:223], v[164:165], v[166:167] op_sel:[1,0]
	;; [unrolled: 3-line block ×4, first 2 shown]
	ds_write2_b32 v175, v222, v223 offset0:54 offset1:55
	ds_write_b32 v175, v171 offset:224
	ds_read_b32 v221, v174
	s_waitcnt lgkmcnt(0)
	v_cmp_neq_f32_e32 vcc, 0, v221
	s_and_b64 exec, exec, vcc
	s_cbranch_execz .LBB113_251
; %bb.250:
	v_div_scale_f32 v222, s[4:5], v221, v221, 1.0
	v_rcp_f32_e32 v223, v222
	v_div_scale_f32 v224, vcc, 1.0, v221, 1.0
	v_fma_f32 v225, -v222, v223, 1.0
	v_fmac_f32_e32 v223, v225, v223
	v_mul_f32_e32 v225, v224, v223
	v_fma_f32 v226, -v222, v225, v224
	v_fmac_f32_e32 v225, v226, v223
	v_fma_f32 v222, -v222, v225, v224
	v_div_fmas_f32 v222, v222, v223, v225
	v_div_fixup_f32 v221, v222, v221, 1.0
	ds_write_b32 v174, v221
.LBB113_251:
	s_or_b64 exec, exec, s[2:3]
	s_waitcnt lgkmcnt(0)
	s_barrier
	ds_read_b32 v221, v174
	v_cmp_lt_u32_e32 vcc, 45, v25
	s_and_saveexec_b64 s[2:3], vcc
	s_cbranch_execz .LBB113_253
; %bb.252:
	ds_read_b32 v228, v175 offset:184
	s_waitcnt vmcnt(11) lgkmcnt(1)
	v_mul_f32_e32 v142, v221, v142
	ds_read2_b32 v[222:223], v175 offset0:47 offset1:48
	ds_read2_b32 v[224:225], v175 offset0:49 offset1:50
	;; [unrolled: 1-line block ×3, first 2 shown]
	s_waitcnt vmcnt(10) lgkmcnt(3)
	v_fma_f32 v143, -v142, v228, v143
	ds_read2_b32 v[228:229], v175 offset0:53 offset1:54
	ds_read2_b32 v[230:231], v175 offset0:55 offset1:56
	s_waitcnt vmcnt(8) lgkmcnt(4)
	v_pk_fma_f32 v[144:145], v[142:143], v[222:223], v[144:145] op_sel_hi:[0,1,1] neg_lo:[1,0,0] neg_hi:[1,0,0]
	s_waitcnt vmcnt(6) lgkmcnt(3)
	v_pk_fma_f32 v[164:165], v[142:143], v[224:225], v[164:165] op_sel_hi:[0,1,1] neg_lo:[1,0,0] neg_hi:[1,0,0]
	;; [unrolled: 2-line block ×5, first 2 shown]
.LBB113_253:
	s_or_b64 exec, exec, s[2:3]
	v_cmp_ne_u32_e32 vcc, 46, v25
	s_waitcnt lgkmcnt(0)
	s_barrier
	s_and_saveexec_b64 s[2:3], vcc
	s_xor_b64 s[2:3], exec, s[2:3]
	s_andn2_saveexec_b64 s[2:3], s[2:3]
	s_cbranch_execz .LBB113_257
; %bb.254:
	s_waitcnt vmcnt(10)
	ds_write_b32 v174, v143
	s_waitcnt vmcnt(8)
	ds_write2_b32 v175, v144, v145 offset0:47 offset1:48
	s_waitcnt vmcnt(6)
	ds_write2_b32 v175, v164, v165 offset0:49 offset1:50
	;; [unrolled: 2-line block ×5, first 2 shown]
	ds_read_b32 v222, v174
	s_waitcnt lgkmcnt(0)
	v_cmp_neq_f32_e32 vcc, 0, v222
	s_and_saveexec_b64 s[4:5], vcc
	s_cbranch_execz .LBB113_256
; %bb.255:
	v_div_scale_f32 v223, s[10:11], v222, v222, 1.0
	v_rcp_f32_e32 v224, v223
	v_div_scale_f32 v225, vcc, 1.0, v222, 1.0
	v_fma_f32 v226, -v223, v224, 1.0
	v_fmac_f32_e32 v224, v226, v224
	v_mul_f32_e32 v226, v225, v224
	v_fma_f32 v227, -v223, v226, v225
	v_fmac_f32_e32 v226, v227, v224
	v_fma_f32 v223, -v223, v226, v225
	v_div_fmas_f32 v223, v223, v224, v226
	v_div_fixup_f32 v222, v223, v222, 1.0
	ds_write_b32 v174, v222
.LBB113_256:
	s_or_b64 exec, exec, s[4:5]
.LBB113_257:
	s_or_b64 exec, exec, s[2:3]
	s_waitcnt lgkmcnt(0)
	s_barrier
	ds_read_b32 v222, v174
	v_cmp_lt_u32_e32 vcc, 46, v25
	s_and_saveexec_b64 s[2:3], vcc
	s_cbranch_execz .LBB113_259
; %bb.258:
	ds_read2_b32 v[226:227], v175 offset0:47 offset1:48
	ds_read2_b32 v[228:229], v175 offset0:49 offset1:50
	;; [unrolled: 1-line block ×5, first 2 shown]
	s_waitcnt vmcnt(10) lgkmcnt(5)
	v_mul_f32_e32 v224, v222, v143
	s_waitcnt vmcnt(8) lgkmcnt(4)
	v_pk_fma_f32 v[144:145], v[224:225], v[226:227], v[144:145] op_sel_hi:[0,1,1] neg_lo:[1,0,0] neg_hi:[1,0,0]
	s_waitcnt vmcnt(6) lgkmcnt(3)
	v_pk_fma_f32 v[164:165], v[224:225], v[228:229], v[164:165] op_sel_hi:[0,1,1] neg_lo:[1,0,0] neg_hi:[1,0,0]
	;; [unrolled: 2-line block ×5, first 2 shown]
	v_mov_b32_e32 v143, v224
.LBB113_259:
	s_or_b64 exec, exec, s[2:3]
	v_cmp_eq_u32_e32 vcc, 47, v25
	s_waitcnt lgkmcnt(0)
	s_barrier
	s_and_saveexec_b64 s[2:3], vcc
	s_cbranch_execz .LBB113_262
; %bb.260:
	s_waitcnt vmcnt(6)
	v_pk_mov_b32 v[224:225], v[144:145], v[164:165] op_sel:[1,0]
	ds_write_b32 v174, v144
	ds_write2_b32 v175, v224, v225 offset0:48 offset1:49
	s_waitcnt vmcnt(4)
	v_pk_mov_b32 v[224:225], v[164:165], v[166:167] op_sel:[1,0]
	ds_write2_b32 v175, v224, v225 offset0:50 offset1:51
	s_waitcnt vmcnt(2)
	v_pk_mov_b32 v[224:225], v[166:167], v[168:169] op_sel:[1,0]
	;; [unrolled: 3-line block ×3, first 2 shown]
	ds_write2_b32 v175, v224, v225 offset0:54 offset1:55
	ds_write_b32 v175, v171 offset:224
	ds_read_b32 v223, v174
	s_waitcnt lgkmcnt(0)
	v_cmp_neq_f32_e32 vcc, 0, v223
	s_and_b64 exec, exec, vcc
	s_cbranch_execz .LBB113_262
; %bb.261:
	v_div_scale_f32 v224, s[4:5], v223, v223, 1.0
	v_rcp_f32_e32 v225, v224
	v_div_scale_f32 v226, vcc, 1.0, v223, 1.0
	v_fma_f32 v227, -v224, v225, 1.0
	v_fmac_f32_e32 v225, v227, v225
	v_mul_f32_e32 v227, v226, v225
	v_fma_f32 v228, -v224, v227, v226
	v_fmac_f32_e32 v227, v228, v225
	v_fma_f32 v224, -v224, v227, v226
	v_div_fmas_f32 v224, v224, v225, v227
	v_div_fixup_f32 v223, v224, v223, 1.0
	ds_write_b32 v174, v223
.LBB113_262:
	s_or_b64 exec, exec, s[2:3]
	s_waitcnt lgkmcnt(0)
	s_barrier
	ds_read_b32 v223, v174
	v_cmp_lt_u32_e32 vcc, 47, v25
	s_and_saveexec_b64 s[2:3], vcc
	s_cbranch_execz .LBB113_264
; %bb.263:
	ds_read_b32 v232, v175 offset:192
	ds_read2_b32 v[224:225], v175 offset0:49 offset1:50
	ds_read2_b32 v[226:227], v175 offset0:51 offset1:52
	;; [unrolled: 1-line block ×4, first 2 shown]
	s_waitcnt vmcnt(9) lgkmcnt(5)
	v_mul_f32_e32 v144, v223, v144
	s_waitcnt vmcnt(8) lgkmcnt(4)
	v_fma_f32 v145, -v144, v232, v145
	s_waitcnt vmcnt(6) lgkmcnt(3)
	v_pk_fma_f32 v[164:165], v[144:145], v[224:225], v[164:165] op_sel_hi:[0,1,1] neg_lo:[1,0,0] neg_hi:[1,0,0]
	s_waitcnt vmcnt(4) lgkmcnt(2)
	v_pk_fma_f32 v[166:167], v[144:145], v[226:227], v[166:167] op_sel_hi:[0,1,1] neg_lo:[1,0,0] neg_hi:[1,0,0]
	;; [unrolled: 2-line block ×4, first 2 shown]
.LBB113_264:
	s_or_b64 exec, exec, s[2:3]
	v_cmp_ne_u32_e32 vcc, 48, v25
	s_waitcnt lgkmcnt(0)
	s_barrier
	s_and_saveexec_b64 s[2:3], vcc
	s_xor_b64 s[2:3], exec, s[2:3]
	s_andn2_saveexec_b64 s[2:3], s[2:3]
	s_cbranch_execz .LBB113_268
; %bb.265:
	s_waitcnt vmcnt(8)
	ds_write_b32 v174, v145
	s_waitcnt vmcnt(6)
	ds_write2_b32 v175, v164, v165 offset0:49 offset1:50
	s_waitcnt vmcnt(4)
	ds_write2_b32 v175, v166, v167 offset0:51 offset1:52
	;; [unrolled: 2-line block ×4, first 2 shown]
	ds_read_b32 v224, v174
	s_waitcnt lgkmcnt(0)
	v_cmp_neq_f32_e32 vcc, 0, v224
	s_and_saveexec_b64 s[4:5], vcc
	s_cbranch_execz .LBB113_267
; %bb.266:
	v_div_scale_f32 v225, s[10:11], v224, v224, 1.0
	v_rcp_f32_e32 v226, v225
	v_div_scale_f32 v227, vcc, 1.0, v224, 1.0
	v_fma_f32 v228, -v225, v226, 1.0
	v_fmac_f32_e32 v226, v228, v226
	v_mul_f32_e32 v228, v227, v226
	v_fma_f32 v229, -v225, v228, v227
	v_fmac_f32_e32 v228, v229, v226
	v_fma_f32 v225, -v225, v228, v227
	v_div_fmas_f32 v225, v225, v226, v228
	v_div_fixup_f32 v224, v225, v224, 1.0
	ds_write_b32 v174, v224
.LBB113_267:
	s_or_b64 exec, exec, s[4:5]
.LBB113_268:
	s_or_b64 exec, exec, s[2:3]
	s_waitcnt lgkmcnt(0)
	s_barrier
	ds_read_b32 v224, v174
	v_cmp_lt_u32_e32 vcc, 48, v25
	s_and_saveexec_b64 s[2:3], vcc
	s_cbranch_execz .LBB113_270
; %bb.269:
	ds_read2_b32 v[226:227], v175 offset0:49 offset1:50
	ds_read2_b32 v[228:229], v175 offset0:51 offset1:52
	ds_read2_b32 v[230:231], v175 offset0:53 offset1:54
	ds_read2_b32 v[232:233], v175 offset0:55 offset1:56
	s_waitcnt vmcnt(8) lgkmcnt(4)
	v_mul_f32_e32 v234, v224, v145
	s_waitcnt vmcnt(6) lgkmcnt(3)
	v_pk_fma_f32 v[164:165], v[234:235], v[226:227], v[164:165] op_sel_hi:[0,1,1] neg_lo:[1,0,0] neg_hi:[1,0,0]
	s_waitcnt vmcnt(4) lgkmcnt(2)
	v_pk_fma_f32 v[166:167], v[234:235], v[228:229], v[166:167] op_sel_hi:[0,1,1] neg_lo:[1,0,0] neg_hi:[1,0,0]
	;; [unrolled: 2-line block ×4, first 2 shown]
	v_mov_b32_e32 v145, v234
.LBB113_270:
	s_or_b64 exec, exec, s[2:3]
	v_cmp_eq_u32_e32 vcc, 49, v25
	s_waitcnt lgkmcnt(0)
	s_barrier
	s_and_saveexec_b64 s[2:3], vcc
	s_cbranch_execz .LBB113_273
; %bb.271:
	s_waitcnt vmcnt(4)
	v_pk_mov_b32 v[226:227], v[164:165], v[166:167] op_sel:[1,0]
	ds_write_b32 v174, v164
	ds_write2_b32 v175, v226, v227 offset0:50 offset1:51
	s_waitcnt vmcnt(2)
	v_pk_mov_b32 v[226:227], v[166:167], v[168:169] op_sel:[1,0]
	ds_write2_b32 v175, v226, v227 offset0:52 offset1:53
	s_waitcnt vmcnt(0)
	v_pk_mov_b32 v[226:227], v[168:169], v[170:171] op_sel:[1,0]
	ds_write2_b32 v175, v226, v227 offset0:54 offset1:55
	ds_write_b32 v175, v171 offset:224
	ds_read_b32 v225, v174
	s_waitcnt lgkmcnt(0)
	v_cmp_neq_f32_e32 vcc, 0, v225
	s_and_b64 exec, exec, vcc
	s_cbranch_execz .LBB113_273
; %bb.272:
	v_div_scale_f32 v226, s[4:5], v225, v225, 1.0
	v_rcp_f32_e32 v227, v226
	v_div_scale_f32 v228, vcc, 1.0, v225, 1.0
	v_fma_f32 v229, -v226, v227, 1.0
	v_fmac_f32_e32 v227, v229, v227
	v_mul_f32_e32 v229, v228, v227
	v_fma_f32 v230, -v226, v229, v228
	v_fmac_f32_e32 v229, v230, v227
	v_fma_f32 v226, -v226, v229, v228
	v_div_fmas_f32 v226, v226, v227, v229
	v_div_fixup_f32 v225, v226, v225, 1.0
	ds_write_b32 v174, v225
.LBB113_273:
	s_or_b64 exec, exec, s[2:3]
	s_waitcnt lgkmcnt(0)
	s_barrier
	ds_read_b32 v225, v174
	v_cmp_lt_u32_e32 vcc, 49, v25
	s_and_saveexec_b64 s[2:3], vcc
	s_cbranch_execz .LBB113_275
; %bb.274:
	ds_read_b32 v232, v175 offset:200
	ds_read2_b32 v[226:227], v175 offset0:51 offset1:52
	ds_read2_b32 v[228:229], v175 offset0:53 offset1:54
	;; [unrolled: 1-line block ×3, first 2 shown]
	s_waitcnt vmcnt(7) lgkmcnt(4)
	v_mul_f32_e32 v164, v225, v164
	s_waitcnt vmcnt(6) lgkmcnt(3)
	v_fma_f32 v165, -v164, v232, v165
	s_waitcnt vmcnt(4) lgkmcnt(2)
	v_pk_fma_f32 v[166:167], v[164:165], v[226:227], v[166:167] op_sel_hi:[0,1,1] neg_lo:[1,0,0] neg_hi:[1,0,0]
	s_waitcnt vmcnt(2) lgkmcnt(1)
	v_pk_fma_f32 v[168:169], v[164:165], v[228:229], v[168:169] op_sel_hi:[0,1,1] neg_lo:[1,0,0] neg_hi:[1,0,0]
	;; [unrolled: 2-line block ×3, first 2 shown]
.LBB113_275:
	s_or_b64 exec, exec, s[2:3]
	v_cmp_ne_u32_e32 vcc, 50, v25
	s_waitcnt lgkmcnt(0)
	s_barrier
	s_and_saveexec_b64 s[2:3], vcc
	s_xor_b64 s[2:3], exec, s[2:3]
	s_andn2_saveexec_b64 s[2:3], s[2:3]
	s_cbranch_execz .LBB113_279
; %bb.276:
	s_waitcnt vmcnt(6)
	ds_write_b32 v174, v165
	s_waitcnt vmcnt(4)
	ds_write2_b32 v175, v166, v167 offset0:51 offset1:52
	s_waitcnt vmcnt(2)
	ds_write2_b32 v175, v168, v169 offset0:53 offset1:54
	;; [unrolled: 2-line block ×3, first 2 shown]
	ds_read_b32 v226, v174
	s_waitcnt lgkmcnt(0)
	v_cmp_neq_f32_e32 vcc, 0, v226
	s_and_saveexec_b64 s[4:5], vcc
	s_cbranch_execz .LBB113_278
; %bb.277:
	v_div_scale_f32 v227, s[10:11], v226, v226, 1.0
	v_rcp_f32_e32 v228, v227
	v_div_scale_f32 v229, vcc, 1.0, v226, 1.0
	v_fma_f32 v230, -v227, v228, 1.0
	v_fmac_f32_e32 v228, v230, v228
	v_mul_f32_e32 v230, v229, v228
	v_fma_f32 v231, -v227, v230, v229
	v_fmac_f32_e32 v230, v231, v228
	v_fma_f32 v227, -v227, v230, v229
	v_div_fmas_f32 v227, v227, v228, v230
	v_div_fixup_f32 v226, v227, v226, 1.0
	ds_write_b32 v174, v226
.LBB113_278:
	s_or_b64 exec, exec, s[4:5]
.LBB113_279:
	s_or_b64 exec, exec, s[2:3]
	s_waitcnt lgkmcnt(0)
	s_barrier
	ds_read_b32 v226, v174
	v_cmp_lt_u32_e32 vcc, 50, v25
	s_and_saveexec_b64 s[2:3], vcc
	s_cbranch_execz .LBB113_281
; %bb.280:
	ds_read2_b32 v[228:229], v175 offset0:51 offset1:52
	ds_read2_b32 v[230:231], v175 offset0:53 offset1:54
	;; [unrolled: 1-line block ×3, first 2 shown]
	s_waitcnt vmcnt(6) lgkmcnt(3)
	v_mul_f32_e32 v234, v226, v165
	v_mov_b32_e32 v165, v234
	s_waitcnt vmcnt(4) lgkmcnt(2)
	v_pk_fma_f32 v[166:167], v[234:235], v[228:229], v[166:167] op_sel_hi:[0,1,1] neg_lo:[1,0,0] neg_hi:[1,0,0]
	s_waitcnt vmcnt(2) lgkmcnt(1)
	v_pk_fma_f32 v[168:169], v[234:235], v[230:231], v[168:169] op_sel_hi:[0,1,1] neg_lo:[1,0,0] neg_hi:[1,0,0]
	s_waitcnt vmcnt(0) lgkmcnt(0)
	v_pk_fma_f32 v[170:171], v[234:235], v[232:233], v[170:171] op_sel_hi:[0,1,1] neg_lo:[1,0,0] neg_hi:[1,0,0]
.LBB113_281:
	s_or_b64 exec, exec, s[2:3]
	v_cmp_eq_u32_e32 vcc, 51, v25
	s_waitcnt lgkmcnt(0)
	s_barrier
	s_and_saveexec_b64 s[2:3], vcc
	s_cbranch_execz .LBB113_284
; %bb.282:
	s_waitcnt vmcnt(2)
	v_pk_mov_b32 v[228:229], v[166:167], v[168:169] op_sel:[1,0]
	ds_write_b32 v174, v166
	ds_write2_b32 v175, v228, v229 offset0:52 offset1:53
	s_waitcnt vmcnt(0)
	v_pk_mov_b32 v[228:229], v[168:169], v[170:171] op_sel:[1,0]
	ds_write2_b32 v175, v228, v229 offset0:54 offset1:55
	ds_write_b32 v175, v171 offset:224
	ds_read_b32 v227, v174
	s_waitcnt lgkmcnt(0)
	v_cmp_neq_f32_e32 vcc, 0, v227
	s_and_b64 exec, exec, vcc
	s_cbranch_execz .LBB113_284
; %bb.283:
	v_div_scale_f32 v228, s[4:5], v227, v227, 1.0
	v_rcp_f32_e32 v229, v228
	v_div_scale_f32 v230, vcc, 1.0, v227, 1.0
	v_fma_f32 v231, -v228, v229, 1.0
	v_fmac_f32_e32 v229, v231, v229
	v_mul_f32_e32 v231, v230, v229
	v_fma_f32 v232, -v228, v231, v230
	v_fmac_f32_e32 v231, v232, v229
	v_fma_f32 v228, -v228, v231, v230
	v_div_fmas_f32 v228, v228, v229, v231
	v_div_fixup_f32 v227, v228, v227, 1.0
	ds_write_b32 v174, v227
.LBB113_284:
	s_or_b64 exec, exec, s[2:3]
	s_waitcnt lgkmcnt(0)
	s_barrier
	ds_read_b32 v227, v174
	v_cmp_lt_u32_e32 vcc, 51, v25
	s_and_saveexec_b64 s[2:3], vcc
	s_cbranch_execz .LBB113_286
; %bb.285:
	ds_read_b32 v232, v175 offset:208
	ds_read2_b32 v[228:229], v175 offset0:53 offset1:54
	ds_read2_b32 v[230:231], v175 offset0:55 offset1:56
	s_waitcnt vmcnt(5) lgkmcnt(3)
	v_mul_f32_e32 v166, v227, v166
	s_waitcnt vmcnt(4) lgkmcnt(2)
	v_fma_f32 v167, -v166, v232, v167
	s_waitcnt vmcnt(2) lgkmcnt(1)
	v_pk_fma_f32 v[168:169], v[166:167], v[228:229], v[168:169] op_sel_hi:[0,1,1] neg_lo:[1,0,0] neg_hi:[1,0,0]
	s_waitcnt vmcnt(0) lgkmcnt(0)
	v_pk_fma_f32 v[170:171], v[166:167], v[230:231], v[170:171] op_sel_hi:[0,1,1] neg_lo:[1,0,0] neg_hi:[1,0,0]
.LBB113_286:
	s_or_b64 exec, exec, s[2:3]
	v_cmp_ne_u32_e32 vcc, 52, v25
	s_waitcnt lgkmcnt(0)
	s_barrier
	s_and_saveexec_b64 s[2:3], vcc
	s_xor_b64 s[2:3], exec, s[2:3]
	s_andn2_saveexec_b64 s[2:3], s[2:3]
	s_cbranch_execz .LBB113_290
; %bb.287:
	s_waitcnt vmcnt(4)
	ds_write_b32 v174, v167
	s_waitcnt vmcnt(2)
	ds_write2_b32 v175, v168, v169 offset0:53 offset1:54
	s_waitcnt vmcnt(0)
	ds_write2_b32 v175, v170, v171 offset0:55 offset1:56
	ds_read_b32 v228, v174
	s_waitcnt lgkmcnt(0)
	v_cmp_neq_f32_e32 vcc, 0, v228
	s_and_saveexec_b64 s[4:5], vcc
	s_cbranch_execz .LBB113_289
; %bb.288:
	v_div_scale_f32 v229, s[10:11], v228, v228, 1.0
	v_rcp_f32_e32 v230, v229
	v_div_scale_f32 v231, vcc, 1.0, v228, 1.0
	v_fma_f32 v232, -v229, v230, 1.0
	v_fmac_f32_e32 v230, v232, v230
	v_mul_f32_e32 v232, v231, v230
	v_fma_f32 v233, -v229, v232, v231
	v_fmac_f32_e32 v232, v233, v230
	v_fma_f32 v229, -v229, v232, v231
	v_div_fmas_f32 v229, v229, v230, v232
	v_div_fixup_f32 v228, v229, v228, 1.0
	ds_write_b32 v174, v228
.LBB113_289:
	s_or_b64 exec, exec, s[4:5]
.LBB113_290:
	s_or_b64 exec, exec, s[2:3]
	s_waitcnt lgkmcnt(0)
	s_barrier
	ds_read_b32 v228, v174
	v_cmp_lt_u32_e32 vcc, 52, v25
	s_and_saveexec_b64 s[2:3], vcc
	s_cbranch_execz .LBB113_292
; %bb.291:
	ds_read2_b32 v[230:231], v175 offset0:53 offset1:54
	ds_read2_b32 v[232:233], v175 offset0:55 offset1:56
	s_waitcnt vmcnt(4) lgkmcnt(2)
	v_mul_f32_e32 v234, v228, v167
	v_mov_b32_e32 v167, v234
	s_waitcnt vmcnt(2) lgkmcnt(1)
	v_pk_fma_f32 v[168:169], v[234:235], v[230:231], v[168:169] op_sel_hi:[0,1,1] neg_lo:[1,0,0] neg_hi:[1,0,0]
	s_waitcnt vmcnt(0) lgkmcnt(0)
	v_pk_fma_f32 v[170:171], v[234:235], v[232:233], v[170:171] op_sel_hi:[0,1,1] neg_lo:[1,0,0] neg_hi:[1,0,0]
.LBB113_292:
	s_or_b64 exec, exec, s[2:3]
	v_cmp_eq_u32_e32 vcc, 53, v25
	s_waitcnt lgkmcnt(0)
	s_barrier
	s_and_saveexec_b64 s[2:3], vcc
	s_cbranch_execz .LBB113_295
; %bb.293:
	s_waitcnt vmcnt(0)
	v_pk_mov_b32 v[230:231], v[168:169], v[170:171] op_sel:[1,0]
	ds_write_b32 v174, v168
	ds_write2_b32 v175, v230, v231 offset0:54 offset1:55
	ds_write_b32 v175, v171 offset:224
	ds_read_b32 v229, v174
	s_waitcnt lgkmcnt(0)
	v_cmp_neq_f32_e32 vcc, 0, v229
	s_and_b64 exec, exec, vcc
	s_cbranch_execz .LBB113_295
; %bb.294:
	v_div_scale_f32 v230, s[4:5], v229, v229, 1.0
	v_rcp_f32_e32 v231, v230
	v_div_scale_f32 v232, vcc, 1.0, v229, 1.0
	v_fma_f32 v233, -v230, v231, 1.0
	v_fmac_f32_e32 v231, v233, v231
	v_mul_f32_e32 v233, v232, v231
	v_fma_f32 v234, -v230, v233, v232
	v_fmac_f32_e32 v233, v234, v231
	v_fma_f32 v230, -v230, v233, v232
	v_div_fmas_f32 v230, v230, v231, v233
	v_div_fixup_f32 v229, v230, v229, 1.0
	ds_write_b32 v174, v229
.LBB113_295:
	s_or_b64 exec, exec, s[2:3]
	s_waitcnt lgkmcnt(0)
	s_barrier
	ds_read_b32 v229, v174
	v_cmp_lt_u32_e32 vcc, 53, v25
	s_and_saveexec_b64 s[2:3], vcc
	s_cbranch_execz .LBB113_297
; %bb.296:
	ds_read_b32 v232, v175 offset:216
	ds_read2_b32 v[230:231], v175 offset0:55 offset1:56
	s_waitcnt vmcnt(3) lgkmcnt(2)
	v_mul_f32_e32 v168, v229, v168
	s_waitcnt vmcnt(2) lgkmcnt(1)
	v_fma_f32 v169, -v168, v232, v169
	s_waitcnt vmcnt(0) lgkmcnt(0)
	v_pk_fma_f32 v[170:171], v[168:169], v[230:231], v[170:171] op_sel_hi:[0,1,1] neg_lo:[1,0,0] neg_hi:[1,0,0]
.LBB113_297:
	s_or_b64 exec, exec, s[2:3]
	v_cmp_ne_u32_e32 vcc, 54, v25
	s_waitcnt lgkmcnt(0)
	s_barrier
	s_and_saveexec_b64 s[2:3], vcc
	s_xor_b64 s[2:3], exec, s[2:3]
	s_andn2_saveexec_b64 s[2:3], s[2:3]
	s_cbranch_execz .LBB113_301
; %bb.298:
	s_waitcnt vmcnt(2)
	ds_write_b32 v174, v169
	s_waitcnt vmcnt(0)
	ds_write2_b32 v175, v170, v171 offset0:55 offset1:56
	ds_read_b32 v230, v174
	s_waitcnt lgkmcnt(0)
	v_cmp_neq_f32_e32 vcc, 0, v230
	s_and_saveexec_b64 s[4:5], vcc
	s_cbranch_execz .LBB113_300
; %bb.299:
	v_div_scale_f32 v231, s[10:11], v230, v230, 1.0
	v_rcp_f32_e32 v232, v231
	v_div_scale_f32 v233, vcc, 1.0, v230, 1.0
	v_fma_f32 v234, -v231, v232, 1.0
	v_fmac_f32_e32 v232, v234, v232
	v_mul_f32_e32 v234, v233, v232
	v_fma_f32 v235, -v231, v234, v233
	v_fmac_f32_e32 v234, v235, v232
	v_fma_f32 v231, -v231, v234, v233
	v_div_fmas_f32 v231, v231, v232, v234
	v_div_fixup_f32 v230, v231, v230, 1.0
	ds_write_b32 v174, v230
.LBB113_300:
	s_or_b64 exec, exec, s[4:5]
.LBB113_301:
	s_or_b64 exec, exec, s[2:3]
	s_waitcnt lgkmcnt(0)
	s_barrier
	ds_read_b32 v230, v174
	v_cmp_lt_u32_e32 vcc, 54, v25
	s_and_saveexec_b64 s[2:3], vcc
	s_cbranch_execz .LBB113_303
; %bb.302:
	ds_read2_b32 v[232:233], v175 offset0:55 offset1:56
	s_waitcnt vmcnt(2) lgkmcnt(1)
	v_mul_f32_e32 v234, v230, v169
	v_mov_b32_e32 v169, v234
	s_waitcnt vmcnt(0) lgkmcnt(0)
	v_pk_fma_f32 v[170:171], v[234:235], v[232:233], v[170:171] op_sel_hi:[0,1,1] neg_lo:[1,0,0] neg_hi:[1,0,0]
.LBB113_303:
	s_or_b64 exec, exec, s[2:3]
	v_cmp_eq_u32_e32 vcc, 55, v25
	s_waitcnt lgkmcnt(0)
	s_barrier
	s_and_saveexec_b64 s[2:3], vcc
	s_cbranch_execz .LBB113_306
; %bb.304:
	s_waitcnt vmcnt(1)
	ds_write_b32 v174, v170
	s_waitcnt vmcnt(0)
	ds_write_b32 v175, v171 offset:224
	ds_read_b32 v231, v174
	s_waitcnt lgkmcnt(0)
	v_cmp_neq_f32_e32 vcc, 0, v231
	s_and_b64 exec, exec, vcc
	s_cbranch_execz .LBB113_306
; %bb.305:
	v_div_scale_f32 v232, s[4:5], v231, v231, 1.0
	v_rcp_f32_e32 v233, v232
	v_div_scale_f32 v234, vcc, 1.0, v231, 1.0
	v_fma_f32 v235, -v232, v233, 1.0
	v_fmac_f32_e32 v233, v235, v233
	v_mul_f32_e32 v235, v234, v233
	v_fma_f32 v236, -v232, v235, v234
	v_fmac_f32_e32 v235, v236, v233
	v_fma_f32 v232, -v232, v235, v234
	v_div_fmas_f32 v232, v232, v233, v235
	v_div_fixup_f32 v231, v232, v231, 1.0
	ds_write_b32 v174, v231
.LBB113_306:
	s_or_b64 exec, exec, s[2:3]
	s_waitcnt lgkmcnt(0)
	s_barrier
	ds_read_b32 v231, v174
	v_cmp_lt_u32_e32 vcc, 55, v25
	s_and_saveexec_b64 s[2:3], vcc
	s_cbranch_execz .LBB113_308
; %bb.307:
	ds_read_b32 v175, v175 offset:224
	s_waitcnt vmcnt(1) lgkmcnt(1)
	v_mul_f32_e32 v170, v231, v170
	s_waitcnt vmcnt(0) lgkmcnt(0)
	v_fma_f32 v171, -v170, v175, v171
.LBB113_308:
	s_or_b64 exec, exec, s[2:3]
	v_cmp_ne_u32_e32 vcc, 56, v25
	s_waitcnt lgkmcnt(0)
	s_barrier
	s_and_saveexec_b64 s[2:3], vcc
	s_xor_b64 s[2:3], exec, s[2:3]
	s_andn2_saveexec_b64 s[2:3], s[2:3]
	s_cbranch_execz .LBB113_312
; %bb.309:
	s_waitcnt vmcnt(0)
	v_cmp_neq_f32_e32 vcc, 0, v171
	ds_write_b32 v174, v171
	s_and_saveexec_b64 s[4:5], vcc
	s_cbranch_execz .LBB113_311
; %bb.310:
	v_div_scale_f32 v175, s[10:11], v171, v171, 1.0
	v_rcp_f32_e32 v232, v175
	v_div_scale_f32 v233, vcc, 1.0, v171, 1.0
	v_fma_f32 v234, -v175, v232, 1.0
	v_fmac_f32_e32 v232, v234, v232
	v_mul_f32_e32 v234, v233, v232
	v_fma_f32 v235, -v175, v234, v233
	v_fmac_f32_e32 v234, v235, v232
	v_fma_f32 v175, -v175, v234, v233
	v_div_fmas_f32 v175, v175, v232, v234
	v_div_fixup_f32 v175, v175, v171, 1.0
	ds_write_b32 v174, v175
.LBB113_311:
	s_or_b64 exec, exec, s[4:5]
.LBB113_312:
	s_or_b64 exec, exec, s[2:3]
	s_waitcnt lgkmcnt(0)
	s_barrier
	ds_read_b32 v174, v174
	s_waitcnt lgkmcnt(0)
	s_barrier
	s_and_saveexec_b64 s[2:3], s[0:1]
	s_cbranch_execz .LBB113_315
; %bb.313:
	v_cmp_eq_f32_e32 vcc, 0, v176
	v_cmp_neq_f32_e64 s[0:1], 0, v177
	v_mov_b32_e32 v176, s6
	v_cndmask_b32_e64 v175, 0, 1, vcc
	s_or_b64 vcc, s[0:1], vcc
	v_cndmask_b32_e32 v175, 2, v175, vcc
	v_cmp_eq_f32_e32 vcc, 0, v178
	v_cmp_eq_u32_e64 s[0:1], 0, v175
	s_and_b64 s[0:1], vcc, s[0:1]
	v_cmp_eq_f32_e32 vcc, 0, v179
	v_cndmask_b32_e64 v175, v175, 3, s[0:1]
	v_cmp_eq_u32_e64 s[0:1], 0, v175
	s_and_b64 s[0:1], vcc, s[0:1]
	v_cmp_eq_f32_e32 vcc, 0, v180
	v_cndmask_b32_e64 v175, v175, 4, s[0:1]
	;; [unrolled: 4-line block ×27, first 2 shown]
	v_cmp_eq_u32_e64 s[0:1], 0, v175
	s_and_b64 s[0:1], vcc, s[0:1]
	v_mov_b32_e32 v177, s7
	v_cndmask_b32_e64 v175, v175, 30, s[0:1]
	v_cmp_eq_f32_e32 vcc, 0, v206
	v_cmp_eq_u32_e64 s[0:1], 0, v175
	v_lshl_add_u64 v[34:35], v[34:35], 2, v[176:177]
	s_and_b64 s[0:1], vcc, s[0:1]
	global_load_dword v176, v[34:35], off
	v_cndmask_b32_e64 v175, v175, 31, s[0:1]
	v_cmp_eq_f32_e32 vcc, 0, v207
	v_cmp_eq_u32_e64 s[0:1], 0, v175
	s_and_b64 s[0:1], vcc, s[0:1]
	v_cmp_eq_f32_e32 vcc, 0, v208
	v_cndmask_b32_e64 v175, v175, 32, s[0:1]
	v_cmp_eq_u32_e64 s[0:1], 0, v175
	s_and_b64 s[0:1], vcc, s[0:1]
	v_cmp_eq_f32_e32 vcc, 0, v209
	v_cndmask_b32_e64 v175, v175, 33, s[0:1]
	;; [unrolled: 4-line block ×25, first 2 shown]
	v_cmp_eq_u32_e64 s[0:1], 0, v175
	s_and_b64 s[0:1], vcc, s[0:1]
	s_waitcnt vmcnt(0)
	v_cmp_eq_u32_e32 vcc, 0, v176
	v_cndmask_b32_e64 v175, v175, 57, s[0:1]
	v_cmp_ne_u32_e64 s[0:1], 0, v175
	s_and_b64 s[0:1], vcc, s[0:1]
	s_and_b64 exec, exec, s[0:1]
	s_cbranch_execz .LBB113_315
; %bb.314:
	v_add_u32_e32 v175, s9, v175
	global_store_dword v[34:35], v175, off
.LBB113_315:
	s_or_b64 exec, exec, s[2:3]
	s_waitcnt vmcnt(0)
	v_mul_f32_e32 v34, v174, v171
	v_cmp_lt_u32_e32 vcc, 56, v25
	s_nop 1
	v_cndmask_b32_e32 v25, v171, v34, vcc
	global_store_dword v[0:1], v24, off
	global_store_dword v[2:3], v18, off
	;; [unrolled: 1-line block ×57, first 2 shown]
.LBB113_316:
	s_endpgm
	.section	.rodata,"a",@progbits
	.p2align	6, 0x0
	.amdhsa_kernel _ZN9rocsolver6v33100L23getf2_npvt_small_kernelILi57EfiiPfEEvT1_T3_lS3_lPT2_S3_S3_
		.amdhsa_group_segment_fixed_size 0
		.amdhsa_private_segment_fixed_size 0
		.amdhsa_kernarg_size 312
		.amdhsa_user_sgpr_count 2
		.amdhsa_user_sgpr_dispatch_ptr 0
		.amdhsa_user_sgpr_queue_ptr 0
		.amdhsa_user_sgpr_kernarg_segment_ptr 1
		.amdhsa_user_sgpr_dispatch_id 0
		.amdhsa_user_sgpr_kernarg_preload_length 0
		.amdhsa_user_sgpr_kernarg_preload_offset 0
		.amdhsa_user_sgpr_private_segment_size 0
		.amdhsa_uses_dynamic_stack 0
		.amdhsa_enable_private_segment 0
		.amdhsa_system_sgpr_workgroup_id_x 1
		.amdhsa_system_sgpr_workgroup_id_y 1
		.amdhsa_system_sgpr_workgroup_id_z 0
		.amdhsa_system_sgpr_workgroup_info 0
		.amdhsa_system_vgpr_workitem_id 1
		.amdhsa_next_free_vgpr 237
		.amdhsa_next_free_sgpr 16
		.amdhsa_accum_offset 240
		.amdhsa_reserve_vcc 1
		.amdhsa_float_round_mode_32 0
		.amdhsa_float_round_mode_16_64 0
		.amdhsa_float_denorm_mode_32 3
		.amdhsa_float_denorm_mode_16_64 3
		.amdhsa_dx10_clamp 1
		.amdhsa_ieee_mode 1
		.amdhsa_fp16_overflow 0
		.amdhsa_tg_split 0
		.amdhsa_exception_fp_ieee_invalid_op 0
		.amdhsa_exception_fp_denorm_src 0
		.amdhsa_exception_fp_ieee_div_zero 0
		.amdhsa_exception_fp_ieee_overflow 0
		.amdhsa_exception_fp_ieee_underflow 0
		.amdhsa_exception_fp_ieee_inexact 0
		.amdhsa_exception_int_div_zero 0
	.end_amdhsa_kernel
	.section	.text._ZN9rocsolver6v33100L23getf2_npvt_small_kernelILi57EfiiPfEEvT1_T3_lS3_lPT2_S3_S3_,"axG",@progbits,_ZN9rocsolver6v33100L23getf2_npvt_small_kernelILi57EfiiPfEEvT1_T3_lS3_lPT2_S3_S3_,comdat
.Lfunc_end113:
	.size	_ZN9rocsolver6v33100L23getf2_npvt_small_kernelILi57EfiiPfEEvT1_T3_lS3_lPT2_S3_S3_, .Lfunc_end113-_ZN9rocsolver6v33100L23getf2_npvt_small_kernelILi57EfiiPfEEvT1_T3_lS3_lPT2_S3_S3_
                                        ; -- End function
	.set _ZN9rocsolver6v33100L23getf2_npvt_small_kernelILi57EfiiPfEEvT1_T3_lS3_lPT2_S3_S3_.num_vgpr, 237
	.set _ZN9rocsolver6v33100L23getf2_npvt_small_kernelILi57EfiiPfEEvT1_T3_lS3_lPT2_S3_S3_.num_agpr, 0
	.set _ZN9rocsolver6v33100L23getf2_npvt_small_kernelILi57EfiiPfEEvT1_T3_lS3_lPT2_S3_S3_.numbered_sgpr, 16
	.set _ZN9rocsolver6v33100L23getf2_npvt_small_kernelILi57EfiiPfEEvT1_T3_lS3_lPT2_S3_S3_.num_named_barrier, 0
	.set _ZN9rocsolver6v33100L23getf2_npvt_small_kernelILi57EfiiPfEEvT1_T3_lS3_lPT2_S3_S3_.private_seg_size, 0
	.set _ZN9rocsolver6v33100L23getf2_npvt_small_kernelILi57EfiiPfEEvT1_T3_lS3_lPT2_S3_S3_.uses_vcc, 1
	.set _ZN9rocsolver6v33100L23getf2_npvt_small_kernelILi57EfiiPfEEvT1_T3_lS3_lPT2_S3_S3_.uses_flat_scratch, 0
	.set _ZN9rocsolver6v33100L23getf2_npvt_small_kernelILi57EfiiPfEEvT1_T3_lS3_lPT2_S3_S3_.has_dyn_sized_stack, 0
	.set _ZN9rocsolver6v33100L23getf2_npvt_small_kernelILi57EfiiPfEEvT1_T3_lS3_lPT2_S3_S3_.has_recursion, 0
	.set _ZN9rocsolver6v33100L23getf2_npvt_small_kernelILi57EfiiPfEEvT1_T3_lS3_lPT2_S3_S3_.has_indirect_call, 0
	.section	.AMDGPU.csdata,"",@progbits
; Kernel info:
; codeLenInByte = 42920
; TotalNumSgprs: 22
; NumVgprs: 237
; NumAgprs: 0
; TotalNumVgprs: 237
; ScratchSize: 0
; MemoryBound: 0
; FloatMode: 240
; IeeeMode: 1
; LDSByteSize: 0 bytes/workgroup (compile time only)
; SGPRBlocks: 2
; VGPRBlocks: 29
; NumSGPRsForWavesPerEU: 22
; NumVGPRsForWavesPerEU: 237
; AccumOffset: 240
; Occupancy: 2
; WaveLimiterHint : 0
; COMPUTE_PGM_RSRC2:SCRATCH_EN: 0
; COMPUTE_PGM_RSRC2:USER_SGPR: 2
; COMPUTE_PGM_RSRC2:TRAP_HANDLER: 0
; COMPUTE_PGM_RSRC2:TGID_X_EN: 1
; COMPUTE_PGM_RSRC2:TGID_Y_EN: 1
; COMPUTE_PGM_RSRC2:TGID_Z_EN: 0
; COMPUTE_PGM_RSRC2:TIDIG_COMP_CNT: 1
; COMPUTE_PGM_RSRC3_GFX90A:ACCUM_OFFSET: 59
; COMPUTE_PGM_RSRC3_GFX90A:TG_SPLIT: 0
	.section	.text._ZN9rocsolver6v33100L18getf2_small_kernelILi58EfiiPfEEvT1_T3_lS3_lPS3_llPT2_S3_S3_S5_l,"axG",@progbits,_ZN9rocsolver6v33100L18getf2_small_kernelILi58EfiiPfEEvT1_T3_lS3_lPS3_llPT2_S3_S3_S5_l,comdat
	.globl	_ZN9rocsolver6v33100L18getf2_small_kernelILi58EfiiPfEEvT1_T3_lS3_lPS3_llPT2_S3_S3_S5_l ; -- Begin function _ZN9rocsolver6v33100L18getf2_small_kernelILi58EfiiPfEEvT1_T3_lS3_lPS3_llPT2_S3_S3_S5_l
	.p2align	8
	.type	_ZN9rocsolver6v33100L18getf2_small_kernelILi58EfiiPfEEvT1_T3_lS3_lPS3_llPT2_S3_S3_S5_l,@function
_ZN9rocsolver6v33100L18getf2_small_kernelILi58EfiiPfEEvT1_T3_lS3_lPS3_llPT2_S3_S3_S5_l: ; @_ZN9rocsolver6v33100L18getf2_small_kernelILi58EfiiPfEEvT1_T3_lS3_lPS3_llPT2_S3_S3_S5_l
; %bb.0:
	s_load_dword s2, s[0:1], 0x6c
	s_load_dwordx2 s[18:19], s[0:1], 0x48
	v_bfe_u32 v63, v0, 10, 10
	s_waitcnt lgkmcnt(0)
	s_lshr_b32 s2, s2, 16
	s_mul_i32 s3, s3, s2
	v_add_u32_e32 v2, s3, v63
	v_cmp_gt_i32_e32 vcc, s18, v2
	s_and_saveexec_b64 s[2:3], vcc
	s_cbranch_execz .LBB114_983
; %bb.1:
	s_load_dwordx4 s[4:7], s[0:1], 0x50
	v_ashrrev_i32_e32 v3, 31, v2
	v_mov_b64_e32 v[4:5], 0
	s_waitcnt lgkmcnt(0)
	s_cmp_eq_u64 s[4:5], 0
	s_cselect_b64 s[20:21], -1, 0
	s_and_b64 vcc, exec, s[20:21]
	s_cbranch_vccnz .LBB114_3
; %bb.2:
	v_mul_lo_u32 v1, s7, v2
	v_mul_lo_u32 v6, s6, v3
	v_mad_u64_u32 v[4:5], s[2:3], s6, v2, 0
	v_add3_u32 v5, v5, v6, v1
	v_lshl_add_u64 v[4:5], v[4:5], 2, s[4:5]
.LBB114_3:
	s_load_dwordx4 s[12:15], s[0:1], 0x8
	s_load_dwordx8 s[4:11], s[0:1], 0x20
	s_load_dword s16, s[0:1], 0x18
	s_load_dword s22, s[0:1], 0x0
	v_and_b32_e32 v78, 0x3ff, v0
	s_waitcnt lgkmcnt(0)
	v_mov_b32_e32 v6, s12
	v_mul_lo_u32 v1, s5, v2
	v_mul_lo_u32 v10, s4, v3
	v_mad_u64_u32 v[8:9], s[2:3], s4, v2, 0
	v_mov_b32_e32 v7, s13
	v_add3_u32 v9, v9, v10, v1
	s_add_i32 s18, s16, s16
	v_lshl_add_u64 v[6:7], v[8:9], 2, v[6:7]
	v_add_u32_e32 v0, s18, v78
	v_lshl_add_u64 v[6:7], s[14:15], 2, v[6:7]
	v_ashrrev_i32_e32 v1, 31, v0
	v_lshl_add_u64 v[64:65], v[0:1], 2, v[6:7]
	v_add_u32_e32 v0, s16, v0
	v_ashrrev_i32_e32 v1, 31, v0
	v_lshl_add_u64 v[66:67], v[0:1], 2, v[6:7]
	v_add_u32_e32 v0, s16, v0
	;; [unrolled: 3-line block ×14, first 2 shown]
	v_ashrrev_i32_e32 v1, 31, v0
	global_load_dword v54, v[8:9], off
	global_load_dword v55, v[10:11], off
	global_load_dword v50, v[12:13], off
	global_load_dword v51, v[14:15], off
	global_load_dword v44, v[16:17], off
	global_load_dword v45, v[18:19], off
	global_load_dword v36, v[20:21], off
	global_load_dword v37, v[22:23], off
	v_lshl_add_u64 v[8:9], v[0:1], 2, v[6:7]
	v_add_u32_e32 v0, s16, v0
	v_ashrrev_i32_e32 v1, 31, v0
	v_lshl_add_u64 v[10:11], v[0:1], 2, v[6:7]
	v_add_u32_e32 v0, s16, v0
	v_ashrrev_i32_e32 v1, 31, v0
	v_lshl_add_u64 v[12:13], v[0:1], 2, v[6:7]
	v_add_u32_e32 v0, s16, v0
	v_ashrrev_i32_e32 v1, 31, v0
	v_lshl_add_u64 v[14:15], v[0:1], 2, v[6:7]
	v_add_u32_e32 v0, s16, v0
	v_ashrrev_i32_e32 v1, 31, v0
	v_lshl_add_u64 v[16:17], v[0:1], 2, v[6:7]
	v_add_u32_e32 v0, s16, v0
	v_ashrrev_i32_e32 v1, 31, v0
	v_lshl_add_u64 v[18:19], v[0:1], 2, v[6:7]
	v_add_u32_e32 v0, s16, v0
	v_ashrrev_i32_e32 v1, 31, v0
	v_lshl_add_u64 v[20:21], v[0:1], 2, v[6:7]
	v_add_u32_e32 v0, s16, v0
	v_ashrrev_i32_e32 v1, 31, v0
	v_lshl_add_u64 v[22:23], v[0:1], 2, v[6:7]
	v_add_u32_e32 v0, s16, v0
	v_ashrrev_i32_e32 v1, 31, v0
	global_load_dword v52, v[8:9], off
	global_load_dword v53, v[10:11], off
	global_load_dword v46, v[12:13], off
	global_load_dword v47, v[14:15], off
	global_load_dword v38, v[16:17], off
	global_load_dword v39, v[18:19], off
	global_load_dword v28, v[20:21], off
	global_load_dword v29, v[22:23], off
	v_lshl_add_u64 v[8:9], v[0:1], 2, v[6:7]
	v_add_u32_e32 v0, s16, v0
	v_ashrrev_i32_e32 v1, 31, v0
	v_lshl_add_u64 v[10:11], v[0:1], 2, v[6:7]
	v_add_u32_e32 v0, s16, v0
	v_ashrrev_i32_e32 v1, 31, v0
	v_lshl_add_u64 v[12:13], v[0:1], 2, v[6:7]
	v_add_u32_e32 v0, s16, v0
	v_ashrrev_i32_e32 v1, 31, v0
	v_lshl_add_u64 v[14:15], v[0:1], 2, v[6:7]
	v_add_u32_e32 v0, s16, v0
	v_ashrrev_i32_e32 v1, 31, v0
	v_lshl_add_u64 v[16:17], v[0:1], 2, v[6:7]
	v_add_u32_e32 v0, s16, v0
	v_ashrrev_i32_e32 v1, 31, v0
	v_lshl_add_u64 v[18:19], v[0:1], 2, v[6:7]
	v_add_u32_e32 v0, s16, v0
	v_ashrrev_i32_e32 v1, 31, v0
	v_lshl_add_u64 v[22:23], v[0:1], 2, v[6:7]
	v_add_u32_e32 v0, s16, v0
	v_ashrrev_i32_e32 v1, 31, v0
	v_lshl_add_u64 v[24:25], v[0:1], 2, v[6:7]
	v_add_u32_e32 v0, s16, v0
	;; [unrolled: 32-line block ×4, first 2 shown]
	v_ashrrev_i32_e32 v1, 31, v0
	global_load_dword v34, v[10:11], off
	global_load_dword v35, v[12:13], off
	;; [unrolled: 1-line block ×8, first 2 shown]
	v_lshl_add_u64 v[10:11], v[0:1], 2, v[6:7]
	v_add_u32_e32 v0, s16, v0
	v_ashrrev_i32_e32 v1, 31, v0
	v_lshl_add_u64 v[12:13], v[0:1], 2, v[6:7]
	v_add_u32_e32 v0, s16, v0
	v_ashrrev_i32_e32 v1, 31, v0
	;; [unrolled: 3-line block ×5, first 2 shown]
	v_lshl_add_u64 v[76:77], v[0:1], 2, v[6:7]
	v_add_u32_e32 v0, s16, v0
	v_add_u32_e32 v82, s16, v0
	v_ashrrev_i32_e32 v1, 31, v0
	v_ashrrev_i32_e32 v83, 31, v82
	v_lshl_add_u64 v[80:81], v[0:1], 2, v[6:7]
	v_lshl_add_u64 v[84:85], v[82:83], 2, v[6:7]
	global_load_dword v26, v[10:11], off
	global_load_dword v27, v[12:13], off
	;; [unrolled: 1-line block ×3, first 2 shown]
                                        ; kill: killed $vgpr10_vgpr11
                                        ; kill: killed $vgpr12_vgpr13
                                        ; kill: killed $vgpr56_vgpr57
	global_load_dword v19, v[58:59], off
	s_nop 0
	global_load_dword v10, v[60:61], off
	global_load_dword v11, v[76:77], off
	;; [unrolled: 1-line block ×4, first 2 shown]
	v_add_u32_e32 v12, s16, v82
	v_ashrrev_i32_e32 v13, 31, v12
	v_lshl_add_u64 v[56:57], v[12:13], 2, v[6:7]
	v_add_u32_e32 v12, s16, v12
	v_ashrrev_i32_e32 v13, 31, v12
	v_lshlrev_b32_e32 v76, 2, v78
	v_mov_b32_e32 v77, 0
	v_lshl_add_u64 v[58:59], v[12:13], 2, v[6:7]
	v_lshl_add_u64 v[60:61], v[6:7], 0, v[76:77]
	s_ashr_i32 s17, s16, 31
	global_load_dword v62, v[60:61], off
	global_load_dword v12, v[56:57], off
	;; [unrolled: 1-line block ×3, first 2 shown]
	v_lshl_add_u64 v[80:81], s[16:17], 2, v[60:61]
	global_load_dword v60, v[64:65], off
	global_load_dword v61, v[66:67], off
	;; [unrolled: 1-line block ×5, first 2 shown]
                                        ; kill: killed $vgpr74_vgpr75
                                        ; kill: killed $vgpr64_vgpr65
                                        ; kill: killed $vgpr66_vgpr67
                                        ; kill: killed $vgpr68_vgpr69
                                        ; kill: killed $vgpr70_vgpr71
	global_load_dword v57, v[72:73], off
	global_load_dword v64, v[80:81], off
	s_max_i32 s2, s22, 58
	v_mul_lo_u32 v66, s2, v63
	v_lshl_add_u32 v63, v66, 2, 0
	v_add_u32_e32 v65, v63, v76
	s_load_dwordx2 s[4:5], s[0:1], 0x40
	s_cmp_lt_i32 s22, 2
	v_lshlrev_b32_e32 v68, 2, v66
	s_waitcnt vmcnt(9)
	ds_write_b32 v65, v62
	s_waitcnt lgkmcnt(0)
	s_barrier
	ds_read_b32 v65, v63
	s_cbranch_scc1 .LBB114_6
; %bb.4:
	v_add3_u32 v66, v68, 0, 4
	v_mov_b32_e32 v77, 0
	s_mov_b32 s0, 1
.LBB114_5:                              ; =>This Inner Loop Header: Depth=1
	ds_read_b32 v67, v66
	v_mov_b32_e32 v69, s0
	s_add_i32 s0, s0, 1
	v_add_u32_e32 v66, 4, v66
	s_cmp_eq_u32 s22, s0
	s_waitcnt lgkmcnt(0)
	v_cmp_lt_f32_e64 vcc, |v65|, |v67|
	s_nop 1
	v_cndmask_b32_e32 v65, v65, v67, vcc
	v_cndmask_b32_e32 v77, v77, v69, vcc
	s_cbranch_scc0 .LBB114_5
.LBB114_6:
	v_cmp_ne_u32_e32 vcc, v78, v77
                                        ; implicit-def: $vgpr69
	s_and_saveexec_b64 s[0:1], vcc
	s_xor_b64 s[0:1], exec, s[0:1]
	s_cbranch_execz .LBB114_12
; %bb.7:
	v_cmp_eq_u32_e32 vcc, 0, v78
	s_and_saveexec_b64 s[2:3], vcc
	s_cbranch_execz .LBB114_11
; %bb.8:
	v_cmp_ne_u32_e32 vcc, 0, v77
	s_xor_b64 s[12:13], s[20:21], -1
	s_and_b64 s[14:15], s[12:13], vcc
	s_and_saveexec_b64 s[12:13], s[14:15]
	s_cbranch_execz .LBB114_10
; %bb.9:
	v_ashrrev_i32_e32 v67, 31, v77
	v_mov_b32_e32 v66, v77
	v_lshl_add_u64 v[66:67], v[66:67], 2, v[4:5]
	global_load_dword v69, v[66:67], off
	global_load_dword v70, v[4:5], off
	s_waitcnt vmcnt(1)
	global_store_dword v[4:5], v69, off
	s_waitcnt vmcnt(1)
	global_store_dword v[66:67], v70, off
.LBB114_10:
	s_or_b64 exec, exec, s[12:13]
	v_mov_b32_e32 v78, v77
.LBB114_11:
	s_or_b64 exec, exec, s[2:3]
	v_mov_b32_e32 v69, v78
                                        ; implicit-def: $vgpr78
.LBB114_12:
	s_or_saveexec_b64 s[0:1], s[0:1]
	v_mov_b32_e32 v67, v69
	s_xor_b64 exec, exec, s[0:1]
	s_cbranch_execz .LBB114_14
; %bb.13:
	v_mov_b32_e32 v69, 0
	v_mov_b32_e32 v67, v78
	s_waitcnt vmcnt(0)
	ds_write2_b32 v63, v64, v60 offset0:1 offset1:2
	ds_write2_b32 v63, v61, v58 offset0:3 offset1:4
	;; [unrolled: 1-line block ×28, first 2 shown]
	ds_write_b32 v63, v13 offset:228
.LBB114_14:
	s_or_b64 exec, exec, s[0:1]
	s_waitcnt lgkmcnt(0)
	v_cmp_eq_f32_e64 s[0:1], 0, v65
	v_cmp_lt_i32_e32 vcc, 0, v69
	s_barrier
	s_and_saveexec_b64 s[2:3], vcc
	s_cbranch_execz .LBB114_16
; %bb.15:
	v_div_scale_f32 v66, s[12:13], v65, v65, 1.0
	v_rcp_f32_e32 v70, v66
	v_div_scale_f32 v71, vcc, 1.0, v65, 1.0
	v_fma_f32 v72, -v66, v70, 1.0
	v_fmac_f32_e32 v70, v72, v70
	v_mul_f32_e32 v72, v71, v70
	v_fma_f32 v73, -v66, v72, v71
	v_fmac_f32_e32 v72, v73, v70
	v_fma_f32 v66, -v66, v72, v71
	v_div_fmas_f32 v66, v66, v70, v72
	ds_read2_b32 v[70:71], v63 offset0:2 offset1:3
	ds_read2_b32 v[72:73], v63 offset0:4 offset1:5
	v_div_fixup_f32 v66, v66, v65, 1.0
	v_cndmask_b32_e64 v65, v66, v65, s[0:1]
	v_mul_f32_e32 v62, v65, v62
	ds_read2_b32 v[74:75], v63 offset0:6 offset1:7
	ds_read_b32 v65, v63 offset:4
	s_waitcnt vmcnt(5) lgkmcnt(3)
	v_pk_fma_f32 v[60:61], v[62:63], v[70:71], v[60:61] op_sel_hi:[0,1,1] neg_lo:[1,0,0] neg_hi:[1,0,0]
	s_waitcnt vmcnt(3) lgkmcnt(2)
	v_pk_fma_f32 v[58:59], v[62:63], v[72:73], v[58:59] op_sel_hi:[0,1,1] neg_lo:[1,0,0] neg_hi:[1,0,0]
	ds_read2_b32 v[70:71], v63 offset0:8 offset1:9
	ds_read2_b32 v[72:73], v63 offset0:10 offset1:11
	ds_read2_b32 v[76:77], v63 offset0:12 offset1:13
	s_waitcnt vmcnt(1) lgkmcnt(4)
	v_pk_fma_f32 v[56:57], v[62:63], v[74:75], v[56:57] op_sel_hi:[0,1,1] neg_lo:[1,0,0] neg_hi:[1,0,0]
	ds_read2_b32 v[74:75], v63 offset0:14 offset1:15
	s_waitcnt lgkmcnt(3)
	v_pk_fma_f32 v[54:55], v[62:63], v[70:71], v[54:55] op_sel_hi:[0,1,1] neg_lo:[1,0,0] neg_hi:[1,0,0]
	s_waitcnt lgkmcnt(2)
	v_pk_fma_f32 v[50:51], v[62:63], v[72:73], v[50:51] op_sel_hi:[0,1,1] neg_lo:[1,0,0] neg_hi:[1,0,0]
	s_waitcnt lgkmcnt(1)
	v_pk_fma_f32 v[44:45], v[62:63], v[76:77], v[44:45] op_sel_hi:[0,1,1] neg_lo:[1,0,0] neg_hi:[1,0,0]
	ds_read2_b32 v[70:71], v63 offset0:16 offset1:17
	ds_read2_b32 v[72:73], v63 offset0:18 offset1:19
	ds_read2_b32 v[76:77], v63 offset0:20 offset1:21
	s_waitcnt lgkmcnt(3)
	v_pk_fma_f32 v[36:37], v[62:63], v[74:75], v[36:37] op_sel_hi:[0,1,1] neg_lo:[1,0,0] neg_hi:[1,0,0]
	ds_read2_b32 v[74:75], v63 offset0:22 offset1:23
	s_waitcnt lgkmcnt(3)
	v_pk_fma_f32 v[52:53], v[62:63], v[70:71], v[52:53] op_sel_hi:[0,1,1] neg_lo:[1,0,0] neg_hi:[1,0,0]
	s_waitcnt lgkmcnt(2)
	v_pk_fma_f32 v[46:47], v[62:63], v[72:73], v[46:47] op_sel_hi:[0,1,1] neg_lo:[1,0,0] neg_hi:[1,0,0]
	s_waitcnt lgkmcnt(1)
	v_pk_fma_f32 v[38:39], v[62:63], v[76:77], v[38:39] op_sel_hi:[0,1,1] neg_lo:[1,0,0] neg_hi:[1,0,0]
	ds_read2_b32 v[70:71], v63 offset0:24 offset1:25
	ds_read2_b32 v[72:73], v63 offset0:26 offset1:27
	ds_read2_b32 v[76:77], v63 offset0:28 offset1:29
	s_waitcnt lgkmcnt(3)
	;; [unrolled: 12-line block ×4, first 2 shown]
	v_pk_fma_f32 v[14:15], v[62:63], v[74:75], v[14:15] op_sel_hi:[0,1,1] neg_lo:[1,0,0] neg_hi:[1,0,0]
	ds_read2_b32 v[74:75], v63 offset0:46 offset1:47
	s_waitcnt lgkmcnt(3)
	v_pk_fma_f32 v[34:35], v[62:63], v[70:71], v[34:35] op_sel_hi:[0,1,1] neg_lo:[1,0,0] neg_hi:[1,0,0]
	ds_read2_b32 v[70:71], v63 offset0:48 offset1:49
	s_waitcnt lgkmcnt(3)
	v_pk_fma_f32 v[24:25], v[62:63], v[72:73], v[24:25] op_sel_hi:[0,1,1] neg_lo:[1,0,0] neg_hi:[1,0,0]
	s_waitcnt lgkmcnt(2)
	v_pk_fma_f32 v[16:17], v[62:63], v[76:77], v[16:17] op_sel_hi:[0,1,1] neg_lo:[1,0,0] neg_hi:[1,0,0]
	;; [unrolled: 2-line block ×3, first 2 shown]
	ds_read2_b32 v[72:73], v63 offset0:50 offset1:51
	ds_read2_b32 v[74:75], v63 offset0:52 offset1:53
	;; [unrolled: 1-line block ×3, first 2 shown]
	s_waitcnt lgkmcnt(3)
	v_pk_fma_f32 v[26:27], v[62:63], v[70:71], v[26:27] op_sel_hi:[0,1,1] neg_lo:[1,0,0] neg_hi:[1,0,0]
	ds_read2_b32 v[70:71], v63 offset0:56 offset1:57
	s_waitcnt lgkmcnt(3)
	v_pk_fma_f32 v[18:19], v[62:63], v[72:73], v[18:19] op_sel_hi:[0,1,1] neg_lo:[1,0,0] neg_hi:[1,0,0]
	s_waitcnt vmcnt(0)
	v_fma_f32 v64, -v62, v65, v64
	s_waitcnt lgkmcnt(2)
	v_pk_fma_f32 v[10:11], v[62:63], v[74:75], v[10:11] op_sel_hi:[0,1,1] neg_lo:[1,0,0] neg_hi:[1,0,0]
	s_waitcnt lgkmcnt(1)
	v_pk_fma_f32 v[0:1], v[62:63], v[76:77], v[0:1] op_sel_hi:[0,1,1] neg_lo:[1,0,0] neg_hi:[1,0,0]
	;; [unrolled: 2-line block ×3, first 2 shown]
.LBB114_16:
	s_or_b64 exec, exec, s[2:3]
	v_lshl_add_u32 v65, v69, 2, v63
	s_barrier
	s_waitcnt vmcnt(0)
	ds_write_b32 v65, v64
	s_waitcnt lgkmcnt(0)
	s_barrier
	ds_read_b32 v65, v63 offset:4
	s_mov_b32 s2, 2
	s_cmp_lt_i32 s22, 3
	v_mov_b32_e32 v66, 1
	s_cbranch_scc1 .LBB114_19
; %bb.17:
	v_add3_u32 v70, v68, 0, 8
	v_mov_b32_e32 v66, 1
.LBB114_18:                             ; =>This Inner Loop Header: Depth=1
	ds_read_b32 v71, v70
	v_mov_b32_e32 v72, s2
	s_add_i32 s2, s2, 1
	v_add_u32_e32 v70, 4, v70
	s_cmp_lg_u32 s22, s2
	s_waitcnt lgkmcnt(0)
	v_cmp_lt_f32_e64 vcc, |v65|, |v71|
	s_nop 1
	v_cndmask_b32_e32 v65, v65, v71, vcc
	v_cndmask_b32_e32 v66, v66, v72, vcc
	s_cbranch_scc1 .LBB114_18
.LBB114_19:
	v_cmp_ne_u32_e32 vcc, v69, v66
	s_and_saveexec_b64 s[2:3], vcc
	s_xor_b64 s[2:3], exec, s[2:3]
	s_cbranch_execz .LBB114_25
; %bb.20:
	v_cmp_eq_u32_e32 vcc, 1, v69
	s_and_saveexec_b64 s[12:13], vcc
	s_cbranch_execz .LBB114_24
; %bb.21:
	v_cmp_ne_u32_e32 vcc, 1, v66
	s_xor_b64 s[14:15], s[20:21], -1
	s_and_b64 s[24:25], s[14:15], vcc
	s_and_saveexec_b64 s[14:15], s[24:25]
	s_cbranch_execz .LBB114_23
; %bb.22:
	v_ashrrev_i32_e32 v67, 31, v66
	v_lshl_add_u64 v[70:71], v[66:67], 2, v[4:5]
	global_load_dword v67, v[70:71], off
	global_load_dword v69, v[4:5], off offset:4
	s_waitcnt vmcnt(1)
	global_store_dword v[4:5], v67, off offset:4
	s_waitcnt vmcnt(1)
	global_store_dword v[70:71], v69, off
.LBB114_23:
	s_or_b64 exec, exec, s[14:15]
	v_mov_b32_e32 v67, v66
	v_mov_b32_e32 v69, v66
.LBB114_24:
	s_or_b64 exec, exec, s[12:13]
.LBB114_25:
	s_andn2_saveexec_b64 s[2:3], s[2:3]
	s_cbranch_execz .LBB114_27
; %bb.26:
	v_mov_b32_e32 v69, 1
	ds_write2_b32 v63, v60, v61 offset0:2 offset1:3
	ds_write2_b32 v63, v58, v59 offset0:4 offset1:5
	;; [unrolled: 1-line block ×28, first 2 shown]
.LBB114_27:
	s_or_b64 exec, exec, s[2:3]
	s_waitcnt lgkmcnt(0)
	v_cmp_neq_f32_e64 s[2:3], 0, v65
	v_cmp_lt_i32_e32 vcc, 1, v69
	s_barrier
	s_and_saveexec_b64 s[12:13], vcc
	s_cbranch_execz .LBB114_29
; %bb.28:
	v_div_scale_f32 v66, s[14:15], v65, v65, 1.0
	v_rcp_f32_e32 v70, v66
	v_div_scale_f32 v71, vcc, 1.0, v65, 1.0
	v_fma_f32 v72, -v66, v70, 1.0
	v_fmac_f32_e32 v70, v72, v70
	v_mul_f32_e32 v72, v71, v70
	v_fma_f32 v73, -v66, v72, v71
	v_fmac_f32_e32 v72, v73, v70
	v_fma_f32 v66, -v66, v72, v71
	v_div_fmas_f32 v66, v66, v70, v72
	ds_read2_b32 v[70:71], v63 offset0:2 offset1:3
	ds_read2_b32 v[72:73], v63 offset0:4 offset1:5
	;; [unrolled: 1-line block ×3, first 2 shown]
	v_div_fixup_f32 v66, v66, v65, 1.0
	v_cndmask_b32_e64 v65, v65, v66, s[2:3]
	v_mul_f32_e32 v64, v65, v64
	ds_read2_b32 v[76:77], v63 offset0:8 offset1:9
	s_waitcnt lgkmcnt(3)
	v_pk_fma_f32 v[60:61], v[64:65], v[70:71], v[60:61] op_sel_hi:[0,1,1] neg_lo:[1,0,0] neg_hi:[1,0,0]
	s_waitcnt lgkmcnt(2)
	v_pk_fma_f32 v[58:59], v[64:65], v[72:73], v[58:59] op_sel_hi:[0,1,1] neg_lo:[1,0,0] neg_hi:[1,0,0]
	s_waitcnt lgkmcnt(1)
	v_pk_fma_f32 v[56:57], v[64:65], v[74:75], v[56:57] op_sel_hi:[0,1,1] neg_lo:[1,0,0] neg_hi:[1,0,0]
	ds_read2_b32 v[70:71], v63 offset0:10 offset1:11
	ds_read2_b32 v[72:73], v63 offset0:12 offset1:13
	ds_read2_b32 v[74:75], v63 offset0:14 offset1:15
	s_waitcnt lgkmcnt(3)
	v_pk_fma_f32 v[54:55], v[64:65], v[76:77], v[54:55] op_sel_hi:[0,1,1] neg_lo:[1,0,0] neg_hi:[1,0,0]
	ds_read2_b32 v[76:77], v63 offset0:16 offset1:17
	s_waitcnt lgkmcnt(3)
	v_pk_fma_f32 v[50:51], v[64:65], v[70:71], v[50:51] op_sel_hi:[0,1,1] neg_lo:[1,0,0] neg_hi:[1,0,0]
	s_waitcnt lgkmcnt(2)
	v_pk_fma_f32 v[44:45], v[64:65], v[72:73], v[44:45] op_sel_hi:[0,1,1] neg_lo:[1,0,0] neg_hi:[1,0,0]
	s_waitcnt lgkmcnt(1)
	v_pk_fma_f32 v[36:37], v[64:65], v[74:75], v[36:37] op_sel_hi:[0,1,1] neg_lo:[1,0,0] neg_hi:[1,0,0]
	ds_read2_b32 v[70:71], v63 offset0:18 offset1:19
	ds_read2_b32 v[72:73], v63 offset0:20 offset1:21
	ds_read2_b32 v[74:75], v63 offset0:22 offset1:23
	s_waitcnt lgkmcnt(3)
	v_pk_fma_f32 v[52:53], v[64:65], v[76:77], v[52:53] op_sel_hi:[0,1,1] neg_lo:[1,0,0] neg_hi:[1,0,0]
	;; [unrolled: 12-line block ×5, first 2 shown]
	ds_read2_b32 v[76:77], v63 offset0:48 offset1:49
	s_waitcnt lgkmcnt(3)
	v_pk_fma_f32 v[24:25], v[64:65], v[70:71], v[24:25] op_sel_hi:[0,1,1] neg_lo:[1,0,0] neg_hi:[1,0,0]
	s_waitcnt lgkmcnt(2)
	v_pk_fma_f32 v[16:17], v[64:65], v[72:73], v[16:17] op_sel_hi:[0,1,1] neg_lo:[1,0,0] neg_hi:[1,0,0]
	;; [unrolled: 2-line block ×3, first 2 shown]
	ds_read2_b32 v[70:71], v63 offset0:50 offset1:51
	ds_read2_b32 v[72:73], v63 offset0:52 offset1:53
	;; [unrolled: 1-line block ×4, first 2 shown]
	s_waitcnt lgkmcnt(4)
	v_pk_fma_f32 v[26:27], v[64:65], v[76:77], v[26:27] op_sel_hi:[0,1,1] neg_lo:[1,0,0] neg_hi:[1,0,0]
	s_waitcnt lgkmcnt(3)
	v_pk_fma_f32 v[18:19], v[64:65], v[70:71], v[18:19] op_sel_hi:[0,1,1] neg_lo:[1,0,0] neg_hi:[1,0,0]
	;; [unrolled: 2-line block ×5, first 2 shown]
.LBB114_29:
	s_or_b64 exec, exec, s[12:13]
	v_lshl_add_u32 v65, v69, 2, v63
	s_barrier
	ds_write_b32 v65, v60
	s_waitcnt lgkmcnt(0)
	s_barrier
	ds_read_b32 v70, v63 offset:8
	s_cmp_lt_i32 s22, 4
	v_mov_b32_e32 v66, 2
	s_cbranch_scc1 .LBB114_32
; %bb.30:
	v_mov_b32_e32 v66, 2
	v_add3_u32 v65, v68, 0, 12
	s_mov_b32 s12, 3
.LBB114_31:                             ; =>This Inner Loop Header: Depth=1
	ds_read_b32 v71, v65
	v_mov_b32_e32 v72, s12
	s_add_i32 s12, s12, 1
	v_add_u32_e32 v65, 4, v65
	s_cmp_lg_u32 s22, s12
	s_waitcnt lgkmcnt(0)
	v_cmp_lt_f32_e64 vcc, |v70|, |v71|
	s_nop 1
	v_cndmask_b32_e32 v70, v70, v71, vcc
	v_cndmask_b32_e32 v66, v66, v72, vcc
	s_cbranch_scc1 .LBB114_31
.LBB114_32:
	v_cndmask_b32_e64 v65, 2, 1, s[0:1]
	v_cndmask_b32_e64 v71, 0, 1, s[0:1]
	;; [unrolled: 1-line block ×3, first 2 shown]
	s_waitcnt lgkmcnt(0)
	v_cmp_eq_f32_e32 vcc, 0, v70
	s_and_saveexec_b64 s[0:1], vcc
	s_xor_b64 s[0:1], exec, s[0:1]
; %bb.33:
	v_cmp_ne_u32_e32 vcc, 0, v65
	s_nop 1
	v_cndmask_b32_e32 v65, 3, v65, vcc
; %bb.34:
	s_andn2_saveexec_b64 s[0:1], s[0:1]
	s_cbranch_execz .LBB114_36
; %bb.35:
	v_div_scale_f32 v71, s[2:3], v70, v70, 1.0
	v_rcp_f32_e32 v72, v71
	v_div_scale_f32 v73, vcc, 1.0, v70, 1.0
	v_fma_f32 v74, -v71, v72, 1.0
	v_fmac_f32_e32 v72, v74, v72
	v_mul_f32_e32 v74, v73, v72
	v_fma_f32 v75, -v71, v74, v73
	v_fmac_f32_e32 v74, v75, v72
	v_fma_f32 v71, -v71, v74, v73
	v_div_fmas_f32 v71, v71, v72, v74
	v_div_fixup_f32 v70, v71, v70, 1.0
.LBB114_36:
	s_or_b64 exec, exec, s[0:1]
	v_cmp_ne_u32_e32 vcc, v69, v66
	s_and_saveexec_b64 s[0:1], vcc
	s_xor_b64 s[0:1], exec, s[0:1]
	s_cbranch_execz .LBB114_42
; %bb.37:
	v_cmp_eq_u32_e32 vcc, 2, v69
	s_and_saveexec_b64 s[2:3], vcc
	s_cbranch_execz .LBB114_41
; %bb.38:
	v_cmp_ne_u32_e32 vcc, 2, v66
	s_xor_b64 s[12:13], s[20:21], -1
	s_and_b64 s[14:15], s[12:13], vcc
	s_and_saveexec_b64 s[12:13], s[14:15]
	s_cbranch_execz .LBB114_40
; %bb.39:
	v_ashrrev_i32_e32 v67, 31, v66
	v_lshl_add_u64 v[72:73], v[66:67], 2, v[4:5]
	global_load_dword v67, v[72:73], off
	global_load_dword v69, v[4:5], off offset:8
	s_waitcnt vmcnt(1)
	global_store_dword v[4:5], v67, off offset:8
	s_waitcnt vmcnt(1)
	global_store_dword v[72:73], v69, off
.LBB114_40:
	s_or_b64 exec, exec, s[12:13]
	v_mov_b32_e32 v67, v66
	v_mov_b32_e32 v69, v66
.LBB114_41:
	s_or_b64 exec, exec, s[2:3]
.LBB114_42:
	s_andn2_saveexec_b64 s[0:1], s[0:1]
	s_cbranch_execz .LBB114_44
; %bb.43:
	v_pk_mov_b32 v[72:73], v[60:61], v[58:59] op_sel:[1,0]
	ds_write2_b32 v63, v72, v73 offset0:3 offset1:4
	v_pk_mov_b32 v[72:73], v[58:59], v[56:57] op_sel:[1,0]
	ds_write2_b32 v63, v72, v73 offset0:5 offset1:6
	;; [unrolled: 2-line block ×26, first 2 shown]
	v_pk_mov_b32 v[72:73], v[0:1], v[12:13] op_sel:[1,0]
	v_mov_b32_e32 v69, 2
	ds_write2_b32 v63, v72, v73 offset0:55 offset1:56
	ds_write_b32 v63, v13 offset:228
.LBB114_44:
	s_or_b64 exec, exec, s[0:1]
	v_cmp_lt_i32_e32 vcc, 2, v69
	s_waitcnt lgkmcnt(0)
	s_barrier
	s_and_saveexec_b64 s[0:1], vcc
	s_cbranch_execz .LBB114_46
; %bb.45:
	ds_read_b32 v66, v63 offset:12
	ds_read2_b32 v[72:73], v63 offset0:4 offset1:5
	ds_read2_b32 v[74:75], v63 offset0:6 offset1:7
	v_mul_f32_e32 v60, v70, v60
	ds_read2_b32 v[70:71], v63 offset0:8 offset1:9
	s_waitcnt lgkmcnt(3)
	v_fma_f32 v61, -v60, v66, v61
	s_waitcnt lgkmcnt(2)
	v_pk_fma_f32 v[58:59], v[60:61], v[72:73], v[58:59] op_sel_hi:[0,1,1] neg_lo:[1,0,0] neg_hi:[1,0,0]
	s_waitcnt lgkmcnt(1)
	v_pk_fma_f32 v[56:57], v[60:61], v[74:75], v[56:57] op_sel_hi:[0,1,1] neg_lo:[1,0,0] neg_hi:[1,0,0]
	ds_read2_b32 v[72:73], v63 offset0:10 offset1:11
	ds_read2_b32 v[74:75], v63 offset0:12 offset1:13
	ds_read2_b32 v[76:77], v63 offset0:14 offset1:15
	s_waitcnt lgkmcnt(3)
	v_pk_fma_f32 v[54:55], v[60:61], v[70:71], v[54:55] op_sel_hi:[0,1,1] neg_lo:[1,0,0] neg_hi:[1,0,0]
	ds_read2_b32 v[70:71], v63 offset0:16 offset1:17
	s_waitcnt lgkmcnt(3)
	v_pk_fma_f32 v[50:51], v[60:61], v[72:73], v[50:51] op_sel_hi:[0,1,1] neg_lo:[1,0,0] neg_hi:[1,0,0]
	s_waitcnt lgkmcnt(2)
	v_pk_fma_f32 v[44:45], v[60:61], v[74:75], v[44:45] op_sel_hi:[0,1,1] neg_lo:[1,0,0] neg_hi:[1,0,0]
	s_waitcnt lgkmcnt(1)
	v_pk_fma_f32 v[36:37], v[60:61], v[76:77], v[36:37] op_sel_hi:[0,1,1] neg_lo:[1,0,0] neg_hi:[1,0,0]
	ds_read2_b32 v[72:73], v63 offset0:18 offset1:19
	ds_read2_b32 v[74:75], v63 offset0:20 offset1:21
	ds_read2_b32 v[76:77], v63 offset0:22 offset1:23
	s_waitcnt lgkmcnt(3)
	v_pk_fma_f32 v[52:53], v[60:61], v[70:71], v[52:53] op_sel_hi:[0,1,1] neg_lo:[1,0,0] neg_hi:[1,0,0]
	ds_read2_b32 v[70:71], v63 offset0:24 offset1:25
	s_waitcnt lgkmcnt(3)
	v_pk_fma_f32 v[46:47], v[60:61], v[72:73], v[46:47] op_sel_hi:[0,1,1] neg_lo:[1,0,0] neg_hi:[1,0,0]
	;; [unrolled: 12-line block ×5, first 2 shown]
	s_waitcnt lgkmcnt(2)
	v_pk_fma_f32 v[16:17], v[60:61], v[74:75], v[16:17] op_sel_hi:[0,1,1] neg_lo:[1,0,0] neg_hi:[1,0,0]
	s_waitcnt lgkmcnt(1)
	v_pk_fma_f32 v[8:9], v[60:61], v[76:77], v[8:9] op_sel_hi:[0,1,1] neg_lo:[1,0,0] neg_hi:[1,0,0]
	ds_read2_b32 v[72:73], v63 offset0:50 offset1:51
	ds_read2_b32 v[74:75], v63 offset0:52 offset1:53
	;; [unrolled: 1-line block ×4, first 2 shown]
	s_waitcnt lgkmcnt(4)
	v_pk_fma_f32 v[26:27], v[60:61], v[70:71], v[26:27] op_sel_hi:[0,1,1] neg_lo:[1,0,0] neg_hi:[1,0,0]
	s_waitcnt lgkmcnt(3)
	v_pk_fma_f32 v[18:19], v[60:61], v[72:73], v[18:19] op_sel_hi:[0,1,1] neg_lo:[1,0,0] neg_hi:[1,0,0]
	;; [unrolled: 2-line block ×5, first 2 shown]
.LBB114_46:
	s_or_b64 exec, exec, s[0:1]
	v_lshl_add_u32 v66, v69, 2, v63
	s_barrier
	ds_write_b32 v66, v61
	s_waitcnt lgkmcnt(0)
	s_barrier
	ds_read_b32 v70, v63 offset:12
	s_cmp_lt_i32 s22, 5
	v_mov_b32_e32 v66, 3
	s_cbranch_scc1 .LBB114_49
; %bb.47:
	v_add3_u32 v71, v68, 0, 16
	v_mov_b32_e32 v66, 3
	s_mov_b32 s0, 4
.LBB114_48:                             ; =>This Inner Loop Header: Depth=1
	ds_read_b32 v72, v71
	v_mov_b32_e32 v73, s0
	s_add_i32 s0, s0, 1
	v_add_u32_e32 v71, 4, v71
	s_cmp_lg_u32 s22, s0
	s_waitcnt lgkmcnt(0)
	v_cmp_lt_f32_e64 vcc, |v70|, |v72|
	s_nop 1
	v_cndmask_b32_e32 v70, v70, v72, vcc
	v_cndmask_b32_e32 v66, v66, v73, vcc
	s_cbranch_scc1 .LBB114_48
.LBB114_49:
	s_waitcnt lgkmcnt(0)
	v_cmp_eq_f32_e32 vcc, 0, v70
	s_and_saveexec_b64 s[0:1], vcc
	s_xor_b64 s[0:1], exec, s[0:1]
; %bb.50:
	v_cmp_ne_u32_e32 vcc, 0, v65
	s_nop 1
	v_cndmask_b32_e32 v65, 4, v65, vcc
; %bb.51:
	s_andn2_saveexec_b64 s[0:1], s[0:1]
	s_cbranch_execz .LBB114_53
; %bb.52:
	v_div_scale_f32 v71, s[2:3], v70, v70, 1.0
	v_rcp_f32_e32 v72, v71
	v_div_scale_f32 v73, vcc, 1.0, v70, 1.0
	v_fma_f32 v74, -v71, v72, 1.0
	v_fmac_f32_e32 v72, v74, v72
	v_mul_f32_e32 v74, v73, v72
	v_fma_f32 v75, -v71, v74, v73
	v_fmac_f32_e32 v74, v75, v72
	v_fma_f32 v71, -v71, v74, v73
	v_div_fmas_f32 v71, v71, v72, v74
	v_div_fixup_f32 v70, v71, v70, 1.0
.LBB114_53:
	s_or_b64 exec, exec, s[0:1]
	v_cmp_ne_u32_e32 vcc, v69, v66
	s_and_saveexec_b64 s[0:1], vcc
	s_xor_b64 s[0:1], exec, s[0:1]
	s_cbranch_execz .LBB114_59
; %bb.54:
	v_cmp_eq_u32_e32 vcc, 3, v69
	s_and_saveexec_b64 s[2:3], vcc
	s_cbranch_execz .LBB114_58
; %bb.55:
	v_cmp_ne_u32_e32 vcc, 3, v66
	s_xor_b64 s[12:13], s[20:21], -1
	s_and_b64 s[14:15], s[12:13], vcc
	s_and_saveexec_b64 s[12:13], s[14:15]
	s_cbranch_execz .LBB114_57
; %bb.56:
	v_ashrrev_i32_e32 v67, 31, v66
	v_lshl_add_u64 v[72:73], v[66:67], 2, v[4:5]
	global_load_dword v67, v[72:73], off
	global_load_dword v69, v[4:5], off offset:12
	s_waitcnt vmcnt(1)
	global_store_dword v[4:5], v67, off offset:12
	s_waitcnt vmcnt(1)
	global_store_dword v[72:73], v69, off
.LBB114_57:
	s_or_b64 exec, exec, s[12:13]
	v_mov_b32_e32 v67, v66
	v_mov_b32_e32 v69, v66
.LBB114_58:
	s_or_b64 exec, exec, s[2:3]
.LBB114_59:
	s_andn2_saveexec_b64 s[0:1], s[0:1]
	s_cbranch_execz .LBB114_61
; %bb.60:
	v_mov_b32_e32 v69, 3
	ds_write2_b32 v63, v58, v59 offset0:4 offset1:5
	ds_write2_b32 v63, v56, v57 offset0:6 offset1:7
	;; [unrolled: 1-line block ×27, first 2 shown]
.LBB114_61:
	s_or_b64 exec, exec, s[0:1]
	v_cmp_lt_i32_e32 vcc, 3, v69
	s_waitcnt lgkmcnt(0)
	s_barrier
	s_and_saveexec_b64 s[0:1], vcc
	s_cbranch_execz .LBB114_63
; %bb.62:
	ds_read2_b32 v[72:73], v63 offset0:4 offset1:5
	ds_read2_b32 v[74:75], v63 offset0:6 offset1:7
	;; [unrolled: 1-line block ×3, first 2 shown]
	v_mul_f32_e32 v66, v70, v61
	ds_read2_b32 v[70:71], v63 offset0:10 offset1:11
	s_waitcnt lgkmcnt(3)
	v_pk_fma_f32 v[58:59], v[66:67], v[72:73], v[58:59] op_sel_hi:[0,1,1] neg_lo:[1,0,0] neg_hi:[1,0,0]
	s_waitcnt lgkmcnt(2)
	v_pk_fma_f32 v[56:57], v[66:67], v[74:75], v[56:57] op_sel_hi:[0,1,1] neg_lo:[1,0,0] neg_hi:[1,0,0]
	s_waitcnt lgkmcnt(1)
	v_pk_fma_f32 v[54:55], v[66:67], v[76:77], v[54:55] op_sel_hi:[0,1,1] neg_lo:[1,0,0] neg_hi:[1,0,0]
	ds_read2_b32 v[72:73], v63 offset0:12 offset1:13
	ds_read2_b32 v[74:75], v63 offset0:14 offset1:15
	ds_read2_b32 v[76:77], v63 offset0:16 offset1:17
	s_waitcnt lgkmcnt(3)
	v_pk_fma_f32 v[50:51], v[66:67], v[70:71], v[50:51] op_sel_hi:[0,1,1] neg_lo:[1,0,0] neg_hi:[1,0,0]
	ds_read2_b32 v[70:71], v63 offset0:18 offset1:19
	s_waitcnt lgkmcnt(3)
	v_pk_fma_f32 v[44:45], v[66:67], v[72:73], v[44:45] op_sel_hi:[0,1,1] neg_lo:[1,0,0] neg_hi:[1,0,0]
	s_waitcnt lgkmcnt(2)
	v_pk_fma_f32 v[36:37], v[66:67], v[74:75], v[36:37] op_sel_hi:[0,1,1] neg_lo:[1,0,0] neg_hi:[1,0,0]
	s_waitcnt lgkmcnt(1)
	v_pk_fma_f32 v[52:53], v[66:67], v[76:77], v[52:53] op_sel_hi:[0,1,1] neg_lo:[1,0,0] neg_hi:[1,0,0]
	ds_read2_b32 v[72:73], v63 offset0:20 offset1:21
	ds_read2_b32 v[74:75], v63 offset0:22 offset1:23
	ds_read2_b32 v[76:77], v63 offset0:24 offset1:25
	s_waitcnt lgkmcnt(3)
	v_pk_fma_f32 v[46:47], v[66:67], v[70:71], v[46:47] op_sel_hi:[0,1,1] neg_lo:[1,0,0] neg_hi:[1,0,0]
	ds_read2_b32 v[70:71], v63 offset0:26 offset1:27
	s_waitcnt lgkmcnt(3)
	v_pk_fma_f32 v[38:39], v[66:67], v[72:73], v[38:39] op_sel_hi:[0,1,1] neg_lo:[1,0,0] neg_hi:[1,0,0]
	s_waitcnt lgkmcnt(2)
	v_pk_fma_f32 v[28:29], v[66:67], v[74:75], v[28:29] op_sel_hi:[0,1,1] neg_lo:[1,0,0] neg_hi:[1,0,0]
	s_waitcnt lgkmcnt(1)
	v_pk_fma_f32 v[48:49], v[66:67], v[76:77], v[48:49] op_sel_hi:[0,1,1] neg_lo:[1,0,0] neg_hi:[1,0,0]
	ds_read2_b32 v[72:73], v63 offset0:28 offset1:29
	ds_read2_b32 v[74:75], v63 offset0:30 offset1:31
	ds_read2_b32 v[76:77], v63 offset0:32 offset1:33
	s_waitcnt lgkmcnt(3)
	v_pk_fma_f32 v[40:41], v[66:67], v[70:71], v[40:41] op_sel_hi:[0,1,1] neg_lo:[1,0,0] neg_hi:[1,0,0]
	ds_read2_b32 v[70:71], v63 offset0:34 offset1:35
	s_waitcnt lgkmcnt(3)
	v_pk_fma_f32 v[30:31], v[66:67], v[72:73], v[30:31] op_sel_hi:[0,1,1] neg_lo:[1,0,0] neg_hi:[1,0,0]
	s_waitcnt lgkmcnt(2)
	v_pk_fma_f32 v[20:21], v[66:67], v[74:75], v[20:21] op_sel_hi:[0,1,1] neg_lo:[1,0,0] neg_hi:[1,0,0]
	s_waitcnt lgkmcnt(1)
	v_pk_fma_f32 v[42:43], v[66:67], v[76:77], v[42:43] op_sel_hi:[0,1,1] neg_lo:[1,0,0] neg_hi:[1,0,0]
	ds_read2_b32 v[72:73], v63 offset0:36 offset1:37
	ds_read2_b32 v[74:75], v63 offset0:38 offset1:39
	ds_read2_b32 v[76:77], v63 offset0:40 offset1:41
	s_waitcnt lgkmcnt(3)
	v_pk_fma_f32 v[32:33], v[66:67], v[70:71], v[32:33] op_sel_hi:[0,1,1] neg_lo:[1,0,0] neg_hi:[1,0,0]
	ds_read2_b32 v[70:71], v63 offset0:42 offset1:43
	s_waitcnt lgkmcnt(3)
	v_pk_fma_f32 v[22:23], v[66:67], v[72:73], v[22:23] op_sel_hi:[0,1,1] neg_lo:[1,0,0] neg_hi:[1,0,0]
	s_waitcnt lgkmcnt(2)
	v_pk_fma_f32 v[14:15], v[66:67], v[74:75], v[14:15] op_sel_hi:[0,1,1] neg_lo:[1,0,0] neg_hi:[1,0,0]
	ds_read2_b32 v[72:73], v63 offset0:44 offset1:45
	ds_read2_b32 v[74:75], v63 offset0:46 offset1:47
	s_waitcnt lgkmcnt(3)
	v_pk_fma_f32 v[34:35], v[66:67], v[76:77], v[34:35] op_sel_hi:[0,1,1] neg_lo:[1,0,0] neg_hi:[1,0,0]
	s_waitcnt lgkmcnt(2)
	v_pk_fma_f32 v[24:25], v[66:67], v[70:71], v[24:25] op_sel_hi:[0,1,1] neg_lo:[1,0,0] neg_hi:[1,0,0]
	ds_read2_b32 v[70:71], v63 offset0:48 offset1:49
	;; [unrolled: 6-line block ×3, first 2 shown]
	ds_read2_b32 v[74:75], v63 offset0:54 offset1:55
	ds_read2_b32 v[78:79], v63 offset0:56 offset1:57
	s_waitcnt lgkmcnt(4)
	v_pk_fma_f32 v[26:27], v[66:67], v[70:71], v[26:27] op_sel_hi:[0,1,1] neg_lo:[1,0,0] neg_hi:[1,0,0]
	s_waitcnt lgkmcnt(3)
	v_pk_fma_f32 v[18:19], v[66:67], v[76:77], v[18:19] op_sel_hi:[0,1,1] neg_lo:[1,0,0] neg_hi:[1,0,0]
	s_waitcnt lgkmcnt(2)
	v_pk_fma_f32 v[10:11], v[66:67], v[72:73], v[10:11] op_sel_hi:[0,1,1] neg_lo:[1,0,0] neg_hi:[1,0,0]
	s_waitcnt lgkmcnt(1)
	v_pk_fma_f32 v[0:1], v[66:67], v[74:75], v[0:1] op_sel_hi:[0,1,1] neg_lo:[1,0,0] neg_hi:[1,0,0]
	s_waitcnt lgkmcnt(0)
	v_pk_fma_f32 v[12:13], v[66:67], v[78:79], v[12:13] op_sel_hi:[0,1,1] neg_lo:[1,0,0] neg_hi:[1,0,0]
	v_mov_b32_e32 v61, v66
.LBB114_63:
	s_or_b64 exec, exec, s[0:1]
	v_lshl_add_u32 v66, v69, 2, v63
	s_barrier
	ds_write_b32 v66, v58
	s_waitcnt lgkmcnt(0)
	s_barrier
	ds_read_b32 v70, v63 offset:16
	s_cmp_lt_i32 s22, 6
	v_mov_b32_e32 v66, 4
	s_cbranch_scc1 .LBB114_66
; %bb.64:
	v_add3_u32 v71, v68, 0, 20
	v_mov_b32_e32 v66, 4
	s_mov_b32 s0, 5
.LBB114_65:                             ; =>This Inner Loop Header: Depth=1
	ds_read_b32 v72, v71
	v_mov_b32_e32 v73, s0
	s_add_i32 s0, s0, 1
	v_add_u32_e32 v71, 4, v71
	s_cmp_lg_u32 s22, s0
	s_waitcnt lgkmcnt(0)
	v_cmp_lt_f32_e64 vcc, |v70|, |v72|
	s_nop 1
	v_cndmask_b32_e32 v70, v70, v72, vcc
	v_cndmask_b32_e32 v66, v66, v73, vcc
	s_cbranch_scc1 .LBB114_65
.LBB114_66:
	s_waitcnt lgkmcnt(0)
	v_cmp_eq_f32_e32 vcc, 0, v70
	s_and_saveexec_b64 s[0:1], vcc
	s_xor_b64 s[0:1], exec, s[0:1]
; %bb.67:
	v_cmp_ne_u32_e32 vcc, 0, v65
	s_nop 1
	v_cndmask_b32_e32 v65, 5, v65, vcc
; %bb.68:
	s_andn2_saveexec_b64 s[0:1], s[0:1]
	s_cbranch_execz .LBB114_70
; %bb.69:
	v_div_scale_f32 v71, s[2:3], v70, v70, 1.0
	v_rcp_f32_e32 v72, v71
	v_div_scale_f32 v73, vcc, 1.0, v70, 1.0
	v_fma_f32 v74, -v71, v72, 1.0
	v_fmac_f32_e32 v72, v74, v72
	v_mul_f32_e32 v74, v73, v72
	v_fma_f32 v75, -v71, v74, v73
	v_fmac_f32_e32 v74, v75, v72
	v_fma_f32 v71, -v71, v74, v73
	v_div_fmas_f32 v71, v71, v72, v74
	v_div_fixup_f32 v70, v71, v70, 1.0
.LBB114_70:
	s_or_b64 exec, exec, s[0:1]
	v_cmp_ne_u32_e32 vcc, v69, v66
	s_and_saveexec_b64 s[0:1], vcc
	s_xor_b64 s[0:1], exec, s[0:1]
	s_cbranch_execz .LBB114_76
; %bb.71:
	v_cmp_eq_u32_e32 vcc, 4, v69
	s_and_saveexec_b64 s[2:3], vcc
	s_cbranch_execz .LBB114_75
; %bb.72:
	v_cmp_ne_u32_e32 vcc, 4, v66
	s_xor_b64 s[12:13], s[20:21], -1
	s_and_b64 s[14:15], s[12:13], vcc
	s_and_saveexec_b64 s[12:13], s[14:15]
	s_cbranch_execz .LBB114_74
; %bb.73:
	v_ashrrev_i32_e32 v67, 31, v66
	v_lshl_add_u64 v[72:73], v[66:67], 2, v[4:5]
	global_load_dword v67, v[72:73], off
	global_load_dword v69, v[4:5], off offset:16
	s_waitcnt vmcnt(1)
	global_store_dword v[4:5], v67, off offset:16
	s_waitcnt vmcnt(1)
	global_store_dword v[72:73], v69, off
.LBB114_74:
	s_or_b64 exec, exec, s[12:13]
	v_mov_b32_e32 v67, v66
	v_mov_b32_e32 v69, v66
.LBB114_75:
	s_or_b64 exec, exec, s[2:3]
.LBB114_76:
	s_andn2_saveexec_b64 s[0:1], s[0:1]
	s_cbranch_execz .LBB114_78
; %bb.77:
	v_pk_mov_b32 v[72:73], v[58:59], v[56:57] op_sel:[1,0]
	ds_write2_b32 v63, v72, v73 offset0:5 offset1:6
	v_pk_mov_b32 v[72:73], v[56:57], v[54:55] op_sel:[1,0]
	ds_write2_b32 v63, v72, v73 offset0:7 offset1:8
	;; [unrolled: 2-line block ×25, first 2 shown]
	v_pk_mov_b32 v[72:73], v[0:1], v[12:13] op_sel:[1,0]
	v_mov_b32_e32 v69, 4
	ds_write2_b32 v63, v72, v73 offset0:55 offset1:56
	ds_write_b32 v63, v13 offset:228
.LBB114_78:
	s_or_b64 exec, exec, s[0:1]
	v_cmp_lt_i32_e32 vcc, 4, v69
	s_waitcnt lgkmcnt(0)
	s_barrier
	s_and_saveexec_b64 s[0:1], vcc
	s_cbranch_execz .LBB114_80
; %bb.79:
	ds_read_b32 v66, v63 offset:20
	ds_read2_b32 v[72:73], v63 offset0:6 offset1:7
	ds_read2_b32 v[74:75], v63 offset0:8 offset1:9
	v_mul_f32_e32 v58, v70, v58
	ds_read2_b32 v[70:71], v63 offset0:10 offset1:11
	s_waitcnt lgkmcnt(3)
	v_fma_f32 v59, -v58, v66, v59
	s_waitcnt lgkmcnt(2)
	v_pk_fma_f32 v[56:57], v[58:59], v[72:73], v[56:57] op_sel_hi:[0,1,1] neg_lo:[1,0,0] neg_hi:[1,0,0]
	s_waitcnt lgkmcnt(1)
	v_pk_fma_f32 v[54:55], v[58:59], v[74:75], v[54:55] op_sel_hi:[0,1,1] neg_lo:[1,0,0] neg_hi:[1,0,0]
	ds_read2_b32 v[72:73], v63 offset0:12 offset1:13
	ds_read2_b32 v[74:75], v63 offset0:14 offset1:15
	ds_read2_b32 v[76:77], v63 offset0:16 offset1:17
	s_waitcnt lgkmcnt(3)
	v_pk_fma_f32 v[50:51], v[58:59], v[70:71], v[50:51] op_sel_hi:[0,1,1] neg_lo:[1,0,0] neg_hi:[1,0,0]
	ds_read2_b32 v[70:71], v63 offset0:18 offset1:19
	s_waitcnt lgkmcnt(3)
	v_pk_fma_f32 v[44:45], v[58:59], v[72:73], v[44:45] op_sel_hi:[0,1,1] neg_lo:[1,0,0] neg_hi:[1,0,0]
	s_waitcnt lgkmcnt(2)
	v_pk_fma_f32 v[36:37], v[58:59], v[74:75], v[36:37] op_sel_hi:[0,1,1] neg_lo:[1,0,0] neg_hi:[1,0,0]
	s_waitcnt lgkmcnt(1)
	v_pk_fma_f32 v[52:53], v[58:59], v[76:77], v[52:53] op_sel_hi:[0,1,1] neg_lo:[1,0,0] neg_hi:[1,0,0]
	ds_read2_b32 v[72:73], v63 offset0:20 offset1:21
	ds_read2_b32 v[74:75], v63 offset0:22 offset1:23
	ds_read2_b32 v[76:77], v63 offset0:24 offset1:25
	s_waitcnt lgkmcnt(3)
	v_pk_fma_f32 v[46:47], v[58:59], v[70:71], v[46:47] op_sel_hi:[0,1,1] neg_lo:[1,0,0] neg_hi:[1,0,0]
	ds_read2_b32 v[70:71], v63 offset0:26 offset1:27
	s_waitcnt lgkmcnt(3)
	v_pk_fma_f32 v[38:39], v[58:59], v[72:73], v[38:39] op_sel_hi:[0,1,1] neg_lo:[1,0,0] neg_hi:[1,0,0]
	;; [unrolled: 12-line block ×4, first 2 shown]
	s_waitcnt lgkmcnt(2)
	v_pk_fma_f32 v[14:15], v[58:59], v[74:75], v[14:15] op_sel_hi:[0,1,1] neg_lo:[1,0,0] neg_hi:[1,0,0]
	ds_read2_b32 v[72:73], v63 offset0:44 offset1:45
	ds_read2_b32 v[74:75], v63 offset0:46 offset1:47
	s_waitcnt lgkmcnt(3)
	v_pk_fma_f32 v[34:35], v[58:59], v[76:77], v[34:35] op_sel_hi:[0,1,1] neg_lo:[1,0,0] neg_hi:[1,0,0]
	s_waitcnt lgkmcnt(2)
	v_pk_fma_f32 v[24:25], v[58:59], v[70:71], v[24:25] op_sel_hi:[0,1,1] neg_lo:[1,0,0] neg_hi:[1,0,0]
	ds_read2_b32 v[70:71], v63 offset0:48 offset1:49
	ds_read2_b32 v[76:77], v63 offset0:50 offset1:51
	s_waitcnt lgkmcnt(3)
	v_pk_fma_f32 v[16:17], v[58:59], v[72:73], v[16:17] op_sel_hi:[0,1,1] neg_lo:[1,0,0] neg_hi:[1,0,0]
	s_waitcnt lgkmcnt(2)
	v_pk_fma_f32 v[8:9], v[58:59], v[74:75], v[8:9] op_sel_hi:[0,1,1] neg_lo:[1,0,0] neg_hi:[1,0,0]
	ds_read2_b32 v[72:73], v63 offset0:52 offset1:53
	ds_read2_b32 v[74:75], v63 offset0:54 offset1:55
	;; [unrolled: 1-line block ×3, first 2 shown]
	s_waitcnt lgkmcnt(4)
	v_pk_fma_f32 v[26:27], v[58:59], v[70:71], v[26:27] op_sel_hi:[0,1,1] neg_lo:[1,0,0] neg_hi:[1,0,0]
	s_waitcnt lgkmcnt(3)
	v_pk_fma_f32 v[18:19], v[58:59], v[76:77], v[18:19] op_sel_hi:[0,1,1] neg_lo:[1,0,0] neg_hi:[1,0,0]
	;; [unrolled: 2-line block ×5, first 2 shown]
.LBB114_80:
	s_or_b64 exec, exec, s[0:1]
	v_lshl_add_u32 v66, v69, 2, v63
	s_barrier
	ds_write_b32 v66, v59
	s_waitcnt lgkmcnt(0)
	s_barrier
	ds_read_b32 v70, v63 offset:20
	s_cmp_lt_i32 s22, 7
	v_mov_b32_e32 v66, 5
	s_cbranch_scc1 .LBB114_83
; %bb.81:
	v_add3_u32 v71, v68, 0, 24
	v_mov_b32_e32 v66, 5
	s_mov_b32 s0, 6
.LBB114_82:                             ; =>This Inner Loop Header: Depth=1
	ds_read_b32 v72, v71
	v_mov_b32_e32 v73, s0
	s_add_i32 s0, s0, 1
	v_add_u32_e32 v71, 4, v71
	s_cmp_lg_u32 s22, s0
	s_waitcnt lgkmcnt(0)
	v_cmp_lt_f32_e64 vcc, |v70|, |v72|
	s_nop 1
	v_cndmask_b32_e32 v70, v70, v72, vcc
	v_cndmask_b32_e32 v66, v66, v73, vcc
	s_cbranch_scc1 .LBB114_82
.LBB114_83:
	s_waitcnt lgkmcnt(0)
	v_cmp_eq_f32_e32 vcc, 0, v70
	s_and_saveexec_b64 s[0:1], vcc
	s_xor_b64 s[0:1], exec, s[0:1]
; %bb.84:
	v_cmp_ne_u32_e32 vcc, 0, v65
	s_nop 1
	v_cndmask_b32_e32 v65, 6, v65, vcc
; %bb.85:
	s_andn2_saveexec_b64 s[0:1], s[0:1]
	s_cbranch_execz .LBB114_87
; %bb.86:
	v_div_scale_f32 v71, s[2:3], v70, v70, 1.0
	v_rcp_f32_e32 v72, v71
	v_div_scale_f32 v73, vcc, 1.0, v70, 1.0
	v_fma_f32 v74, -v71, v72, 1.0
	v_fmac_f32_e32 v72, v74, v72
	v_mul_f32_e32 v74, v73, v72
	v_fma_f32 v75, -v71, v74, v73
	v_fmac_f32_e32 v74, v75, v72
	v_fma_f32 v71, -v71, v74, v73
	v_div_fmas_f32 v71, v71, v72, v74
	v_div_fixup_f32 v70, v71, v70, 1.0
.LBB114_87:
	s_or_b64 exec, exec, s[0:1]
	v_cmp_ne_u32_e32 vcc, v69, v66
	s_and_saveexec_b64 s[0:1], vcc
	s_xor_b64 s[0:1], exec, s[0:1]
	s_cbranch_execz .LBB114_93
; %bb.88:
	v_cmp_eq_u32_e32 vcc, 5, v69
	s_and_saveexec_b64 s[2:3], vcc
	s_cbranch_execz .LBB114_92
; %bb.89:
	v_cmp_ne_u32_e32 vcc, 5, v66
	s_xor_b64 s[12:13], s[20:21], -1
	s_and_b64 s[14:15], s[12:13], vcc
	s_and_saveexec_b64 s[12:13], s[14:15]
	s_cbranch_execz .LBB114_91
; %bb.90:
	v_ashrrev_i32_e32 v67, 31, v66
	v_lshl_add_u64 v[72:73], v[66:67], 2, v[4:5]
	global_load_dword v67, v[72:73], off
	global_load_dword v69, v[4:5], off offset:20
	s_waitcnt vmcnt(1)
	global_store_dword v[4:5], v67, off offset:20
	s_waitcnt vmcnt(1)
	global_store_dword v[72:73], v69, off
.LBB114_91:
	s_or_b64 exec, exec, s[12:13]
	v_mov_b32_e32 v67, v66
	v_mov_b32_e32 v69, v66
.LBB114_92:
	s_or_b64 exec, exec, s[2:3]
.LBB114_93:
	s_andn2_saveexec_b64 s[0:1], s[0:1]
	s_cbranch_execz .LBB114_95
; %bb.94:
	v_mov_b32_e32 v69, 5
	ds_write2_b32 v63, v56, v57 offset0:6 offset1:7
	ds_write2_b32 v63, v54, v55 offset0:8 offset1:9
	;; [unrolled: 1-line block ×26, first 2 shown]
.LBB114_95:
	s_or_b64 exec, exec, s[0:1]
	v_cmp_lt_i32_e32 vcc, 5, v69
	s_waitcnt lgkmcnt(0)
	s_barrier
	s_and_saveexec_b64 s[0:1], vcc
	s_cbranch_execz .LBB114_97
; %bb.96:
	ds_read2_b32 v[72:73], v63 offset0:6 offset1:7
	ds_read2_b32 v[74:75], v63 offset0:8 offset1:9
	;; [unrolled: 1-line block ×3, first 2 shown]
	v_mul_f32_e32 v66, v70, v59
	ds_read2_b32 v[70:71], v63 offset0:12 offset1:13
	s_waitcnt lgkmcnt(3)
	v_pk_fma_f32 v[56:57], v[66:67], v[72:73], v[56:57] op_sel_hi:[0,1,1] neg_lo:[1,0,0] neg_hi:[1,0,0]
	s_waitcnt lgkmcnt(2)
	v_pk_fma_f32 v[54:55], v[66:67], v[74:75], v[54:55] op_sel_hi:[0,1,1] neg_lo:[1,0,0] neg_hi:[1,0,0]
	s_waitcnt lgkmcnt(1)
	v_pk_fma_f32 v[50:51], v[66:67], v[76:77], v[50:51] op_sel_hi:[0,1,1] neg_lo:[1,0,0] neg_hi:[1,0,0]
	ds_read2_b32 v[72:73], v63 offset0:14 offset1:15
	ds_read2_b32 v[74:75], v63 offset0:16 offset1:17
	ds_read2_b32 v[76:77], v63 offset0:18 offset1:19
	s_waitcnt lgkmcnt(3)
	v_pk_fma_f32 v[44:45], v[66:67], v[70:71], v[44:45] op_sel_hi:[0,1,1] neg_lo:[1,0,0] neg_hi:[1,0,0]
	ds_read2_b32 v[70:71], v63 offset0:20 offset1:21
	s_waitcnt lgkmcnt(3)
	v_pk_fma_f32 v[36:37], v[66:67], v[72:73], v[36:37] op_sel_hi:[0,1,1] neg_lo:[1,0,0] neg_hi:[1,0,0]
	s_waitcnt lgkmcnt(2)
	v_pk_fma_f32 v[52:53], v[66:67], v[74:75], v[52:53] op_sel_hi:[0,1,1] neg_lo:[1,0,0] neg_hi:[1,0,0]
	s_waitcnt lgkmcnt(1)
	v_pk_fma_f32 v[46:47], v[66:67], v[76:77], v[46:47] op_sel_hi:[0,1,1] neg_lo:[1,0,0] neg_hi:[1,0,0]
	ds_read2_b32 v[72:73], v63 offset0:22 offset1:23
	ds_read2_b32 v[74:75], v63 offset0:24 offset1:25
	ds_read2_b32 v[76:77], v63 offset0:26 offset1:27
	s_waitcnt lgkmcnt(3)
	v_pk_fma_f32 v[38:39], v[66:67], v[70:71], v[38:39] op_sel_hi:[0,1,1] neg_lo:[1,0,0] neg_hi:[1,0,0]
	;; [unrolled: 12-line block ×4, first 2 shown]
	ds_read2_b32 v[70:71], v63 offset0:44 offset1:45
	s_waitcnt lgkmcnt(3)
	v_pk_fma_f32 v[14:15], v[66:67], v[72:73], v[14:15] op_sel_hi:[0,1,1] neg_lo:[1,0,0] neg_hi:[1,0,0]
	ds_read2_b32 v[72:73], v63 offset0:46 offset1:47
	s_waitcnt lgkmcnt(3)
	v_pk_fma_f32 v[34:35], v[66:67], v[74:75], v[34:35] op_sel_hi:[0,1,1] neg_lo:[1,0,0] neg_hi:[1,0,0]
	s_waitcnt lgkmcnt(2)
	v_pk_fma_f32 v[24:25], v[66:67], v[76:77], v[24:25] op_sel_hi:[0,1,1] neg_lo:[1,0,0] neg_hi:[1,0,0]
	;; [unrolled: 2-line block ×3, first 2 shown]
	ds_read2_b32 v[70:71], v63 offset0:48 offset1:49
	ds_read2_b32 v[74:75], v63 offset0:50 offset1:51
	;; [unrolled: 1-line block ×3, first 2 shown]
	s_waitcnt lgkmcnt(3)
	v_pk_fma_f32 v[8:9], v[66:67], v[72:73], v[8:9] op_sel_hi:[0,1,1] neg_lo:[1,0,0] neg_hi:[1,0,0]
	ds_read2_b32 v[72:73], v63 offset0:54 offset1:55
	ds_read2_b32 v[78:79], v63 offset0:56 offset1:57
	s_waitcnt lgkmcnt(4)
	v_pk_fma_f32 v[26:27], v[66:67], v[70:71], v[26:27] op_sel_hi:[0,1,1] neg_lo:[1,0,0] neg_hi:[1,0,0]
	s_waitcnt lgkmcnt(3)
	v_pk_fma_f32 v[18:19], v[66:67], v[74:75], v[18:19] op_sel_hi:[0,1,1] neg_lo:[1,0,0] neg_hi:[1,0,0]
	s_waitcnt lgkmcnt(2)
	v_pk_fma_f32 v[10:11], v[66:67], v[76:77], v[10:11] op_sel_hi:[0,1,1] neg_lo:[1,0,0] neg_hi:[1,0,0]
	s_waitcnt lgkmcnt(1)
	v_pk_fma_f32 v[0:1], v[66:67], v[72:73], v[0:1] op_sel_hi:[0,1,1] neg_lo:[1,0,0] neg_hi:[1,0,0]
	s_waitcnt lgkmcnt(0)
	v_pk_fma_f32 v[12:13], v[66:67], v[78:79], v[12:13] op_sel_hi:[0,1,1] neg_lo:[1,0,0] neg_hi:[1,0,0]
	v_mov_b32_e32 v59, v66
.LBB114_97:
	s_or_b64 exec, exec, s[0:1]
	v_lshl_add_u32 v66, v69, 2, v63
	s_barrier
	ds_write_b32 v66, v56
	s_waitcnt lgkmcnt(0)
	s_barrier
	ds_read_b32 v70, v63 offset:24
	s_cmp_lt_i32 s22, 8
	v_mov_b32_e32 v66, 6
	s_cbranch_scc1 .LBB114_100
; %bb.98:
	v_add3_u32 v71, v68, 0, 28
	v_mov_b32_e32 v66, 6
	s_mov_b32 s0, 7
.LBB114_99:                             ; =>This Inner Loop Header: Depth=1
	ds_read_b32 v72, v71
	v_mov_b32_e32 v73, s0
	s_add_i32 s0, s0, 1
	v_add_u32_e32 v71, 4, v71
	s_cmp_lg_u32 s22, s0
	s_waitcnt lgkmcnt(0)
	v_cmp_lt_f32_e64 vcc, |v70|, |v72|
	s_nop 1
	v_cndmask_b32_e32 v70, v70, v72, vcc
	v_cndmask_b32_e32 v66, v66, v73, vcc
	s_cbranch_scc1 .LBB114_99
.LBB114_100:
	s_waitcnt lgkmcnt(0)
	v_cmp_eq_f32_e32 vcc, 0, v70
	s_and_saveexec_b64 s[0:1], vcc
	s_xor_b64 s[0:1], exec, s[0:1]
; %bb.101:
	v_cmp_ne_u32_e32 vcc, 0, v65
	s_nop 1
	v_cndmask_b32_e32 v65, 7, v65, vcc
; %bb.102:
	s_andn2_saveexec_b64 s[0:1], s[0:1]
	s_cbranch_execz .LBB114_104
; %bb.103:
	v_div_scale_f32 v71, s[2:3], v70, v70, 1.0
	v_rcp_f32_e32 v72, v71
	v_div_scale_f32 v73, vcc, 1.0, v70, 1.0
	v_fma_f32 v74, -v71, v72, 1.0
	v_fmac_f32_e32 v72, v74, v72
	v_mul_f32_e32 v74, v73, v72
	v_fma_f32 v75, -v71, v74, v73
	v_fmac_f32_e32 v74, v75, v72
	v_fma_f32 v71, -v71, v74, v73
	v_div_fmas_f32 v71, v71, v72, v74
	v_div_fixup_f32 v70, v71, v70, 1.0
.LBB114_104:
	s_or_b64 exec, exec, s[0:1]
	v_cmp_ne_u32_e32 vcc, v69, v66
	s_and_saveexec_b64 s[0:1], vcc
	s_xor_b64 s[0:1], exec, s[0:1]
	s_cbranch_execz .LBB114_110
; %bb.105:
	v_cmp_eq_u32_e32 vcc, 6, v69
	s_and_saveexec_b64 s[2:3], vcc
	s_cbranch_execz .LBB114_109
; %bb.106:
	v_cmp_ne_u32_e32 vcc, 6, v66
	s_xor_b64 s[12:13], s[20:21], -1
	s_and_b64 s[14:15], s[12:13], vcc
	s_and_saveexec_b64 s[12:13], s[14:15]
	s_cbranch_execz .LBB114_108
; %bb.107:
	v_ashrrev_i32_e32 v67, 31, v66
	v_lshl_add_u64 v[72:73], v[66:67], 2, v[4:5]
	global_load_dword v67, v[72:73], off
	global_load_dword v69, v[4:5], off offset:24
	s_waitcnt vmcnt(1)
	global_store_dword v[4:5], v67, off offset:24
	s_waitcnt vmcnt(1)
	global_store_dword v[72:73], v69, off
.LBB114_108:
	s_or_b64 exec, exec, s[12:13]
	v_mov_b32_e32 v67, v66
	v_mov_b32_e32 v69, v66
.LBB114_109:
	s_or_b64 exec, exec, s[2:3]
.LBB114_110:
	s_andn2_saveexec_b64 s[0:1], s[0:1]
	s_cbranch_execz .LBB114_112
; %bb.111:
	v_pk_mov_b32 v[72:73], v[56:57], v[54:55] op_sel:[1,0]
	ds_write2_b32 v63, v72, v73 offset0:7 offset1:8
	v_pk_mov_b32 v[72:73], v[54:55], v[50:51] op_sel:[1,0]
	ds_write2_b32 v63, v72, v73 offset0:9 offset1:10
	;; [unrolled: 2-line block ×24, first 2 shown]
	v_pk_mov_b32 v[72:73], v[0:1], v[12:13] op_sel:[1,0]
	v_mov_b32_e32 v69, 6
	ds_write2_b32 v63, v72, v73 offset0:55 offset1:56
	ds_write_b32 v63, v13 offset:228
.LBB114_112:
	s_or_b64 exec, exec, s[0:1]
	v_cmp_lt_i32_e32 vcc, 6, v69
	s_waitcnt lgkmcnt(0)
	s_barrier
	s_and_saveexec_b64 s[0:1], vcc
	s_cbranch_execz .LBB114_114
; %bb.113:
	ds_read_b32 v66, v63 offset:28
	ds_read2_b32 v[72:73], v63 offset0:8 offset1:9
	ds_read2_b32 v[74:75], v63 offset0:10 offset1:11
	v_mul_f32_e32 v56, v70, v56
	ds_read2_b32 v[70:71], v63 offset0:12 offset1:13
	s_waitcnt lgkmcnt(3)
	v_fma_f32 v57, -v56, v66, v57
	s_waitcnt lgkmcnt(2)
	v_pk_fma_f32 v[54:55], v[56:57], v[72:73], v[54:55] op_sel_hi:[0,1,1] neg_lo:[1,0,0] neg_hi:[1,0,0]
	s_waitcnt lgkmcnt(1)
	v_pk_fma_f32 v[50:51], v[56:57], v[74:75], v[50:51] op_sel_hi:[0,1,1] neg_lo:[1,0,0] neg_hi:[1,0,0]
	ds_read2_b32 v[72:73], v63 offset0:14 offset1:15
	ds_read2_b32 v[74:75], v63 offset0:16 offset1:17
	ds_read2_b32 v[76:77], v63 offset0:18 offset1:19
	s_waitcnt lgkmcnt(3)
	v_pk_fma_f32 v[44:45], v[56:57], v[70:71], v[44:45] op_sel_hi:[0,1,1] neg_lo:[1,0,0] neg_hi:[1,0,0]
	ds_read2_b32 v[70:71], v63 offset0:20 offset1:21
	s_waitcnt lgkmcnt(3)
	v_pk_fma_f32 v[36:37], v[56:57], v[72:73], v[36:37] op_sel_hi:[0,1,1] neg_lo:[1,0,0] neg_hi:[1,0,0]
	s_waitcnt lgkmcnt(2)
	v_pk_fma_f32 v[52:53], v[56:57], v[74:75], v[52:53] op_sel_hi:[0,1,1] neg_lo:[1,0,0] neg_hi:[1,0,0]
	s_waitcnt lgkmcnt(1)
	v_pk_fma_f32 v[46:47], v[56:57], v[76:77], v[46:47] op_sel_hi:[0,1,1] neg_lo:[1,0,0] neg_hi:[1,0,0]
	ds_read2_b32 v[72:73], v63 offset0:22 offset1:23
	ds_read2_b32 v[74:75], v63 offset0:24 offset1:25
	ds_read2_b32 v[76:77], v63 offset0:26 offset1:27
	s_waitcnt lgkmcnt(3)
	v_pk_fma_f32 v[38:39], v[56:57], v[70:71], v[38:39] op_sel_hi:[0,1,1] neg_lo:[1,0,0] neg_hi:[1,0,0]
	ds_read2_b32 v[70:71], v63 offset0:28 offset1:29
	s_waitcnt lgkmcnt(3)
	v_pk_fma_f32 v[28:29], v[56:57], v[72:73], v[28:29] op_sel_hi:[0,1,1] neg_lo:[1,0,0] neg_hi:[1,0,0]
	;; [unrolled: 12-line block ×4, first 2 shown]
	ds_read2_b32 v[72:73], v63 offset0:46 offset1:47
	s_waitcnt lgkmcnt(3)
	v_pk_fma_f32 v[34:35], v[56:57], v[74:75], v[34:35] op_sel_hi:[0,1,1] neg_lo:[1,0,0] neg_hi:[1,0,0]
	s_waitcnt lgkmcnt(2)
	v_pk_fma_f32 v[24:25], v[56:57], v[76:77], v[24:25] op_sel_hi:[0,1,1] neg_lo:[1,0,0] neg_hi:[1,0,0]
	;; [unrolled: 2-line block ×3, first 2 shown]
	ds_read2_b32 v[70:71], v63 offset0:48 offset1:49
	ds_read2_b32 v[74:75], v63 offset0:50 offset1:51
	;; [unrolled: 1-line block ×3, first 2 shown]
	s_waitcnt lgkmcnt(3)
	v_pk_fma_f32 v[8:9], v[56:57], v[72:73], v[8:9] op_sel_hi:[0,1,1] neg_lo:[1,0,0] neg_hi:[1,0,0]
	ds_read2_b32 v[72:73], v63 offset0:54 offset1:55
	ds_read2_b32 v[78:79], v63 offset0:56 offset1:57
	s_waitcnt lgkmcnt(4)
	v_pk_fma_f32 v[26:27], v[56:57], v[70:71], v[26:27] op_sel_hi:[0,1,1] neg_lo:[1,0,0] neg_hi:[1,0,0]
	s_waitcnt lgkmcnt(3)
	v_pk_fma_f32 v[18:19], v[56:57], v[74:75], v[18:19] op_sel_hi:[0,1,1] neg_lo:[1,0,0] neg_hi:[1,0,0]
	;; [unrolled: 2-line block ×5, first 2 shown]
.LBB114_114:
	s_or_b64 exec, exec, s[0:1]
	v_lshl_add_u32 v66, v69, 2, v63
	s_barrier
	ds_write_b32 v66, v57
	s_waitcnt lgkmcnt(0)
	s_barrier
	ds_read_b32 v70, v63 offset:28
	s_cmp_lt_i32 s22, 9
	v_mov_b32_e32 v66, 7
	s_cbranch_scc1 .LBB114_117
; %bb.115:
	v_add3_u32 v71, v68, 0, 32
	v_mov_b32_e32 v66, 7
	s_mov_b32 s0, 8
.LBB114_116:                            ; =>This Inner Loop Header: Depth=1
	ds_read_b32 v72, v71
	v_mov_b32_e32 v73, s0
	s_add_i32 s0, s0, 1
	v_add_u32_e32 v71, 4, v71
	s_cmp_lg_u32 s22, s0
	s_waitcnt lgkmcnt(0)
	v_cmp_lt_f32_e64 vcc, |v70|, |v72|
	s_nop 1
	v_cndmask_b32_e32 v70, v70, v72, vcc
	v_cndmask_b32_e32 v66, v66, v73, vcc
	s_cbranch_scc1 .LBB114_116
.LBB114_117:
	s_waitcnt lgkmcnt(0)
	v_cmp_eq_f32_e32 vcc, 0, v70
	s_and_saveexec_b64 s[0:1], vcc
	s_xor_b64 s[0:1], exec, s[0:1]
; %bb.118:
	v_cmp_ne_u32_e32 vcc, 0, v65
	s_nop 1
	v_cndmask_b32_e32 v65, 8, v65, vcc
; %bb.119:
	s_andn2_saveexec_b64 s[0:1], s[0:1]
	s_cbranch_execz .LBB114_121
; %bb.120:
	v_div_scale_f32 v71, s[2:3], v70, v70, 1.0
	v_rcp_f32_e32 v72, v71
	v_div_scale_f32 v73, vcc, 1.0, v70, 1.0
	v_fma_f32 v74, -v71, v72, 1.0
	v_fmac_f32_e32 v72, v74, v72
	v_mul_f32_e32 v74, v73, v72
	v_fma_f32 v75, -v71, v74, v73
	v_fmac_f32_e32 v74, v75, v72
	v_fma_f32 v71, -v71, v74, v73
	v_div_fmas_f32 v71, v71, v72, v74
	v_div_fixup_f32 v70, v71, v70, 1.0
.LBB114_121:
	s_or_b64 exec, exec, s[0:1]
	v_cmp_ne_u32_e32 vcc, v69, v66
	s_and_saveexec_b64 s[0:1], vcc
	s_xor_b64 s[0:1], exec, s[0:1]
	s_cbranch_execz .LBB114_127
; %bb.122:
	v_cmp_eq_u32_e32 vcc, 7, v69
	s_and_saveexec_b64 s[2:3], vcc
	s_cbranch_execz .LBB114_126
; %bb.123:
	v_cmp_ne_u32_e32 vcc, 7, v66
	s_xor_b64 s[12:13], s[20:21], -1
	s_and_b64 s[14:15], s[12:13], vcc
	s_and_saveexec_b64 s[12:13], s[14:15]
	s_cbranch_execz .LBB114_125
; %bb.124:
	v_ashrrev_i32_e32 v67, 31, v66
	v_lshl_add_u64 v[72:73], v[66:67], 2, v[4:5]
	global_load_dword v67, v[72:73], off
	global_load_dword v69, v[4:5], off offset:28
	s_waitcnt vmcnt(1)
	global_store_dword v[4:5], v67, off offset:28
	s_waitcnt vmcnt(1)
	global_store_dword v[72:73], v69, off
.LBB114_125:
	s_or_b64 exec, exec, s[12:13]
	v_mov_b32_e32 v67, v66
	v_mov_b32_e32 v69, v66
.LBB114_126:
	s_or_b64 exec, exec, s[2:3]
.LBB114_127:
	s_andn2_saveexec_b64 s[0:1], s[0:1]
	s_cbranch_execz .LBB114_129
; %bb.128:
	v_mov_b32_e32 v69, 7
	ds_write2_b32 v63, v54, v55 offset0:8 offset1:9
	ds_write2_b32 v63, v50, v51 offset0:10 offset1:11
	;; [unrolled: 1-line block ×25, first 2 shown]
.LBB114_129:
	s_or_b64 exec, exec, s[0:1]
	v_cmp_lt_i32_e32 vcc, 7, v69
	s_waitcnt lgkmcnt(0)
	s_barrier
	s_and_saveexec_b64 s[0:1], vcc
	s_cbranch_execz .LBB114_131
; %bb.130:
	ds_read2_b32 v[72:73], v63 offset0:8 offset1:9
	ds_read2_b32 v[74:75], v63 offset0:10 offset1:11
	;; [unrolled: 1-line block ×3, first 2 shown]
	v_mul_f32_e32 v66, v70, v57
	ds_read2_b32 v[70:71], v63 offset0:14 offset1:15
	s_waitcnt lgkmcnt(3)
	v_pk_fma_f32 v[54:55], v[66:67], v[72:73], v[54:55] op_sel_hi:[0,1,1] neg_lo:[1,0,0] neg_hi:[1,0,0]
	s_waitcnt lgkmcnt(2)
	v_pk_fma_f32 v[50:51], v[66:67], v[74:75], v[50:51] op_sel_hi:[0,1,1] neg_lo:[1,0,0] neg_hi:[1,0,0]
	s_waitcnt lgkmcnt(1)
	v_pk_fma_f32 v[44:45], v[66:67], v[76:77], v[44:45] op_sel_hi:[0,1,1] neg_lo:[1,0,0] neg_hi:[1,0,0]
	ds_read2_b32 v[72:73], v63 offset0:16 offset1:17
	ds_read2_b32 v[74:75], v63 offset0:18 offset1:19
	ds_read2_b32 v[76:77], v63 offset0:20 offset1:21
	s_waitcnt lgkmcnt(3)
	v_pk_fma_f32 v[36:37], v[66:67], v[70:71], v[36:37] op_sel_hi:[0,1,1] neg_lo:[1,0,0] neg_hi:[1,0,0]
	ds_read2_b32 v[70:71], v63 offset0:22 offset1:23
	s_waitcnt lgkmcnt(3)
	v_pk_fma_f32 v[52:53], v[66:67], v[72:73], v[52:53] op_sel_hi:[0,1,1] neg_lo:[1,0,0] neg_hi:[1,0,0]
	s_waitcnt lgkmcnt(2)
	v_pk_fma_f32 v[46:47], v[66:67], v[74:75], v[46:47] op_sel_hi:[0,1,1] neg_lo:[1,0,0] neg_hi:[1,0,0]
	s_waitcnt lgkmcnt(1)
	v_pk_fma_f32 v[38:39], v[66:67], v[76:77], v[38:39] op_sel_hi:[0,1,1] neg_lo:[1,0,0] neg_hi:[1,0,0]
	ds_read2_b32 v[72:73], v63 offset0:24 offset1:25
	ds_read2_b32 v[74:75], v63 offset0:26 offset1:27
	ds_read2_b32 v[76:77], v63 offset0:28 offset1:29
	s_waitcnt lgkmcnt(3)
	v_pk_fma_f32 v[28:29], v[66:67], v[70:71], v[28:29] op_sel_hi:[0,1,1] neg_lo:[1,0,0] neg_hi:[1,0,0]
	;; [unrolled: 12-line block ×3, first 2 shown]
	ds_read2_b32 v[70:71], v63 offset0:38 offset1:39
	s_waitcnt lgkmcnt(3)
	v_pk_fma_f32 v[42:43], v[66:67], v[72:73], v[42:43] op_sel_hi:[0,1,1] neg_lo:[1,0,0] neg_hi:[1,0,0]
	s_waitcnt lgkmcnt(2)
	v_pk_fma_f32 v[32:33], v[66:67], v[74:75], v[32:33] op_sel_hi:[0,1,1] neg_lo:[1,0,0] neg_hi:[1,0,0]
	;; [unrolled: 2-line block ×3, first 2 shown]
	ds_read2_b32 v[72:73], v63 offset0:40 offset1:41
	ds_read2_b32 v[74:75], v63 offset0:42 offset1:43
	;; [unrolled: 1-line block ×4, first 2 shown]
	s_waitcnt lgkmcnt(4)
	v_pk_fma_f32 v[14:15], v[66:67], v[70:71], v[14:15] op_sel_hi:[0,1,1] neg_lo:[1,0,0] neg_hi:[1,0,0]
	s_waitcnt lgkmcnt(3)
	v_pk_fma_f32 v[34:35], v[66:67], v[72:73], v[34:35] op_sel_hi:[0,1,1] neg_lo:[1,0,0] neg_hi:[1,0,0]
	;; [unrolled: 2-line block ×5, first 2 shown]
	ds_read2_b32 v[70:71], v63 offset0:48 offset1:49
	ds_read2_b32 v[72:73], v63 offset0:50 offset1:51
	;; [unrolled: 1-line block ×5, first 2 shown]
	s_waitcnt lgkmcnt(4)
	v_pk_fma_f32 v[26:27], v[66:67], v[70:71], v[26:27] op_sel_hi:[0,1,1] neg_lo:[1,0,0] neg_hi:[1,0,0]
	s_waitcnt lgkmcnt(3)
	v_pk_fma_f32 v[18:19], v[66:67], v[72:73], v[18:19] op_sel_hi:[0,1,1] neg_lo:[1,0,0] neg_hi:[1,0,0]
	;; [unrolled: 2-line block ×5, first 2 shown]
	v_mov_b32_e32 v57, v66
.LBB114_131:
	s_or_b64 exec, exec, s[0:1]
	v_lshl_add_u32 v66, v69, 2, v63
	s_barrier
	ds_write_b32 v66, v54
	s_waitcnt lgkmcnt(0)
	s_barrier
	ds_read_b32 v70, v63 offset:32
	s_cmp_lt_i32 s22, 10
	v_mov_b32_e32 v66, 8
	s_cbranch_scc1 .LBB114_134
; %bb.132:
	v_add3_u32 v71, v68, 0, 36
	v_mov_b32_e32 v66, 8
	s_mov_b32 s0, 9
.LBB114_133:                            ; =>This Inner Loop Header: Depth=1
	ds_read_b32 v72, v71
	v_mov_b32_e32 v73, s0
	s_add_i32 s0, s0, 1
	v_add_u32_e32 v71, 4, v71
	s_cmp_lg_u32 s22, s0
	s_waitcnt lgkmcnt(0)
	v_cmp_lt_f32_e64 vcc, |v70|, |v72|
	s_nop 1
	v_cndmask_b32_e32 v70, v70, v72, vcc
	v_cndmask_b32_e32 v66, v66, v73, vcc
	s_cbranch_scc1 .LBB114_133
.LBB114_134:
	s_waitcnt lgkmcnt(0)
	v_cmp_eq_f32_e32 vcc, 0, v70
	s_and_saveexec_b64 s[0:1], vcc
	s_xor_b64 s[0:1], exec, s[0:1]
; %bb.135:
	v_cmp_ne_u32_e32 vcc, 0, v65
	s_nop 1
	v_cndmask_b32_e32 v65, 9, v65, vcc
; %bb.136:
	s_andn2_saveexec_b64 s[0:1], s[0:1]
	s_cbranch_execz .LBB114_138
; %bb.137:
	v_div_scale_f32 v71, s[2:3], v70, v70, 1.0
	v_rcp_f32_e32 v72, v71
	v_div_scale_f32 v73, vcc, 1.0, v70, 1.0
	v_fma_f32 v74, -v71, v72, 1.0
	v_fmac_f32_e32 v72, v74, v72
	v_mul_f32_e32 v74, v73, v72
	v_fma_f32 v75, -v71, v74, v73
	v_fmac_f32_e32 v74, v75, v72
	v_fma_f32 v71, -v71, v74, v73
	v_div_fmas_f32 v71, v71, v72, v74
	v_div_fixup_f32 v70, v71, v70, 1.0
.LBB114_138:
	s_or_b64 exec, exec, s[0:1]
	v_cmp_ne_u32_e32 vcc, v69, v66
	s_and_saveexec_b64 s[0:1], vcc
	s_xor_b64 s[0:1], exec, s[0:1]
	s_cbranch_execz .LBB114_144
; %bb.139:
	v_cmp_eq_u32_e32 vcc, 8, v69
	s_and_saveexec_b64 s[2:3], vcc
	s_cbranch_execz .LBB114_143
; %bb.140:
	v_cmp_ne_u32_e32 vcc, 8, v66
	s_xor_b64 s[12:13], s[20:21], -1
	s_and_b64 s[14:15], s[12:13], vcc
	s_and_saveexec_b64 s[12:13], s[14:15]
	s_cbranch_execz .LBB114_142
; %bb.141:
	v_ashrrev_i32_e32 v67, 31, v66
	v_lshl_add_u64 v[72:73], v[66:67], 2, v[4:5]
	global_load_dword v67, v[72:73], off
	global_load_dword v69, v[4:5], off offset:32
	s_waitcnt vmcnt(1)
	global_store_dword v[4:5], v67, off offset:32
	s_waitcnt vmcnt(1)
	global_store_dword v[72:73], v69, off
.LBB114_142:
	s_or_b64 exec, exec, s[12:13]
	v_mov_b32_e32 v67, v66
	v_mov_b32_e32 v69, v66
.LBB114_143:
	s_or_b64 exec, exec, s[2:3]
.LBB114_144:
	s_andn2_saveexec_b64 s[0:1], s[0:1]
	s_cbranch_execz .LBB114_146
; %bb.145:
	v_pk_mov_b32 v[72:73], v[54:55], v[50:51] op_sel:[1,0]
	ds_write2_b32 v63, v72, v73 offset0:9 offset1:10
	v_pk_mov_b32 v[72:73], v[50:51], v[44:45] op_sel:[1,0]
	ds_write2_b32 v63, v72, v73 offset0:11 offset1:12
	;; [unrolled: 2-line block ×23, first 2 shown]
	v_pk_mov_b32 v[72:73], v[0:1], v[12:13] op_sel:[1,0]
	v_mov_b32_e32 v69, 8
	ds_write2_b32 v63, v72, v73 offset0:55 offset1:56
	ds_write_b32 v63, v13 offset:228
.LBB114_146:
	s_or_b64 exec, exec, s[0:1]
	v_cmp_lt_i32_e32 vcc, 8, v69
	s_waitcnt lgkmcnt(0)
	s_barrier
	s_and_saveexec_b64 s[0:1], vcc
	s_cbranch_execz .LBB114_148
; %bb.147:
	ds_read_b32 v66, v63 offset:36
	ds_read2_b32 v[72:73], v63 offset0:10 offset1:11
	ds_read2_b32 v[74:75], v63 offset0:12 offset1:13
	v_mul_f32_e32 v54, v70, v54
	ds_read2_b32 v[70:71], v63 offset0:14 offset1:15
	s_waitcnt lgkmcnt(3)
	v_fma_f32 v55, -v54, v66, v55
	s_waitcnt lgkmcnt(2)
	v_pk_fma_f32 v[50:51], v[54:55], v[72:73], v[50:51] op_sel_hi:[0,1,1] neg_lo:[1,0,0] neg_hi:[1,0,0]
	s_waitcnt lgkmcnt(1)
	v_pk_fma_f32 v[44:45], v[54:55], v[74:75], v[44:45] op_sel_hi:[0,1,1] neg_lo:[1,0,0] neg_hi:[1,0,0]
	ds_read2_b32 v[72:73], v63 offset0:16 offset1:17
	ds_read2_b32 v[74:75], v63 offset0:18 offset1:19
	ds_read2_b32 v[76:77], v63 offset0:20 offset1:21
	s_waitcnt lgkmcnt(3)
	v_pk_fma_f32 v[36:37], v[54:55], v[70:71], v[36:37] op_sel_hi:[0,1,1] neg_lo:[1,0,0] neg_hi:[1,0,0]
	ds_read2_b32 v[70:71], v63 offset0:22 offset1:23
	s_waitcnt lgkmcnt(3)
	v_pk_fma_f32 v[52:53], v[54:55], v[72:73], v[52:53] op_sel_hi:[0,1,1] neg_lo:[1,0,0] neg_hi:[1,0,0]
	s_waitcnt lgkmcnt(2)
	v_pk_fma_f32 v[46:47], v[54:55], v[74:75], v[46:47] op_sel_hi:[0,1,1] neg_lo:[1,0,0] neg_hi:[1,0,0]
	s_waitcnt lgkmcnt(1)
	v_pk_fma_f32 v[38:39], v[54:55], v[76:77], v[38:39] op_sel_hi:[0,1,1] neg_lo:[1,0,0] neg_hi:[1,0,0]
	ds_read2_b32 v[72:73], v63 offset0:24 offset1:25
	ds_read2_b32 v[74:75], v63 offset0:26 offset1:27
	ds_read2_b32 v[76:77], v63 offset0:28 offset1:29
	s_waitcnt lgkmcnt(3)
	v_pk_fma_f32 v[28:29], v[54:55], v[70:71], v[28:29] op_sel_hi:[0,1,1] neg_lo:[1,0,0] neg_hi:[1,0,0]
	ds_read2_b32 v[70:71], v63 offset0:30 offset1:31
	s_waitcnt lgkmcnt(3)
	v_pk_fma_f32 v[48:49], v[54:55], v[72:73], v[48:49] op_sel_hi:[0,1,1] neg_lo:[1,0,0] neg_hi:[1,0,0]
	;; [unrolled: 12-line block ×3, first 2 shown]
	s_waitcnt lgkmcnt(2)
	v_pk_fma_f32 v[32:33], v[54:55], v[74:75], v[32:33] op_sel_hi:[0,1,1] neg_lo:[1,0,0] neg_hi:[1,0,0]
	s_waitcnt lgkmcnt(1)
	v_pk_fma_f32 v[22:23], v[54:55], v[76:77], v[22:23] op_sel_hi:[0,1,1] neg_lo:[1,0,0] neg_hi:[1,0,0]
	ds_read2_b32 v[72:73], v63 offset0:40 offset1:41
	ds_read2_b32 v[74:75], v63 offset0:42 offset1:43
	;; [unrolled: 1-line block ×4, first 2 shown]
	s_waitcnt lgkmcnt(4)
	v_pk_fma_f32 v[14:15], v[54:55], v[70:71], v[14:15] op_sel_hi:[0,1,1] neg_lo:[1,0,0] neg_hi:[1,0,0]
	s_waitcnt lgkmcnt(3)
	v_pk_fma_f32 v[34:35], v[54:55], v[72:73], v[34:35] op_sel_hi:[0,1,1] neg_lo:[1,0,0] neg_hi:[1,0,0]
	;; [unrolled: 2-line block ×5, first 2 shown]
	ds_read2_b32 v[70:71], v63 offset0:48 offset1:49
	ds_read2_b32 v[72:73], v63 offset0:50 offset1:51
	;; [unrolled: 1-line block ×5, first 2 shown]
	s_waitcnt lgkmcnt(4)
	v_pk_fma_f32 v[26:27], v[54:55], v[70:71], v[26:27] op_sel_hi:[0,1,1] neg_lo:[1,0,0] neg_hi:[1,0,0]
	s_waitcnt lgkmcnt(3)
	v_pk_fma_f32 v[18:19], v[54:55], v[72:73], v[18:19] op_sel_hi:[0,1,1] neg_lo:[1,0,0] neg_hi:[1,0,0]
	;; [unrolled: 2-line block ×5, first 2 shown]
.LBB114_148:
	s_or_b64 exec, exec, s[0:1]
	v_lshl_add_u32 v66, v69, 2, v63
	s_barrier
	ds_write_b32 v66, v55
	s_waitcnt lgkmcnt(0)
	s_barrier
	ds_read_b32 v70, v63 offset:36
	s_cmp_lt_i32 s22, 11
	v_mov_b32_e32 v66, 9
	s_cbranch_scc1 .LBB114_151
; %bb.149:
	v_add3_u32 v71, v68, 0, 40
	v_mov_b32_e32 v66, 9
	s_mov_b32 s0, 10
.LBB114_150:                            ; =>This Inner Loop Header: Depth=1
	ds_read_b32 v72, v71
	v_mov_b32_e32 v73, s0
	s_add_i32 s0, s0, 1
	v_add_u32_e32 v71, 4, v71
	s_cmp_lg_u32 s22, s0
	s_waitcnt lgkmcnt(0)
	v_cmp_lt_f32_e64 vcc, |v70|, |v72|
	s_nop 1
	v_cndmask_b32_e32 v70, v70, v72, vcc
	v_cndmask_b32_e32 v66, v66, v73, vcc
	s_cbranch_scc1 .LBB114_150
.LBB114_151:
	s_waitcnt lgkmcnt(0)
	v_cmp_eq_f32_e32 vcc, 0, v70
	s_and_saveexec_b64 s[0:1], vcc
	s_xor_b64 s[0:1], exec, s[0:1]
; %bb.152:
	v_cmp_ne_u32_e32 vcc, 0, v65
	s_nop 1
	v_cndmask_b32_e32 v65, 10, v65, vcc
; %bb.153:
	s_andn2_saveexec_b64 s[0:1], s[0:1]
	s_cbranch_execz .LBB114_155
; %bb.154:
	v_div_scale_f32 v71, s[2:3], v70, v70, 1.0
	v_rcp_f32_e32 v72, v71
	v_div_scale_f32 v73, vcc, 1.0, v70, 1.0
	v_fma_f32 v74, -v71, v72, 1.0
	v_fmac_f32_e32 v72, v74, v72
	v_mul_f32_e32 v74, v73, v72
	v_fma_f32 v75, -v71, v74, v73
	v_fmac_f32_e32 v74, v75, v72
	v_fma_f32 v71, -v71, v74, v73
	v_div_fmas_f32 v71, v71, v72, v74
	v_div_fixup_f32 v70, v71, v70, 1.0
.LBB114_155:
	s_or_b64 exec, exec, s[0:1]
	v_cmp_ne_u32_e32 vcc, v69, v66
	s_and_saveexec_b64 s[0:1], vcc
	s_xor_b64 s[0:1], exec, s[0:1]
	s_cbranch_execz .LBB114_161
; %bb.156:
	v_cmp_eq_u32_e32 vcc, 9, v69
	s_and_saveexec_b64 s[2:3], vcc
	s_cbranch_execz .LBB114_160
; %bb.157:
	v_cmp_ne_u32_e32 vcc, 9, v66
	s_xor_b64 s[12:13], s[20:21], -1
	s_and_b64 s[14:15], s[12:13], vcc
	s_and_saveexec_b64 s[12:13], s[14:15]
	s_cbranch_execz .LBB114_159
; %bb.158:
	v_ashrrev_i32_e32 v67, 31, v66
	v_lshl_add_u64 v[72:73], v[66:67], 2, v[4:5]
	global_load_dword v67, v[72:73], off
	global_load_dword v69, v[4:5], off offset:36
	s_waitcnt vmcnt(1)
	global_store_dword v[4:5], v67, off offset:36
	s_waitcnt vmcnt(1)
	global_store_dword v[72:73], v69, off
.LBB114_159:
	s_or_b64 exec, exec, s[12:13]
	v_mov_b32_e32 v67, v66
	v_mov_b32_e32 v69, v66
.LBB114_160:
	s_or_b64 exec, exec, s[2:3]
.LBB114_161:
	s_andn2_saveexec_b64 s[0:1], s[0:1]
	s_cbranch_execz .LBB114_163
; %bb.162:
	v_mov_b32_e32 v69, 9
	ds_write2_b32 v63, v50, v51 offset0:10 offset1:11
	ds_write2_b32 v63, v44, v45 offset0:12 offset1:13
	;; [unrolled: 1-line block ×24, first 2 shown]
.LBB114_163:
	s_or_b64 exec, exec, s[0:1]
	v_cmp_lt_i32_e32 vcc, 9, v69
	s_waitcnt lgkmcnt(0)
	s_barrier
	s_and_saveexec_b64 s[0:1], vcc
	s_cbranch_execz .LBB114_165
; %bb.164:
	ds_read2_b32 v[72:73], v63 offset0:10 offset1:11
	ds_read2_b32 v[74:75], v63 offset0:12 offset1:13
	;; [unrolled: 1-line block ×3, first 2 shown]
	v_mul_f32_e32 v66, v70, v55
	ds_read2_b32 v[70:71], v63 offset0:16 offset1:17
	s_waitcnt lgkmcnt(3)
	v_pk_fma_f32 v[50:51], v[66:67], v[72:73], v[50:51] op_sel_hi:[0,1,1] neg_lo:[1,0,0] neg_hi:[1,0,0]
	s_waitcnt lgkmcnt(2)
	v_pk_fma_f32 v[44:45], v[66:67], v[74:75], v[44:45] op_sel_hi:[0,1,1] neg_lo:[1,0,0] neg_hi:[1,0,0]
	s_waitcnt lgkmcnt(1)
	v_pk_fma_f32 v[36:37], v[66:67], v[76:77], v[36:37] op_sel_hi:[0,1,1] neg_lo:[1,0,0] neg_hi:[1,0,0]
	ds_read2_b32 v[72:73], v63 offset0:18 offset1:19
	ds_read2_b32 v[74:75], v63 offset0:20 offset1:21
	ds_read2_b32 v[76:77], v63 offset0:22 offset1:23
	s_waitcnt lgkmcnt(3)
	v_pk_fma_f32 v[52:53], v[66:67], v[70:71], v[52:53] op_sel_hi:[0,1,1] neg_lo:[1,0,0] neg_hi:[1,0,0]
	ds_read2_b32 v[70:71], v63 offset0:24 offset1:25
	s_waitcnt lgkmcnt(3)
	v_pk_fma_f32 v[46:47], v[66:67], v[72:73], v[46:47] op_sel_hi:[0,1,1] neg_lo:[1,0,0] neg_hi:[1,0,0]
	s_waitcnt lgkmcnt(2)
	v_pk_fma_f32 v[38:39], v[66:67], v[74:75], v[38:39] op_sel_hi:[0,1,1] neg_lo:[1,0,0] neg_hi:[1,0,0]
	s_waitcnt lgkmcnt(1)
	v_pk_fma_f32 v[28:29], v[66:67], v[76:77], v[28:29] op_sel_hi:[0,1,1] neg_lo:[1,0,0] neg_hi:[1,0,0]
	ds_read2_b32 v[72:73], v63 offset0:26 offset1:27
	ds_read2_b32 v[74:75], v63 offset0:28 offset1:29
	ds_read2_b32 v[76:77], v63 offset0:30 offset1:31
	s_waitcnt lgkmcnt(3)
	v_pk_fma_f32 v[48:49], v[66:67], v[70:71], v[48:49] op_sel_hi:[0,1,1] neg_lo:[1,0,0] neg_hi:[1,0,0]
	;; [unrolled: 12-line block ×4, first 2 shown]
	ds_read2_b32 v[70:71], v63 offset0:48 offset1:49
	s_waitcnt lgkmcnt(3)
	v_pk_fma_f32 v[24:25], v[66:67], v[72:73], v[24:25] op_sel_hi:[0,1,1] neg_lo:[1,0,0] neg_hi:[1,0,0]
	s_waitcnt lgkmcnt(2)
	v_pk_fma_f32 v[16:17], v[66:67], v[74:75], v[16:17] op_sel_hi:[0,1,1] neg_lo:[1,0,0] neg_hi:[1,0,0]
	;; [unrolled: 2-line block ×3, first 2 shown]
	ds_read2_b32 v[72:73], v63 offset0:50 offset1:51
	ds_read2_b32 v[74:75], v63 offset0:52 offset1:53
	;; [unrolled: 1-line block ×4, first 2 shown]
	s_waitcnt lgkmcnt(4)
	v_pk_fma_f32 v[26:27], v[66:67], v[70:71], v[26:27] op_sel_hi:[0,1,1] neg_lo:[1,0,0] neg_hi:[1,0,0]
	s_waitcnt lgkmcnt(3)
	v_pk_fma_f32 v[18:19], v[66:67], v[72:73], v[18:19] op_sel_hi:[0,1,1] neg_lo:[1,0,0] neg_hi:[1,0,0]
	;; [unrolled: 2-line block ×5, first 2 shown]
	v_mov_b32_e32 v55, v66
.LBB114_165:
	s_or_b64 exec, exec, s[0:1]
	v_lshl_add_u32 v66, v69, 2, v63
	s_barrier
	ds_write_b32 v66, v50
	s_waitcnt lgkmcnt(0)
	s_barrier
	ds_read_b32 v70, v63 offset:40
	s_cmp_lt_i32 s22, 12
	v_mov_b32_e32 v66, 10
	s_cbranch_scc1 .LBB114_168
; %bb.166:
	v_add3_u32 v71, v68, 0, 44
	v_mov_b32_e32 v66, 10
	s_mov_b32 s0, 11
.LBB114_167:                            ; =>This Inner Loop Header: Depth=1
	ds_read_b32 v72, v71
	v_mov_b32_e32 v73, s0
	s_add_i32 s0, s0, 1
	v_add_u32_e32 v71, 4, v71
	s_cmp_lg_u32 s22, s0
	s_waitcnt lgkmcnt(0)
	v_cmp_lt_f32_e64 vcc, |v70|, |v72|
	s_nop 1
	v_cndmask_b32_e32 v70, v70, v72, vcc
	v_cndmask_b32_e32 v66, v66, v73, vcc
	s_cbranch_scc1 .LBB114_167
.LBB114_168:
	s_waitcnt lgkmcnt(0)
	v_cmp_eq_f32_e32 vcc, 0, v70
	s_and_saveexec_b64 s[0:1], vcc
	s_xor_b64 s[0:1], exec, s[0:1]
; %bb.169:
	v_cmp_ne_u32_e32 vcc, 0, v65
	s_nop 1
	v_cndmask_b32_e32 v65, 11, v65, vcc
; %bb.170:
	s_andn2_saveexec_b64 s[0:1], s[0:1]
	s_cbranch_execz .LBB114_172
; %bb.171:
	v_div_scale_f32 v71, s[2:3], v70, v70, 1.0
	v_rcp_f32_e32 v72, v71
	v_div_scale_f32 v73, vcc, 1.0, v70, 1.0
	v_fma_f32 v74, -v71, v72, 1.0
	v_fmac_f32_e32 v72, v74, v72
	v_mul_f32_e32 v74, v73, v72
	v_fma_f32 v75, -v71, v74, v73
	v_fmac_f32_e32 v74, v75, v72
	v_fma_f32 v71, -v71, v74, v73
	v_div_fmas_f32 v71, v71, v72, v74
	v_div_fixup_f32 v70, v71, v70, 1.0
.LBB114_172:
	s_or_b64 exec, exec, s[0:1]
	v_cmp_ne_u32_e32 vcc, v69, v66
	s_and_saveexec_b64 s[0:1], vcc
	s_xor_b64 s[0:1], exec, s[0:1]
	s_cbranch_execz .LBB114_178
; %bb.173:
	v_cmp_eq_u32_e32 vcc, 10, v69
	s_and_saveexec_b64 s[2:3], vcc
	s_cbranch_execz .LBB114_177
; %bb.174:
	v_cmp_ne_u32_e32 vcc, 10, v66
	s_xor_b64 s[12:13], s[20:21], -1
	s_and_b64 s[14:15], s[12:13], vcc
	s_and_saveexec_b64 s[12:13], s[14:15]
	s_cbranch_execz .LBB114_176
; %bb.175:
	v_ashrrev_i32_e32 v67, 31, v66
	v_lshl_add_u64 v[72:73], v[66:67], 2, v[4:5]
	global_load_dword v67, v[72:73], off
	global_load_dword v69, v[4:5], off offset:40
	s_waitcnt vmcnt(1)
	global_store_dword v[4:5], v67, off offset:40
	s_waitcnt vmcnt(1)
	global_store_dword v[72:73], v69, off
.LBB114_176:
	s_or_b64 exec, exec, s[12:13]
	v_mov_b32_e32 v67, v66
	v_mov_b32_e32 v69, v66
.LBB114_177:
	s_or_b64 exec, exec, s[2:3]
.LBB114_178:
	s_andn2_saveexec_b64 s[0:1], s[0:1]
	s_cbranch_execz .LBB114_180
; %bb.179:
	v_pk_mov_b32 v[72:73], v[50:51], v[44:45] op_sel:[1,0]
	ds_write2_b32 v63, v72, v73 offset0:11 offset1:12
	v_pk_mov_b32 v[72:73], v[44:45], v[36:37] op_sel:[1,0]
	ds_write2_b32 v63, v72, v73 offset0:13 offset1:14
	;; [unrolled: 2-line block ×22, first 2 shown]
	v_pk_mov_b32 v[72:73], v[0:1], v[12:13] op_sel:[1,0]
	v_mov_b32_e32 v69, 10
	ds_write2_b32 v63, v72, v73 offset0:55 offset1:56
	ds_write_b32 v63, v13 offset:228
.LBB114_180:
	s_or_b64 exec, exec, s[0:1]
	v_cmp_lt_i32_e32 vcc, 10, v69
	s_waitcnt lgkmcnt(0)
	s_barrier
	s_and_saveexec_b64 s[0:1], vcc
	s_cbranch_execz .LBB114_182
; %bb.181:
	ds_read_b32 v66, v63 offset:44
	ds_read2_b32 v[72:73], v63 offset0:12 offset1:13
	ds_read2_b32 v[74:75], v63 offset0:14 offset1:15
	v_mul_f32_e32 v50, v70, v50
	ds_read2_b32 v[70:71], v63 offset0:16 offset1:17
	s_waitcnt lgkmcnt(3)
	v_fma_f32 v51, -v50, v66, v51
	s_waitcnt lgkmcnt(2)
	v_pk_fma_f32 v[44:45], v[50:51], v[72:73], v[44:45] op_sel_hi:[0,1,1] neg_lo:[1,0,0] neg_hi:[1,0,0]
	s_waitcnt lgkmcnt(1)
	v_pk_fma_f32 v[36:37], v[50:51], v[74:75], v[36:37] op_sel_hi:[0,1,1] neg_lo:[1,0,0] neg_hi:[1,0,0]
	ds_read2_b32 v[72:73], v63 offset0:18 offset1:19
	ds_read2_b32 v[74:75], v63 offset0:20 offset1:21
	ds_read2_b32 v[76:77], v63 offset0:22 offset1:23
	s_waitcnt lgkmcnt(3)
	v_pk_fma_f32 v[52:53], v[50:51], v[70:71], v[52:53] op_sel_hi:[0,1,1] neg_lo:[1,0,0] neg_hi:[1,0,0]
	ds_read2_b32 v[70:71], v63 offset0:24 offset1:25
	s_waitcnt lgkmcnt(3)
	v_pk_fma_f32 v[46:47], v[50:51], v[72:73], v[46:47] op_sel_hi:[0,1,1] neg_lo:[1,0,0] neg_hi:[1,0,0]
	s_waitcnt lgkmcnt(2)
	v_pk_fma_f32 v[38:39], v[50:51], v[74:75], v[38:39] op_sel_hi:[0,1,1] neg_lo:[1,0,0] neg_hi:[1,0,0]
	s_waitcnt lgkmcnt(1)
	v_pk_fma_f32 v[28:29], v[50:51], v[76:77], v[28:29] op_sel_hi:[0,1,1] neg_lo:[1,0,0] neg_hi:[1,0,0]
	ds_read2_b32 v[72:73], v63 offset0:26 offset1:27
	ds_read2_b32 v[74:75], v63 offset0:28 offset1:29
	ds_read2_b32 v[76:77], v63 offset0:30 offset1:31
	s_waitcnt lgkmcnt(3)
	v_pk_fma_f32 v[48:49], v[50:51], v[70:71], v[48:49] op_sel_hi:[0,1,1] neg_lo:[1,0,0] neg_hi:[1,0,0]
	ds_read2_b32 v[70:71], v63 offset0:32 offset1:33
	s_waitcnt lgkmcnt(3)
	v_pk_fma_f32 v[40:41], v[50:51], v[72:73], v[40:41] op_sel_hi:[0,1,1] neg_lo:[1,0,0] neg_hi:[1,0,0]
	;; [unrolled: 12-line block ×4, first 2 shown]
	s_waitcnt lgkmcnt(2)
	v_pk_fma_f32 v[16:17], v[50:51], v[74:75], v[16:17] op_sel_hi:[0,1,1] neg_lo:[1,0,0] neg_hi:[1,0,0]
	s_waitcnt lgkmcnt(1)
	v_pk_fma_f32 v[8:9], v[50:51], v[76:77], v[8:9] op_sel_hi:[0,1,1] neg_lo:[1,0,0] neg_hi:[1,0,0]
	ds_read2_b32 v[72:73], v63 offset0:50 offset1:51
	ds_read2_b32 v[74:75], v63 offset0:52 offset1:53
	ds_read2_b32 v[76:77], v63 offset0:54 offset1:55
	ds_read2_b32 v[78:79], v63 offset0:56 offset1:57
	s_waitcnt lgkmcnt(4)
	v_pk_fma_f32 v[26:27], v[50:51], v[70:71], v[26:27] op_sel_hi:[0,1,1] neg_lo:[1,0,0] neg_hi:[1,0,0]
	s_waitcnt lgkmcnt(3)
	v_pk_fma_f32 v[18:19], v[50:51], v[72:73], v[18:19] op_sel_hi:[0,1,1] neg_lo:[1,0,0] neg_hi:[1,0,0]
	;; [unrolled: 2-line block ×5, first 2 shown]
.LBB114_182:
	s_or_b64 exec, exec, s[0:1]
	v_lshl_add_u32 v66, v69, 2, v63
	s_barrier
	ds_write_b32 v66, v51
	s_waitcnt lgkmcnt(0)
	s_barrier
	ds_read_b32 v70, v63 offset:44
	s_cmp_lt_i32 s22, 13
	v_mov_b32_e32 v66, 11
	s_cbranch_scc1 .LBB114_185
; %bb.183:
	v_add3_u32 v71, v68, 0, 48
	v_mov_b32_e32 v66, 11
	s_mov_b32 s0, 12
.LBB114_184:                            ; =>This Inner Loop Header: Depth=1
	ds_read_b32 v72, v71
	v_mov_b32_e32 v73, s0
	s_add_i32 s0, s0, 1
	v_add_u32_e32 v71, 4, v71
	s_cmp_lg_u32 s22, s0
	s_waitcnt lgkmcnt(0)
	v_cmp_lt_f32_e64 vcc, |v70|, |v72|
	s_nop 1
	v_cndmask_b32_e32 v70, v70, v72, vcc
	v_cndmask_b32_e32 v66, v66, v73, vcc
	s_cbranch_scc1 .LBB114_184
.LBB114_185:
	s_waitcnt lgkmcnt(0)
	v_cmp_eq_f32_e32 vcc, 0, v70
	s_and_saveexec_b64 s[0:1], vcc
	s_xor_b64 s[0:1], exec, s[0:1]
; %bb.186:
	v_cmp_ne_u32_e32 vcc, 0, v65
	s_nop 1
	v_cndmask_b32_e32 v65, 12, v65, vcc
; %bb.187:
	s_andn2_saveexec_b64 s[0:1], s[0:1]
	s_cbranch_execz .LBB114_189
; %bb.188:
	v_div_scale_f32 v71, s[2:3], v70, v70, 1.0
	v_rcp_f32_e32 v72, v71
	v_div_scale_f32 v73, vcc, 1.0, v70, 1.0
	v_fma_f32 v74, -v71, v72, 1.0
	v_fmac_f32_e32 v72, v74, v72
	v_mul_f32_e32 v74, v73, v72
	v_fma_f32 v75, -v71, v74, v73
	v_fmac_f32_e32 v74, v75, v72
	v_fma_f32 v71, -v71, v74, v73
	v_div_fmas_f32 v71, v71, v72, v74
	v_div_fixup_f32 v70, v71, v70, 1.0
.LBB114_189:
	s_or_b64 exec, exec, s[0:1]
	v_cmp_ne_u32_e32 vcc, v69, v66
	s_and_saveexec_b64 s[0:1], vcc
	s_xor_b64 s[0:1], exec, s[0:1]
	s_cbranch_execz .LBB114_195
; %bb.190:
	v_cmp_eq_u32_e32 vcc, 11, v69
	s_and_saveexec_b64 s[2:3], vcc
	s_cbranch_execz .LBB114_194
; %bb.191:
	v_cmp_ne_u32_e32 vcc, 11, v66
	s_xor_b64 s[12:13], s[20:21], -1
	s_and_b64 s[14:15], s[12:13], vcc
	s_and_saveexec_b64 s[12:13], s[14:15]
	s_cbranch_execz .LBB114_193
; %bb.192:
	v_ashrrev_i32_e32 v67, 31, v66
	v_lshl_add_u64 v[72:73], v[66:67], 2, v[4:5]
	global_load_dword v67, v[72:73], off
	global_load_dword v69, v[4:5], off offset:44
	s_waitcnt vmcnt(1)
	global_store_dword v[4:5], v67, off offset:44
	s_waitcnt vmcnt(1)
	global_store_dword v[72:73], v69, off
.LBB114_193:
	s_or_b64 exec, exec, s[12:13]
	v_mov_b32_e32 v67, v66
	v_mov_b32_e32 v69, v66
.LBB114_194:
	s_or_b64 exec, exec, s[2:3]
.LBB114_195:
	s_andn2_saveexec_b64 s[0:1], s[0:1]
	s_cbranch_execz .LBB114_197
; %bb.196:
	v_mov_b32_e32 v69, 11
	ds_write2_b32 v63, v44, v45 offset0:12 offset1:13
	ds_write2_b32 v63, v36, v37 offset0:14 offset1:15
	;; [unrolled: 1-line block ×23, first 2 shown]
.LBB114_197:
	s_or_b64 exec, exec, s[0:1]
	v_cmp_lt_i32_e32 vcc, 11, v69
	s_waitcnt lgkmcnt(0)
	s_barrier
	s_and_saveexec_b64 s[0:1], vcc
	s_cbranch_execz .LBB114_199
; %bb.198:
	ds_read2_b32 v[72:73], v63 offset0:12 offset1:13
	ds_read2_b32 v[74:75], v63 offset0:14 offset1:15
	;; [unrolled: 1-line block ×3, first 2 shown]
	v_mul_f32_e32 v66, v70, v51
	ds_read2_b32 v[70:71], v63 offset0:18 offset1:19
	s_waitcnt lgkmcnt(3)
	v_pk_fma_f32 v[44:45], v[66:67], v[72:73], v[44:45] op_sel_hi:[0,1,1] neg_lo:[1,0,0] neg_hi:[1,0,0]
	s_waitcnt lgkmcnt(2)
	v_pk_fma_f32 v[36:37], v[66:67], v[74:75], v[36:37] op_sel_hi:[0,1,1] neg_lo:[1,0,0] neg_hi:[1,0,0]
	s_waitcnt lgkmcnt(1)
	v_pk_fma_f32 v[52:53], v[66:67], v[76:77], v[52:53] op_sel_hi:[0,1,1] neg_lo:[1,0,0] neg_hi:[1,0,0]
	ds_read2_b32 v[72:73], v63 offset0:20 offset1:21
	ds_read2_b32 v[74:75], v63 offset0:22 offset1:23
	ds_read2_b32 v[76:77], v63 offset0:24 offset1:25
	s_waitcnt lgkmcnt(3)
	v_pk_fma_f32 v[46:47], v[66:67], v[70:71], v[46:47] op_sel_hi:[0,1,1] neg_lo:[1,0,0] neg_hi:[1,0,0]
	ds_read2_b32 v[70:71], v63 offset0:26 offset1:27
	s_waitcnt lgkmcnt(3)
	v_pk_fma_f32 v[38:39], v[66:67], v[72:73], v[38:39] op_sel_hi:[0,1,1] neg_lo:[1,0,0] neg_hi:[1,0,0]
	s_waitcnt lgkmcnt(2)
	v_pk_fma_f32 v[28:29], v[66:67], v[74:75], v[28:29] op_sel_hi:[0,1,1] neg_lo:[1,0,0] neg_hi:[1,0,0]
	s_waitcnt lgkmcnt(1)
	v_pk_fma_f32 v[48:49], v[66:67], v[76:77], v[48:49] op_sel_hi:[0,1,1] neg_lo:[1,0,0] neg_hi:[1,0,0]
	ds_read2_b32 v[72:73], v63 offset0:28 offset1:29
	ds_read2_b32 v[74:75], v63 offset0:30 offset1:31
	ds_read2_b32 v[76:77], v63 offset0:32 offset1:33
	s_waitcnt lgkmcnt(3)
	v_pk_fma_f32 v[40:41], v[66:67], v[70:71], v[40:41] op_sel_hi:[0,1,1] neg_lo:[1,0,0] neg_hi:[1,0,0]
	;; [unrolled: 12-line block ×3, first 2 shown]
	ds_read2_b32 v[70:71], v63 offset0:42 offset1:43
	s_waitcnt lgkmcnt(3)
	v_pk_fma_f32 v[22:23], v[66:67], v[72:73], v[22:23] op_sel_hi:[0,1,1] neg_lo:[1,0,0] neg_hi:[1,0,0]
	s_waitcnt lgkmcnt(2)
	v_pk_fma_f32 v[14:15], v[66:67], v[74:75], v[14:15] op_sel_hi:[0,1,1] neg_lo:[1,0,0] neg_hi:[1,0,0]
	ds_read2_b32 v[72:73], v63 offset0:44 offset1:45
	ds_read2_b32 v[74:75], v63 offset0:46 offset1:47
	s_waitcnt lgkmcnt(3)
	v_pk_fma_f32 v[34:35], v[66:67], v[76:77], v[34:35] op_sel_hi:[0,1,1] neg_lo:[1,0,0] neg_hi:[1,0,0]
	s_waitcnt lgkmcnt(2)
	v_pk_fma_f32 v[24:25], v[66:67], v[70:71], v[24:25] op_sel_hi:[0,1,1] neg_lo:[1,0,0] neg_hi:[1,0,0]
	ds_read2_b32 v[70:71], v63 offset0:48 offset1:49
	;; [unrolled: 6-line block ×3, first 2 shown]
	ds_read2_b32 v[74:75], v63 offset0:54 offset1:55
	ds_read2_b32 v[78:79], v63 offset0:56 offset1:57
	s_waitcnt lgkmcnt(4)
	v_pk_fma_f32 v[26:27], v[66:67], v[70:71], v[26:27] op_sel_hi:[0,1,1] neg_lo:[1,0,0] neg_hi:[1,0,0]
	s_waitcnt lgkmcnt(3)
	v_pk_fma_f32 v[18:19], v[66:67], v[76:77], v[18:19] op_sel_hi:[0,1,1] neg_lo:[1,0,0] neg_hi:[1,0,0]
	;; [unrolled: 2-line block ×5, first 2 shown]
	v_mov_b32_e32 v51, v66
.LBB114_199:
	s_or_b64 exec, exec, s[0:1]
	v_lshl_add_u32 v66, v69, 2, v63
	s_barrier
	ds_write_b32 v66, v44
	s_waitcnt lgkmcnt(0)
	s_barrier
	ds_read_b32 v70, v63 offset:48
	s_cmp_lt_i32 s22, 14
	v_mov_b32_e32 v66, 12
	s_cbranch_scc1 .LBB114_202
; %bb.200:
	v_add3_u32 v71, v68, 0, 52
	v_mov_b32_e32 v66, 12
	s_mov_b32 s0, 13
.LBB114_201:                            ; =>This Inner Loop Header: Depth=1
	ds_read_b32 v72, v71
	v_mov_b32_e32 v73, s0
	s_add_i32 s0, s0, 1
	v_add_u32_e32 v71, 4, v71
	s_cmp_lg_u32 s22, s0
	s_waitcnt lgkmcnt(0)
	v_cmp_lt_f32_e64 vcc, |v70|, |v72|
	s_nop 1
	v_cndmask_b32_e32 v70, v70, v72, vcc
	v_cndmask_b32_e32 v66, v66, v73, vcc
	s_cbranch_scc1 .LBB114_201
.LBB114_202:
	s_waitcnt lgkmcnt(0)
	v_cmp_eq_f32_e32 vcc, 0, v70
	s_and_saveexec_b64 s[0:1], vcc
	s_xor_b64 s[0:1], exec, s[0:1]
; %bb.203:
	v_cmp_ne_u32_e32 vcc, 0, v65
	s_nop 1
	v_cndmask_b32_e32 v65, 13, v65, vcc
; %bb.204:
	s_andn2_saveexec_b64 s[0:1], s[0:1]
	s_cbranch_execz .LBB114_206
; %bb.205:
	v_div_scale_f32 v71, s[2:3], v70, v70, 1.0
	v_rcp_f32_e32 v72, v71
	v_div_scale_f32 v73, vcc, 1.0, v70, 1.0
	v_fma_f32 v74, -v71, v72, 1.0
	v_fmac_f32_e32 v72, v74, v72
	v_mul_f32_e32 v74, v73, v72
	v_fma_f32 v75, -v71, v74, v73
	v_fmac_f32_e32 v74, v75, v72
	v_fma_f32 v71, -v71, v74, v73
	v_div_fmas_f32 v71, v71, v72, v74
	v_div_fixup_f32 v70, v71, v70, 1.0
.LBB114_206:
	s_or_b64 exec, exec, s[0:1]
	v_cmp_ne_u32_e32 vcc, v69, v66
	s_and_saveexec_b64 s[0:1], vcc
	s_xor_b64 s[0:1], exec, s[0:1]
	s_cbranch_execz .LBB114_212
; %bb.207:
	v_cmp_eq_u32_e32 vcc, 12, v69
	s_and_saveexec_b64 s[2:3], vcc
	s_cbranch_execz .LBB114_211
; %bb.208:
	v_cmp_ne_u32_e32 vcc, 12, v66
	s_xor_b64 s[12:13], s[20:21], -1
	s_and_b64 s[14:15], s[12:13], vcc
	s_and_saveexec_b64 s[12:13], s[14:15]
	s_cbranch_execz .LBB114_210
; %bb.209:
	v_ashrrev_i32_e32 v67, 31, v66
	v_lshl_add_u64 v[72:73], v[66:67], 2, v[4:5]
	global_load_dword v67, v[72:73], off
	global_load_dword v69, v[4:5], off offset:48
	s_waitcnt vmcnt(1)
	global_store_dword v[4:5], v67, off offset:48
	s_waitcnt vmcnt(1)
	global_store_dword v[72:73], v69, off
.LBB114_210:
	s_or_b64 exec, exec, s[12:13]
	v_mov_b32_e32 v67, v66
	v_mov_b32_e32 v69, v66
.LBB114_211:
	s_or_b64 exec, exec, s[2:3]
.LBB114_212:
	s_andn2_saveexec_b64 s[0:1], s[0:1]
	s_cbranch_execz .LBB114_214
; %bb.213:
	v_pk_mov_b32 v[72:73], v[44:45], v[36:37] op_sel:[1,0]
	ds_write2_b32 v63, v72, v73 offset0:13 offset1:14
	v_pk_mov_b32 v[72:73], v[36:37], v[52:53] op_sel:[1,0]
	ds_write2_b32 v63, v72, v73 offset0:15 offset1:16
	v_pk_mov_b32 v[72:73], v[52:53], v[46:47] op_sel:[1,0]
	ds_write2_b32 v63, v72, v73 offset0:17 offset1:18
	v_pk_mov_b32 v[72:73], v[46:47], v[38:39] op_sel:[1,0]
	ds_write2_b32 v63, v72, v73 offset0:19 offset1:20
	v_pk_mov_b32 v[72:73], v[38:39], v[28:29] op_sel:[1,0]
	ds_write2_b32 v63, v72, v73 offset0:21 offset1:22
	v_pk_mov_b32 v[72:73], v[28:29], v[48:49] op_sel:[1,0]
	ds_write2_b32 v63, v72, v73 offset0:23 offset1:24
	v_pk_mov_b32 v[72:73], v[48:49], v[40:41] op_sel:[1,0]
	ds_write2_b32 v63, v72, v73 offset0:25 offset1:26
	v_pk_mov_b32 v[72:73], v[40:41], v[30:31] op_sel:[1,0]
	ds_write2_b32 v63, v72, v73 offset0:27 offset1:28
	v_pk_mov_b32 v[72:73], v[30:31], v[20:21] op_sel:[1,0]
	ds_write2_b32 v63, v72, v73 offset0:29 offset1:30
	v_pk_mov_b32 v[72:73], v[20:21], v[42:43] op_sel:[1,0]
	ds_write2_b32 v63, v72, v73 offset0:31 offset1:32
	v_pk_mov_b32 v[72:73], v[42:43], v[32:33] op_sel:[1,0]
	ds_write2_b32 v63, v72, v73 offset0:33 offset1:34
	v_pk_mov_b32 v[72:73], v[32:33], v[22:23] op_sel:[1,0]
	ds_write2_b32 v63, v72, v73 offset0:35 offset1:36
	v_pk_mov_b32 v[72:73], v[22:23], v[14:15] op_sel:[1,0]
	ds_write2_b32 v63, v72, v73 offset0:37 offset1:38
	v_pk_mov_b32 v[72:73], v[14:15], v[34:35] op_sel:[1,0]
	ds_write2_b32 v63, v72, v73 offset0:39 offset1:40
	v_pk_mov_b32 v[72:73], v[34:35], v[24:25] op_sel:[1,0]
	ds_write2_b32 v63, v72, v73 offset0:41 offset1:42
	v_pk_mov_b32 v[72:73], v[24:25], v[16:17] op_sel:[1,0]
	ds_write2_b32 v63, v72, v73 offset0:43 offset1:44
	v_pk_mov_b32 v[72:73], v[16:17], v[8:9] op_sel:[1,0]
	ds_write2_b32 v63, v72, v73 offset0:45 offset1:46
	v_pk_mov_b32 v[72:73], v[8:9], v[26:27] op_sel:[1,0]
	ds_write2_b32 v63, v72, v73 offset0:47 offset1:48
	v_pk_mov_b32 v[72:73], v[26:27], v[18:19] op_sel:[1,0]
	ds_write2_b32 v63, v72, v73 offset0:49 offset1:50
	v_pk_mov_b32 v[72:73], v[18:19], v[10:11] op_sel:[1,0]
	ds_write2_b32 v63, v72, v73 offset0:51 offset1:52
	v_pk_mov_b32 v[72:73], v[10:11], v[0:1] op_sel:[1,0]
	ds_write2_b32 v63, v72, v73 offset0:53 offset1:54
	v_pk_mov_b32 v[72:73], v[0:1], v[12:13] op_sel:[1,0]
	v_mov_b32_e32 v69, 12
	ds_write2_b32 v63, v72, v73 offset0:55 offset1:56
	ds_write_b32 v63, v13 offset:228
.LBB114_214:
	s_or_b64 exec, exec, s[0:1]
	v_cmp_lt_i32_e32 vcc, 12, v69
	s_waitcnt lgkmcnt(0)
	s_barrier
	s_and_saveexec_b64 s[0:1], vcc
	s_cbranch_execz .LBB114_216
; %bb.215:
	ds_read_b32 v66, v63 offset:52
	ds_read2_b32 v[72:73], v63 offset0:14 offset1:15
	ds_read2_b32 v[74:75], v63 offset0:16 offset1:17
	v_mul_f32_e32 v44, v70, v44
	ds_read2_b32 v[70:71], v63 offset0:18 offset1:19
	s_waitcnt lgkmcnt(3)
	v_fma_f32 v45, -v44, v66, v45
	s_waitcnt lgkmcnt(2)
	v_pk_fma_f32 v[36:37], v[44:45], v[72:73], v[36:37] op_sel_hi:[0,1,1] neg_lo:[1,0,0] neg_hi:[1,0,0]
	s_waitcnt lgkmcnt(1)
	v_pk_fma_f32 v[52:53], v[44:45], v[74:75], v[52:53] op_sel_hi:[0,1,1] neg_lo:[1,0,0] neg_hi:[1,0,0]
	ds_read2_b32 v[72:73], v63 offset0:20 offset1:21
	ds_read2_b32 v[74:75], v63 offset0:22 offset1:23
	ds_read2_b32 v[76:77], v63 offset0:24 offset1:25
	s_waitcnt lgkmcnt(3)
	v_pk_fma_f32 v[46:47], v[44:45], v[70:71], v[46:47] op_sel_hi:[0,1,1] neg_lo:[1,0,0] neg_hi:[1,0,0]
	ds_read2_b32 v[70:71], v63 offset0:26 offset1:27
	s_waitcnt lgkmcnt(3)
	v_pk_fma_f32 v[38:39], v[44:45], v[72:73], v[38:39] op_sel_hi:[0,1,1] neg_lo:[1,0,0] neg_hi:[1,0,0]
	s_waitcnt lgkmcnt(2)
	v_pk_fma_f32 v[28:29], v[44:45], v[74:75], v[28:29] op_sel_hi:[0,1,1] neg_lo:[1,0,0] neg_hi:[1,0,0]
	s_waitcnt lgkmcnt(1)
	v_pk_fma_f32 v[48:49], v[44:45], v[76:77], v[48:49] op_sel_hi:[0,1,1] neg_lo:[1,0,0] neg_hi:[1,0,0]
	ds_read2_b32 v[72:73], v63 offset0:28 offset1:29
	ds_read2_b32 v[74:75], v63 offset0:30 offset1:31
	ds_read2_b32 v[76:77], v63 offset0:32 offset1:33
	s_waitcnt lgkmcnt(3)
	v_pk_fma_f32 v[40:41], v[44:45], v[70:71], v[40:41] op_sel_hi:[0,1,1] neg_lo:[1,0,0] neg_hi:[1,0,0]
	ds_read2_b32 v[70:71], v63 offset0:34 offset1:35
	s_waitcnt lgkmcnt(3)
	v_pk_fma_f32 v[30:31], v[44:45], v[72:73], v[30:31] op_sel_hi:[0,1,1] neg_lo:[1,0,0] neg_hi:[1,0,0]
	;; [unrolled: 12-line block ×3, first 2 shown]
	s_waitcnt lgkmcnt(2)
	v_pk_fma_f32 v[14:15], v[44:45], v[74:75], v[14:15] op_sel_hi:[0,1,1] neg_lo:[1,0,0] neg_hi:[1,0,0]
	ds_read2_b32 v[72:73], v63 offset0:44 offset1:45
	ds_read2_b32 v[74:75], v63 offset0:46 offset1:47
	s_waitcnt lgkmcnt(3)
	v_pk_fma_f32 v[34:35], v[44:45], v[76:77], v[34:35] op_sel_hi:[0,1,1] neg_lo:[1,0,0] neg_hi:[1,0,0]
	s_waitcnt lgkmcnt(2)
	v_pk_fma_f32 v[24:25], v[44:45], v[70:71], v[24:25] op_sel_hi:[0,1,1] neg_lo:[1,0,0] neg_hi:[1,0,0]
	ds_read2_b32 v[70:71], v63 offset0:48 offset1:49
	ds_read2_b32 v[76:77], v63 offset0:50 offset1:51
	s_waitcnt lgkmcnt(3)
	v_pk_fma_f32 v[16:17], v[44:45], v[72:73], v[16:17] op_sel_hi:[0,1,1] neg_lo:[1,0,0] neg_hi:[1,0,0]
	s_waitcnt lgkmcnt(2)
	v_pk_fma_f32 v[8:9], v[44:45], v[74:75], v[8:9] op_sel_hi:[0,1,1] neg_lo:[1,0,0] neg_hi:[1,0,0]
	ds_read2_b32 v[72:73], v63 offset0:52 offset1:53
	ds_read2_b32 v[74:75], v63 offset0:54 offset1:55
	;; [unrolled: 1-line block ×3, first 2 shown]
	s_waitcnt lgkmcnt(4)
	v_pk_fma_f32 v[26:27], v[44:45], v[70:71], v[26:27] op_sel_hi:[0,1,1] neg_lo:[1,0,0] neg_hi:[1,0,0]
	s_waitcnt lgkmcnt(3)
	v_pk_fma_f32 v[18:19], v[44:45], v[76:77], v[18:19] op_sel_hi:[0,1,1] neg_lo:[1,0,0] neg_hi:[1,0,0]
	s_waitcnt lgkmcnt(2)
	v_pk_fma_f32 v[10:11], v[44:45], v[72:73], v[10:11] op_sel_hi:[0,1,1] neg_lo:[1,0,0] neg_hi:[1,0,0]
	s_waitcnt lgkmcnt(1)
	v_pk_fma_f32 v[0:1], v[44:45], v[74:75], v[0:1] op_sel_hi:[0,1,1] neg_lo:[1,0,0] neg_hi:[1,0,0]
	s_waitcnt lgkmcnt(0)
	v_pk_fma_f32 v[12:13], v[44:45], v[78:79], v[12:13] op_sel_hi:[0,1,1] neg_lo:[1,0,0] neg_hi:[1,0,0]
.LBB114_216:
	s_or_b64 exec, exec, s[0:1]
	v_lshl_add_u32 v66, v69, 2, v63
	s_barrier
	ds_write_b32 v66, v45
	s_waitcnt lgkmcnt(0)
	s_barrier
	ds_read_b32 v70, v63 offset:52
	s_cmp_lt_i32 s22, 15
	v_mov_b32_e32 v66, 13
	s_cbranch_scc1 .LBB114_219
; %bb.217:
	v_add3_u32 v71, v68, 0, 56
	v_mov_b32_e32 v66, 13
	s_mov_b32 s0, 14
.LBB114_218:                            ; =>This Inner Loop Header: Depth=1
	ds_read_b32 v72, v71
	v_mov_b32_e32 v73, s0
	s_add_i32 s0, s0, 1
	v_add_u32_e32 v71, 4, v71
	s_cmp_lg_u32 s22, s0
	s_waitcnt lgkmcnt(0)
	v_cmp_lt_f32_e64 vcc, |v70|, |v72|
	s_nop 1
	v_cndmask_b32_e32 v70, v70, v72, vcc
	v_cndmask_b32_e32 v66, v66, v73, vcc
	s_cbranch_scc1 .LBB114_218
.LBB114_219:
	s_waitcnt lgkmcnt(0)
	v_cmp_eq_f32_e32 vcc, 0, v70
	s_and_saveexec_b64 s[0:1], vcc
	s_xor_b64 s[0:1], exec, s[0:1]
; %bb.220:
	v_cmp_ne_u32_e32 vcc, 0, v65
	s_nop 1
	v_cndmask_b32_e32 v65, 14, v65, vcc
; %bb.221:
	s_andn2_saveexec_b64 s[0:1], s[0:1]
	s_cbranch_execz .LBB114_223
; %bb.222:
	v_div_scale_f32 v71, s[2:3], v70, v70, 1.0
	v_rcp_f32_e32 v72, v71
	v_div_scale_f32 v73, vcc, 1.0, v70, 1.0
	v_fma_f32 v74, -v71, v72, 1.0
	v_fmac_f32_e32 v72, v74, v72
	v_mul_f32_e32 v74, v73, v72
	v_fma_f32 v75, -v71, v74, v73
	v_fmac_f32_e32 v74, v75, v72
	v_fma_f32 v71, -v71, v74, v73
	v_div_fmas_f32 v71, v71, v72, v74
	v_div_fixup_f32 v70, v71, v70, 1.0
.LBB114_223:
	s_or_b64 exec, exec, s[0:1]
	v_cmp_ne_u32_e32 vcc, v69, v66
	s_and_saveexec_b64 s[0:1], vcc
	s_xor_b64 s[0:1], exec, s[0:1]
	s_cbranch_execz .LBB114_229
; %bb.224:
	v_cmp_eq_u32_e32 vcc, 13, v69
	s_and_saveexec_b64 s[2:3], vcc
	s_cbranch_execz .LBB114_228
; %bb.225:
	v_cmp_ne_u32_e32 vcc, 13, v66
	s_xor_b64 s[12:13], s[20:21], -1
	s_and_b64 s[14:15], s[12:13], vcc
	s_and_saveexec_b64 s[12:13], s[14:15]
	s_cbranch_execz .LBB114_227
; %bb.226:
	v_ashrrev_i32_e32 v67, 31, v66
	v_lshl_add_u64 v[72:73], v[66:67], 2, v[4:5]
	global_load_dword v67, v[72:73], off
	global_load_dword v69, v[4:5], off offset:52
	s_waitcnt vmcnt(1)
	global_store_dword v[4:5], v67, off offset:52
	s_waitcnt vmcnt(1)
	global_store_dword v[72:73], v69, off
.LBB114_227:
	s_or_b64 exec, exec, s[12:13]
	v_mov_b32_e32 v67, v66
	v_mov_b32_e32 v69, v66
.LBB114_228:
	s_or_b64 exec, exec, s[2:3]
.LBB114_229:
	s_andn2_saveexec_b64 s[0:1], s[0:1]
	s_cbranch_execz .LBB114_231
; %bb.230:
	v_mov_b32_e32 v69, 13
	ds_write2_b32 v63, v36, v37 offset0:14 offset1:15
	ds_write2_b32 v63, v52, v53 offset0:16 offset1:17
	;; [unrolled: 1-line block ×22, first 2 shown]
.LBB114_231:
	s_or_b64 exec, exec, s[0:1]
	v_cmp_lt_i32_e32 vcc, 13, v69
	s_waitcnt lgkmcnt(0)
	s_barrier
	s_and_saveexec_b64 s[0:1], vcc
	s_cbranch_execz .LBB114_233
; %bb.232:
	ds_read2_b32 v[72:73], v63 offset0:14 offset1:15
	ds_read2_b32 v[74:75], v63 offset0:16 offset1:17
	ds_read2_b32 v[76:77], v63 offset0:18 offset1:19
	v_mul_f32_e32 v66, v70, v45
	ds_read2_b32 v[70:71], v63 offset0:20 offset1:21
	s_waitcnt lgkmcnt(3)
	v_pk_fma_f32 v[36:37], v[66:67], v[72:73], v[36:37] op_sel_hi:[0,1,1] neg_lo:[1,0,0] neg_hi:[1,0,0]
	s_waitcnt lgkmcnt(2)
	v_pk_fma_f32 v[52:53], v[66:67], v[74:75], v[52:53] op_sel_hi:[0,1,1] neg_lo:[1,0,0] neg_hi:[1,0,0]
	s_waitcnt lgkmcnt(1)
	v_pk_fma_f32 v[46:47], v[66:67], v[76:77], v[46:47] op_sel_hi:[0,1,1] neg_lo:[1,0,0] neg_hi:[1,0,0]
	ds_read2_b32 v[72:73], v63 offset0:22 offset1:23
	ds_read2_b32 v[74:75], v63 offset0:24 offset1:25
	ds_read2_b32 v[76:77], v63 offset0:26 offset1:27
	s_waitcnt lgkmcnt(3)
	v_pk_fma_f32 v[38:39], v[66:67], v[70:71], v[38:39] op_sel_hi:[0,1,1] neg_lo:[1,0,0] neg_hi:[1,0,0]
	ds_read2_b32 v[70:71], v63 offset0:28 offset1:29
	s_waitcnt lgkmcnt(3)
	v_pk_fma_f32 v[28:29], v[66:67], v[72:73], v[28:29] op_sel_hi:[0,1,1] neg_lo:[1,0,0] neg_hi:[1,0,0]
	s_waitcnt lgkmcnt(2)
	v_pk_fma_f32 v[48:49], v[66:67], v[74:75], v[48:49] op_sel_hi:[0,1,1] neg_lo:[1,0,0] neg_hi:[1,0,0]
	s_waitcnt lgkmcnt(1)
	v_pk_fma_f32 v[40:41], v[66:67], v[76:77], v[40:41] op_sel_hi:[0,1,1] neg_lo:[1,0,0] neg_hi:[1,0,0]
	ds_read2_b32 v[72:73], v63 offset0:30 offset1:31
	ds_read2_b32 v[74:75], v63 offset0:32 offset1:33
	ds_read2_b32 v[76:77], v63 offset0:34 offset1:35
	s_waitcnt lgkmcnt(3)
	v_pk_fma_f32 v[30:31], v[66:67], v[70:71], v[30:31] op_sel_hi:[0,1,1] neg_lo:[1,0,0] neg_hi:[1,0,0]
	;; [unrolled: 12-line block ×3, first 2 shown]
	ds_read2_b32 v[70:71], v63 offset0:44 offset1:45
	s_waitcnt lgkmcnt(3)
	v_pk_fma_f32 v[14:15], v[66:67], v[72:73], v[14:15] op_sel_hi:[0,1,1] neg_lo:[1,0,0] neg_hi:[1,0,0]
	ds_read2_b32 v[72:73], v63 offset0:46 offset1:47
	s_waitcnt lgkmcnt(3)
	v_pk_fma_f32 v[34:35], v[66:67], v[74:75], v[34:35] op_sel_hi:[0,1,1] neg_lo:[1,0,0] neg_hi:[1,0,0]
	s_waitcnt lgkmcnt(2)
	v_pk_fma_f32 v[24:25], v[66:67], v[76:77], v[24:25] op_sel_hi:[0,1,1] neg_lo:[1,0,0] neg_hi:[1,0,0]
	;; [unrolled: 2-line block ×3, first 2 shown]
	ds_read2_b32 v[70:71], v63 offset0:48 offset1:49
	ds_read2_b32 v[74:75], v63 offset0:50 offset1:51
	;; [unrolled: 1-line block ×3, first 2 shown]
	s_waitcnt lgkmcnt(3)
	v_pk_fma_f32 v[8:9], v[66:67], v[72:73], v[8:9] op_sel_hi:[0,1,1] neg_lo:[1,0,0] neg_hi:[1,0,0]
	ds_read2_b32 v[72:73], v63 offset0:54 offset1:55
	ds_read2_b32 v[78:79], v63 offset0:56 offset1:57
	s_waitcnt lgkmcnt(4)
	v_pk_fma_f32 v[26:27], v[66:67], v[70:71], v[26:27] op_sel_hi:[0,1,1] neg_lo:[1,0,0] neg_hi:[1,0,0]
	s_waitcnt lgkmcnt(3)
	v_pk_fma_f32 v[18:19], v[66:67], v[74:75], v[18:19] op_sel_hi:[0,1,1] neg_lo:[1,0,0] neg_hi:[1,0,0]
	;; [unrolled: 2-line block ×5, first 2 shown]
	v_mov_b32_e32 v45, v66
.LBB114_233:
	s_or_b64 exec, exec, s[0:1]
	v_lshl_add_u32 v66, v69, 2, v63
	s_barrier
	ds_write_b32 v66, v36
	s_waitcnt lgkmcnt(0)
	s_barrier
	ds_read_b32 v70, v63 offset:56
	s_cmp_lt_i32 s22, 16
	v_mov_b32_e32 v66, 14
	s_cbranch_scc1 .LBB114_236
; %bb.234:
	v_add3_u32 v71, v68, 0, 60
	v_mov_b32_e32 v66, 14
	s_mov_b32 s0, 15
.LBB114_235:                            ; =>This Inner Loop Header: Depth=1
	ds_read_b32 v72, v71
	v_mov_b32_e32 v73, s0
	s_add_i32 s0, s0, 1
	v_add_u32_e32 v71, 4, v71
	s_cmp_lg_u32 s22, s0
	s_waitcnt lgkmcnt(0)
	v_cmp_lt_f32_e64 vcc, |v70|, |v72|
	s_nop 1
	v_cndmask_b32_e32 v70, v70, v72, vcc
	v_cndmask_b32_e32 v66, v66, v73, vcc
	s_cbranch_scc1 .LBB114_235
.LBB114_236:
	s_waitcnt lgkmcnt(0)
	v_cmp_eq_f32_e32 vcc, 0, v70
	s_and_saveexec_b64 s[0:1], vcc
	s_xor_b64 s[0:1], exec, s[0:1]
; %bb.237:
	v_cmp_ne_u32_e32 vcc, 0, v65
	s_nop 1
	v_cndmask_b32_e32 v65, 15, v65, vcc
; %bb.238:
	s_andn2_saveexec_b64 s[0:1], s[0:1]
	s_cbranch_execz .LBB114_240
; %bb.239:
	v_div_scale_f32 v71, s[2:3], v70, v70, 1.0
	v_rcp_f32_e32 v72, v71
	v_div_scale_f32 v73, vcc, 1.0, v70, 1.0
	v_fma_f32 v74, -v71, v72, 1.0
	v_fmac_f32_e32 v72, v74, v72
	v_mul_f32_e32 v74, v73, v72
	v_fma_f32 v75, -v71, v74, v73
	v_fmac_f32_e32 v74, v75, v72
	v_fma_f32 v71, -v71, v74, v73
	v_div_fmas_f32 v71, v71, v72, v74
	v_div_fixup_f32 v70, v71, v70, 1.0
.LBB114_240:
	s_or_b64 exec, exec, s[0:1]
	v_cmp_ne_u32_e32 vcc, v69, v66
	s_and_saveexec_b64 s[0:1], vcc
	s_xor_b64 s[0:1], exec, s[0:1]
	s_cbranch_execz .LBB114_246
; %bb.241:
	v_cmp_eq_u32_e32 vcc, 14, v69
	s_and_saveexec_b64 s[2:3], vcc
	s_cbranch_execz .LBB114_245
; %bb.242:
	v_cmp_ne_u32_e32 vcc, 14, v66
	s_xor_b64 s[12:13], s[20:21], -1
	s_and_b64 s[14:15], s[12:13], vcc
	s_and_saveexec_b64 s[12:13], s[14:15]
	s_cbranch_execz .LBB114_244
; %bb.243:
	v_ashrrev_i32_e32 v67, 31, v66
	v_lshl_add_u64 v[72:73], v[66:67], 2, v[4:5]
	global_load_dword v67, v[72:73], off
	global_load_dword v69, v[4:5], off offset:56
	s_waitcnt vmcnt(1)
	global_store_dword v[4:5], v67, off offset:56
	s_waitcnt vmcnt(1)
	global_store_dword v[72:73], v69, off
.LBB114_244:
	s_or_b64 exec, exec, s[12:13]
	v_mov_b32_e32 v67, v66
	v_mov_b32_e32 v69, v66
.LBB114_245:
	s_or_b64 exec, exec, s[2:3]
.LBB114_246:
	s_andn2_saveexec_b64 s[0:1], s[0:1]
	s_cbranch_execz .LBB114_248
; %bb.247:
	v_pk_mov_b32 v[72:73], v[36:37], v[52:53] op_sel:[1,0]
	ds_write2_b32 v63, v72, v73 offset0:15 offset1:16
	v_pk_mov_b32 v[72:73], v[52:53], v[46:47] op_sel:[1,0]
	ds_write2_b32 v63, v72, v73 offset0:17 offset1:18
	;; [unrolled: 2-line block ×20, first 2 shown]
	v_pk_mov_b32 v[72:73], v[0:1], v[12:13] op_sel:[1,0]
	v_mov_b32_e32 v69, 14
	ds_write2_b32 v63, v72, v73 offset0:55 offset1:56
	ds_write_b32 v63, v13 offset:228
.LBB114_248:
	s_or_b64 exec, exec, s[0:1]
	v_cmp_lt_i32_e32 vcc, 14, v69
	s_waitcnt lgkmcnt(0)
	s_barrier
	s_and_saveexec_b64 s[0:1], vcc
	s_cbranch_execz .LBB114_250
; %bb.249:
	ds_read_b32 v66, v63 offset:60
	ds_read2_b32 v[72:73], v63 offset0:16 offset1:17
	ds_read2_b32 v[74:75], v63 offset0:18 offset1:19
	v_mul_f32_e32 v36, v70, v36
	ds_read2_b32 v[70:71], v63 offset0:20 offset1:21
	s_waitcnt lgkmcnt(3)
	v_fma_f32 v37, -v36, v66, v37
	s_waitcnt lgkmcnt(2)
	v_pk_fma_f32 v[52:53], v[36:37], v[72:73], v[52:53] op_sel_hi:[0,1,1] neg_lo:[1,0,0] neg_hi:[1,0,0]
	s_waitcnt lgkmcnt(1)
	v_pk_fma_f32 v[46:47], v[36:37], v[74:75], v[46:47] op_sel_hi:[0,1,1] neg_lo:[1,0,0] neg_hi:[1,0,0]
	ds_read2_b32 v[72:73], v63 offset0:22 offset1:23
	ds_read2_b32 v[74:75], v63 offset0:24 offset1:25
	ds_read2_b32 v[76:77], v63 offset0:26 offset1:27
	s_waitcnt lgkmcnt(3)
	v_pk_fma_f32 v[38:39], v[36:37], v[70:71], v[38:39] op_sel_hi:[0,1,1] neg_lo:[1,0,0] neg_hi:[1,0,0]
	ds_read2_b32 v[70:71], v63 offset0:28 offset1:29
	s_waitcnt lgkmcnt(3)
	v_pk_fma_f32 v[28:29], v[36:37], v[72:73], v[28:29] op_sel_hi:[0,1,1] neg_lo:[1,0,0] neg_hi:[1,0,0]
	s_waitcnt lgkmcnt(2)
	v_pk_fma_f32 v[48:49], v[36:37], v[74:75], v[48:49] op_sel_hi:[0,1,1] neg_lo:[1,0,0] neg_hi:[1,0,0]
	s_waitcnt lgkmcnt(1)
	v_pk_fma_f32 v[40:41], v[36:37], v[76:77], v[40:41] op_sel_hi:[0,1,1] neg_lo:[1,0,0] neg_hi:[1,0,0]
	ds_read2_b32 v[72:73], v63 offset0:30 offset1:31
	ds_read2_b32 v[74:75], v63 offset0:32 offset1:33
	ds_read2_b32 v[76:77], v63 offset0:34 offset1:35
	s_waitcnt lgkmcnt(3)
	v_pk_fma_f32 v[30:31], v[36:37], v[70:71], v[30:31] op_sel_hi:[0,1,1] neg_lo:[1,0,0] neg_hi:[1,0,0]
	ds_read2_b32 v[70:71], v63 offset0:36 offset1:37
	s_waitcnt lgkmcnt(3)
	v_pk_fma_f32 v[20:21], v[36:37], v[72:73], v[20:21] op_sel_hi:[0,1,1] neg_lo:[1,0,0] neg_hi:[1,0,0]
	;; [unrolled: 12-line block ×3, first 2 shown]
	ds_read2_b32 v[72:73], v63 offset0:46 offset1:47
	s_waitcnt lgkmcnt(3)
	v_pk_fma_f32 v[34:35], v[36:37], v[74:75], v[34:35] op_sel_hi:[0,1,1] neg_lo:[1,0,0] neg_hi:[1,0,0]
	s_waitcnt lgkmcnt(2)
	v_pk_fma_f32 v[24:25], v[36:37], v[76:77], v[24:25] op_sel_hi:[0,1,1] neg_lo:[1,0,0] neg_hi:[1,0,0]
	;; [unrolled: 2-line block ×3, first 2 shown]
	ds_read2_b32 v[70:71], v63 offset0:48 offset1:49
	ds_read2_b32 v[74:75], v63 offset0:50 offset1:51
	;; [unrolled: 1-line block ×3, first 2 shown]
	s_waitcnt lgkmcnt(3)
	v_pk_fma_f32 v[8:9], v[36:37], v[72:73], v[8:9] op_sel_hi:[0,1,1] neg_lo:[1,0,0] neg_hi:[1,0,0]
	ds_read2_b32 v[72:73], v63 offset0:54 offset1:55
	ds_read2_b32 v[78:79], v63 offset0:56 offset1:57
	s_waitcnt lgkmcnt(4)
	v_pk_fma_f32 v[26:27], v[36:37], v[70:71], v[26:27] op_sel_hi:[0,1,1] neg_lo:[1,0,0] neg_hi:[1,0,0]
	s_waitcnt lgkmcnt(3)
	v_pk_fma_f32 v[18:19], v[36:37], v[74:75], v[18:19] op_sel_hi:[0,1,1] neg_lo:[1,0,0] neg_hi:[1,0,0]
	;; [unrolled: 2-line block ×5, first 2 shown]
.LBB114_250:
	s_or_b64 exec, exec, s[0:1]
	v_lshl_add_u32 v66, v69, 2, v63
	s_barrier
	ds_write_b32 v66, v37
	s_waitcnt lgkmcnt(0)
	s_barrier
	ds_read_b32 v70, v63 offset:60
	s_cmp_lt_i32 s22, 17
	v_mov_b32_e32 v66, 15
	s_cbranch_scc1 .LBB114_253
; %bb.251:
	v_add3_u32 v68, v68, 0, 64
	v_mov_b32_e32 v66, 15
	s_mov_b32 s0, 16
.LBB114_252:                            ; =>This Inner Loop Header: Depth=1
	ds_read_b32 v71, v68
	v_mov_b32_e32 v72, s0
	s_add_i32 s0, s0, 1
	v_add_u32_e32 v68, 4, v68
	s_cmp_lg_u32 s22, s0
	s_waitcnt lgkmcnt(0)
	v_cmp_lt_f32_e64 vcc, |v70|, |v71|
	s_nop 1
	v_cndmask_b32_e32 v70, v70, v71, vcc
	v_cndmask_b32_e32 v66, v66, v72, vcc
	s_cbranch_scc1 .LBB114_252
.LBB114_253:
	s_waitcnt lgkmcnt(0)
	v_cmp_eq_f32_e32 vcc, 0, v70
	s_and_saveexec_b64 s[0:1], vcc
	s_xor_b64 s[0:1], exec, s[0:1]
; %bb.254:
	v_cmp_ne_u32_e32 vcc, 0, v65
	s_nop 1
	v_cndmask_b32_e32 v65, 16, v65, vcc
; %bb.255:
	s_andn2_saveexec_b64 s[0:1], s[0:1]
	s_cbranch_execz .LBB114_257
; %bb.256:
	v_div_scale_f32 v68, s[2:3], v70, v70, 1.0
	v_rcp_f32_e32 v71, v68
	v_div_scale_f32 v72, vcc, 1.0, v70, 1.0
	v_fma_f32 v73, -v68, v71, 1.0
	v_fmac_f32_e32 v71, v73, v71
	v_mul_f32_e32 v73, v72, v71
	v_fma_f32 v74, -v68, v73, v72
	v_fmac_f32_e32 v73, v74, v71
	v_fma_f32 v68, -v68, v73, v72
	v_div_fmas_f32 v68, v68, v71, v73
	v_div_fixup_f32 v70, v68, v70, 1.0
.LBB114_257:
	s_or_b64 exec, exec, s[0:1]
	v_cmp_ne_u32_e32 vcc, v69, v66
	s_and_saveexec_b64 s[0:1], vcc
	s_xor_b64 s[0:1], exec, s[0:1]
	s_cbranch_execz .LBB114_263
; %bb.258:
	v_cmp_eq_u32_e32 vcc, 15, v69
	s_and_saveexec_b64 s[2:3], vcc
	s_cbranch_execz .LBB114_262
; %bb.259:
	v_cmp_ne_u32_e32 vcc, 15, v66
	s_xor_b64 s[12:13], s[20:21], -1
	s_and_b64 s[14:15], s[12:13], vcc
	s_and_saveexec_b64 s[12:13], s[14:15]
	s_cbranch_execz .LBB114_261
; %bb.260:
	v_ashrrev_i32_e32 v67, 31, v66
	v_lshl_add_u64 v[68:69], v[66:67], 2, v[4:5]
	global_load_dword v67, v[68:69], off
	global_load_dword v71, v[4:5], off offset:60
	s_waitcnt vmcnt(1)
	global_store_dword v[4:5], v67, off offset:60
	s_waitcnt vmcnt(1)
	global_store_dword v[68:69], v71, off
.LBB114_261:
	s_or_b64 exec, exec, s[12:13]
	v_mov_b32_e32 v67, v66
	v_mov_b32_e32 v69, v66
.LBB114_262:
	s_or_b64 exec, exec, s[2:3]
.LBB114_263:
	s_andn2_saveexec_b64 s[0:1], s[0:1]
	s_cbranch_execz .LBB114_265
; %bb.264:
	v_mov_b32_e32 v69, 15
	ds_write2_b32 v63, v52, v53 offset0:16 offset1:17
	ds_write2_b32 v63, v46, v47 offset0:18 offset1:19
	;; [unrolled: 1-line block ×21, first 2 shown]
.LBB114_265:
	s_or_b64 exec, exec, s[0:1]
	v_cmp_lt_i32_e32 vcc, 15, v69
	s_waitcnt lgkmcnt(0)
	s_barrier
	s_and_saveexec_b64 s[0:1], vcc
	s_cbranch_execz .LBB114_267
; %bb.266:
	ds_read2_b32 v[72:73], v63 offset0:16 offset1:17
	ds_read2_b32 v[74:75], v63 offset0:18 offset1:19
	;; [unrolled: 1-line block ×3, first 2 shown]
	v_mul_f32_e32 v66, v70, v37
	ds_read2_b32 v[70:71], v63 offset0:22 offset1:23
	s_waitcnt lgkmcnt(3)
	v_pk_fma_f32 v[52:53], v[66:67], v[72:73], v[52:53] op_sel_hi:[0,1,1] neg_lo:[1,0,0] neg_hi:[1,0,0]
	s_waitcnt lgkmcnt(2)
	v_pk_fma_f32 v[46:47], v[66:67], v[74:75], v[46:47] op_sel_hi:[0,1,1] neg_lo:[1,0,0] neg_hi:[1,0,0]
	;; [unrolled: 2-line block ×3, first 2 shown]
	ds_read2_b32 v[72:73], v63 offset0:24 offset1:25
	ds_read2_b32 v[74:75], v63 offset0:26 offset1:27
	;; [unrolled: 1-line block ×3, first 2 shown]
	s_waitcnt lgkmcnt(3)
	v_pk_fma_f32 v[28:29], v[66:67], v[70:71], v[28:29] op_sel_hi:[0,1,1] neg_lo:[1,0,0] neg_hi:[1,0,0]
	ds_read2_b32 v[70:71], v63 offset0:30 offset1:31
	s_waitcnt lgkmcnt(3)
	v_pk_fma_f32 v[48:49], v[66:67], v[72:73], v[48:49] op_sel_hi:[0,1,1] neg_lo:[1,0,0] neg_hi:[1,0,0]
	s_waitcnt lgkmcnt(2)
	v_pk_fma_f32 v[40:41], v[66:67], v[74:75], v[40:41] op_sel_hi:[0,1,1] neg_lo:[1,0,0] neg_hi:[1,0,0]
	;; [unrolled: 2-line block ×3, first 2 shown]
	ds_read2_b32 v[72:73], v63 offset0:32 offset1:33
	ds_read2_b32 v[74:75], v63 offset0:34 offset1:35
	;; [unrolled: 1-line block ×3, first 2 shown]
	s_waitcnt lgkmcnt(3)
	v_pk_fma_f32 v[20:21], v[66:67], v[70:71], v[20:21] op_sel_hi:[0,1,1] neg_lo:[1,0,0] neg_hi:[1,0,0]
	ds_read2_b32 v[70:71], v63 offset0:38 offset1:39
	s_waitcnt lgkmcnt(3)
	v_pk_fma_f32 v[42:43], v[66:67], v[72:73], v[42:43] op_sel_hi:[0,1,1] neg_lo:[1,0,0] neg_hi:[1,0,0]
	s_waitcnt lgkmcnt(2)
	v_pk_fma_f32 v[32:33], v[66:67], v[74:75], v[32:33] op_sel_hi:[0,1,1] neg_lo:[1,0,0] neg_hi:[1,0,0]
	;; [unrolled: 2-line block ×3, first 2 shown]
	ds_read2_b32 v[72:73], v63 offset0:40 offset1:41
	ds_read2_b32 v[74:75], v63 offset0:42 offset1:43
	;; [unrolled: 1-line block ×4, first 2 shown]
	s_waitcnt lgkmcnt(4)
	v_pk_fma_f32 v[14:15], v[66:67], v[70:71], v[14:15] op_sel_hi:[0,1,1] neg_lo:[1,0,0] neg_hi:[1,0,0]
	s_waitcnt lgkmcnt(3)
	v_pk_fma_f32 v[34:35], v[66:67], v[72:73], v[34:35] op_sel_hi:[0,1,1] neg_lo:[1,0,0] neg_hi:[1,0,0]
	;; [unrolled: 2-line block ×5, first 2 shown]
	ds_read2_b32 v[70:71], v63 offset0:48 offset1:49
	ds_read2_b32 v[72:73], v63 offset0:50 offset1:51
	ds_read2_b32 v[74:75], v63 offset0:52 offset1:53
	ds_read2_b32 v[76:77], v63 offset0:54 offset1:55
	ds_read2_b32 v[78:79], v63 offset0:56 offset1:57
	s_waitcnt lgkmcnt(4)
	v_pk_fma_f32 v[26:27], v[66:67], v[70:71], v[26:27] op_sel_hi:[0,1,1] neg_lo:[1,0,0] neg_hi:[1,0,0]
	s_waitcnt lgkmcnt(3)
	v_pk_fma_f32 v[18:19], v[66:67], v[72:73], v[18:19] op_sel_hi:[0,1,1] neg_lo:[1,0,0] neg_hi:[1,0,0]
	;; [unrolled: 2-line block ×5, first 2 shown]
	v_mov_b32_e32 v37, v66
.LBB114_267:
	s_or_b64 exec, exec, s[0:1]
	v_lshl_add_u32 v66, v69, 2, v63
	s_barrier
	ds_write_b32 v66, v52
	s_waitcnt lgkmcnt(0)
	s_barrier
	ds_read_b32 v68, v63 offset:64
	s_cmp_lt_i32 s22, 18
	v_mov_b32_e32 v66, 16
	s_cbranch_scc1 .LBB114_270
; %bb.268:
	v_add_u32_e32 v70, 0x44, v63
	v_mov_b32_e32 v66, 16
	s_mov_b32 s0, 17
.LBB114_269:                            ; =>This Inner Loop Header: Depth=1
	ds_read_b32 v71, v70
	v_mov_b32_e32 v72, s0
	s_add_i32 s0, s0, 1
	v_add_u32_e32 v70, 4, v70
	s_cmp_lg_u32 s22, s0
	s_waitcnt lgkmcnt(0)
	v_cmp_lt_f32_e64 vcc, |v68|, |v71|
	s_nop 1
	v_cndmask_b32_e32 v68, v68, v71, vcc
	v_cndmask_b32_e32 v66, v66, v72, vcc
	s_cbranch_scc1 .LBB114_269
.LBB114_270:
	s_waitcnt lgkmcnt(0)
	v_cmp_eq_f32_e32 vcc, 0, v68
	s_and_saveexec_b64 s[0:1], vcc
	s_xor_b64 s[0:1], exec, s[0:1]
; %bb.271:
	v_cmp_ne_u32_e32 vcc, 0, v65
	s_nop 1
	v_cndmask_b32_e32 v65, 17, v65, vcc
; %bb.272:
	s_andn2_saveexec_b64 s[0:1], s[0:1]
	s_cbranch_execz .LBB114_274
; %bb.273:
	v_div_scale_f32 v70, s[2:3], v68, v68, 1.0
	v_rcp_f32_e32 v71, v70
	v_div_scale_f32 v72, vcc, 1.0, v68, 1.0
	v_fma_f32 v73, -v70, v71, 1.0
	v_fmac_f32_e32 v71, v73, v71
	v_mul_f32_e32 v73, v72, v71
	v_fma_f32 v74, -v70, v73, v72
	v_fmac_f32_e32 v73, v74, v71
	v_fma_f32 v70, -v70, v73, v72
	v_div_fmas_f32 v70, v70, v71, v73
	v_div_fixup_f32 v68, v70, v68, 1.0
.LBB114_274:
	s_or_b64 exec, exec, s[0:1]
	v_cmp_ne_u32_e32 vcc, v69, v66
	s_and_saveexec_b64 s[0:1], vcc
	s_xor_b64 s[0:1], exec, s[0:1]
	s_cbranch_execz .LBB114_280
; %bb.275:
	v_cmp_eq_u32_e32 vcc, 16, v69
	s_and_saveexec_b64 s[2:3], vcc
	s_cbranch_execz .LBB114_279
; %bb.276:
	v_cmp_ne_u32_e32 vcc, 16, v66
	s_xor_b64 s[12:13], s[20:21], -1
	s_and_b64 s[14:15], s[12:13], vcc
	s_and_saveexec_b64 s[12:13], s[14:15]
	s_cbranch_execz .LBB114_278
; %bb.277:
	v_ashrrev_i32_e32 v67, 31, v66
	v_lshl_add_u64 v[70:71], v[66:67], 2, v[4:5]
	global_load_dword v67, v[70:71], off
	global_load_dword v69, v[4:5], off offset:64
	s_waitcnt vmcnt(1)
	global_store_dword v[4:5], v67, off offset:64
	s_waitcnt vmcnt(1)
	global_store_dword v[70:71], v69, off
.LBB114_278:
	s_or_b64 exec, exec, s[12:13]
	v_mov_b32_e32 v67, v66
	v_mov_b32_e32 v69, v66
.LBB114_279:
	s_or_b64 exec, exec, s[2:3]
.LBB114_280:
	s_andn2_saveexec_b64 s[0:1], s[0:1]
	s_cbranch_execz .LBB114_282
; %bb.281:
	v_pk_mov_b32 v[70:71], v[52:53], v[46:47] op_sel:[1,0]
	ds_write2_b32 v63, v70, v71 offset0:17 offset1:18
	v_pk_mov_b32 v[70:71], v[46:47], v[38:39] op_sel:[1,0]
	ds_write2_b32 v63, v70, v71 offset0:19 offset1:20
	;; [unrolled: 2-line block ×19, first 2 shown]
	v_pk_mov_b32 v[70:71], v[0:1], v[12:13] op_sel:[1,0]
	v_mov_b32_e32 v69, 16
	ds_write2_b32 v63, v70, v71 offset0:55 offset1:56
	ds_write_b32 v63, v13 offset:228
.LBB114_282:
	s_or_b64 exec, exec, s[0:1]
	v_cmp_lt_i32_e32 vcc, 16, v69
	s_waitcnt lgkmcnt(0)
	s_barrier
	s_and_saveexec_b64 s[0:1], vcc
	s_cbranch_execz .LBB114_284
; %bb.283:
	ds_read_b32 v66, v63 offset:68
	ds_read2_b32 v[70:71], v63 offset0:18 offset1:19
	ds_read2_b32 v[72:73], v63 offset0:20 offset1:21
	v_mul_f32_e32 v52, v68, v52
	ds_read2_b32 v[74:75], v63 offset0:22 offset1:23
	s_waitcnt lgkmcnt(3)
	v_fma_f32 v53, -v52, v66, v53
	s_waitcnt lgkmcnt(2)
	v_pk_fma_f32 v[46:47], v[52:53], v[70:71], v[46:47] op_sel_hi:[0,1,1] neg_lo:[1,0,0] neg_hi:[1,0,0]
	s_waitcnt lgkmcnt(1)
	v_pk_fma_f32 v[38:39], v[52:53], v[72:73], v[38:39] op_sel_hi:[0,1,1] neg_lo:[1,0,0] neg_hi:[1,0,0]
	ds_read2_b32 v[70:71], v63 offset0:24 offset1:25
	ds_read2_b32 v[72:73], v63 offset0:26 offset1:27
	;; [unrolled: 1-line block ×3, first 2 shown]
	s_waitcnt lgkmcnt(3)
	v_pk_fma_f32 v[28:29], v[52:53], v[74:75], v[28:29] op_sel_hi:[0,1,1] neg_lo:[1,0,0] neg_hi:[1,0,0]
	ds_read2_b32 v[74:75], v63 offset0:30 offset1:31
	s_waitcnt lgkmcnt(3)
	v_pk_fma_f32 v[48:49], v[52:53], v[70:71], v[48:49] op_sel_hi:[0,1,1] neg_lo:[1,0,0] neg_hi:[1,0,0]
	s_waitcnt lgkmcnt(2)
	v_pk_fma_f32 v[40:41], v[52:53], v[72:73], v[40:41] op_sel_hi:[0,1,1] neg_lo:[1,0,0] neg_hi:[1,0,0]
	;; [unrolled: 2-line block ×3, first 2 shown]
	ds_read2_b32 v[70:71], v63 offset0:32 offset1:33
	ds_read2_b32 v[72:73], v63 offset0:34 offset1:35
	;; [unrolled: 1-line block ×3, first 2 shown]
	s_waitcnt lgkmcnt(3)
	v_pk_fma_f32 v[20:21], v[52:53], v[74:75], v[20:21] op_sel_hi:[0,1,1] neg_lo:[1,0,0] neg_hi:[1,0,0]
	ds_read2_b32 v[74:75], v63 offset0:38 offset1:39
	s_waitcnt lgkmcnt(3)
	v_pk_fma_f32 v[42:43], v[52:53], v[70:71], v[42:43] op_sel_hi:[0,1,1] neg_lo:[1,0,0] neg_hi:[1,0,0]
	s_waitcnt lgkmcnt(2)
	v_pk_fma_f32 v[32:33], v[52:53], v[72:73], v[32:33] op_sel_hi:[0,1,1] neg_lo:[1,0,0] neg_hi:[1,0,0]
	;; [unrolled: 2-line block ×3, first 2 shown]
	ds_read2_b32 v[70:71], v63 offset0:40 offset1:41
	ds_read2_b32 v[72:73], v63 offset0:42 offset1:43
	;; [unrolled: 1-line block ×4, first 2 shown]
	s_waitcnt lgkmcnt(4)
	v_pk_fma_f32 v[14:15], v[52:53], v[74:75], v[14:15] op_sel_hi:[0,1,1] neg_lo:[1,0,0] neg_hi:[1,0,0]
	s_waitcnt lgkmcnt(3)
	v_pk_fma_f32 v[34:35], v[52:53], v[70:71], v[34:35] op_sel_hi:[0,1,1] neg_lo:[1,0,0] neg_hi:[1,0,0]
	;; [unrolled: 2-line block ×5, first 2 shown]
	ds_read2_b32 v[70:71], v63 offset0:48 offset1:49
	ds_read2_b32 v[72:73], v63 offset0:50 offset1:51
	;; [unrolled: 1-line block ×5, first 2 shown]
	s_waitcnt lgkmcnt(4)
	v_pk_fma_f32 v[26:27], v[52:53], v[70:71], v[26:27] op_sel_hi:[0,1,1] neg_lo:[1,0,0] neg_hi:[1,0,0]
	s_waitcnt lgkmcnt(3)
	v_pk_fma_f32 v[18:19], v[52:53], v[72:73], v[18:19] op_sel_hi:[0,1,1] neg_lo:[1,0,0] neg_hi:[1,0,0]
	;; [unrolled: 2-line block ×5, first 2 shown]
.LBB114_284:
	s_or_b64 exec, exec, s[0:1]
	v_lshl_add_u32 v66, v69, 2, v63
	s_barrier
	ds_write_b32 v66, v53
	s_waitcnt lgkmcnt(0)
	s_barrier
	ds_read_b32 v68, v63 offset:68
	s_cmp_lt_i32 s22, 19
	v_mov_b32_e32 v66, 17
	s_cbranch_scc1 .LBB114_287
; %bb.285:
	v_add_u32_e32 v70, 0x48, v63
	v_mov_b32_e32 v66, 17
	s_mov_b32 s0, 18
.LBB114_286:                            ; =>This Inner Loop Header: Depth=1
	ds_read_b32 v71, v70
	v_mov_b32_e32 v72, s0
	s_add_i32 s0, s0, 1
	v_add_u32_e32 v70, 4, v70
	s_cmp_lg_u32 s22, s0
	s_waitcnt lgkmcnt(0)
	v_cmp_lt_f32_e64 vcc, |v68|, |v71|
	s_nop 1
	v_cndmask_b32_e32 v68, v68, v71, vcc
	v_cndmask_b32_e32 v66, v66, v72, vcc
	s_cbranch_scc1 .LBB114_286
.LBB114_287:
	s_waitcnt lgkmcnt(0)
	v_cmp_eq_f32_e32 vcc, 0, v68
	s_and_saveexec_b64 s[0:1], vcc
	s_xor_b64 s[0:1], exec, s[0:1]
; %bb.288:
	v_cmp_ne_u32_e32 vcc, 0, v65
	s_nop 1
	v_cndmask_b32_e32 v65, 18, v65, vcc
; %bb.289:
	s_andn2_saveexec_b64 s[0:1], s[0:1]
	s_cbranch_execz .LBB114_291
; %bb.290:
	v_div_scale_f32 v70, s[2:3], v68, v68, 1.0
	v_rcp_f32_e32 v71, v70
	v_div_scale_f32 v72, vcc, 1.0, v68, 1.0
	v_fma_f32 v73, -v70, v71, 1.0
	v_fmac_f32_e32 v71, v73, v71
	v_mul_f32_e32 v73, v72, v71
	v_fma_f32 v74, -v70, v73, v72
	v_fmac_f32_e32 v73, v74, v71
	v_fma_f32 v70, -v70, v73, v72
	v_div_fmas_f32 v70, v70, v71, v73
	v_div_fixup_f32 v68, v70, v68, 1.0
.LBB114_291:
	s_or_b64 exec, exec, s[0:1]
	v_cmp_ne_u32_e32 vcc, v69, v66
	s_and_saveexec_b64 s[0:1], vcc
	s_xor_b64 s[0:1], exec, s[0:1]
	s_cbranch_execz .LBB114_297
; %bb.292:
	v_cmp_eq_u32_e32 vcc, 17, v69
	s_and_saveexec_b64 s[2:3], vcc
	s_cbranch_execz .LBB114_296
; %bb.293:
	v_cmp_ne_u32_e32 vcc, 17, v66
	s_xor_b64 s[12:13], s[20:21], -1
	s_and_b64 s[14:15], s[12:13], vcc
	s_and_saveexec_b64 s[12:13], s[14:15]
	s_cbranch_execz .LBB114_295
; %bb.294:
	v_ashrrev_i32_e32 v67, 31, v66
	v_lshl_add_u64 v[70:71], v[66:67], 2, v[4:5]
	global_load_dword v67, v[70:71], off
	global_load_dword v69, v[4:5], off offset:68
	s_waitcnt vmcnt(1)
	global_store_dword v[4:5], v67, off offset:68
	s_waitcnt vmcnt(1)
	global_store_dword v[70:71], v69, off
.LBB114_295:
	s_or_b64 exec, exec, s[12:13]
	v_mov_b32_e32 v67, v66
	v_mov_b32_e32 v69, v66
.LBB114_296:
	s_or_b64 exec, exec, s[2:3]
.LBB114_297:
	s_andn2_saveexec_b64 s[0:1], s[0:1]
	s_cbranch_execz .LBB114_299
; %bb.298:
	v_mov_b32_e32 v69, 17
	ds_write2_b32 v63, v46, v47 offset0:18 offset1:19
	ds_write2_b32 v63, v38, v39 offset0:20 offset1:21
	;; [unrolled: 1-line block ×20, first 2 shown]
.LBB114_299:
	s_or_b64 exec, exec, s[0:1]
	v_cmp_lt_i32_e32 vcc, 17, v69
	s_waitcnt lgkmcnt(0)
	s_barrier
	s_and_saveexec_b64 s[0:1], vcc
	s_cbranch_execz .LBB114_301
; %bb.300:
	ds_read2_b32 v[70:71], v63 offset0:18 offset1:19
	ds_read2_b32 v[72:73], v63 offset0:20 offset1:21
	;; [unrolled: 1-line block ×3, first 2 shown]
	v_mul_f32_e32 v66, v68, v53
	ds_read2_b32 v[76:77], v63 offset0:24 offset1:25
	s_waitcnt lgkmcnt(3)
	v_pk_fma_f32 v[46:47], v[66:67], v[70:71], v[46:47] op_sel_hi:[0,1,1] neg_lo:[1,0,0] neg_hi:[1,0,0]
	s_waitcnt lgkmcnt(2)
	v_pk_fma_f32 v[38:39], v[66:67], v[72:73], v[38:39] op_sel_hi:[0,1,1] neg_lo:[1,0,0] neg_hi:[1,0,0]
	s_waitcnt lgkmcnt(1)
	v_pk_fma_f32 v[28:29], v[66:67], v[74:75], v[28:29] op_sel_hi:[0,1,1] neg_lo:[1,0,0] neg_hi:[1,0,0]
	ds_read2_b32 v[70:71], v63 offset0:26 offset1:27
	ds_read2_b32 v[72:73], v63 offset0:28 offset1:29
	ds_read2_b32 v[74:75], v63 offset0:30 offset1:31
	s_waitcnt lgkmcnt(3)
	v_pk_fma_f32 v[48:49], v[66:67], v[76:77], v[48:49] op_sel_hi:[0,1,1] neg_lo:[1,0,0] neg_hi:[1,0,0]
	ds_read2_b32 v[76:77], v63 offset0:32 offset1:33
	s_waitcnt lgkmcnt(3)
	v_pk_fma_f32 v[40:41], v[66:67], v[70:71], v[40:41] op_sel_hi:[0,1,1] neg_lo:[1,0,0] neg_hi:[1,0,0]
	s_waitcnt lgkmcnt(2)
	v_pk_fma_f32 v[30:31], v[66:67], v[72:73], v[30:31] op_sel_hi:[0,1,1] neg_lo:[1,0,0] neg_hi:[1,0,0]
	s_waitcnt lgkmcnt(1)
	v_pk_fma_f32 v[20:21], v[66:67], v[74:75], v[20:21] op_sel_hi:[0,1,1] neg_lo:[1,0,0] neg_hi:[1,0,0]
	ds_read2_b32 v[70:71], v63 offset0:34 offset1:35
	ds_read2_b32 v[72:73], v63 offset0:36 offset1:37
	ds_read2_b32 v[74:75], v63 offset0:38 offset1:39
	s_waitcnt lgkmcnt(3)
	v_pk_fma_f32 v[42:43], v[66:67], v[76:77], v[42:43] op_sel_hi:[0,1,1] neg_lo:[1,0,0] neg_hi:[1,0,0]
	;; [unrolled: 12-line block ×3, first 2 shown]
	ds_read2_b32 v[76:77], v63 offset0:48 offset1:49
	s_waitcnt lgkmcnt(3)
	v_pk_fma_f32 v[24:25], v[66:67], v[70:71], v[24:25] op_sel_hi:[0,1,1] neg_lo:[1,0,0] neg_hi:[1,0,0]
	s_waitcnt lgkmcnt(2)
	v_pk_fma_f32 v[16:17], v[66:67], v[72:73], v[16:17] op_sel_hi:[0,1,1] neg_lo:[1,0,0] neg_hi:[1,0,0]
	;; [unrolled: 2-line block ×3, first 2 shown]
	ds_read2_b32 v[70:71], v63 offset0:50 offset1:51
	ds_read2_b32 v[72:73], v63 offset0:52 offset1:53
	;; [unrolled: 1-line block ×4, first 2 shown]
	s_waitcnt lgkmcnt(4)
	v_pk_fma_f32 v[26:27], v[66:67], v[76:77], v[26:27] op_sel_hi:[0,1,1] neg_lo:[1,0,0] neg_hi:[1,0,0]
	s_waitcnt lgkmcnt(3)
	v_pk_fma_f32 v[18:19], v[66:67], v[70:71], v[18:19] op_sel_hi:[0,1,1] neg_lo:[1,0,0] neg_hi:[1,0,0]
	;; [unrolled: 2-line block ×5, first 2 shown]
	v_mov_b32_e32 v53, v66
.LBB114_301:
	s_or_b64 exec, exec, s[0:1]
	v_lshl_add_u32 v66, v69, 2, v63
	s_barrier
	ds_write_b32 v66, v46
	s_waitcnt lgkmcnt(0)
	s_barrier
	ds_read_b32 v68, v63 offset:72
	s_cmp_lt_i32 s22, 20
	v_mov_b32_e32 v66, 18
	s_cbranch_scc1 .LBB114_304
; %bb.302:
	v_add_u32_e32 v70, 0x4c, v63
	v_mov_b32_e32 v66, 18
	s_mov_b32 s0, 19
.LBB114_303:                            ; =>This Inner Loop Header: Depth=1
	ds_read_b32 v71, v70
	v_mov_b32_e32 v72, s0
	s_add_i32 s0, s0, 1
	v_add_u32_e32 v70, 4, v70
	s_cmp_lg_u32 s22, s0
	s_waitcnt lgkmcnt(0)
	v_cmp_lt_f32_e64 vcc, |v68|, |v71|
	s_nop 1
	v_cndmask_b32_e32 v68, v68, v71, vcc
	v_cndmask_b32_e32 v66, v66, v72, vcc
	s_cbranch_scc1 .LBB114_303
.LBB114_304:
	s_waitcnt lgkmcnt(0)
	v_cmp_eq_f32_e32 vcc, 0, v68
	s_and_saveexec_b64 s[0:1], vcc
	s_xor_b64 s[0:1], exec, s[0:1]
; %bb.305:
	v_cmp_ne_u32_e32 vcc, 0, v65
	s_nop 1
	v_cndmask_b32_e32 v65, 19, v65, vcc
; %bb.306:
	s_andn2_saveexec_b64 s[0:1], s[0:1]
	s_cbranch_execz .LBB114_308
; %bb.307:
	v_div_scale_f32 v70, s[2:3], v68, v68, 1.0
	v_rcp_f32_e32 v71, v70
	v_div_scale_f32 v72, vcc, 1.0, v68, 1.0
	v_fma_f32 v73, -v70, v71, 1.0
	v_fmac_f32_e32 v71, v73, v71
	v_mul_f32_e32 v73, v72, v71
	v_fma_f32 v74, -v70, v73, v72
	v_fmac_f32_e32 v73, v74, v71
	v_fma_f32 v70, -v70, v73, v72
	v_div_fmas_f32 v70, v70, v71, v73
	v_div_fixup_f32 v68, v70, v68, 1.0
.LBB114_308:
	s_or_b64 exec, exec, s[0:1]
	v_cmp_ne_u32_e32 vcc, v69, v66
	s_and_saveexec_b64 s[0:1], vcc
	s_xor_b64 s[0:1], exec, s[0:1]
	s_cbranch_execz .LBB114_314
; %bb.309:
	v_cmp_eq_u32_e32 vcc, 18, v69
	s_and_saveexec_b64 s[2:3], vcc
	s_cbranch_execz .LBB114_313
; %bb.310:
	v_cmp_ne_u32_e32 vcc, 18, v66
	s_xor_b64 s[12:13], s[20:21], -1
	s_and_b64 s[14:15], s[12:13], vcc
	s_and_saveexec_b64 s[12:13], s[14:15]
	s_cbranch_execz .LBB114_312
; %bb.311:
	v_ashrrev_i32_e32 v67, 31, v66
	v_lshl_add_u64 v[70:71], v[66:67], 2, v[4:5]
	global_load_dword v67, v[70:71], off
	global_load_dword v69, v[4:5], off offset:72
	s_waitcnt vmcnt(1)
	global_store_dword v[4:5], v67, off offset:72
	s_waitcnt vmcnt(1)
	global_store_dword v[70:71], v69, off
.LBB114_312:
	s_or_b64 exec, exec, s[12:13]
	v_mov_b32_e32 v67, v66
	v_mov_b32_e32 v69, v66
.LBB114_313:
	s_or_b64 exec, exec, s[2:3]
.LBB114_314:
	s_andn2_saveexec_b64 s[0:1], s[0:1]
	s_cbranch_execz .LBB114_316
; %bb.315:
	v_pk_mov_b32 v[70:71], v[46:47], v[38:39] op_sel:[1,0]
	ds_write2_b32 v63, v70, v71 offset0:19 offset1:20
	v_pk_mov_b32 v[70:71], v[38:39], v[28:29] op_sel:[1,0]
	ds_write2_b32 v63, v70, v71 offset0:21 offset1:22
	;; [unrolled: 2-line block ×18, first 2 shown]
	v_pk_mov_b32 v[70:71], v[0:1], v[12:13] op_sel:[1,0]
	v_mov_b32_e32 v69, 18
	ds_write2_b32 v63, v70, v71 offset0:55 offset1:56
	ds_write_b32 v63, v13 offset:228
.LBB114_316:
	s_or_b64 exec, exec, s[0:1]
	v_cmp_lt_i32_e32 vcc, 18, v69
	s_waitcnt lgkmcnt(0)
	s_barrier
	s_and_saveexec_b64 s[0:1], vcc
	s_cbranch_execz .LBB114_318
; %bb.317:
	ds_read_b32 v66, v63 offset:76
	ds_read2_b32 v[70:71], v63 offset0:20 offset1:21
	ds_read2_b32 v[72:73], v63 offset0:22 offset1:23
	v_mul_f32_e32 v46, v68, v46
	ds_read2_b32 v[74:75], v63 offset0:24 offset1:25
	s_waitcnt lgkmcnt(3)
	v_fma_f32 v47, -v46, v66, v47
	s_waitcnt lgkmcnt(2)
	v_pk_fma_f32 v[38:39], v[46:47], v[70:71], v[38:39] op_sel_hi:[0,1,1] neg_lo:[1,0,0] neg_hi:[1,0,0]
	s_waitcnt lgkmcnt(1)
	v_pk_fma_f32 v[28:29], v[46:47], v[72:73], v[28:29] op_sel_hi:[0,1,1] neg_lo:[1,0,0] neg_hi:[1,0,0]
	ds_read2_b32 v[70:71], v63 offset0:26 offset1:27
	ds_read2_b32 v[72:73], v63 offset0:28 offset1:29
	ds_read2_b32 v[76:77], v63 offset0:30 offset1:31
	s_waitcnt lgkmcnt(3)
	v_pk_fma_f32 v[48:49], v[46:47], v[74:75], v[48:49] op_sel_hi:[0,1,1] neg_lo:[1,0,0] neg_hi:[1,0,0]
	ds_read2_b32 v[74:75], v63 offset0:32 offset1:33
	s_waitcnt lgkmcnt(3)
	v_pk_fma_f32 v[40:41], v[46:47], v[70:71], v[40:41] op_sel_hi:[0,1,1] neg_lo:[1,0,0] neg_hi:[1,0,0]
	s_waitcnt lgkmcnt(2)
	v_pk_fma_f32 v[30:31], v[46:47], v[72:73], v[30:31] op_sel_hi:[0,1,1] neg_lo:[1,0,0] neg_hi:[1,0,0]
	s_waitcnt lgkmcnt(1)
	v_pk_fma_f32 v[20:21], v[46:47], v[76:77], v[20:21] op_sel_hi:[0,1,1] neg_lo:[1,0,0] neg_hi:[1,0,0]
	ds_read2_b32 v[70:71], v63 offset0:34 offset1:35
	ds_read2_b32 v[72:73], v63 offset0:36 offset1:37
	ds_read2_b32 v[76:77], v63 offset0:38 offset1:39
	s_waitcnt lgkmcnt(3)
	v_pk_fma_f32 v[42:43], v[46:47], v[74:75], v[42:43] op_sel_hi:[0,1,1] neg_lo:[1,0,0] neg_hi:[1,0,0]
	ds_read2_b32 v[74:75], v63 offset0:40 offset1:41
	s_waitcnt lgkmcnt(3)
	v_pk_fma_f32 v[32:33], v[46:47], v[70:71], v[32:33] op_sel_hi:[0,1,1] neg_lo:[1,0,0] neg_hi:[1,0,0]
	;; [unrolled: 12-line block ×3, first 2 shown]
	s_waitcnt lgkmcnt(2)
	v_pk_fma_f32 v[16:17], v[46:47], v[72:73], v[16:17] op_sel_hi:[0,1,1] neg_lo:[1,0,0] neg_hi:[1,0,0]
	s_waitcnt lgkmcnt(1)
	v_pk_fma_f32 v[8:9], v[46:47], v[76:77], v[8:9] op_sel_hi:[0,1,1] neg_lo:[1,0,0] neg_hi:[1,0,0]
	ds_read2_b32 v[70:71], v63 offset0:50 offset1:51
	ds_read2_b32 v[72:73], v63 offset0:52 offset1:53
	;; [unrolled: 1-line block ×4, first 2 shown]
	s_waitcnt lgkmcnt(4)
	v_pk_fma_f32 v[26:27], v[46:47], v[74:75], v[26:27] op_sel_hi:[0,1,1] neg_lo:[1,0,0] neg_hi:[1,0,0]
	s_waitcnt lgkmcnt(3)
	v_pk_fma_f32 v[18:19], v[46:47], v[70:71], v[18:19] op_sel_hi:[0,1,1] neg_lo:[1,0,0] neg_hi:[1,0,0]
	;; [unrolled: 2-line block ×5, first 2 shown]
.LBB114_318:
	s_or_b64 exec, exec, s[0:1]
	v_lshl_add_u32 v66, v69, 2, v63
	s_barrier
	ds_write_b32 v66, v47
	s_waitcnt lgkmcnt(0)
	s_barrier
	ds_read_b32 v68, v63 offset:76
	s_cmp_lt_i32 s22, 21
	v_mov_b32_e32 v66, 19
	s_cbranch_scc1 .LBB114_321
; %bb.319:
	v_add_u32_e32 v70, 0x50, v63
	v_mov_b32_e32 v66, 19
	s_mov_b32 s0, 20
.LBB114_320:                            ; =>This Inner Loop Header: Depth=1
	ds_read_b32 v71, v70
	v_mov_b32_e32 v72, s0
	s_add_i32 s0, s0, 1
	v_add_u32_e32 v70, 4, v70
	s_cmp_lg_u32 s22, s0
	s_waitcnt lgkmcnt(0)
	v_cmp_lt_f32_e64 vcc, |v68|, |v71|
	s_nop 1
	v_cndmask_b32_e32 v68, v68, v71, vcc
	v_cndmask_b32_e32 v66, v66, v72, vcc
	s_cbranch_scc1 .LBB114_320
.LBB114_321:
	s_waitcnt lgkmcnt(0)
	v_cmp_eq_f32_e32 vcc, 0, v68
	s_and_saveexec_b64 s[0:1], vcc
	s_xor_b64 s[0:1], exec, s[0:1]
; %bb.322:
	v_cmp_ne_u32_e32 vcc, 0, v65
	s_nop 1
	v_cndmask_b32_e32 v65, 20, v65, vcc
; %bb.323:
	s_andn2_saveexec_b64 s[0:1], s[0:1]
	s_cbranch_execz .LBB114_325
; %bb.324:
	v_div_scale_f32 v70, s[2:3], v68, v68, 1.0
	v_rcp_f32_e32 v71, v70
	v_div_scale_f32 v72, vcc, 1.0, v68, 1.0
	v_fma_f32 v73, -v70, v71, 1.0
	v_fmac_f32_e32 v71, v73, v71
	v_mul_f32_e32 v73, v72, v71
	v_fma_f32 v74, -v70, v73, v72
	v_fmac_f32_e32 v73, v74, v71
	v_fma_f32 v70, -v70, v73, v72
	v_div_fmas_f32 v70, v70, v71, v73
	v_div_fixup_f32 v68, v70, v68, 1.0
.LBB114_325:
	s_or_b64 exec, exec, s[0:1]
	v_cmp_ne_u32_e32 vcc, v69, v66
	s_and_saveexec_b64 s[0:1], vcc
	s_xor_b64 s[0:1], exec, s[0:1]
	s_cbranch_execz .LBB114_331
; %bb.326:
	v_cmp_eq_u32_e32 vcc, 19, v69
	s_and_saveexec_b64 s[2:3], vcc
	s_cbranch_execz .LBB114_330
; %bb.327:
	v_cmp_ne_u32_e32 vcc, 19, v66
	s_xor_b64 s[12:13], s[20:21], -1
	s_and_b64 s[14:15], s[12:13], vcc
	s_and_saveexec_b64 s[12:13], s[14:15]
	s_cbranch_execz .LBB114_329
; %bb.328:
	v_ashrrev_i32_e32 v67, 31, v66
	v_lshl_add_u64 v[70:71], v[66:67], 2, v[4:5]
	global_load_dword v67, v[70:71], off
	global_load_dword v69, v[4:5], off offset:76
	s_waitcnt vmcnt(1)
	global_store_dword v[4:5], v67, off offset:76
	s_waitcnt vmcnt(1)
	global_store_dword v[70:71], v69, off
.LBB114_329:
	s_or_b64 exec, exec, s[12:13]
	v_mov_b32_e32 v67, v66
	v_mov_b32_e32 v69, v66
.LBB114_330:
	s_or_b64 exec, exec, s[2:3]
.LBB114_331:
	s_andn2_saveexec_b64 s[0:1], s[0:1]
	s_cbranch_execz .LBB114_333
; %bb.332:
	v_mov_b32_e32 v69, 19
	ds_write2_b32 v63, v38, v39 offset0:20 offset1:21
	ds_write2_b32 v63, v28, v29 offset0:22 offset1:23
	;; [unrolled: 1-line block ×19, first 2 shown]
.LBB114_333:
	s_or_b64 exec, exec, s[0:1]
	v_cmp_lt_i32_e32 vcc, 19, v69
	s_waitcnt lgkmcnt(0)
	s_barrier
	s_and_saveexec_b64 s[0:1], vcc
	s_cbranch_execz .LBB114_335
; %bb.334:
	ds_read2_b32 v[70:71], v63 offset0:20 offset1:21
	ds_read2_b32 v[72:73], v63 offset0:22 offset1:23
	;; [unrolled: 1-line block ×3, first 2 shown]
	v_mul_f32_e32 v66, v68, v47
	ds_read2_b32 v[76:77], v63 offset0:26 offset1:27
	s_waitcnt lgkmcnt(3)
	v_pk_fma_f32 v[38:39], v[66:67], v[70:71], v[38:39] op_sel_hi:[0,1,1] neg_lo:[1,0,0] neg_hi:[1,0,0]
	s_waitcnt lgkmcnt(2)
	v_pk_fma_f32 v[28:29], v[66:67], v[72:73], v[28:29] op_sel_hi:[0,1,1] neg_lo:[1,0,0] neg_hi:[1,0,0]
	;; [unrolled: 2-line block ×3, first 2 shown]
	ds_read2_b32 v[70:71], v63 offset0:28 offset1:29
	ds_read2_b32 v[72:73], v63 offset0:30 offset1:31
	;; [unrolled: 1-line block ×3, first 2 shown]
	s_waitcnt lgkmcnt(3)
	v_pk_fma_f32 v[40:41], v[66:67], v[76:77], v[40:41] op_sel_hi:[0,1,1] neg_lo:[1,0,0] neg_hi:[1,0,0]
	ds_read2_b32 v[76:77], v63 offset0:34 offset1:35
	s_waitcnt lgkmcnt(3)
	v_pk_fma_f32 v[30:31], v[66:67], v[70:71], v[30:31] op_sel_hi:[0,1,1] neg_lo:[1,0,0] neg_hi:[1,0,0]
	s_waitcnt lgkmcnt(2)
	v_pk_fma_f32 v[20:21], v[66:67], v[72:73], v[20:21] op_sel_hi:[0,1,1] neg_lo:[1,0,0] neg_hi:[1,0,0]
	;; [unrolled: 2-line block ×3, first 2 shown]
	ds_read2_b32 v[70:71], v63 offset0:36 offset1:37
	ds_read2_b32 v[72:73], v63 offset0:38 offset1:39
	;; [unrolled: 1-line block ×3, first 2 shown]
	s_waitcnt lgkmcnt(3)
	v_pk_fma_f32 v[32:33], v[66:67], v[76:77], v[32:33] op_sel_hi:[0,1,1] neg_lo:[1,0,0] neg_hi:[1,0,0]
	ds_read2_b32 v[76:77], v63 offset0:42 offset1:43
	s_waitcnt lgkmcnt(3)
	v_pk_fma_f32 v[22:23], v[66:67], v[70:71], v[22:23] op_sel_hi:[0,1,1] neg_lo:[1,0,0] neg_hi:[1,0,0]
	s_waitcnt lgkmcnt(2)
	v_pk_fma_f32 v[14:15], v[66:67], v[72:73], v[14:15] op_sel_hi:[0,1,1] neg_lo:[1,0,0] neg_hi:[1,0,0]
	ds_read2_b32 v[70:71], v63 offset0:44 offset1:45
	ds_read2_b32 v[72:73], v63 offset0:46 offset1:47
	s_waitcnt lgkmcnt(3)
	v_pk_fma_f32 v[34:35], v[66:67], v[74:75], v[34:35] op_sel_hi:[0,1,1] neg_lo:[1,0,0] neg_hi:[1,0,0]
	s_waitcnt lgkmcnt(2)
	v_pk_fma_f32 v[24:25], v[66:67], v[76:77], v[24:25] op_sel_hi:[0,1,1] neg_lo:[1,0,0] neg_hi:[1,0,0]
	ds_read2_b32 v[74:75], v63 offset0:48 offset1:49
	;; [unrolled: 6-line block ×3, first 2 shown]
	ds_read2_b32 v[72:73], v63 offset0:54 offset1:55
	ds_read2_b32 v[78:79], v63 offset0:56 offset1:57
	s_waitcnt lgkmcnt(4)
	v_pk_fma_f32 v[26:27], v[66:67], v[74:75], v[26:27] op_sel_hi:[0,1,1] neg_lo:[1,0,0] neg_hi:[1,0,0]
	s_waitcnt lgkmcnt(3)
	v_pk_fma_f32 v[18:19], v[66:67], v[76:77], v[18:19] op_sel_hi:[0,1,1] neg_lo:[1,0,0] neg_hi:[1,0,0]
	;; [unrolled: 2-line block ×5, first 2 shown]
	v_mov_b32_e32 v47, v66
.LBB114_335:
	s_or_b64 exec, exec, s[0:1]
	v_lshl_add_u32 v66, v69, 2, v63
	s_barrier
	ds_write_b32 v66, v38
	s_waitcnt lgkmcnt(0)
	s_barrier
	ds_read_b32 v68, v63 offset:80
	s_cmp_lt_i32 s22, 22
	v_mov_b32_e32 v66, 20
	s_cbranch_scc1 .LBB114_338
; %bb.336:
	v_add_u32_e32 v70, 0x54, v63
	v_mov_b32_e32 v66, 20
	s_mov_b32 s0, 21
.LBB114_337:                            ; =>This Inner Loop Header: Depth=1
	ds_read_b32 v71, v70
	v_mov_b32_e32 v72, s0
	s_add_i32 s0, s0, 1
	v_add_u32_e32 v70, 4, v70
	s_cmp_lg_u32 s22, s0
	s_waitcnt lgkmcnt(0)
	v_cmp_lt_f32_e64 vcc, |v68|, |v71|
	s_nop 1
	v_cndmask_b32_e32 v68, v68, v71, vcc
	v_cndmask_b32_e32 v66, v66, v72, vcc
	s_cbranch_scc1 .LBB114_337
.LBB114_338:
	s_waitcnt lgkmcnt(0)
	v_cmp_eq_f32_e32 vcc, 0, v68
	s_and_saveexec_b64 s[0:1], vcc
	s_xor_b64 s[0:1], exec, s[0:1]
; %bb.339:
	v_cmp_ne_u32_e32 vcc, 0, v65
	s_nop 1
	v_cndmask_b32_e32 v65, 21, v65, vcc
; %bb.340:
	s_andn2_saveexec_b64 s[0:1], s[0:1]
	s_cbranch_execz .LBB114_342
; %bb.341:
	v_div_scale_f32 v70, s[2:3], v68, v68, 1.0
	v_rcp_f32_e32 v71, v70
	v_div_scale_f32 v72, vcc, 1.0, v68, 1.0
	v_fma_f32 v73, -v70, v71, 1.0
	v_fmac_f32_e32 v71, v73, v71
	v_mul_f32_e32 v73, v72, v71
	v_fma_f32 v74, -v70, v73, v72
	v_fmac_f32_e32 v73, v74, v71
	v_fma_f32 v70, -v70, v73, v72
	v_div_fmas_f32 v70, v70, v71, v73
	v_div_fixup_f32 v68, v70, v68, 1.0
.LBB114_342:
	s_or_b64 exec, exec, s[0:1]
	v_cmp_ne_u32_e32 vcc, v69, v66
	s_and_saveexec_b64 s[0:1], vcc
	s_xor_b64 s[0:1], exec, s[0:1]
	s_cbranch_execz .LBB114_348
; %bb.343:
	v_cmp_eq_u32_e32 vcc, 20, v69
	s_and_saveexec_b64 s[2:3], vcc
	s_cbranch_execz .LBB114_347
; %bb.344:
	v_cmp_ne_u32_e32 vcc, 20, v66
	s_xor_b64 s[12:13], s[20:21], -1
	s_and_b64 s[14:15], s[12:13], vcc
	s_and_saveexec_b64 s[12:13], s[14:15]
	s_cbranch_execz .LBB114_346
; %bb.345:
	v_ashrrev_i32_e32 v67, 31, v66
	v_lshl_add_u64 v[70:71], v[66:67], 2, v[4:5]
	global_load_dword v67, v[70:71], off
	global_load_dword v69, v[4:5], off offset:80
	s_waitcnt vmcnt(1)
	global_store_dword v[4:5], v67, off offset:80
	s_waitcnt vmcnt(1)
	global_store_dword v[70:71], v69, off
.LBB114_346:
	s_or_b64 exec, exec, s[12:13]
	v_mov_b32_e32 v67, v66
	v_mov_b32_e32 v69, v66
.LBB114_347:
	s_or_b64 exec, exec, s[2:3]
.LBB114_348:
	s_andn2_saveexec_b64 s[0:1], s[0:1]
	s_cbranch_execz .LBB114_350
; %bb.349:
	v_pk_mov_b32 v[70:71], v[38:39], v[28:29] op_sel:[1,0]
	ds_write2_b32 v63, v70, v71 offset0:21 offset1:22
	v_pk_mov_b32 v[70:71], v[28:29], v[48:49] op_sel:[1,0]
	ds_write2_b32 v63, v70, v71 offset0:23 offset1:24
	;; [unrolled: 2-line block ×17, first 2 shown]
	v_pk_mov_b32 v[70:71], v[0:1], v[12:13] op_sel:[1,0]
	v_mov_b32_e32 v69, 20
	ds_write2_b32 v63, v70, v71 offset0:55 offset1:56
	ds_write_b32 v63, v13 offset:228
.LBB114_350:
	s_or_b64 exec, exec, s[0:1]
	v_cmp_lt_i32_e32 vcc, 20, v69
	s_waitcnt lgkmcnt(0)
	s_barrier
	s_and_saveexec_b64 s[0:1], vcc
	s_cbranch_execz .LBB114_352
; %bb.351:
	ds_read_b32 v66, v63 offset:84
	ds_read2_b32 v[70:71], v63 offset0:22 offset1:23
	ds_read2_b32 v[72:73], v63 offset0:24 offset1:25
	v_mul_f32_e32 v38, v68, v38
	ds_read2_b32 v[74:75], v63 offset0:26 offset1:27
	s_waitcnt lgkmcnt(3)
	v_fma_f32 v39, -v38, v66, v39
	s_waitcnt lgkmcnt(2)
	v_pk_fma_f32 v[28:29], v[38:39], v[70:71], v[28:29] op_sel_hi:[0,1,1] neg_lo:[1,0,0] neg_hi:[1,0,0]
	s_waitcnt lgkmcnt(1)
	v_pk_fma_f32 v[48:49], v[38:39], v[72:73], v[48:49] op_sel_hi:[0,1,1] neg_lo:[1,0,0] neg_hi:[1,0,0]
	ds_read2_b32 v[70:71], v63 offset0:28 offset1:29
	ds_read2_b32 v[72:73], v63 offset0:30 offset1:31
	;; [unrolled: 1-line block ×3, first 2 shown]
	s_waitcnt lgkmcnt(3)
	v_pk_fma_f32 v[40:41], v[38:39], v[74:75], v[40:41] op_sel_hi:[0,1,1] neg_lo:[1,0,0] neg_hi:[1,0,0]
	ds_read2_b32 v[74:75], v63 offset0:34 offset1:35
	s_waitcnt lgkmcnt(3)
	v_pk_fma_f32 v[30:31], v[38:39], v[70:71], v[30:31] op_sel_hi:[0,1,1] neg_lo:[1,0,0] neg_hi:[1,0,0]
	s_waitcnt lgkmcnt(2)
	v_pk_fma_f32 v[20:21], v[38:39], v[72:73], v[20:21] op_sel_hi:[0,1,1] neg_lo:[1,0,0] neg_hi:[1,0,0]
	;; [unrolled: 2-line block ×3, first 2 shown]
	ds_read2_b32 v[70:71], v63 offset0:36 offset1:37
	ds_read2_b32 v[72:73], v63 offset0:38 offset1:39
	;; [unrolled: 1-line block ×3, first 2 shown]
	s_waitcnt lgkmcnt(3)
	v_pk_fma_f32 v[32:33], v[38:39], v[74:75], v[32:33] op_sel_hi:[0,1,1] neg_lo:[1,0,0] neg_hi:[1,0,0]
	ds_read2_b32 v[74:75], v63 offset0:42 offset1:43
	s_waitcnt lgkmcnt(3)
	v_pk_fma_f32 v[22:23], v[38:39], v[70:71], v[22:23] op_sel_hi:[0,1,1] neg_lo:[1,0,0] neg_hi:[1,0,0]
	s_waitcnt lgkmcnt(2)
	v_pk_fma_f32 v[14:15], v[38:39], v[72:73], v[14:15] op_sel_hi:[0,1,1] neg_lo:[1,0,0] neg_hi:[1,0,0]
	ds_read2_b32 v[70:71], v63 offset0:44 offset1:45
	ds_read2_b32 v[72:73], v63 offset0:46 offset1:47
	s_waitcnt lgkmcnt(3)
	v_pk_fma_f32 v[34:35], v[38:39], v[76:77], v[34:35] op_sel_hi:[0,1,1] neg_lo:[1,0,0] neg_hi:[1,0,0]
	s_waitcnt lgkmcnt(2)
	v_pk_fma_f32 v[24:25], v[38:39], v[74:75], v[24:25] op_sel_hi:[0,1,1] neg_lo:[1,0,0] neg_hi:[1,0,0]
	ds_read2_b32 v[74:75], v63 offset0:48 offset1:49
	;; [unrolled: 6-line block ×3, first 2 shown]
	ds_read2_b32 v[72:73], v63 offset0:54 offset1:55
	ds_read2_b32 v[78:79], v63 offset0:56 offset1:57
	s_waitcnt lgkmcnt(4)
	v_pk_fma_f32 v[26:27], v[38:39], v[74:75], v[26:27] op_sel_hi:[0,1,1] neg_lo:[1,0,0] neg_hi:[1,0,0]
	s_waitcnt lgkmcnt(3)
	v_pk_fma_f32 v[18:19], v[38:39], v[76:77], v[18:19] op_sel_hi:[0,1,1] neg_lo:[1,0,0] neg_hi:[1,0,0]
	;; [unrolled: 2-line block ×5, first 2 shown]
.LBB114_352:
	s_or_b64 exec, exec, s[0:1]
	v_lshl_add_u32 v66, v69, 2, v63
	s_barrier
	ds_write_b32 v66, v39
	s_waitcnt lgkmcnt(0)
	s_barrier
	ds_read_b32 v68, v63 offset:84
	s_cmp_lt_i32 s22, 23
	v_mov_b32_e32 v66, 21
	s_cbranch_scc1 .LBB114_355
; %bb.353:
	v_add_u32_e32 v70, 0x58, v63
	v_mov_b32_e32 v66, 21
	s_mov_b32 s0, 22
.LBB114_354:                            ; =>This Inner Loop Header: Depth=1
	ds_read_b32 v71, v70
	v_mov_b32_e32 v72, s0
	s_add_i32 s0, s0, 1
	v_add_u32_e32 v70, 4, v70
	s_cmp_lg_u32 s22, s0
	s_waitcnt lgkmcnt(0)
	v_cmp_lt_f32_e64 vcc, |v68|, |v71|
	s_nop 1
	v_cndmask_b32_e32 v68, v68, v71, vcc
	v_cndmask_b32_e32 v66, v66, v72, vcc
	s_cbranch_scc1 .LBB114_354
.LBB114_355:
	s_waitcnt lgkmcnt(0)
	v_cmp_eq_f32_e32 vcc, 0, v68
	s_and_saveexec_b64 s[0:1], vcc
	s_xor_b64 s[0:1], exec, s[0:1]
; %bb.356:
	v_cmp_ne_u32_e32 vcc, 0, v65
	s_nop 1
	v_cndmask_b32_e32 v65, 22, v65, vcc
; %bb.357:
	s_andn2_saveexec_b64 s[0:1], s[0:1]
	s_cbranch_execz .LBB114_359
; %bb.358:
	v_div_scale_f32 v70, s[2:3], v68, v68, 1.0
	v_rcp_f32_e32 v71, v70
	v_div_scale_f32 v72, vcc, 1.0, v68, 1.0
	v_fma_f32 v73, -v70, v71, 1.0
	v_fmac_f32_e32 v71, v73, v71
	v_mul_f32_e32 v73, v72, v71
	v_fma_f32 v74, -v70, v73, v72
	v_fmac_f32_e32 v73, v74, v71
	v_fma_f32 v70, -v70, v73, v72
	v_div_fmas_f32 v70, v70, v71, v73
	v_div_fixup_f32 v68, v70, v68, 1.0
.LBB114_359:
	s_or_b64 exec, exec, s[0:1]
	v_cmp_ne_u32_e32 vcc, v69, v66
	s_and_saveexec_b64 s[0:1], vcc
	s_xor_b64 s[0:1], exec, s[0:1]
	s_cbranch_execz .LBB114_365
; %bb.360:
	v_cmp_eq_u32_e32 vcc, 21, v69
	s_and_saveexec_b64 s[2:3], vcc
	s_cbranch_execz .LBB114_364
; %bb.361:
	v_cmp_ne_u32_e32 vcc, 21, v66
	s_xor_b64 s[12:13], s[20:21], -1
	s_and_b64 s[14:15], s[12:13], vcc
	s_and_saveexec_b64 s[12:13], s[14:15]
	s_cbranch_execz .LBB114_363
; %bb.362:
	v_ashrrev_i32_e32 v67, 31, v66
	v_lshl_add_u64 v[70:71], v[66:67], 2, v[4:5]
	global_load_dword v67, v[70:71], off
	global_load_dword v69, v[4:5], off offset:84
	s_waitcnt vmcnt(1)
	global_store_dword v[4:5], v67, off offset:84
	s_waitcnt vmcnt(1)
	global_store_dword v[70:71], v69, off
.LBB114_363:
	s_or_b64 exec, exec, s[12:13]
	v_mov_b32_e32 v67, v66
	v_mov_b32_e32 v69, v66
.LBB114_364:
	s_or_b64 exec, exec, s[2:3]
.LBB114_365:
	s_andn2_saveexec_b64 s[0:1], s[0:1]
	s_cbranch_execz .LBB114_367
; %bb.366:
	v_mov_b32_e32 v69, 21
	ds_write2_b32 v63, v28, v29 offset0:22 offset1:23
	ds_write2_b32 v63, v48, v49 offset0:24 offset1:25
	;; [unrolled: 1-line block ×18, first 2 shown]
.LBB114_367:
	s_or_b64 exec, exec, s[0:1]
	v_cmp_lt_i32_e32 vcc, 21, v69
	s_waitcnt lgkmcnt(0)
	s_barrier
	s_and_saveexec_b64 s[0:1], vcc
	s_cbranch_execz .LBB114_369
; %bb.368:
	ds_read2_b32 v[70:71], v63 offset0:22 offset1:23
	ds_read2_b32 v[72:73], v63 offset0:24 offset1:25
	;; [unrolled: 1-line block ×4, first 2 shown]
	v_mul_f32_e32 v66, v68, v39
	s_waitcnt lgkmcnt(3)
	v_pk_fma_f32 v[28:29], v[66:67], v[70:71], v[28:29] op_sel_hi:[0,1,1] neg_lo:[1,0,0] neg_hi:[1,0,0]
	s_waitcnt lgkmcnt(2)
	v_pk_fma_f32 v[48:49], v[66:67], v[72:73], v[48:49] op_sel_hi:[0,1,1] neg_lo:[1,0,0] neg_hi:[1,0,0]
	;; [unrolled: 2-line block ×3, first 2 shown]
	ds_read2_b32 v[70:71], v63 offset0:30 offset1:31
	ds_read2_b32 v[72:73], v63 offset0:32 offset1:33
	;; [unrolled: 1-line block ×3, first 2 shown]
	s_waitcnt lgkmcnt(3)
	v_pk_fma_f32 v[30:31], v[66:67], v[76:77], v[30:31] op_sel_hi:[0,1,1] neg_lo:[1,0,0] neg_hi:[1,0,0]
	ds_read2_b32 v[76:77], v63 offset0:36 offset1:37
	s_waitcnt lgkmcnt(3)
	v_pk_fma_f32 v[20:21], v[66:67], v[70:71], v[20:21] op_sel_hi:[0,1,1] neg_lo:[1,0,0] neg_hi:[1,0,0]
	s_waitcnt lgkmcnt(2)
	v_pk_fma_f32 v[42:43], v[66:67], v[72:73], v[42:43] op_sel_hi:[0,1,1] neg_lo:[1,0,0] neg_hi:[1,0,0]
	;; [unrolled: 2-line block ×3, first 2 shown]
	ds_read2_b32 v[70:71], v63 offset0:38 offset1:39
	ds_read2_b32 v[72:73], v63 offset0:40 offset1:41
	;; [unrolled: 1-line block ×3, first 2 shown]
	s_waitcnt lgkmcnt(3)
	v_pk_fma_f32 v[22:23], v[66:67], v[76:77], v[22:23] op_sel_hi:[0,1,1] neg_lo:[1,0,0] neg_hi:[1,0,0]
	ds_read2_b32 v[76:77], v63 offset0:44 offset1:45
	s_waitcnt lgkmcnt(3)
	v_pk_fma_f32 v[14:15], v[66:67], v[70:71], v[14:15] op_sel_hi:[0,1,1] neg_lo:[1,0,0] neg_hi:[1,0,0]
	ds_read2_b32 v[70:71], v63 offset0:46 offset1:47
	s_waitcnt lgkmcnt(3)
	v_pk_fma_f32 v[34:35], v[66:67], v[72:73], v[34:35] op_sel_hi:[0,1,1] neg_lo:[1,0,0] neg_hi:[1,0,0]
	s_waitcnt lgkmcnt(2)
	v_pk_fma_f32 v[24:25], v[66:67], v[74:75], v[24:25] op_sel_hi:[0,1,1] neg_lo:[1,0,0] neg_hi:[1,0,0]
	;; [unrolled: 2-line block ×3, first 2 shown]
	ds_read2_b32 v[72:73], v63 offset0:48 offset1:49
	ds_read2_b32 v[74:75], v63 offset0:50 offset1:51
	ds_read2_b32 v[76:77], v63 offset0:52 offset1:53
	s_waitcnt lgkmcnt(3)
	v_pk_fma_f32 v[8:9], v[66:67], v[70:71], v[8:9] op_sel_hi:[0,1,1] neg_lo:[1,0,0] neg_hi:[1,0,0]
	ds_read2_b32 v[70:71], v63 offset0:54 offset1:55
	ds_read2_b32 v[78:79], v63 offset0:56 offset1:57
	s_waitcnt lgkmcnt(4)
	v_pk_fma_f32 v[26:27], v[66:67], v[72:73], v[26:27] op_sel_hi:[0,1,1] neg_lo:[1,0,0] neg_hi:[1,0,0]
	s_waitcnt lgkmcnt(3)
	v_pk_fma_f32 v[18:19], v[66:67], v[74:75], v[18:19] op_sel_hi:[0,1,1] neg_lo:[1,0,0] neg_hi:[1,0,0]
	;; [unrolled: 2-line block ×5, first 2 shown]
	v_mov_b32_e32 v39, v66
.LBB114_369:
	s_or_b64 exec, exec, s[0:1]
	v_lshl_add_u32 v66, v69, 2, v63
	s_barrier
	ds_write_b32 v66, v28
	s_waitcnt lgkmcnt(0)
	s_barrier
	ds_read_b32 v68, v63 offset:88
	s_cmp_lt_i32 s22, 24
	v_mov_b32_e32 v66, 22
	s_cbranch_scc1 .LBB114_372
; %bb.370:
	v_add_u32_e32 v70, 0x5c, v63
	v_mov_b32_e32 v66, 22
	s_mov_b32 s0, 23
.LBB114_371:                            ; =>This Inner Loop Header: Depth=1
	ds_read_b32 v71, v70
	v_mov_b32_e32 v72, s0
	s_add_i32 s0, s0, 1
	v_add_u32_e32 v70, 4, v70
	s_cmp_lg_u32 s22, s0
	s_waitcnt lgkmcnt(0)
	v_cmp_lt_f32_e64 vcc, |v68|, |v71|
	s_nop 1
	v_cndmask_b32_e32 v68, v68, v71, vcc
	v_cndmask_b32_e32 v66, v66, v72, vcc
	s_cbranch_scc1 .LBB114_371
.LBB114_372:
	s_waitcnt lgkmcnt(0)
	v_cmp_eq_f32_e32 vcc, 0, v68
	s_and_saveexec_b64 s[0:1], vcc
	s_xor_b64 s[0:1], exec, s[0:1]
; %bb.373:
	v_cmp_ne_u32_e32 vcc, 0, v65
	s_nop 1
	v_cndmask_b32_e32 v65, 23, v65, vcc
; %bb.374:
	s_andn2_saveexec_b64 s[0:1], s[0:1]
	s_cbranch_execz .LBB114_376
; %bb.375:
	v_div_scale_f32 v70, s[2:3], v68, v68, 1.0
	v_rcp_f32_e32 v71, v70
	v_div_scale_f32 v72, vcc, 1.0, v68, 1.0
	v_fma_f32 v73, -v70, v71, 1.0
	v_fmac_f32_e32 v71, v73, v71
	v_mul_f32_e32 v73, v72, v71
	v_fma_f32 v74, -v70, v73, v72
	v_fmac_f32_e32 v73, v74, v71
	v_fma_f32 v70, -v70, v73, v72
	v_div_fmas_f32 v70, v70, v71, v73
	v_div_fixup_f32 v68, v70, v68, 1.0
.LBB114_376:
	s_or_b64 exec, exec, s[0:1]
	v_cmp_ne_u32_e32 vcc, v69, v66
	s_and_saveexec_b64 s[0:1], vcc
	s_xor_b64 s[0:1], exec, s[0:1]
	s_cbranch_execz .LBB114_382
; %bb.377:
	v_cmp_eq_u32_e32 vcc, 22, v69
	s_and_saveexec_b64 s[2:3], vcc
	s_cbranch_execz .LBB114_381
; %bb.378:
	v_cmp_ne_u32_e32 vcc, 22, v66
	s_xor_b64 s[12:13], s[20:21], -1
	s_and_b64 s[14:15], s[12:13], vcc
	s_and_saveexec_b64 s[12:13], s[14:15]
	s_cbranch_execz .LBB114_380
; %bb.379:
	v_ashrrev_i32_e32 v67, 31, v66
	v_lshl_add_u64 v[70:71], v[66:67], 2, v[4:5]
	global_load_dword v67, v[70:71], off
	global_load_dword v69, v[4:5], off offset:88
	s_waitcnt vmcnt(1)
	global_store_dword v[4:5], v67, off offset:88
	s_waitcnt vmcnt(1)
	global_store_dword v[70:71], v69, off
.LBB114_380:
	s_or_b64 exec, exec, s[12:13]
	v_mov_b32_e32 v67, v66
	v_mov_b32_e32 v69, v66
.LBB114_381:
	s_or_b64 exec, exec, s[2:3]
.LBB114_382:
	s_andn2_saveexec_b64 s[0:1], s[0:1]
	s_cbranch_execz .LBB114_384
; %bb.383:
	v_pk_mov_b32 v[70:71], v[28:29], v[48:49] op_sel:[1,0]
	ds_write2_b32 v63, v70, v71 offset0:23 offset1:24
	v_pk_mov_b32 v[70:71], v[48:49], v[40:41] op_sel:[1,0]
	ds_write2_b32 v63, v70, v71 offset0:25 offset1:26
	v_pk_mov_b32 v[70:71], v[40:41], v[30:31] op_sel:[1,0]
	ds_write2_b32 v63, v70, v71 offset0:27 offset1:28
	v_pk_mov_b32 v[70:71], v[30:31], v[20:21] op_sel:[1,0]
	ds_write2_b32 v63, v70, v71 offset0:29 offset1:30
	v_pk_mov_b32 v[70:71], v[20:21], v[42:43] op_sel:[1,0]
	ds_write2_b32 v63, v70, v71 offset0:31 offset1:32
	v_pk_mov_b32 v[70:71], v[42:43], v[32:33] op_sel:[1,0]
	ds_write2_b32 v63, v70, v71 offset0:33 offset1:34
	v_pk_mov_b32 v[70:71], v[32:33], v[22:23] op_sel:[1,0]
	ds_write2_b32 v63, v70, v71 offset0:35 offset1:36
	v_pk_mov_b32 v[70:71], v[22:23], v[14:15] op_sel:[1,0]
	ds_write2_b32 v63, v70, v71 offset0:37 offset1:38
	v_pk_mov_b32 v[70:71], v[14:15], v[34:35] op_sel:[1,0]
	ds_write2_b32 v63, v70, v71 offset0:39 offset1:40
	v_pk_mov_b32 v[70:71], v[34:35], v[24:25] op_sel:[1,0]
	ds_write2_b32 v63, v70, v71 offset0:41 offset1:42
	v_pk_mov_b32 v[70:71], v[24:25], v[16:17] op_sel:[1,0]
	ds_write2_b32 v63, v70, v71 offset0:43 offset1:44
	v_pk_mov_b32 v[70:71], v[16:17], v[8:9] op_sel:[1,0]
	ds_write2_b32 v63, v70, v71 offset0:45 offset1:46
	v_pk_mov_b32 v[70:71], v[8:9], v[26:27] op_sel:[1,0]
	ds_write2_b32 v63, v70, v71 offset0:47 offset1:48
	v_pk_mov_b32 v[70:71], v[26:27], v[18:19] op_sel:[1,0]
	ds_write2_b32 v63, v70, v71 offset0:49 offset1:50
	v_pk_mov_b32 v[70:71], v[18:19], v[10:11] op_sel:[1,0]
	ds_write2_b32 v63, v70, v71 offset0:51 offset1:52
	v_pk_mov_b32 v[70:71], v[10:11], v[0:1] op_sel:[1,0]
	ds_write2_b32 v63, v70, v71 offset0:53 offset1:54
	v_pk_mov_b32 v[70:71], v[0:1], v[12:13] op_sel:[1,0]
	v_mov_b32_e32 v69, 22
	ds_write2_b32 v63, v70, v71 offset0:55 offset1:56
	ds_write_b32 v63, v13 offset:228
.LBB114_384:
	s_or_b64 exec, exec, s[0:1]
	v_cmp_lt_i32_e32 vcc, 22, v69
	s_waitcnt lgkmcnt(0)
	s_barrier
	s_and_saveexec_b64 s[0:1], vcc
	s_cbranch_execz .LBB114_386
; %bb.385:
	ds_read_b32 v66, v63 offset:92
	ds_read2_b32 v[70:71], v63 offset0:24 offset1:25
	ds_read2_b32 v[72:73], v63 offset0:26 offset1:27
	v_mul_f32_e32 v28, v68, v28
	ds_read2_b32 v[74:75], v63 offset0:28 offset1:29
	s_waitcnt lgkmcnt(3)
	v_fma_f32 v29, -v28, v66, v29
	s_waitcnt lgkmcnt(2)
	v_pk_fma_f32 v[48:49], v[28:29], v[70:71], v[48:49] op_sel_hi:[0,1,1] neg_lo:[1,0,0] neg_hi:[1,0,0]
	s_waitcnt lgkmcnt(1)
	v_pk_fma_f32 v[40:41], v[28:29], v[72:73], v[40:41] op_sel_hi:[0,1,1] neg_lo:[1,0,0] neg_hi:[1,0,0]
	ds_read2_b32 v[70:71], v63 offset0:30 offset1:31
	ds_read2_b32 v[72:73], v63 offset0:32 offset1:33
	;; [unrolled: 1-line block ×3, first 2 shown]
	s_waitcnt lgkmcnt(3)
	v_pk_fma_f32 v[30:31], v[28:29], v[74:75], v[30:31] op_sel_hi:[0,1,1] neg_lo:[1,0,0] neg_hi:[1,0,0]
	ds_read2_b32 v[74:75], v63 offset0:36 offset1:37
	s_waitcnt lgkmcnt(3)
	v_pk_fma_f32 v[20:21], v[28:29], v[70:71], v[20:21] op_sel_hi:[0,1,1] neg_lo:[1,0,0] neg_hi:[1,0,0]
	s_waitcnt lgkmcnt(2)
	v_pk_fma_f32 v[42:43], v[28:29], v[72:73], v[42:43] op_sel_hi:[0,1,1] neg_lo:[1,0,0] neg_hi:[1,0,0]
	s_waitcnt lgkmcnt(1)
	v_pk_fma_f32 v[32:33], v[28:29], v[76:77], v[32:33] op_sel_hi:[0,1,1] neg_lo:[1,0,0] neg_hi:[1,0,0]
	ds_read2_b32 v[70:71], v63 offset0:38 offset1:39
	ds_read2_b32 v[72:73], v63 offset0:40 offset1:41
	;; [unrolled: 1-line block ×3, first 2 shown]
	s_waitcnt lgkmcnt(3)
	v_pk_fma_f32 v[22:23], v[28:29], v[74:75], v[22:23] op_sel_hi:[0,1,1] neg_lo:[1,0,0] neg_hi:[1,0,0]
	ds_read2_b32 v[74:75], v63 offset0:44 offset1:45
	s_waitcnt lgkmcnt(3)
	v_pk_fma_f32 v[14:15], v[28:29], v[70:71], v[14:15] op_sel_hi:[0,1,1] neg_lo:[1,0,0] neg_hi:[1,0,0]
	ds_read2_b32 v[70:71], v63 offset0:46 offset1:47
	s_waitcnt lgkmcnt(3)
	v_pk_fma_f32 v[34:35], v[28:29], v[72:73], v[34:35] op_sel_hi:[0,1,1] neg_lo:[1,0,0] neg_hi:[1,0,0]
	s_waitcnt lgkmcnt(2)
	v_pk_fma_f32 v[24:25], v[28:29], v[76:77], v[24:25] op_sel_hi:[0,1,1] neg_lo:[1,0,0] neg_hi:[1,0,0]
	;; [unrolled: 2-line block ×3, first 2 shown]
	ds_read2_b32 v[72:73], v63 offset0:48 offset1:49
	ds_read2_b32 v[74:75], v63 offset0:50 offset1:51
	;; [unrolled: 1-line block ×3, first 2 shown]
	s_waitcnt lgkmcnt(3)
	v_pk_fma_f32 v[8:9], v[28:29], v[70:71], v[8:9] op_sel_hi:[0,1,1] neg_lo:[1,0,0] neg_hi:[1,0,0]
	ds_read2_b32 v[70:71], v63 offset0:54 offset1:55
	ds_read2_b32 v[78:79], v63 offset0:56 offset1:57
	s_waitcnt lgkmcnt(4)
	v_pk_fma_f32 v[26:27], v[28:29], v[72:73], v[26:27] op_sel_hi:[0,1,1] neg_lo:[1,0,0] neg_hi:[1,0,0]
	s_waitcnt lgkmcnt(3)
	v_pk_fma_f32 v[18:19], v[28:29], v[74:75], v[18:19] op_sel_hi:[0,1,1] neg_lo:[1,0,0] neg_hi:[1,0,0]
	;; [unrolled: 2-line block ×5, first 2 shown]
.LBB114_386:
	s_or_b64 exec, exec, s[0:1]
	v_lshl_add_u32 v66, v69, 2, v63
	s_barrier
	ds_write_b32 v66, v29
	s_waitcnt lgkmcnt(0)
	s_barrier
	ds_read_b32 v68, v63 offset:92
	s_cmp_lt_i32 s22, 25
	v_mov_b32_e32 v66, 23
	s_cbranch_scc1 .LBB114_389
; %bb.387:
	v_add_u32_e32 v70, 0x60, v63
	v_mov_b32_e32 v66, 23
	s_mov_b32 s0, 24
.LBB114_388:                            ; =>This Inner Loop Header: Depth=1
	ds_read_b32 v71, v70
	v_mov_b32_e32 v72, s0
	s_add_i32 s0, s0, 1
	v_add_u32_e32 v70, 4, v70
	s_cmp_lg_u32 s22, s0
	s_waitcnt lgkmcnt(0)
	v_cmp_lt_f32_e64 vcc, |v68|, |v71|
	s_nop 1
	v_cndmask_b32_e32 v68, v68, v71, vcc
	v_cndmask_b32_e32 v66, v66, v72, vcc
	s_cbranch_scc1 .LBB114_388
.LBB114_389:
	s_waitcnt lgkmcnt(0)
	v_cmp_eq_f32_e32 vcc, 0, v68
	s_and_saveexec_b64 s[0:1], vcc
	s_xor_b64 s[0:1], exec, s[0:1]
; %bb.390:
	v_cmp_ne_u32_e32 vcc, 0, v65
	s_nop 1
	v_cndmask_b32_e32 v65, 24, v65, vcc
; %bb.391:
	s_andn2_saveexec_b64 s[0:1], s[0:1]
	s_cbranch_execz .LBB114_393
; %bb.392:
	v_div_scale_f32 v70, s[2:3], v68, v68, 1.0
	v_rcp_f32_e32 v71, v70
	v_div_scale_f32 v72, vcc, 1.0, v68, 1.0
	v_fma_f32 v73, -v70, v71, 1.0
	v_fmac_f32_e32 v71, v73, v71
	v_mul_f32_e32 v73, v72, v71
	v_fma_f32 v74, -v70, v73, v72
	v_fmac_f32_e32 v73, v74, v71
	v_fma_f32 v70, -v70, v73, v72
	v_div_fmas_f32 v70, v70, v71, v73
	v_div_fixup_f32 v68, v70, v68, 1.0
.LBB114_393:
	s_or_b64 exec, exec, s[0:1]
	v_cmp_ne_u32_e32 vcc, v69, v66
	s_and_saveexec_b64 s[0:1], vcc
	s_xor_b64 s[0:1], exec, s[0:1]
	s_cbranch_execz .LBB114_399
; %bb.394:
	v_cmp_eq_u32_e32 vcc, 23, v69
	s_and_saveexec_b64 s[2:3], vcc
	s_cbranch_execz .LBB114_398
; %bb.395:
	v_cmp_ne_u32_e32 vcc, 23, v66
	s_xor_b64 s[12:13], s[20:21], -1
	s_and_b64 s[14:15], s[12:13], vcc
	s_and_saveexec_b64 s[12:13], s[14:15]
	s_cbranch_execz .LBB114_397
; %bb.396:
	v_ashrrev_i32_e32 v67, 31, v66
	v_lshl_add_u64 v[70:71], v[66:67], 2, v[4:5]
	global_load_dword v67, v[70:71], off
	global_load_dword v69, v[4:5], off offset:92
	s_waitcnt vmcnt(1)
	global_store_dword v[4:5], v67, off offset:92
	s_waitcnt vmcnt(1)
	global_store_dword v[70:71], v69, off
.LBB114_397:
	s_or_b64 exec, exec, s[12:13]
	v_mov_b32_e32 v67, v66
	v_mov_b32_e32 v69, v66
.LBB114_398:
	s_or_b64 exec, exec, s[2:3]
.LBB114_399:
	s_andn2_saveexec_b64 s[0:1], s[0:1]
	s_cbranch_execz .LBB114_401
; %bb.400:
	v_mov_b32_e32 v69, 23
	ds_write2_b32 v63, v48, v49 offset0:24 offset1:25
	ds_write2_b32 v63, v40, v41 offset0:26 offset1:27
	;; [unrolled: 1-line block ×17, first 2 shown]
.LBB114_401:
	s_or_b64 exec, exec, s[0:1]
	v_cmp_lt_i32_e32 vcc, 23, v69
	s_waitcnt lgkmcnt(0)
	s_barrier
	s_and_saveexec_b64 s[0:1], vcc
	s_cbranch_execz .LBB114_403
; %bb.402:
	ds_read2_b32 v[70:71], v63 offset0:24 offset1:25
	ds_read2_b32 v[72:73], v63 offset0:26 offset1:27
	;; [unrolled: 1-line block ×3, first 2 shown]
	v_mul_f32_e32 v66, v68, v29
	ds_read2_b32 v[76:77], v63 offset0:30 offset1:31
	s_waitcnt lgkmcnt(3)
	v_pk_fma_f32 v[48:49], v[66:67], v[70:71], v[48:49] op_sel_hi:[0,1,1] neg_lo:[1,0,0] neg_hi:[1,0,0]
	s_waitcnt lgkmcnt(2)
	v_pk_fma_f32 v[40:41], v[66:67], v[72:73], v[40:41] op_sel_hi:[0,1,1] neg_lo:[1,0,0] neg_hi:[1,0,0]
	;; [unrolled: 2-line block ×3, first 2 shown]
	ds_read2_b32 v[70:71], v63 offset0:32 offset1:33
	ds_read2_b32 v[72:73], v63 offset0:34 offset1:35
	;; [unrolled: 1-line block ×3, first 2 shown]
	s_waitcnt lgkmcnt(3)
	v_pk_fma_f32 v[20:21], v[66:67], v[76:77], v[20:21] op_sel_hi:[0,1,1] neg_lo:[1,0,0] neg_hi:[1,0,0]
	ds_read2_b32 v[76:77], v63 offset0:38 offset1:39
	s_waitcnt lgkmcnt(3)
	v_pk_fma_f32 v[42:43], v[66:67], v[70:71], v[42:43] op_sel_hi:[0,1,1] neg_lo:[1,0,0] neg_hi:[1,0,0]
	s_waitcnt lgkmcnt(2)
	v_pk_fma_f32 v[32:33], v[66:67], v[72:73], v[32:33] op_sel_hi:[0,1,1] neg_lo:[1,0,0] neg_hi:[1,0,0]
	;; [unrolled: 2-line block ×3, first 2 shown]
	ds_read2_b32 v[70:71], v63 offset0:40 offset1:41
	ds_read2_b32 v[72:73], v63 offset0:42 offset1:43
	;; [unrolled: 1-line block ×4, first 2 shown]
	s_waitcnt lgkmcnt(4)
	v_pk_fma_f32 v[14:15], v[66:67], v[76:77], v[14:15] op_sel_hi:[0,1,1] neg_lo:[1,0,0] neg_hi:[1,0,0]
	s_waitcnt lgkmcnt(3)
	v_pk_fma_f32 v[34:35], v[66:67], v[70:71], v[34:35] op_sel_hi:[0,1,1] neg_lo:[1,0,0] neg_hi:[1,0,0]
	;; [unrolled: 2-line block ×5, first 2 shown]
	ds_read2_b32 v[70:71], v63 offset0:48 offset1:49
	ds_read2_b32 v[72:73], v63 offset0:50 offset1:51
	;; [unrolled: 1-line block ×5, first 2 shown]
	s_waitcnt lgkmcnt(4)
	v_pk_fma_f32 v[26:27], v[66:67], v[70:71], v[26:27] op_sel_hi:[0,1,1] neg_lo:[1,0,0] neg_hi:[1,0,0]
	s_waitcnt lgkmcnt(3)
	v_pk_fma_f32 v[18:19], v[66:67], v[72:73], v[18:19] op_sel_hi:[0,1,1] neg_lo:[1,0,0] neg_hi:[1,0,0]
	;; [unrolled: 2-line block ×5, first 2 shown]
	v_mov_b32_e32 v29, v66
.LBB114_403:
	s_or_b64 exec, exec, s[0:1]
	v_lshl_add_u32 v66, v69, 2, v63
	s_barrier
	ds_write_b32 v66, v48
	s_waitcnt lgkmcnt(0)
	s_barrier
	ds_read_b32 v68, v63 offset:96
	s_cmp_lt_i32 s22, 26
	v_mov_b32_e32 v66, 24
	s_cbranch_scc1 .LBB114_406
; %bb.404:
	v_add_u32_e32 v70, 0x64, v63
	v_mov_b32_e32 v66, 24
	s_mov_b32 s0, 25
.LBB114_405:                            ; =>This Inner Loop Header: Depth=1
	ds_read_b32 v71, v70
	v_mov_b32_e32 v72, s0
	s_add_i32 s0, s0, 1
	v_add_u32_e32 v70, 4, v70
	s_cmp_lg_u32 s22, s0
	s_waitcnt lgkmcnt(0)
	v_cmp_lt_f32_e64 vcc, |v68|, |v71|
	s_nop 1
	v_cndmask_b32_e32 v68, v68, v71, vcc
	v_cndmask_b32_e32 v66, v66, v72, vcc
	s_cbranch_scc1 .LBB114_405
.LBB114_406:
	s_waitcnt lgkmcnt(0)
	v_cmp_eq_f32_e32 vcc, 0, v68
	s_and_saveexec_b64 s[0:1], vcc
	s_xor_b64 s[0:1], exec, s[0:1]
; %bb.407:
	v_cmp_ne_u32_e32 vcc, 0, v65
	s_nop 1
	v_cndmask_b32_e32 v65, 25, v65, vcc
; %bb.408:
	s_andn2_saveexec_b64 s[0:1], s[0:1]
	s_cbranch_execz .LBB114_410
; %bb.409:
	v_div_scale_f32 v70, s[2:3], v68, v68, 1.0
	v_rcp_f32_e32 v71, v70
	v_div_scale_f32 v72, vcc, 1.0, v68, 1.0
	v_fma_f32 v73, -v70, v71, 1.0
	v_fmac_f32_e32 v71, v73, v71
	v_mul_f32_e32 v73, v72, v71
	v_fma_f32 v74, -v70, v73, v72
	v_fmac_f32_e32 v73, v74, v71
	v_fma_f32 v70, -v70, v73, v72
	v_div_fmas_f32 v70, v70, v71, v73
	v_div_fixup_f32 v68, v70, v68, 1.0
.LBB114_410:
	s_or_b64 exec, exec, s[0:1]
	v_cmp_ne_u32_e32 vcc, v69, v66
	s_and_saveexec_b64 s[0:1], vcc
	s_xor_b64 s[0:1], exec, s[0:1]
	s_cbranch_execz .LBB114_416
; %bb.411:
	v_cmp_eq_u32_e32 vcc, 24, v69
	s_and_saveexec_b64 s[2:3], vcc
	s_cbranch_execz .LBB114_415
; %bb.412:
	v_cmp_ne_u32_e32 vcc, 24, v66
	s_xor_b64 s[12:13], s[20:21], -1
	s_and_b64 s[14:15], s[12:13], vcc
	s_and_saveexec_b64 s[12:13], s[14:15]
	s_cbranch_execz .LBB114_414
; %bb.413:
	v_ashrrev_i32_e32 v67, 31, v66
	v_lshl_add_u64 v[70:71], v[66:67], 2, v[4:5]
	global_load_dword v67, v[70:71], off
	global_load_dword v69, v[4:5], off offset:96
	s_waitcnt vmcnt(1)
	global_store_dword v[4:5], v67, off offset:96
	s_waitcnt vmcnt(1)
	global_store_dword v[70:71], v69, off
.LBB114_414:
	s_or_b64 exec, exec, s[12:13]
	v_mov_b32_e32 v67, v66
	v_mov_b32_e32 v69, v66
.LBB114_415:
	s_or_b64 exec, exec, s[2:3]
.LBB114_416:
	s_andn2_saveexec_b64 s[0:1], s[0:1]
	s_cbranch_execz .LBB114_418
; %bb.417:
	v_pk_mov_b32 v[70:71], v[48:49], v[40:41] op_sel:[1,0]
	ds_write2_b32 v63, v70, v71 offset0:25 offset1:26
	v_pk_mov_b32 v[70:71], v[40:41], v[30:31] op_sel:[1,0]
	ds_write2_b32 v63, v70, v71 offset0:27 offset1:28
	;; [unrolled: 2-line block ×15, first 2 shown]
	v_pk_mov_b32 v[70:71], v[0:1], v[12:13] op_sel:[1,0]
	v_mov_b32_e32 v69, 24
	ds_write2_b32 v63, v70, v71 offset0:55 offset1:56
	ds_write_b32 v63, v13 offset:228
.LBB114_418:
	s_or_b64 exec, exec, s[0:1]
	v_cmp_lt_i32_e32 vcc, 24, v69
	s_waitcnt lgkmcnt(0)
	s_barrier
	s_and_saveexec_b64 s[0:1], vcc
	s_cbranch_execz .LBB114_420
; %bb.419:
	ds_read_b32 v66, v63 offset:100
	ds_read2_b32 v[70:71], v63 offset0:26 offset1:27
	ds_read2_b32 v[72:73], v63 offset0:28 offset1:29
	v_mul_f32_e32 v48, v68, v48
	ds_read2_b32 v[74:75], v63 offset0:30 offset1:31
	s_waitcnt lgkmcnt(3)
	v_fma_f32 v49, -v48, v66, v49
	s_waitcnt lgkmcnt(2)
	v_pk_fma_f32 v[40:41], v[48:49], v[70:71], v[40:41] op_sel_hi:[0,1,1] neg_lo:[1,0,0] neg_hi:[1,0,0]
	s_waitcnt lgkmcnt(1)
	v_pk_fma_f32 v[30:31], v[48:49], v[72:73], v[30:31] op_sel_hi:[0,1,1] neg_lo:[1,0,0] neg_hi:[1,0,0]
	ds_read2_b32 v[70:71], v63 offset0:32 offset1:33
	ds_read2_b32 v[72:73], v63 offset0:34 offset1:35
	;; [unrolled: 1-line block ×3, first 2 shown]
	s_waitcnt lgkmcnt(3)
	v_pk_fma_f32 v[20:21], v[48:49], v[74:75], v[20:21] op_sel_hi:[0,1,1] neg_lo:[1,0,0] neg_hi:[1,0,0]
	ds_read2_b32 v[74:75], v63 offset0:38 offset1:39
	s_waitcnt lgkmcnt(3)
	v_pk_fma_f32 v[42:43], v[48:49], v[70:71], v[42:43] op_sel_hi:[0,1,1] neg_lo:[1,0,0] neg_hi:[1,0,0]
	s_waitcnt lgkmcnt(2)
	v_pk_fma_f32 v[32:33], v[48:49], v[72:73], v[32:33] op_sel_hi:[0,1,1] neg_lo:[1,0,0] neg_hi:[1,0,0]
	;; [unrolled: 2-line block ×3, first 2 shown]
	ds_read2_b32 v[70:71], v63 offset0:40 offset1:41
	ds_read2_b32 v[72:73], v63 offset0:42 offset1:43
	;; [unrolled: 1-line block ×4, first 2 shown]
	s_waitcnt lgkmcnt(4)
	v_pk_fma_f32 v[14:15], v[48:49], v[74:75], v[14:15] op_sel_hi:[0,1,1] neg_lo:[1,0,0] neg_hi:[1,0,0]
	s_waitcnt lgkmcnt(3)
	v_pk_fma_f32 v[34:35], v[48:49], v[70:71], v[34:35] op_sel_hi:[0,1,1] neg_lo:[1,0,0] neg_hi:[1,0,0]
	;; [unrolled: 2-line block ×5, first 2 shown]
	ds_read2_b32 v[70:71], v63 offset0:48 offset1:49
	ds_read2_b32 v[72:73], v63 offset0:50 offset1:51
	;; [unrolled: 1-line block ×5, first 2 shown]
	s_waitcnt lgkmcnt(4)
	v_pk_fma_f32 v[26:27], v[48:49], v[70:71], v[26:27] op_sel_hi:[0,1,1] neg_lo:[1,0,0] neg_hi:[1,0,0]
	s_waitcnt lgkmcnt(3)
	v_pk_fma_f32 v[18:19], v[48:49], v[72:73], v[18:19] op_sel_hi:[0,1,1] neg_lo:[1,0,0] neg_hi:[1,0,0]
	;; [unrolled: 2-line block ×5, first 2 shown]
.LBB114_420:
	s_or_b64 exec, exec, s[0:1]
	v_lshl_add_u32 v66, v69, 2, v63
	s_barrier
	ds_write_b32 v66, v49
	s_waitcnt lgkmcnt(0)
	s_barrier
	ds_read_b32 v68, v63 offset:100
	s_cmp_lt_i32 s22, 27
	v_mov_b32_e32 v66, 25
	s_cbranch_scc1 .LBB114_423
; %bb.421:
	v_add_u32_e32 v70, 0x68, v63
	v_mov_b32_e32 v66, 25
	s_mov_b32 s0, 26
.LBB114_422:                            ; =>This Inner Loop Header: Depth=1
	ds_read_b32 v71, v70
	v_mov_b32_e32 v72, s0
	s_add_i32 s0, s0, 1
	v_add_u32_e32 v70, 4, v70
	s_cmp_lg_u32 s22, s0
	s_waitcnt lgkmcnt(0)
	v_cmp_lt_f32_e64 vcc, |v68|, |v71|
	s_nop 1
	v_cndmask_b32_e32 v68, v68, v71, vcc
	v_cndmask_b32_e32 v66, v66, v72, vcc
	s_cbranch_scc1 .LBB114_422
.LBB114_423:
	s_waitcnt lgkmcnt(0)
	v_cmp_eq_f32_e32 vcc, 0, v68
	s_and_saveexec_b64 s[0:1], vcc
	s_xor_b64 s[0:1], exec, s[0:1]
; %bb.424:
	v_cmp_ne_u32_e32 vcc, 0, v65
	s_nop 1
	v_cndmask_b32_e32 v65, 26, v65, vcc
; %bb.425:
	s_andn2_saveexec_b64 s[0:1], s[0:1]
	s_cbranch_execz .LBB114_427
; %bb.426:
	v_div_scale_f32 v70, s[2:3], v68, v68, 1.0
	v_rcp_f32_e32 v71, v70
	v_div_scale_f32 v72, vcc, 1.0, v68, 1.0
	v_fma_f32 v73, -v70, v71, 1.0
	v_fmac_f32_e32 v71, v73, v71
	v_mul_f32_e32 v73, v72, v71
	v_fma_f32 v74, -v70, v73, v72
	v_fmac_f32_e32 v73, v74, v71
	v_fma_f32 v70, -v70, v73, v72
	v_div_fmas_f32 v70, v70, v71, v73
	v_div_fixup_f32 v68, v70, v68, 1.0
.LBB114_427:
	s_or_b64 exec, exec, s[0:1]
	v_cmp_ne_u32_e32 vcc, v69, v66
	s_and_saveexec_b64 s[0:1], vcc
	s_xor_b64 s[0:1], exec, s[0:1]
	s_cbranch_execz .LBB114_433
; %bb.428:
	v_cmp_eq_u32_e32 vcc, 25, v69
	s_and_saveexec_b64 s[2:3], vcc
	s_cbranch_execz .LBB114_432
; %bb.429:
	v_cmp_ne_u32_e32 vcc, 25, v66
	s_xor_b64 s[12:13], s[20:21], -1
	s_and_b64 s[14:15], s[12:13], vcc
	s_and_saveexec_b64 s[12:13], s[14:15]
	s_cbranch_execz .LBB114_431
; %bb.430:
	v_ashrrev_i32_e32 v67, 31, v66
	v_lshl_add_u64 v[70:71], v[66:67], 2, v[4:5]
	global_load_dword v67, v[70:71], off
	global_load_dword v69, v[4:5], off offset:100
	s_waitcnt vmcnt(1)
	global_store_dword v[4:5], v67, off offset:100
	s_waitcnt vmcnt(1)
	global_store_dword v[70:71], v69, off
.LBB114_431:
	s_or_b64 exec, exec, s[12:13]
	v_mov_b32_e32 v67, v66
	v_mov_b32_e32 v69, v66
.LBB114_432:
	s_or_b64 exec, exec, s[2:3]
.LBB114_433:
	s_andn2_saveexec_b64 s[0:1], s[0:1]
	s_cbranch_execz .LBB114_435
; %bb.434:
	v_mov_b32_e32 v69, 25
	ds_write2_b32 v63, v40, v41 offset0:26 offset1:27
	ds_write2_b32 v63, v30, v31 offset0:28 offset1:29
	ds_write2_b32 v63, v20, v21 offset0:30 offset1:31
	ds_write2_b32 v63, v42, v43 offset0:32 offset1:33
	ds_write2_b32 v63, v32, v33 offset0:34 offset1:35
	ds_write2_b32 v63, v22, v23 offset0:36 offset1:37
	ds_write2_b32 v63, v14, v15 offset0:38 offset1:39
	ds_write2_b32 v63, v34, v35 offset0:40 offset1:41
	ds_write2_b32 v63, v24, v25 offset0:42 offset1:43
	ds_write2_b32 v63, v16, v17 offset0:44 offset1:45
	ds_write2_b32 v63, v8, v9 offset0:46 offset1:47
	ds_write2_b32 v63, v26, v27 offset0:48 offset1:49
	ds_write2_b32 v63, v18, v19 offset0:50 offset1:51
	ds_write2_b32 v63, v10, v11 offset0:52 offset1:53
	ds_write2_b32 v63, v0, v1 offset0:54 offset1:55
	ds_write2_b32 v63, v12, v13 offset0:56 offset1:57
.LBB114_435:
	s_or_b64 exec, exec, s[0:1]
	v_cmp_lt_i32_e32 vcc, 25, v69
	s_waitcnt lgkmcnt(0)
	s_barrier
	s_and_saveexec_b64 s[0:1], vcc
	s_cbranch_execz .LBB114_437
; %bb.436:
	ds_read2_b32 v[70:71], v63 offset0:26 offset1:27
	ds_read2_b32 v[72:73], v63 offset0:28 offset1:29
	;; [unrolled: 1-line block ×3, first 2 shown]
	v_mul_f32_e32 v66, v68, v49
	ds_read2_b32 v[76:77], v63 offset0:32 offset1:33
	s_waitcnt lgkmcnt(3)
	v_pk_fma_f32 v[40:41], v[66:67], v[70:71], v[40:41] op_sel_hi:[0,1,1] neg_lo:[1,0,0] neg_hi:[1,0,0]
	s_waitcnt lgkmcnt(2)
	v_pk_fma_f32 v[30:31], v[66:67], v[72:73], v[30:31] op_sel_hi:[0,1,1] neg_lo:[1,0,0] neg_hi:[1,0,0]
	;; [unrolled: 2-line block ×3, first 2 shown]
	ds_read2_b32 v[70:71], v63 offset0:34 offset1:35
	ds_read2_b32 v[72:73], v63 offset0:36 offset1:37
	;; [unrolled: 1-line block ×3, first 2 shown]
	s_waitcnt lgkmcnt(3)
	v_pk_fma_f32 v[42:43], v[66:67], v[76:77], v[42:43] op_sel_hi:[0,1,1] neg_lo:[1,0,0] neg_hi:[1,0,0]
	ds_read2_b32 v[76:77], v63 offset0:40 offset1:41
	s_waitcnt lgkmcnt(3)
	v_pk_fma_f32 v[32:33], v[66:67], v[70:71], v[32:33] op_sel_hi:[0,1,1] neg_lo:[1,0,0] neg_hi:[1,0,0]
	s_waitcnt lgkmcnt(2)
	v_pk_fma_f32 v[22:23], v[66:67], v[72:73], v[22:23] op_sel_hi:[0,1,1] neg_lo:[1,0,0] neg_hi:[1,0,0]
	;; [unrolled: 2-line block ×3, first 2 shown]
	ds_read2_b32 v[70:71], v63 offset0:42 offset1:43
	ds_read2_b32 v[72:73], v63 offset0:44 offset1:45
	;; [unrolled: 1-line block ×3, first 2 shown]
	s_waitcnt lgkmcnt(3)
	v_pk_fma_f32 v[34:35], v[66:67], v[76:77], v[34:35] op_sel_hi:[0,1,1] neg_lo:[1,0,0] neg_hi:[1,0,0]
	ds_read2_b32 v[76:77], v63 offset0:48 offset1:49
	s_waitcnt lgkmcnt(3)
	v_pk_fma_f32 v[24:25], v[66:67], v[70:71], v[24:25] op_sel_hi:[0,1,1] neg_lo:[1,0,0] neg_hi:[1,0,0]
	s_waitcnt lgkmcnt(2)
	v_pk_fma_f32 v[16:17], v[66:67], v[72:73], v[16:17] op_sel_hi:[0,1,1] neg_lo:[1,0,0] neg_hi:[1,0,0]
	;; [unrolled: 2-line block ×3, first 2 shown]
	ds_read2_b32 v[70:71], v63 offset0:50 offset1:51
	ds_read2_b32 v[72:73], v63 offset0:52 offset1:53
	;; [unrolled: 1-line block ×4, first 2 shown]
	s_waitcnt lgkmcnt(4)
	v_pk_fma_f32 v[26:27], v[66:67], v[76:77], v[26:27] op_sel_hi:[0,1,1] neg_lo:[1,0,0] neg_hi:[1,0,0]
	s_waitcnt lgkmcnt(3)
	v_pk_fma_f32 v[18:19], v[66:67], v[70:71], v[18:19] op_sel_hi:[0,1,1] neg_lo:[1,0,0] neg_hi:[1,0,0]
	;; [unrolled: 2-line block ×5, first 2 shown]
	v_mov_b32_e32 v49, v66
.LBB114_437:
	s_or_b64 exec, exec, s[0:1]
	v_lshl_add_u32 v66, v69, 2, v63
	s_barrier
	ds_write_b32 v66, v40
	s_waitcnt lgkmcnt(0)
	s_barrier
	ds_read_b32 v68, v63 offset:104
	s_cmp_lt_i32 s22, 28
	v_mov_b32_e32 v66, 26
	s_cbranch_scc1 .LBB114_440
; %bb.438:
	v_add_u32_e32 v70, 0x6c, v63
	v_mov_b32_e32 v66, 26
	s_mov_b32 s0, 27
.LBB114_439:                            ; =>This Inner Loop Header: Depth=1
	ds_read_b32 v71, v70
	v_mov_b32_e32 v72, s0
	s_add_i32 s0, s0, 1
	v_add_u32_e32 v70, 4, v70
	s_cmp_lg_u32 s22, s0
	s_waitcnt lgkmcnt(0)
	v_cmp_lt_f32_e64 vcc, |v68|, |v71|
	s_nop 1
	v_cndmask_b32_e32 v68, v68, v71, vcc
	v_cndmask_b32_e32 v66, v66, v72, vcc
	s_cbranch_scc1 .LBB114_439
.LBB114_440:
	s_waitcnt lgkmcnt(0)
	v_cmp_eq_f32_e32 vcc, 0, v68
	s_and_saveexec_b64 s[0:1], vcc
	s_xor_b64 s[0:1], exec, s[0:1]
; %bb.441:
	v_cmp_ne_u32_e32 vcc, 0, v65
	s_nop 1
	v_cndmask_b32_e32 v65, 27, v65, vcc
; %bb.442:
	s_andn2_saveexec_b64 s[0:1], s[0:1]
	s_cbranch_execz .LBB114_444
; %bb.443:
	v_div_scale_f32 v70, s[2:3], v68, v68, 1.0
	v_rcp_f32_e32 v71, v70
	v_div_scale_f32 v72, vcc, 1.0, v68, 1.0
	v_fma_f32 v73, -v70, v71, 1.0
	v_fmac_f32_e32 v71, v73, v71
	v_mul_f32_e32 v73, v72, v71
	v_fma_f32 v74, -v70, v73, v72
	v_fmac_f32_e32 v73, v74, v71
	v_fma_f32 v70, -v70, v73, v72
	v_div_fmas_f32 v70, v70, v71, v73
	v_div_fixup_f32 v68, v70, v68, 1.0
.LBB114_444:
	s_or_b64 exec, exec, s[0:1]
	v_cmp_ne_u32_e32 vcc, v69, v66
	s_and_saveexec_b64 s[0:1], vcc
	s_xor_b64 s[0:1], exec, s[0:1]
	s_cbranch_execz .LBB114_450
; %bb.445:
	v_cmp_eq_u32_e32 vcc, 26, v69
	s_and_saveexec_b64 s[2:3], vcc
	s_cbranch_execz .LBB114_449
; %bb.446:
	v_cmp_ne_u32_e32 vcc, 26, v66
	s_xor_b64 s[12:13], s[20:21], -1
	s_and_b64 s[14:15], s[12:13], vcc
	s_and_saveexec_b64 s[12:13], s[14:15]
	s_cbranch_execz .LBB114_448
; %bb.447:
	v_ashrrev_i32_e32 v67, 31, v66
	v_lshl_add_u64 v[70:71], v[66:67], 2, v[4:5]
	global_load_dword v67, v[70:71], off
	global_load_dword v69, v[4:5], off offset:104
	s_waitcnt vmcnt(1)
	global_store_dword v[4:5], v67, off offset:104
	s_waitcnt vmcnt(1)
	global_store_dword v[70:71], v69, off
.LBB114_448:
	s_or_b64 exec, exec, s[12:13]
	v_mov_b32_e32 v67, v66
	v_mov_b32_e32 v69, v66
.LBB114_449:
	s_or_b64 exec, exec, s[2:3]
.LBB114_450:
	s_andn2_saveexec_b64 s[0:1], s[0:1]
	s_cbranch_execz .LBB114_452
; %bb.451:
	v_pk_mov_b32 v[70:71], v[40:41], v[30:31] op_sel:[1,0]
	ds_write2_b32 v63, v70, v71 offset0:27 offset1:28
	v_pk_mov_b32 v[70:71], v[30:31], v[20:21] op_sel:[1,0]
	ds_write2_b32 v63, v70, v71 offset0:29 offset1:30
	;; [unrolled: 2-line block ×14, first 2 shown]
	v_pk_mov_b32 v[70:71], v[0:1], v[12:13] op_sel:[1,0]
	v_mov_b32_e32 v69, 26
	ds_write2_b32 v63, v70, v71 offset0:55 offset1:56
	ds_write_b32 v63, v13 offset:228
.LBB114_452:
	s_or_b64 exec, exec, s[0:1]
	v_cmp_lt_i32_e32 vcc, 26, v69
	s_waitcnt lgkmcnt(0)
	s_barrier
	s_and_saveexec_b64 s[0:1], vcc
	s_cbranch_execz .LBB114_454
; %bb.453:
	ds_read_b32 v66, v63 offset:108
	ds_read2_b32 v[70:71], v63 offset0:28 offset1:29
	ds_read2_b32 v[72:73], v63 offset0:30 offset1:31
	v_mul_f32_e32 v40, v68, v40
	ds_read2_b32 v[74:75], v63 offset0:32 offset1:33
	s_waitcnt lgkmcnt(3)
	v_fma_f32 v41, -v40, v66, v41
	s_waitcnt lgkmcnt(2)
	v_pk_fma_f32 v[30:31], v[40:41], v[70:71], v[30:31] op_sel_hi:[0,1,1] neg_lo:[1,0,0] neg_hi:[1,0,0]
	s_waitcnt lgkmcnt(1)
	v_pk_fma_f32 v[20:21], v[40:41], v[72:73], v[20:21] op_sel_hi:[0,1,1] neg_lo:[1,0,0] neg_hi:[1,0,0]
	ds_read2_b32 v[70:71], v63 offset0:34 offset1:35
	ds_read2_b32 v[72:73], v63 offset0:36 offset1:37
	;; [unrolled: 1-line block ×3, first 2 shown]
	s_waitcnt lgkmcnt(3)
	v_pk_fma_f32 v[42:43], v[40:41], v[74:75], v[42:43] op_sel_hi:[0,1,1] neg_lo:[1,0,0] neg_hi:[1,0,0]
	ds_read2_b32 v[74:75], v63 offset0:40 offset1:41
	s_waitcnt lgkmcnt(3)
	v_pk_fma_f32 v[32:33], v[40:41], v[70:71], v[32:33] op_sel_hi:[0,1,1] neg_lo:[1,0,0] neg_hi:[1,0,0]
	s_waitcnt lgkmcnt(2)
	v_pk_fma_f32 v[22:23], v[40:41], v[72:73], v[22:23] op_sel_hi:[0,1,1] neg_lo:[1,0,0] neg_hi:[1,0,0]
	;; [unrolled: 2-line block ×3, first 2 shown]
	ds_read2_b32 v[70:71], v63 offset0:42 offset1:43
	ds_read2_b32 v[72:73], v63 offset0:44 offset1:45
	;; [unrolled: 1-line block ×3, first 2 shown]
	s_waitcnt lgkmcnt(3)
	v_pk_fma_f32 v[34:35], v[40:41], v[74:75], v[34:35] op_sel_hi:[0,1,1] neg_lo:[1,0,0] neg_hi:[1,0,0]
	ds_read2_b32 v[74:75], v63 offset0:48 offset1:49
	s_waitcnt lgkmcnt(3)
	v_pk_fma_f32 v[24:25], v[40:41], v[70:71], v[24:25] op_sel_hi:[0,1,1] neg_lo:[1,0,0] neg_hi:[1,0,0]
	s_waitcnt lgkmcnt(2)
	v_pk_fma_f32 v[16:17], v[40:41], v[72:73], v[16:17] op_sel_hi:[0,1,1] neg_lo:[1,0,0] neg_hi:[1,0,0]
	;; [unrolled: 2-line block ×3, first 2 shown]
	ds_read2_b32 v[70:71], v63 offset0:50 offset1:51
	ds_read2_b32 v[72:73], v63 offset0:52 offset1:53
	;; [unrolled: 1-line block ×4, first 2 shown]
	s_waitcnt lgkmcnt(4)
	v_pk_fma_f32 v[26:27], v[40:41], v[74:75], v[26:27] op_sel_hi:[0,1,1] neg_lo:[1,0,0] neg_hi:[1,0,0]
	s_waitcnt lgkmcnt(3)
	v_pk_fma_f32 v[18:19], v[40:41], v[70:71], v[18:19] op_sel_hi:[0,1,1] neg_lo:[1,0,0] neg_hi:[1,0,0]
	;; [unrolled: 2-line block ×5, first 2 shown]
.LBB114_454:
	s_or_b64 exec, exec, s[0:1]
	v_lshl_add_u32 v66, v69, 2, v63
	s_barrier
	ds_write_b32 v66, v41
	s_waitcnt lgkmcnt(0)
	s_barrier
	ds_read_b32 v68, v63 offset:108
	s_cmp_lt_i32 s22, 29
	v_mov_b32_e32 v66, 27
	s_cbranch_scc1 .LBB114_457
; %bb.455:
	v_add_u32_e32 v70, 0x70, v63
	v_mov_b32_e32 v66, 27
	s_mov_b32 s0, 28
.LBB114_456:                            ; =>This Inner Loop Header: Depth=1
	ds_read_b32 v71, v70
	v_mov_b32_e32 v72, s0
	s_add_i32 s0, s0, 1
	v_add_u32_e32 v70, 4, v70
	s_cmp_lg_u32 s22, s0
	s_waitcnt lgkmcnt(0)
	v_cmp_lt_f32_e64 vcc, |v68|, |v71|
	s_nop 1
	v_cndmask_b32_e32 v68, v68, v71, vcc
	v_cndmask_b32_e32 v66, v66, v72, vcc
	s_cbranch_scc1 .LBB114_456
.LBB114_457:
	s_waitcnt lgkmcnt(0)
	v_cmp_eq_f32_e32 vcc, 0, v68
	s_and_saveexec_b64 s[0:1], vcc
	s_xor_b64 s[0:1], exec, s[0:1]
; %bb.458:
	v_cmp_ne_u32_e32 vcc, 0, v65
	s_nop 1
	v_cndmask_b32_e32 v65, 28, v65, vcc
; %bb.459:
	s_andn2_saveexec_b64 s[0:1], s[0:1]
	s_cbranch_execz .LBB114_461
; %bb.460:
	v_div_scale_f32 v70, s[2:3], v68, v68, 1.0
	v_rcp_f32_e32 v71, v70
	v_div_scale_f32 v72, vcc, 1.0, v68, 1.0
	v_fma_f32 v73, -v70, v71, 1.0
	v_fmac_f32_e32 v71, v73, v71
	v_mul_f32_e32 v73, v72, v71
	v_fma_f32 v74, -v70, v73, v72
	v_fmac_f32_e32 v73, v74, v71
	v_fma_f32 v70, -v70, v73, v72
	v_div_fmas_f32 v70, v70, v71, v73
	v_div_fixup_f32 v68, v70, v68, 1.0
.LBB114_461:
	s_or_b64 exec, exec, s[0:1]
	v_cmp_ne_u32_e32 vcc, v69, v66
	s_and_saveexec_b64 s[0:1], vcc
	s_xor_b64 s[0:1], exec, s[0:1]
	s_cbranch_execz .LBB114_467
; %bb.462:
	v_cmp_eq_u32_e32 vcc, 27, v69
	s_and_saveexec_b64 s[2:3], vcc
	s_cbranch_execz .LBB114_466
; %bb.463:
	v_cmp_ne_u32_e32 vcc, 27, v66
	s_xor_b64 s[12:13], s[20:21], -1
	s_and_b64 s[14:15], s[12:13], vcc
	s_and_saveexec_b64 s[12:13], s[14:15]
	s_cbranch_execz .LBB114_465
; %bb.464:
	v_ashrrev_i32_e32 v67, 31, v66
	v_lshl_add_u64 v[70:71], v[66:67], 2, v[4:5]
	global_load_dword v67, v[70:71], off
	global_load_dword v69, v[4:5], off offset:108
	s_waitcnt vmcnt(1)
	global_store_dword v[4:5], v67, off offset:108
	s_waitcnt vmcnt(1)
	global_store_dword v[70:71], v69, off
.LBB114_465:
	s_or_b64 exec, exec, s[12:13]
	v_mov_b32_e32 v67, v66
	v_mov_b32_e32 v69, v66
.LBB114_466:
	s_or_b64 exec, exec, s[2:3]
.LBB114_467:
	s_andn2_saveexec_b64 s[0:1], s[0:1]
	s_cbranch_execz .LBB114_469
; %bb.468:
	v_mov_b32_e32 v69, 27
	ds_write2_b32 v63, v30, v31 offset0:28 offset1:29
	ds_write2_b32 v63, v20, v21 offset0:30 offset1:31
	;; [unrolled: 1-line block ×15, first 2 shown]
.LBB114_469:
	s_or_b64 exec, exec, s[0:1]
	v_cmp_lt_i32_e32 vcc, 27, v69
	s_waitcnt lgkmcnt(0)
	s_barrier
	s_and_saveexec_b64 s[0:1], vcc
	s_cbranch_execz .LBB114_471
; %bb.470:
	ds_read2_b32 v[70:71], v63 offset0:28 offset1:29
	ds_read2_b32 v[72:73], v63 offset0:30 offset1:31
	;; [unrolled: 1-line block ×3, first 2 shown]
	v_mul_f32_e32 v66, v68, v41
	ds_read2_b32 v[76:77], v63 offset0:34 offset1:35
	s_waitcnt lgkmcnt(3)
	v_pk_fma_f32 v[30:31], v[66:67], v[70:71], v[30:31] op_sel_hi:[0,1,1] neg_lo:[1,0,0] neg_hi:[1,0,0]
	s_waitcnt lgkmcnt(2)
	v_pk_fma_f32 v[20:21], v[66:67], v[72:73], v[20:21] op_sel_hi:[0,1,1] neg_lo:[1,0,0] neg_hi:[1,0,0]
	;; [unrolled: 2-line block ×3, first 2 shown]
	ds_read2_b32 v[70:71], v63 offset0:36 offset1:37
	ds_read2_b32 v[72:73], v63 offset0:38 offset1:39
	;; [unrolled: 1-line block ×3, first 2 shown]
	s_waitcnt lgkmcnt(3)
	v_pk_fma_f32 v[32:33], v[66:67], v[76:77], v[32:33] op_sel_hi:[0,1,1] neg_lo:[1,0,0] neg_hi:[1,0,0]
	ds_read2_b32 v[76:77], v63 offset0:42 offset1:43
	s_waitcnt lgkmcnt(3)
	v_pk_fma_f32 v[22:23], v[66:67], v[70:71], v[22:23] op_sel_hi:[0,1,1] neg_lo:[1,0,0] neg_hi:[1,0,0]
	s_waitcnt lgkmcnt(2)
	v_pk_fma_f32 v[14:15], v[66:67], v[72:73], v[14:15] op_sel_hi:[0,1,1] neg_lo:[1,0,0] neg_hi:[1,0,0]
	ds_read2_b32 v[70:71], v63 offset0:44 offset1:45
	ds_read2_b32 v[72:73], v63 offset0:46 offset1:47
	s_waitcnt lgkmcnt(3)
	v_pk_fma_f32 v[34:35], v[66:67], v[74:75], v[34:35] op_sel_hi:[0,1,1] neg_lo:[1,0,0] neg_hi:[1,0,0]
	s_waitcnt lgkmcnt(2)
	v_pk_fma_f32 v[24:25], v[66:67], v[76:77], v[24:25] op_sel_hi:[0,1,1] neg_lo:[1,0,0] neg_hi:[1,0,0]
	ds_read2_b32 v[74:75], v63 offset0:48 offset1:49
	;; [unrolled: 6-line block ×3, first 2 shown]
	ds_read2_b32 v[72:73], v63 offset0:54 offset1:55
	ds_read2_b32 v[78:79], v63 offset0:56 offset1:57
	s_waitcnt lgkmcnt(4)
	v_pk_fma_f32 v[26:27], v[66:67], v[74:75], v[26:27] op_sel_hi:[0,1,1] neg_lo:[1,0,0] neg_hi:[1,0,0]
	s_waitcnt lgkmcnt(3)
	v_pk_fma_f32 v[18:19], v[66:67], v[76:77], v[18:19] op_sel_hi:[0,1,1] neg_lo:[1,0,0] neg_hi:[1,0,0]
	s_waitcnt lgkmcnt(2)
	v_pk_fma_f32 v[10:11], v[66:67], v[70:71], v[10:11] op_sel_hi:[0,1,1] neg_lo:[1,0,0] neg_hi:[1,0,0]
	s_waitcnt lgkmcnt(1)
	v_pk_fma_f32 v[0:1], v[66:67], v[72:73], v[0:1] op_sel_hi:[0,1,1] neg_lo:[1,0,0] neg_hi:[1,0,0]
	s_waitcnt lgkmcnt(0)
	v_pk_fma_f32 v[12:13], v[66:67], v[78:79], v[12:13] op_sel_hi:[0,1,1] neg_lo:[1,0,0] neg_hi:[1,0,0]
	v_mov_b32_e32 v41, v66
.LBB114_471:
	s_or_b64 exec, exec, s[0:1]
	v_lshl_add_u32 v66, v69, 2, v63
	s_barrier
	ds_write_b32 v66, v30
	s_waitcnt lgkmcnt(0)
	s_barrier
	ds_read_b32 v68, v63 offset:112
	s_cmp_lt_i32 s22, 30
	v_mov_b32_e32 v66, 28
	s_cbranch_scc1 .LBB114_474
; %bb.472:
	v_add_u32_e32 v70, 0x74, v63
	v_mov_b32_e32 v66, 28
	s_mov_b32 s0, 29
.LBB114_473:                            ; =>This Inner Loop Header: Depth=1
	ds_read_b32 v71, v70
	v_mov_b32_e32 v72, s0
	s_add_i32 s0, s0, 1
	v_add_u32_e32 v70, 4, v70
	s_cmp_lg_u32 s22, s0
	s_waitcnt lgkmcnt(0)
	v_cmp_lt_f32_e64 vcc, |v68|, |v71|
	s_nop 1
	v_cndmask_b32_e32 v68, v68, v71, vcc
	v_cndmask_b32_e32 v66, v66, v72, vcc
	s_cbranch_scc1 .LBB114_473
.LBB114_474:
	s_waitcnt lgkmcnt(0)
	v_cmp_eq_f32_e32 vcc, 0, v68
	s_and_saveexec_b64 s[0:1], vcc
	s_xor_b64 s[0:1], exec, s[0:1]
; %bb.475:
	v_cmp_ne_u32_e32 vcc, 0, v65
	s_nop 1
	v_cndmask_b32_e32 v65, 29, v65, vcc
; %bb.476:
	s_andn2_saveexec_b64 s[0:1], s[0:1]
	s_cbranch_execz .LBB114_478
; %bb.477:
	v_div_scale_f32 v70, s[2:3], v68, v68, 1.0
	v_rcp_f32_e32 v71, v70
	v_div_scale_f32 v72, vcc, 1.0, v68, 1.0
	v_fma_f32 v73, -v70, v71, 1.0
	v_fmac_f32_e32 v71, v73, v71
	v_mul_f32_e32 v73, v72, v71
	v_fma_f32 v74, -v70, v73, v72
	v_fmac_f32_e32 v73, v74, v71
	v_fma_f32 v70, -v70, v73, v72
	v_div_fmas_f32 v70, v70, v71, v73
	v_div_fixup_f32 v68, v70, v68, 1.0
.LBB114_478:
	s_or_b64 exec, exec, s[0:1]
	v_cmp_ne_u32_e32 vcc, v69, v66
	s_and_saveexec_b64 s[0:1], vcc
	s_xor_b64 s[0:1], exec, s[0:1]
	s_cbranch_execz .LBB114_484
; %bb.479:
	v_cmp_eq_u32_e32 vcc, 28, v69
	s_and_saveexec_b64 s[2:3], vcc
	s_cbranch_execz .LBB114_483
; %bb.480:
	v_cmp_ne_u32_e32 vcc, 28, v66
	s_xor_b64 s[12:13], s[20:21], -1
	s_and_b64 s[14:15], s[12:13], vcc
	s_and_saveexec_b64 s[12:13], s[14:15]
	s_cbranch_execz .LBB114_482
; %bb.481:
	v_ashrrev_i32_e32 v67, 31, v66
	v_lshl_add_u64 v[70:71], v[66:67], 2, v[4:5]
	global_load_dword v67, v[70:71], off
	global_load_dword v69, v[4:5], off offset:112
	s_waitcnt vmcnt(1)
	global_store_dword v[4:5], v67, off offset:112
	s_waitcnt vmcnt(1)
	global_store_dword v[70:71], v69, off
.LBB114_482:
	s_or_b64 exec, exec, s[12:13]
	v_mov_b32_e32 v67, v66
	v_mov_b32_e32 v69, v66
.LBB114_483:
	s_or_b64 exec, exec, s[2:3]
.LBB114_484:
	s_andn2_saveexec_b64 s[0:1], s[0:1]
	s_cbranch_execz .LBB114_486
; %bb.485:
	v_pk_mov_b32 v[70:71], v[30:31], v[20:21] op_sel:[1,0]
	ds_write2_b32 v63, v70, v71 offset0:29 offset1:30
	v_pk_mov_b32 v[70:71], v[20:21], v[42:43] op_sel:[1,0]
	ds_write2_b32 v63, v70, v71 offset0:31 offset1:32
	;; [unrolled: 2-line block ×13, first 2 shown]
	v_pk_mov_b32 v[70:71], v[0:1], v[12:13] op_sel:[1,0]
	v_mov_b32_e32 v69, 28
	ds_write2_b32 v63, v70, v71 offset0:55 offset1:56
	ds_write_b32 v63, v13 offset:228
.LBB114_486:
	s_or_b64 exec, exec, s[0:1]
	v_cmp_lt_i32_e32 vcc, 28, v69
	s_waitcnt lgkmcnt(0)
	s_barrier
	s_and_saveexec_b64 s[0:1], vcc
	s_cbranch_execz .LBB114_488
; %bb.487:
	ds_read_b32 v66, v63 offset:116
	ds_read2_b32 v[70:71], v63 offset0:30 offset1:31
	ds_read2_b32 v[72:73], v63 offset0:32 offset1:33
	v_mul_f32_e32 v30, v68, v30
	ds_read2_b32 v[74:75], v63 offset0:34 offset1:35
	s_waitcnt lgkmcnt(3)
	v_fma_f32 v31, -v30, v66, v31
	s_waitcnt lgkmcnt(2)
	v_pk_fma_f32 v[20:21], v[30:31], v[70:71], v[20:21] op_sel_hi:[0,1,1] neg_lo:[1,0,0] neg_hi:[1,0,0]
	s_waitcnt lgkmcnt(1)
	v_pk_fma_f32 v[42:43], v[30:31], v[72:73], v[42:43] op_sel_hi:[0,1,1] neg_lo:[1,0,0] neg_hi:[1,0,0]
	ds_read2_b32 v[70:71], v63 offset0:36 offset1:37
	ds_read2_b32 v[72:73], v63 offset0:38 offset1:39
	ds_read2_b32 v[76:77], v63 offset0:40 offset1:41
	s_waitcnt lgkmcnt(3)
	v_pk_fma_f32 v[32:33], v[30:31], v[74:75], v[32:33] op_sel_hi:[0,1,1] neg_lo:[1,0,0] neg_hi:[1,0,0]
	ds_read2_b32 v[74:75], v63 offset0:42 offset1:43
	s_waitcnt lgkmcnt(3)
	v_pk_fma_f32 v[22:23], v[30:31], v[70:71], v[22:23] op_sel_hi:[0,1,1] neg_lo:[1,0,0] neg_hi:[1,0,0]
	s_waitcnt lgkmcnt(2)
	v_pk_fma_f32 v[14:15], v[30:31], v[72:73], v[14:15] op_sel_hi:[0,1,1] neg_lo:[1,0,0] neg_hi:[1,0,0]
	ds_read2_b32 v[70:71], v63 offset0:44 offset1:45
	ds_read2_b32 v[72:73], v63 offset0:46 offset1:47
	s_waitcnt lgkmcnt(3)
	v_pk_fma_f32 v[34:35], v[30:31], v[76:77], v[34:35] op_sel_hi:[0,1,1] neg_lo:[1,0,0] neg_hi:[1,0,0]
	s_waitcnt lgkmcnt(2)
	v_pk_fma_f32 v[24:25], v[30:31], v[74:75], v[24:25] op_sel_hi:[0,1,1] neg_lo:[1,0,0] neg_hi:[1,0,0]
	ds_read2_b32 v[74:75], v63 offset0:48 offset1:49
	;; [unrolled: 6-line block ×3, first 2 shown]
	ds_read2_b32 v[72:73], v63 offset0:54 offset1:55
	ds_read2_b32 v[78:79], v63 offset0:56 offset1:57
	s_waitcnt lgkmcnt(4)
	v_pk_fma_f32 v[26:27], v[30:31], v[74:75], v[26:27] op_sel_hi:[0,1,1] neg_lo:[1,0,0] neg_hi:[1,0,0]
	s_waitcnt lgkmcnt(3)
	v_pk_fma_f32 v[18:19], v[30:31], v[76:77], v[18:19] op_sel_hi:[0,1,1] neg_lo:[1,0,0] neg_hi:[1,0,0]
	;; [unrolled: 2-line block ×5, first 2 shown]
.LBB114_488:
	s_or_b64 exec, exec, s[0:1]
	v_lshl_add_u32 v66, v69, 2, v63
	s_barrier
	ds_write_b32 v66, v31
	s_waitcnt lgkmcnt(0)
	s_barrier
	ds_read_b32 v68, v63 offset:116
	s_cmp_lt_i32 s22, 31
	v_mov_b32_e32 v66, 29
	s_cbranch_scc1 .LBB114_491
; %bb.489:
	v_add_u32_e32 v70, 0x78, v63
	v_mov_b32_e32 v66, 29
	s_mov_b32 s0, 30
.LBB114_490:                            ; =>This Inner Loop Header: Depth=1
	ds_read_b32 v71, v70
	v_mov_b32_e32 v72, s0
	s_add_i32 s0, s0, 1
	v_add_u32_e32 v70, 4, v70
	s_cmp_lg_u32 s22, s0
	s_waitcnt lgkmcnt(0)
	v_cmp_lt_f32_e64 vcc, |v68|, |v71|
	s_nop 1
	v_cndmask_b32_e32 v68, v68, v71, vcc
	v_cndmask_b32_e32 v66, v66, v72, vcc
	s_cbranch_scc1 .LBB114_490
.LBB114_491:
	s_waitcnt lgkmcnt(0)
	v_cmp_eq_f32_e32 vcc, 0, v68
	s_and_saveexec_b64 s[0:1], vcc
	s_xor_b64 s[0:1], exec, s[0:1]
; %bb.492:
	v_cmp_ne_u32_e32 vcc, 0, v65
	s_nop 1
	v_cndmask_b32_e32 v65, 30, v65, vcc
; %bb.493:
	s_andn2_saveexec_b64 s[0:1], s[0:1]
	s_cbranch_execz .LBB114_495
; %bb.494:
	v_div_scale_f32 v70, s[2:3], v68, v68, 1.0
	v_rcp_f32_e32 v71, v70
	v_div_scale_f32 v72, vcc, 1.0, v68, 1.0
	v_fma_f32 v73, -v70, v71, 1.0
	v_fmac_f32_e32 v71, v73, v71
	v_mul_f32_e32 v73, v72, v71
	v_fma_f32 v74, -v70, v73, v72
	v_fmac_f32_e32 v73, v74, v71
	v_fma_f32 v70, -v70, v73, v72
	v_div_fmas_f32 v70, v70, v71, v73
	v_div_fixup_f32 v68, v70, v68, 1.0
.LBB114_495:
	s_or_b64 exec, exec, s[0:1]
	v_cmp_ne_u32_e32 vcc, v69, v66
	s_and_saveexec_b64 s[0:1], vcc
	s_xor_b64 s[0:1], exec, s[0:1]
	s_cbranch_execz .LBB114_501
; %bb.496:
	v_cmp_eq_u32_e32 vcc, 29, v69
	s_and_saveexec_b64 s[2:3], vcc
	s_cbranch_execz .LBB114_500
; %bb.497:
	v_cmp_ne_u32_e32 vcc, 29, v66
	s_xor_b64 s[12:13], s[20:21], -1
	s_and_b64 s[14:15], s[12:13], vcc
	s_and_saveexec_b64 s[12:13], s[14:15]
	s_cbranch_execz .LBB114_499
; %bb.498:
	v_ashrrev_i32_e32 v67, 31, v66
	v_lshl_add_u64 v[70:71], v[66:67], 2, v[4:5]
	global_load_dword v67, v[70:71], off
	global_load_dword v69, v[4:5], off offset:116
	s_waitcnt vmcnt(1)
	global_store_dword v[4:5], v67, off offset:116
	s_waitcnt vmcnt(1)
	global_store_dword v[70:71], v69, off
.LBB114_499:
	s_or_b64 exec, exec, s[12:13]
	v_mov_b32_e32 v67, v66
	v_mov_b32_e32 v69, v66
.LBB114_500:
	s_or_b64 exec, exec, s[2:3]
.LBB114_501:
	s_andn2_saveexec_b64 s[0:1], s[0:1]
	s_cbranch_execz .LBB114_503
; %bb.502:
	v_mov_b32_e32 v69, 29
	ds_write2_b32 v63, v20, v21 offset0:30 offset1:31
	ds_write2_b32 v63, v42, v43 offset0:32 offset1:33
	;; [unrolled: 1-line block ×14, first 2 shown]
.LBB114_503:
	s_or_b64 exec, exec, s[0:1]
	v_cmp_lt_i32_e32 vcc, 29, v69
	s_waitcnt lgkmcnt(0)
	s_barrier
	s_and_saveexec_b64 s[0:1], vcc
	s_cbranch_execz .LBB114_505
; %bb.504:
	ds_read2_b32 v[70:71], v63 offset0:30 offset1:31
	ds_read2_b32 v[72:73], v63 offset0:32 offset1:33
	ds_read2_b32 v[74:75], v63 offset0:34 offset1:35
	ds_read2_b32 v[76:77], v63 offset0:36 offset1:37
	v_mul_f32_e32 v66, v68, v31
	s_waitcnt lgkmcnt(3)
	v_pk_fma_f32 v[20:21], v[66:67], v[70:71], v[20:21] op_sel_hi:[0,1,1] neg_lo:[1,0,0] neg_hi:[1,0,0]
	s_waitcnt lgkmcnt(2)
	v_pk_fma_f32 v[42:43], v[66:67], v[72:73], v[42:43] op_sel_hi:[0,1,1] neg_lo:[1,0,0] neg_hi:[1,0,0]
	;; [unrolled: 2-line block ×3, first 2 shown]
	ds_read2_b32 v[70:71], v63 offset0:38 offset1:39
	ds_read2_b32 v[72:73], v63 offset0:40 offset1:41
	;; [unrolled: 1-line block ×3, first 2 shown]
	s_waitcnt lgkmcnt(3)
	v_pk_fma_f32 v[22:23], v[66:67], v[76:77], v[22:23] op_sel_hi:[0,1,1] neg_lo:[1,0,0] neg_hi:[1,0,0]
	ds_read2_b32 v[76:77], v63 offset0:44 offset1:45
	s_waitcnt lgkmcnt(3)
	v_pk_fma_f32 v[14:15], v[66:67], v[70:71], v[14:15] op_sel_hi:[0,1,1] neg_lo:[1,0,0] neg_hi:[1,0,0]
	ds_read2_b32 v[70:71], v63 offset0:46 offset1:47
	s_waitcnt lgkmcnt(3)
	v_pk_fma_f32 v[34:35], v[66:67], v[72:73], v[34:35] op_sel_hi:[0,1,1] neg_lo:[1,0,0] neg_hi:[1,0,0]
	s_waitcnt lgkmcnt(2)
	v_pk_fma_f32 v[24:25], v[66:67], v[74:75], v[24:25] op_sel_hi:[0,1,1] neg_lo:[1,0,0] neg_hi:[1,0,0]
	;; [unrolled: 2-line block ×3, first 2 shown]
	ds_read2_b32 v[72:73], v63 offset0:48 offset1:49
	ds_read2_b32 v[74:75], v63 offset0:50 offset1:51
	ds_read2_b32 v[76:77], v63 offset0:52 offset1:53
	s_waitcnt lgkmcnt(3)
	v_pk_fma_f32 v[8:9], v[66:67], v[70:71], v[8:9] op_sel_hi:[0,1,1] neg_lo:[1,0,0] neg_hi:[1,0,0]
	ds_read2_b32 v[70:71], v63 offset0:54 offset1:55
	ds_read2_b32 v[78:79], v63 offset0:56 offset1:57
	s_waitcnt lgkmcnt(4)
	v_pk_fma_f32 v[26:27], v[66:67], v[72:73], v[26:27] op_sel_hi:[0,1,1] neg_lo:[1,0,0] neg_hi:[1,0,0]
	s_waitcnt lgkmcnt(3)
	v_pk_fma_f32 v[18:19], v[66:67], v[74:75], v[18:19] op_sel_hi:[0,1,1] neg_lo:[1,0,0] neg_hi:[1,0,0]
	s_waitcnt lgkmcnt(2)
	v_pk_fma_f32 v[10:11], v[66:67], v[76:77], v[10:11] op_sel_hi:[0,1,1] neg_lo:[1,0,0] neg_hi:[1,0,0]
	s_waitcnt lgkmcnt(1)
	v_pk_fma_f32 v[0:1], v[66:67], v[70:71], v[0:1] op_sel_hi:[0,1,1] neg_lo:[1,0,0] neg_hi:[1,0,0]
	s_waitcnt lgkmcnt(0)
	v_pk_fma_f32 v[12:13], v[66:67], v[78:79], v[12:13] op_sel_hi:[0,1,1] neg_lo:[1,0,0] neg_hi:[1,0,0]
	v_mov_b32_e32 v31, v66
.LBB114_505:
	s_or_b64 exec, exec, s[0:1]
	v_lshl_add_u32 v66, v69, 2, v63
	s_barrier
	ds_write_b32 v66, v20
	s_waitcnt lgkmcnt(0)
	s_barrier
	ds_read_b32 v68, v63 offset:120
	s_cmp_lt_i32 s22, 32
	v_mov_b32_e32 v66, 30
	s_cbranch_scc1 .LBB114_508
; %bb.506:
	v_add_u32_e32 v70, 0x7c, v63
	v_mov_b32_e32 v66, 30
	s_mov_b32 s0, 31
.LBB114_507:                            ; =>This Inner Loop Header: Depth=1
	ds_read_b32 v71, v70
	v_mov_b32_e32 v72, s0
	s_add_i32 s0, s0, 1
	v_add_u32_e32 v70, 4, v70
	s_cmp_lg_u32 s22, s0
	s_waitcnt lgkmcnt(0)
	v_cmp_lt_f32_e64 vcc, |v68|, |v71|
	s_nop 1
	v_cndmask_b32_e32 v68, v68, v71, vcc
	v_cndmask_b32_e32 v66, v66, v72, vcc
	s_cbranch_scc1 .LBB114_507
.LBB114_508:
	s_waitcnt lgkmcnt(0)
	v_cmp_eq_f32_e32 vcc, 0, v68
	s_and_saveexec_b64 s[0:1], vcc
	s_xor_b64 s[0:1], exec, s[0:1]
; %bb.509:
	v_cmp_ne_u32_e32 vcc, 0, v65
	s_nop 1
	v_cndmask_b32_e32 v65, 31, v65, vcc
; %bb.510:
	s_andn2_saveexec_b64 s[0:1], s[0:1]
	s_cbranch_execz .LBB114_512
; %bb.511:
	v_div_scale_f32 v70, s[2:3], v68, v68, 1.0
	v_rcp_f32_e32 v71, v70
	v_div_scale_f32 v72, vcc, 1.0, v68, 1.0
	v_fma_f32 v73, -v70, v71, 1.0
	v_fmac_f32_e32 v71, v73, v71
	v_mul_f32_e32 v73, v72, v71
	v_fma_f32 v74, -v70, v73, v72
	v_fmac_f32_e32 v73, v74, v71
	v_fma_f32 v70, -v70, v73, v72
	v_div_fmas_f32 v70, v70, v71, v73
	v_div_fixup_f32 v68, v70, v68, 1.0
.LBB114_512:
	s_or_b64 exec, exec, s[0:1]
	v_cmp_ne_u32_e32 vcc, v69, v66
	s_and_saveexec_b64 s[0:1], vcc
	s_xor_b64 s[0:1], exec, s[0:1]
	s_cbranch_execz .LBB114_518
; %bb.513:
	v_cmp_eq_u32_e32 vcc, 30, v69
	s_and_saveexec_b64 s[2:3], vcc
	s_cbranch_execz .LBB114_517
; %bb.514:
	v_cmp_ne_u32_e32 vcc, 30, v66
	s_xor_b64 s[12:13], s[20:21], -1
	s_and_b64 s[14:15], s[12:13], vcc
	s_and_saveexec_b64 s[12:13], s[14:15]
	s_cbranch_execz .LBB114_516
; %bb.515:
	v_ashrrev_i32_e32 v67, 31, v66
	v_lshl_add_u64 v[70:71], v[66:67], 2, v[4:5]
	global_load_dword v67, v[70:71], off
	global_load_dword v69, v[4:5], off offset:120
	s_waitcnt vmcnt(1)
	global_store_dword v[4:5], v67, off offset:120
	s_waitcnt vmcnt(1)
	global_store_dword v[70:71], v69, off
.LBB114_516:
	s_or_b64 exec, exec, s[12:13]
	v_mov_b32_e32 v67, v66
	v_mov_b32_e32 v69, v66
.LBB114_517:
	s_or_b64 exec, exec, s[2:3]
.LBB114_518:
	s_andn2_saveexec_b64 s[0:1], s[0:1]
	s_cbranch_execz .LBB114_520
; %bb.519:
	v_pk_mov_b32 v[70:71], v[20:21], v[42:43] op_sel:[1,0]
	ds_write2_b32 v63, v70, v71 offset0:31 offset1:32
	v_pk_mov_b32 v[70:71], v[42:43], v[32:33] op_sel:[1,0]
	ds_write2_b32 v63, v70, v71 offset0:33 offset1:34
	;; [unrolled: 2-line block ×12, first 2 shown]
	v_pk_mov_b32 v[70:71], v[0:1], v[12:13] op_sel:[1,0]
	v_mov_b32_e32 v69, 30
	ds_write2_b32 v63, v70, v71 offset0:55 offset1:56
	ds_write_b32 v63, v13 offset:228
.LBB114_520:
	s_or_b64 exec, exec, s[0:1]
	v_cmp_lt_i32_e32 vcc, 30, v69
	s_waitcnt lgkmcnt(0)
	s_barrier
	s_and_saveexec_b64 s[0:1], vcc
	s_cbranch_execz .LBB114_522
; %bb.521:
	ds_read_b32 v66, v63 offset:124
	ds_read2_b32 v[70:71], v63 offset0:32 offset1:33
	ds_read2_b32 v[72:73], v63 offset0:34 offset1:35
	v_mul_f32_e32 v20, v68, v20
	ds_read2_b32 v[74:75], v63 offset0:36 offset1:37
	s_waitcnt lgkmcnt(3)
	v_fma_f32 v21, -v20, v66, v21
	s_waitcnt lgkmcnt(2)
	v_pk_fma_f32 v[42:43], v[20:21], v[70:71], v[42:43] op_sel_hi:[0,1,1] neg_lo:[1,0,0] neg_hi:[1,0,0]
	s_waitcnt lgkmcnt(1)
	v_pk_fma_f32 v[32:33], v[20:21], v[72:73], v[32:33] op_sel_hi:[0,1,1] neg_lo:[1,0,0] neg_hi:[1,0,0]
	ds_read2_b32 v[70:71], v63 offset0:38 offset1:39
	ds_read2_b32 v[72:73], v63 offset0:40 offset1:41
	;; [unrolled: 1-line block ×3, first 2 shown]
	s_waitcnt lgkmcnt(3)
	v_pk_fma_f32 v[22:23], v[20:21], v[74:75], v[22:23] op_sel_hi:[0,1,1] neg_lo:[1,0,0] neg_hi:[1,0,0]
	ds_read2_b32 v[74:75], v63 offset0:44 offset1:45
	s_waitcnt lgkmcnt(3)
	v_pk_fma_f32 v[14:15], v[20:21], v[70:71], v[14:15] op_sel_hi:[0,1,1] neg_lo:[1,0,0] neg_hi:[1,0,0]
	ds_read2_b32 v[70:71], v63 offset0:46 offset1:47
	s_waitcnt lgkmcnt(3)
	v_pk_fma_f32 v[34:35], v[20:21], v[72:73], v[34:35] op_sel_hi:[0,1,1] neg_lo:[1,0,0] neg_hi:[1,0,0]
	s_waitcnt lgkmcnt(2)
	v_pk_fma_f32 v[24:25], v[20:21], v[76:77], v[24:25] op_sel_hi:[0,1,1] neg_lo:[1,0,0] neg_hi:[1,0,0]
	;; [unrolled: 2-line block ×3, first 2 shown]
	ds_read2_b32 v[72:73], v63 offset0:48 offset1:49
	ds_read2_b32 v[74:75], v63 offset0:50 offset1:51
	;; [unrolled: 1-line block ×3, first 2 shown]
	s_waitcnt lgkmcnt(3)
	v_pk_fma_f32 v[8:9], v[20:21], v[70:71], v[8:9] op_sel_hi:[0,1,1] neg_lo:[1,0,0] neg_hi:[1,0,0]
	ds_read2_b32 v[70:71], v63 offset0:54 offset1:55
	ds_read2_b32 v[78:79], v63 offset0:56 offset1:57
	s_waitcnt lgkmcnt(4)
	v_pk_fma_f32 v[26:27], v[20:21], v[72:73], v[26:27] op_sel_hi:[0,1,1] neg_lo:[1,0,0] neg_hi:[1,0,0]
	s_waitcnt lgkmcnt(3)
	v_pk_fma_f32 v[18:19], v[20:21], v[74:75], v[18:19] op_sel_hi:[0,1,1] neg_lo:[1,0,0] neg_hi:[1,0,0]
	;; [unrolled: 2-line block ×5, first 2 shown]
.LBB114_522:
	s_or_b64 exec, exec, s[0:1]
	v_lshl_add_u32 v66, v69, 2, v63
	s_barrier
	ds_write_b32 v66, v21
	s_waitcnt lgkmcnt(0)
	s_barrier
	ds_read_b32 v68, v63 offset:124
	s_cmp_lt_i32 s22, 33
	v_mov_b32_e32 v66, 31
	s_cbranch_scc1 .LBB114_525
; %bb.523:
	v_add_u32_e32 v70, 0x80, v63
	v_mov_b32_e32 v66, 31
	s_mov_b32 s0, 32
.LBB114_524:                            ; =>This Inner Loop Header: Depth=1
	ds_read_b32 v71, v70
	v_mov_b32_e32 v72, s0
	s_add_i32 s0, s0, 1
	v_add_u32_e32 v70, 4, v70
	s_cmp_lg_u32 s22, s0
	s_waitcnt lgkmcnt(0)
	v_cmp_lt_f32_e64 vcc, |v68|, |v71|
	s_nop 1
	v_cndmask_b32_e32 v68, v68, v71, vcc
	v_cndmask_b32_e32 v66, v66, v72, vcc
	s_cbranch_scc1 .LBB114_524
.LBB114_525:
	s_waitcnt lgkmcnt(0)
	v_cmp_eq_f32_e32 vcc, 0, v68
	s_and_saveexec_b64 s[0:1], vcc
	s_xor_b64 s[0:1], exec, s[0:1]
; %bb.526:
	v_cmp_ne_u32_e32 vcc, 0, v65
	s_nop 1
	v_cndmask_b32_e32 v65, 32, v65, vcc
; %bb.527:
	s_andn2_saveexec_b64 s[0:1], s[0:1]
	s_cbranch_execz .LBB114_529
; %bb.528:
	v_div_scale_f32 v70, s[2:3], v68, v68, 1.0
	v_rcp_f32_e32 v71, v70
	v_div_scale_f32 v72, vcc, 1.0, v68, 1.0
	v_fma_f32 v73, -v70, v71, 1.0
	v_fmac_f32_e32 v71, v73, v71
	v_mul_f32_e32 v73, v72, v71
	v_fma_f32 v74, -v70, v73, v72
	v_fmac_f32_e32 v73, v74, v71
	v_fma_f32 v70, -v70, v73, v72
	v_div_fmas_f32 v70, v70, v71, v73
	v_div_fixup_f32 v68, v70, v68, 1.0
.LBB114_529:
	s_or_b64 exec, exec, s[0:1]
	v_cmp_ne_u32_e32 vcc, v69, v66
	s_and_saveexec_b64 s[0:1], vcc
	s_xor_b64 s[0:1], exec, s[0:1]
	s_cbranch_execz .LBB114_535
; %bb.530:
	v_cmp_eq_u32_e32 vcc, 31, v69
	s_and_saveexec_b64 s[2:3], vcc
	s_cbranch_execz .LBB114_534
; %bb.531:
	v_cmp_ne_u32_e32 vcc, 31, v66
	s_xor_b64 s[12:13], s[20:21], -1
	s_and_b64 s[14:15], s[12:13], vcc
	s_and_saveexec_b64 s[12:13], s[14:15]
	s_cbranch_execz .LBB114_533
; %bb.532:
	v_ashrrev_i32_e32 v67, 31, v66
	v_lshl_add_u64 v[70:71], v[66:67], 2, v[4:5]
	global_load_dword v67, v[70:71], off
	global_load_dword v69, v[4:5], off offset:124
	s_waitcnt vmcnt(1)
	global_store_dword v[4:5], v67, off offset:124
	s_waitcnt vmcnt(1)
	global_store_dword v[70:71], v69, off
.LBB114_533:
	s_or_b64 exec, exec, s[12:13]
	v_mov_b32_e32 v67, v66
	v_mov_b32_e32 v69, v66
.LBB114_534:
	s_or_b64 exec, exec, s[2:3]
.LBB114_535:
	s_andn2_saveexec_b64 s[0:1], s[0:1]
	s_cbranch_execz .LBB114_537
; %bb.536:
	v_mov_b32_e32 v69, 31
	ds_write2_b32 v63, v42, v43 offset0:32 offset1:33
	ds_write2_b32 v63, v32, v33 offset0:34 offset1:35
	;; [unrolled: 1-line block ×13, first 2 shown]
.LBB114_537:
	s_or_b64 exec, exec, s[0:1]
	v_cmp_lt_i32_e32 vcc, 31, v69
	s_waitcnt lgkmcnt(0)
	s_barrier
	s_and_saveexec_b64 s[0:1], vcc
	s_cbranch_execz .LBB114_539
; %bb.538:
	ds_read2_b32 v[70:71], v63 offset0:32 offset1:33
	ds_read2_b32 v[72:73], v63 offset0:34 offset1:35
	;; [unrolled: 1-line block ×3, first 2 shown]
	v_mul_f32_e32 v66, v68, v21
	ds_read2_b32 v[76:77], v63 offset0:38 offset1:39
	s_waitcnt lgkmcnt(3)
	v_pk_fma_f32 v[42:43], v[66:67], v[70:71], v[42:43] op_sel_hi:[0,1,1] neg_lo:[1,0,0] neg_hi:[1,0,0]
	s_waitcnt lgkmcnt(2)
	v_pk_fma_f32 v[32:33], v[66:67], v[72:73], v[32:33] op_sel_hi:[0,1,1] neg_lo:[1,0,0] neg_hi:[1,0,0]
	;; [unrolled: 2-line block ×3, first 2 shown]
	ds_read2_b32 v[70:71], v63 offset0:40 offset1:41
	ds_read2_b32 v[72:73], v63 offset0:42 offset1:43
	ds_read2_b32 v[74:75], v63 offset0:44 offset1:45
	ds_read2_b32 v[78:79], v63 offset0:46 offset1:47
	s_waitcnt lgkmcnt(4)
	v_pk_fma_f32 v[14:15], v[66:67], v[76:77], v[14:15] op_sel_hi:[0,1,1] neg_lo:[1,0,0] neg_hi:[1,0,0]
	s_waitcnt lgkmcnt(3)
	v_pk_fma_f32 v[34:35], v[66:67], v[70:71], v[34:35] op_sel_hi:[0,1,1] neg_lo:[1,0,0] neg_hi:[1,0,0]
	;; [unrolled: 2-line block ×5, first 2 shown]
	ds_read2_b32 v[70:71], v63 offset0:48 offset1:49
	ds_read2_b32 v[72:73], v63 offset0:50 offset1:51
	ds_read2_b32 v[74:75], v63 offset0:52 offset1:53
	ds_read2_b32 v[76:77], v63 offset0:54 offset1:55
	ds_read2_b32 v[78:79], v63 offset0:56 offset1:57
	s_waitcnt lgkmcnt(4)
	v_pk_fma_f32 v[26:27], v[66:67], v[70:71], v[26:27] op_sel_hi:[0,1,1] neg_lo:[1,0,0] neg_hi:[1,0,0]
	s_waitcnt lgkmcnt(3)
	v_pk_fma_f32 v[18:19], v[66:67], v[72:73], v[18:19] op_sel_hi:[0,1,1] neg_lo:[1,0,0] neg_hi:[1,0,0]
	;; [unrolled: 2-line block ×5, first 2 shown]
	v_mov_b32_e32 v21, v66
.LBB114_539:
	s_or_b64 exec, exec, s[0:1]
	v_lshl_add_u32 v66, v69, 2, v63
	s_barrier
	ds_write_b32 v66, v42
	s_waitcnt lgkmcnt(0)
	s_barrier
	ds_read_b32 v68, v63 offset:128
	s_cmp_lt_i32 s22, 34
	v_mov_b32_e32 v66, 32
	s_cbranch_scc1 .LBB114_542
; %bb.540:
	v_add_u32_e32 v70, 0x84, v63
	v_mov_b32_e32 v66, 32
	s_mov_b32 s0, 33
.LBB114_541:                            ; =>This Inner Loop Header: Depth=1
	ds_read_b32 v71, v70
	v_mov_b32_e32 v72, s0
	s_add_i32 s0, s0, 1
	v_add_u32_e32 v70, 4, v70
	s_cmp_lg_u32 s22, s0
	s_waitcnt lgkmcnt(0)
	v_cmp_lt_f32_e64 vcc, |v68|, |v71|
	s_nop 1
	v_cndmask_b32_e32 v68, v68, v71, vcc
	v_cndmask_b32_e32 v66, v66, v72, vcc
	s_cbranch_scc1 .LBB114_541
.LBB114_542:
	s_waitcnt lgkmcnt(0)
	v_cmp_eq_f32_e32 vcc, 0, v68
	s_and_saveexec_b64 s[0:1], vcc
	s_xor_b64 s[0:1], exec, s[0:1]
; %bb.543:
	v_cmp_ne_u32_e32 vcc, 0, v65
	s_nop 1
	v_cndmask_b32_e32 v65, 33, v65, vcc
; %bb.544:
	s_andn2_saveexec_b64 s[0:1], s[0:1]
	s_cbranch_execz .LBB114_546
; %bb.545:
	v_div_scale_f32 v70, s[2:3], v68, v68, 1.0
	v_rcp_f32_e32 v71, v70
	v_div_scale_f32 v72, vcc, 1.0, v68, 1.0
	v_fma_f32 v73, -v70, v71, 1.0
	v_fmac_f32_e32 v71, v73, v71
	v_mul_f32_e32 v73, v72, v71
	v_fma_f32 v74, -v70, v73, v72
	v_fmac_f32_e32 v73, v74, v71
	v_fma_f32 v70, -v70, v73, v72
	v_div_fmas_f32 v70, v70, v71, v73
	v_div_fixup_f32 v68, v70, v68, 1.0
.LBB114_546:
	s_or_b64 exec, exec, s[0:1]
	v_cmp_ne_u32_e32 vcc, v69, v66
	s_and_saveexec_b64 s[0:1], vcc
	s_xor_b64 s[0:1], exec, s[0:1]
	s_cbranch_execz .LBB114_552
; %bb.547:
	v_cmp_eq_u32_e32 vcc, 32, v69
	s_and_saveexec_b64 s[2:3], vcc
	s_cbranch_execz .LBB114_551
; %bb.548:
	v_cmp_ne_u32_e32 vcc, 32, v66
	s_xor_b64 s[12:13], s[20:21], -1
	s_and_b64 s[14:15], s[12:13], vcc
	s_and_saveexec_b64 s[12:13], s[14:15]
	s_cbranch_execz .LBB114_550
; %bb.549:
	v_ashrrev_i32_e32 v67, 31, v66
	v_lshl_add_u64 v[70:71], v[66:67], 2, v[4:5]
	global_load_dword v67, v[70:71], off
	global_load_dword v69, v[4:5], off offset:128
	s_waitcnt vmcnt(1)
	global_store_dword v[4:5], v67, off offset:128
	s_waitcnt vmcnt(1)
	global_store_dword v[70:71], v69, off
.LBB114_550:
	s_or_b64 exec, exec, s[12:13]
	v_mov_b32_e32 v67, v66
	v_mov_b32_e32 v69, v66
.LBB114_551:
	s_or_b64 exec, exec, s[2:3]
.LBB114_552:
	s_andn2_saveexec_b64 s[0:1], s[0:1]
	s_cbranch_execz .LBB114_554
; %bb.553:
	v_pk_mov_b32 v[70:71], v[42:43], v[32:33] op_sel:[1,0]
	ds_write2_b32 v63, v70, v71 offset0:33 offset1:34
	v_pk_mov_b32 v[70:71], v[32:33], v[22:23] op_sel:[1,0]
	ds_write2_b32 v63, v70, v71 offset0:35 offset1:36
	;; [unrolled: 2-line block ×11, first 2 shown]
	v_pk_mov_b32 v[70:71], v[0:1], v[12:13] op_sel:[1,0]
	v_mov_b32_e32 v69, 32
	ds_write2_b32 v63, v70, v71 offset0:55 offset1:56
	ds_write_b32 v63, v13 offset:228
.LBB114_554:
	s_or_b64 exec, exec, s[0:1]
	v_cmp_lt_i32_e32 vcc, 32, v69
	s_waitcnt lgkmcnt(0)
	s_barrier
	s_and_saveexec_b64 s[0:1], vcc
	s_cbranch_execz .LBB114_556
; %bb.555:
	ds_read_b32 v66, v63 offset:132
	ds_read2_b32 v[70:71], v63 offset0:34 offset1:35
	ds_read2_b32 v[72:73], v63 offset0:36 offset1:37
	v_mul_f32_e32 v42, v68, v42
	ds_read2_b32 v[74:75], v63 offset0:38 offset1:39
	s_waitcnt lgkmcnt(3)
	v_fma_f32 v43, -v42, v66, v43
	s_waitcnt lgkmcnt(2)
	v_pk_fma_f32 v[32:33], v[42:43], v[70:71], v[32:33] op_sel_hi:[0,1,1] neg_lo:[1,0,0] neg_hi:[1,0,0]
	s_waitcnt lgkmcnt(1)
	v_pk_fma_f32 v[22:23], v[42:43], v[72:73], v[22:23] op_sel_hi:[0,1,1] neg_lo:[1,0,0] neg_hi:[1,0,0]
	ds_read2_b32 v[70:71], v63 offset0:40 offset1:41
	ds_read2_b32 v[72:73], v63 offset0:42 offset1:43
	;; [unrolled: 1-line block ×4, first 2 shown]
	s_waitcnt lgkmcnt(4)
	v_pk_fma_f32 v[14:15], v[42:43], v[74:75], v[14:15] op_sel_hi:[0,1,1] neg_lo:[1,0,0] neg_hi:[1,0,0]
	s_waitcnt lgkmcnt(3)
	v_pk_fma_f32 v[34:35], v[42:43], v[70:71], v[34:35] op_sel_hi:[0,1,1] neg_lo:[1,0,0] neg_hi:[1,0,0]
	;; [unrolled: 2-line block ×5, first 2 shown]
	ds_read2_b32 v[70:71], v63 offset0:48 offset1:49
	ds_read2_b32 v[72:73], v63 offset0:50 offset1:51
	;; [unrolled: 1-line block ×5, first 2 shown]
	s_waitcnt lgkmcnt(4)
	v_pk_fma_f32 v[26:27], v[42:43], v[70:71], v[26:27] op_sel_hi:[0,1,1] neg_lo:[1,0,0] neg_hi:[1,0,0]
	s_waitcnt lgkmcnt(3)
	v_pk_fma_f32 v[18:19], v[42:43], v[72:73], v[18:19] op_sel_hi:[0,1,1] neg_lo:[1,0,0] neg_hi:[1,0,0]
	;; [unrolled: 2-line block ×5, first 2 shown]
.LBB114_556:
	s_or_b64 exec, exec, s[0:1]
	v_lshl_add_u32 v66, v69, 2, v63
	s_barrier
	ds_write_b32 v66, v43
	s_waitcnt lgkmcnt(0)
	s_barrier
	ds_read_b32 v68, v63 offset:132
	s_cmp_lt_i32 s22, 35
	v_mov_b32_e32 v66, 33
	s_cbranch_scc1 .LBB114_559
; %bb.557:
	v_add_u32_e32 v70, 0x88, v63
	v_mov_b32_e32 v66, 33
	s_mov_b32 s0, 34
.LBB114_558:                            ; =>This Inner Loop Header: Depth=1
	ds_read_b32 v71, v70
	v_mov_b32_e32 v72, s0
	s_add_i32 s0, s0, 1
	v_add_u32_e32 v70, 4, v70
	s_cmp_lg_u32 s22, s0
	s_waitcnt lgkmcnt(0)
	v_cmp_lt_f32_e64 vcc, |v68|, |v71|
	s_nop 1
	v_cndmask_b32_e32 v68, v68, v71, vcc
	v_cndmask_b32_e32 v66, v66, v72, vcc
	s_cbranch_scc1 .LBB114_558
.LBB114_559:
	s_waitcnt lgkmcnt(0)
	v_cmp_eq_f32_e32 vcc, 0, v68
	s_and_saveexec_b64 s[0:1], vcc
	s_xor_b64 s[0:1], exec, s[0:1]
; %bb.560:
	v_cmp_ne_u32_e32 vcc, 0, v65
	s_nop 1
	v_cndmask_b32_e32 v65, 34, v65, vcc
; %bb.561:
	s_andn2_saveexec_b64 s[0:1], s[0:1]
	s_cbranch_execz .LBB114_563
; %bb.562:
	v_div_scale_f32 v70, s[2:3], v68, v68, 1.0
	v_rcp_f32_e32 v71, v70
	v_div_scale_f32 v72, vcc, 1.0, v68, 1.0
	v_fma_f32 v73, -v70, v71, 1.0
	v_fmac_f32_e32 v71, v73, v71
	v_mul_f32_e32 v73, v72, v71
	v_fma_f32 v74, -v70, v73, v72
	v_fmac_f32_e32 v73, v74, v71
	v_fma_f32 v70, -v70, v73, v72
	v_div_fmas_f32 v70, v70, v71, v73
	v_div_fixup_f32 v68, v70, v68, 1.0
.LBB114_563:
	s_or_b64 exec, exec, s[0:1]
	v_cmp_ne_u32_e32 vcc, v69, v66
	s_and_saveexec_b64 s[0:1], vcc
	s_xor_b64 s[0:1], exec, s[0:1]
	s_cbranch_execz .LBB114_569
; %bb.564:
	v_cmp_eq_u32_e32 vcc, 33, v69
	s_and_saveexec_b64 s[2:3], vcc
	s_cbranch_execz .LBB114_568
; %bb.565:
	v_cmp_ne_u32_e32 vcc, 33, v66
	s_xor_b64 s[12:13], s[20:21], -1
	s_and_b64 s[14:15], s[12:13], vcc
	s_and_saveexec_b64 s[12:13], s[14:15]
	s_cbranch_execz .LBB114_567
; %bb.566:
	v_ashrrev_i32_e32 v67, 31, v66
	v_lshl_add_u64 v[70:71], v[66:67], 2, v[4:5]
	global_load_dword v67, v[70:71], off
	global_load_dword v69, v[4:5], off offset:132
	s_waitcnt vmcnt(1)
	global_store_dword v[4:5], v67, off offset:132
	s_waitcnt vmcnt(1)
	global_store_dword v[70:71], v69, off
.LBB114_567:
	s_or_b64 exec, exec, s[12:13]
	v_mov_b32_e32 v67, v66
	v_mov_b32_e32 v69, v66
.LBB114_568:
	s_or_b64 exec, exec, s[2:3]
.LBB114_569:
	s_andn2_saveexec_b64 s[0:1], s[0:1]
	s_cbranch_execz .LBB114_571
; %bb.570:
	v_mov_b32_e32 v69, 33
	ds_write2_b32 v63, v32, v33 offset0:34 offset1:35
	ds_write2_b32 v63, v22, v23 offset0:36 offset1:37
	;; [unrolled: 1-line block ×12, first 2 shown]
.LBB114_571:
	s_or_b64 exec, exec, s[0:1]
	v_cmp_lt_i32_e32 vcc, 33, v69
	s_waitcnt lgkmcnt(0)
	s_barrier
	s_and_saveexec_b64 s[0:1], vcc
	s_cbranch_execz .LBB114_573
; %bb.572:
	ds_read2_b32 v[70:71], v63 offset0:34 offset1:35
	ds_read2_b32 v[72:73], v63 offset0:36 offset1:37
	;; [unrolled: 1-line block ×3, first 2 shown]
	v_mul_f32_e32 v66, v68, v43
	ds_read2_b32 v[76:77], v63 offset0:40 offset1:41
	s_waitcnt lgkmcnt(3)
	v_pk_fma_f32 v[32:33], v[66:67], v[70:71], v[32:33] op_sel_hi:[0,1,1] neg_lo:[1,0,0] neg_hi:[1,0,0]
	s_waitcnt lgkmcnt(2)
	v_pk_fma_f32 v[22:23], v[66:67], v[72:73], v[22:23] op_sel_hi:[0,1,1] neg_lo:[1,0,0] neg_hi:[1,0,0]
	;; [unrolled: 2-line block ×3, first 2 shown]
	ds_read2_b32 v[70:71], v63 offset0:42 offset1:43
	ds_read2_b32 v[72:73], v63 offset0:44 offset1:45
	;; [unrolled: 1-line block ×3, first 2 shown]
	s_waitcnt lgkmcnt(3)
	v_pk_fma_f32 v[34:35], v[66:67], v[76:77], v[34:35] op_sel_hi:[0,1,1] neg_lo:[1,0,0] neg_hi:[1,0,0]
	ds_read2_b32 v[76:77], v63 offset0:48 offset1:49
	s_waitcnt lgkmcnt(3)
	v_pk_fma_f32 v[24:25], v[66:67], v[70:71], v[24:25] op_sel_hi:[0,1,1] neg_lo:[1,0,0] neg_hi:[1,0,0]
	s_waitcnt lgkmcnt(2)
	v_pk_fma_f32 v[16:17], v[66:67], v[72:73], v[16:17] op_sel_hi:[0,1,1] neg_lo:[1,0,0] neg_hi:[1,0,0]
	;; [unrolled: 2-line block ×3, first 2 shown]
	ds_read2_b32 v[70:71], v63 offset0:50 offset1:51
	ds_read2_b32 v[72:73], v63 offset0:52 offset1:53
	;; [unrolled: 1-line block ×4, first 2 shown]
	s_waitcnt lgkmcnt(4)
	v_pk_fma_f32 v[26:27], v[66:67], v[76:77], v[26:27] op_sel_hi:[0,1,1] neg_lo:[1,0,0] neg_hi:[1,0,0]
	s_waitcnt lgkmcnt(3)
	v_pk_fma_f32 v[18:19], v[66:67], v[70:71], v[18:19] op_sel_hi:[0,1,1] neg_lo:[1,0,0] neg_hi:[1,0,0]
	s_waitcnt lgkmcnt(2)
	v_pk_fma_f32 v[10:11], v[66:67], v[72:73], v[10:11] op_sel_hi:[0,1,1] neg_lo:[1,0,0] neg_hi:[1,0,0]
	s_waitcnt lgkmcnt(1)
	v_pk_fma_f32 v[0:1], v[66:67], v[74:75], v[0:1] op_sel_hi:[0,1,1] neg_lo:[1,0,0] neg_hi:[1,0,0]
	s_waitcnt lgkmcnt(0)
	v_pk_fma_f32 v[12:13], v[66:67], v[78:79], v[12:13] op_sel_hi:[0,1,1] neg_lo:[1,0,0] neg_hi:[1,0,0]
	v_mov_b32_e32 v43, v66
.LBB114_573:
	s_or_b64 exec, exec, s[0:1]
	v_lshl_add_u32 v66, v69, 2, v63
	s_barrier
	ds_write_b32 v66, v32
	s_waitcnt lgkmcnt(0)
	s_barrier
	ds_read_b32 v68, v63 offset:136
	s_cmp_lt_i32 s22, 36
	v_mov_b32_e32 v66, 34
	s_cbranch_scc1 .LBB114_576
; %bb.574:
	v_add_u32_e32 v70, 0x8c, v63
	v_mov_b32_e32 v66, 34
	s_mov_b32 s0, 35
.LBB114_575:                            ; =>This Inner Loop Header: Depth=1
	ds_read_b32 v71, v70
	v_mov_b32_e32 v72, s0
	s_add_i32 s0, s0, 1
	v_add_u32_e32 v70, 4, v70
	s_cmp_lg_u32 s22, s0
	s_waitcnt lgkmcnt(0)
	v_cmp_lt_f32_e64 vcc, |v68|, |v71|
	s_nop 1
	v_cndmask_b32_e32 v68, v68, v71, vcc
	v_cndmask_b32_e32 v66, v66, v72, vcc
	s_cbranch_scc1 .LBB114_575
.LBB114_576:
	s_waitcnt lgkmcnt(0)
	v_cmp_eq_f32_e32 vcc, 0, v68
	s_and_saveexec_b64 s[0:1], vcc
	s_xor_b64 s[0:1], exec, s[0:1]
; %bb.577:
	v_cmp_ne_u32_e32 vcc, 0, v65
	s_nop 1
	v_cndmask_b32_e32 v65, 35, v65, vcc
; %bb.578:
	s_andn2_saveexec_b64 s[0:1], s[0:1]
	s_cbranch_execz .LBB114_580
; %bb.579:
	v_div_scale_f32 v70, s[2:3], v68, v68, 1.0
	v_rcp_f32_e32 v71, v70
	v_div_scale_f32 v72, vcc, 1.0, v68, 1.0
	v_fma_f32 v73, -v70, v71, 1.0
	v_fmac_f32_e32 v71, v73, v71
	v_mul_f32_e32 v73, v72, v71
	v_fma_f32 v74, -v70, v73, v72
	v_fmac_f32_e32 v73, v74, v71
	v_fma_f32 v70, -v70, v73, v72
	v_div_fmas_f32 v70, v70, v71, v73
	v_div_fixup_f32 v68, v70, v68, 1.0
.LBB114_580:
	s_or_b64 exec, exec, s[0:1]
	v_cmp_ne_u32_e32 vcc, v69, v66
	s_and_saveexec_b64 s[0:1], vcc
	s_xor_b64 s[0:1], exec, s[0:1]
	s_cbranch_execz .LBB114_586
; %bb.581:
	v_cmp_eq_u32_e32 vcc, 34, v69
	s_and_saveexec_b64 s[2:3], vcc
	s_cbranch_execz .LBB114_585
; %bb.582:
	v_cmp_ne_u32_e32 vcc, 34, v66
	s_xor_b64 s[12:13], s[20:21], -1
	s_and_b64 s[14:15], s[12:13], vcc
	s_and_saveexec_b64 s[12:13], s[14:15]
	s_cbranch_execz .LBB114_584
; %bb.583:
	v_ashrrev_i32_e32 v67, 31, v66
	v_lshl_add_u64 v[70:71], v[66:67], 2, v[4:5]
	global_load_dword v67, v[70:71], off
	global_load_dword v69, v[4:5], off offset:136
	s_waitcnt vmcnt(1)
	global_store_dword v[4:5], v67, off offset:136
	s_waitcnt vmcnt(1)
	global_store_dword v[70:71], v69, off
.LBB114_584:
	s_or_b64 exec, exec, s[12:13]
	v_mov_b32_e32 v67, v66
	v_mov_b32_e32 v69, v66
.LBB114_585:
	s_or_b64 exec, exec, s[2:3]
.LBB114_586:
	s_andn2_saveexec_b64 s[0:1], s[0:1]
	s_cbranch_execz .LBB114_588
; %bb.587:
	v_pk_mov_b32 v[70:71], v[32:33], v[22:23] op_sel:[1,0]
	ds_write2_b32 v63, v70, v71 offset0:35 offset1:36
	v_pk_mov_b32 v[70:71], v[22:23], v[14:15] op_sel:[1,0]
	ds_write2_b32 v63, v70, v71 offset0:37 offset1:38
	;; [unrolled: 2-line block ×10, first 2 shown]
	v_pk_mov_b32 v[70:71], v[0:1], v[12:13] op_sel:[1,0]
	v_mov_b32_e32 v69, 34
	ds_write2_b32 v63, v70, v71 offset0:55 offset1:56
	ds_write_b32 v63, v13 offset:228
.LBB114_588:
	s_or_b64 exec, exec, s[0:1]
	v_cmp_lt_i32_e32 vcc, 34, v69
	s_waitcnt lgkmcnt(0)
	s_barrier
	s_and_saveexec_b64 s[0:1], vcc
	s_cbranch_execz .LBB114_590
; %bb.589:
	ds_read_b32 v66, v63 offset:140
	ds_read2_b32 v[70:71], v63 offset0:36 offset1:37
	ds_read2_b32 v[72:73], v63 offset0:38 offset1:39
	v_mul_f32_e32 v32, v68, v32
	ds_read2_b32 v[74:75], v63 offset0:40 offset1:41
	s_waitcnt lgkmcnt(3)
	v_fma_f32 v33, -v32, v66, v33
	s_waitcnt lgkmcnt(2)
	v_pk_fma_f32 v[22:23], v[32:33], v[70:71], v[22:23] op_sel_hi:[0,1,1] neg_lo:[1,0,0] neg_hi:[1,0,0]
	s_waitcnt lgkmcnt(1)
	v_pk_fma_f32 v[14:15], v[32:33], v[72:73], v[14:15] op_sel_hi:[0,1,1] neg_lo:[1,0,0] neg_hi:[1,0,0]
	ds_read2_b32 v[70:71], v63 offset0:42 offset1:43
	ds_read2_b32 v[72:73], v63 offset0:44 offset1:45
	;; [unrolled: 1-line block ×3, first 2 shown]
	s_waitcnt lgkmcnt(3)
	v_pk_fma_f32 v[34:35], v[32:33], v[74:75], v[34:35] op_sel_hi:[0,1,1] neg_lo:[1,0,0] neg_hi:[1,0,0]
	ds_read2_b32 v[74:75], v63 offset0:48 offset1:49
	s_waitcnt lgkmcnt(3)
	v_pk_fma_f32 v[24:25], v[32:33], v[70:71], v[24:25] op_sel_hi:[0,1,1] neg_lo:[1,0,0] neg_hi:[1,0,0]
	s_waitcnt lgkmcnt(2)
	v_pk_fma_f32 v[16:17], v[32:33], v[72:73], v[16:17] op_sel_hi:[0,1,1] neg_lo:[1,0,0] neg_hi:[1,0,0]
	;; [unrolled: 2-line block ×3, first 2 shown]
	ds_read2_b32 v[70:71], v63 offset0:50 offset1:51
	ds_read2_b32 v[72:73], v63 offset0:52 offset1:53
	;; [unrolled: 1-line block ×4, first 2 shown]
	s_waitcnt lgkmcnt(4)
	v_pk_fma_f32 v[26:27], v[32:33], v[74:75], v[26:27] op_sel_hi:[0,1,1] neg_lo:[1,0,0] neg_hi:[1,0,0]
	s_waitcnt lgkmcnt(3)
	v_pk_fma_f32 v[18:19], v[32:33], v[70:71], v[18:19] op_sel_hi:[0,1,1] neg_lo:[1,0,0] neg_hi:[1,0,0]
	;; [unrolled: 2-line block ×5, first 2 shown]
.LBB114_590:
	s_or_b64 exec, exec, s[0:1]
	v_lshl_add_u32 v66, v69, 2, v63
	s_barrier
	ds_write_b32 v66, v33
	s_waitcnt lgkmcnt(0)
	s_barrier
	ds_read_b32 v68, v63 offset:140
	s_cmp_lt_i32 s22, 37
	v_mov_b32_e32 v66, 35
	s_cbranch_scc1 .LBB114_593
; %bb.591:
	v_add_u32_e32 v70, 0x90, v63
	v_mov_b32_e32 v66, 35
	s_mov_b32 s0, 36
.LBB114_592:                            ; =>This Inner Loop Header: Depth=1
	ds_read_b32 v71, v70
	v_mov_b32_e32 v72, s0
	s_add_i32 s0, s0, 1
	v_add_u32_e32 v70, 4, v70
	s_cmp_lg_u32 s22, s0
	s_waitcnt lgkmcnt(0)
	v_cmp_lt_f32_e64 vcc, |v68|, |v71|
	s_nop 1
	v_cndmask_b32_e32 v68, v68, v71, vcc
	v_cndmask_b32_e32 v66, v66, v72, vcc
	s_cbranch_scc1 .LBB114_592
.LBB114_593:
	s_waitcnt lgkmcnt(0)
	v_cmp_eq_f32_e32 vcc, 0, v68
	s_and_saveexec_b64 s[0:1], vcc
	s_xor_b64 s[0:1], exec, s[0:1]
; %bb.594:
	v_cmp_ne_u32_e32 vcc, 0, v65
	s_nop 1
	v_cndmask_b32_e32 v65, 36, v65, vcc
; %bb.595:
	s_andn2_saveexec_b64 s[0:1], s[0:1]
	s_cbranch_execz .LBB114_597
; %bb.596:
	v_div_scale_f32 v70, s[2:3], v68, v68, 1.0
	v_rcp_f32_e32 v71, v70
	v_div_scale_f32 v72, vcc, 1.0, v68, 1.0
	v_fma_f32 v73, -v70, v71, 1.0
	v_fmac_f32_e32 v71, v73, v71
	v_mul_f32_e32 v73, v72, v71
	v_fma_f32 v74, -v70, v73, v72
	v_fmac_f32_e32 v73, v74, v71
	v_fma_f32 v70, -v70, v73, v72
	v_div_fmas_f32 v70, v70, v71, v73
	v_div_fixup_f32 v68, v70, v68, 1.0
.LBB114_597:
	s_or_b64 exec, exec, s[0:1]
	v_cmp_ne_u32_e32 vcc, v69, v66
	s_and_saveexec_b64 s[0:1], vcc
	s_xor_b64 s[0:1], exec, s[0:1]
	s_cbranch_execz .LBB114_603
; %bb.598:
	v_cmp_eq_u32_e32 vcc, 35, v69
	s_and_saveexec_b64 s[2:3], vcc
	s_cbranch_execz .LBB114_602
; %bb.599:
	v_cmp_ne_u32_e32 vcc, 35, v66
	s_xor_b64 s[12:13], s[20:21], -1
	s_and_b64 s[14:15], s[12:13], vcc
	s_and_saveexec_b64 s[12:13], s[14:15]
	s_cbranch_execz .LBB114_601
; %bb.600:
	v_ashrrev_i32_e32 v67, 31, v66
	v_lshl_add_u64 v[70:71], v[66:67], 2, v[4:5]
	global_load_dword v67, v[70:71], off
	global_load_dword v69, v[4:5], off offset:140
	s_waitcnt vmcnt(1)
	global_store_dword v[4:5], v67, off offset:140
	s_waitcnt vmcnt(1)
	global_store_dword v[70:71], v69, off
.LBB114_601:
	s_or_b64 exec, exec, s[12:13]
	v_mov_b32_e32 v67, v66
	v_mov_b32_e32 v69, v66
.LBB114_602:
	s_or_b64 exec, exec, s[2:3]
.LBB114_603:
	s_andn2_saveexec_b64 s[0:1], s[0:1]
	s_cbranch_execz .LBB114_605
; %bb.604:
	v_mov_b32_e32 v69, 35
	ds_write2_b32 v63, v22, v23 offset0:36 offset1:37
	ds_write2_b32 v63, v14, v15 offset0:38 offset1:39
	;; [unrolled: 1-line block ×11, first 2 shown]
.LBB114_605:
	s_or_b64 exec, exec, s[0:1]
	v_cmp_lt_i32_e32 vcc, 35, v69
	s_waitcnt lgkmcnt(0)
	s_barrier
	s_and_saveexec_b64 s[0:1], vcc
	s_cbranch_execz .LBB114_607
; %bb.606:
	ds_read2_b32 v[70:71], v63 offset0:36 offset1:37
	ds_read2_b32 v[72:73], v63 offset0:38 offset1:39
	;; [unrolled: 1-line block ×3, first 2 shown]
	v_mul_f32_e32 v66, v68, v33
	ds_read2_b32 v[76:77], v63 offset0:42 offset1:43
	s_waitcnt lgkmcnt(3)
	v_pk_fma_f32 v[22:23], v[66:67], v[70:71], v[22:23] op_sel_hi:[0,1,1] neg_lo:[1,0,0] neg_hi:[1,0,0]
	s_waitcnt lgkmcnt(2)
	v_pk_fma_f32 v[14:15], v[66:67], v[72:73], v[14:15] op_sel_hi:[0,1,1] neg_lo:[1,0,0] neg_hi:[1,0,0]
	ds_read2_b32 v[70:71], v63 offset0:44 offset1:45
	ds_read2_b32 v[72:73], v63 offset0:46 offset1:47
	s_waitcnt lgkmcnt(3)
	v_pk_fma_f32 v[34:35], v[66:67], v[74:75], v[34:35] op_sel_hi:[0,1,1] neg_lo:[1,0,0] neg_hi:[1,0,0]
	s_waitcnt lgkmcnt(2)
	v_pk_fma_f32 v[24:25], v[66:67], v[76:77], v[24:25] op_sel_hi:[0,1,1] neg_lo:[1,0,0] neg_hi:[1,0,0]
	ds_read2_b32 v[74:75], v63 offset0:48 offset1:49
	;; [unrolled: 6-line block ×3, first 2 shown]
	ds_read2_b32 v[72:73], v63 offset0:54 offset1:55
	ds_read2_b32 v[78:79], v63 offset0:56 offset1:57
	s_waitcnt lgkmcnt(4)
	v_pk_fma_f32 v[26:27], v[66:67], v[74:75], v[26:27] op_sel_hi:[0,1,1] neg_lo:[1,0,0] neg_hi:[1,0,0]
	s_waitcnt lgkmcnt(3)
	v_pk_fma_f32 v[18:19], v[66:67], v[76:77], v[18:19] op_sel_hi:[0,1,1] neg_lo:[1,0,0] neg_hi:[1,0,0]
	;; [unrolled: 2-line block ×5, first 2 shown]
	v_mov_b32_e32 v33, v66
.LBB114_607:
	s_or_b64 exec, exec, s[0:1]
	v_lshl_add_u32 v66, v69, 2, v63
	s_barrier
	ds_write_b32 v66, v22
	s_waitcnt lgkmcnt(0)
	s_barrier
	ds_read_b32 v68, v63 offset:144
	s_cmp_lt_i32 s22, 38
	v_mov_b32_e32 v66, 36
	s_cbranch_scc1 .LBB114_610
; %bb.608:
	v_add_u32_e32 v70, 0x94, v63
	v_mov_b32_e32 v66, 36
	s_mov_b32 s0, 37
.LBB114_609:                            ; =>This Inner Loop Header: Depth=1
	ds_read_b32 v71, v70
	v_mov_b32_e32 v72, s0
	s_add_i32 s0, s0, 1
	v_add_u32_e32 v70, 4, v70
	s_cmp_lg_u32 s22, s0
	s_waitcnt lgkmcnt(0)
	v_cmp_lt_f32_e64 vcc, |v68|, |v71|
	s_nop 1
	v_cndmask_b32_e32 v68, v68, v71, vcc
	v_cndmask_b32_e32 v66, v66, v72, vcc
	s_cbranch_scc1 .LBB114_609
.LBB114_610:
	s_waitcnt lgkmcnt(0)
	v_cmp_eq_f32_e32 vcc, 0, v68
	s_and_saveexec_b64 s[0:1], vcc
	s_xor_b64 s[0:1], exec, s[0:1]
; %bb.611:
	v_cmp_ne_u32_e32 vcc, 0, v65
	s_nop 1
	v_cndmask_b32_e32 v65, 37, v65, vcc
; %bb.612:
	s_andn2_saveexec_b64 s[0:1], s[0:1]
	s_cbranch_execz .LBB114_614
; %bb.613:
	v_div_scale_f32 v70, s[2:3], v68, v68, 1.0
	v_rcp_f32_e32 v71, v70
	v_div_scale_f32 v72, vcc, 1.0, v68, 1.0
	v_fma_f32 v73, -v70, v71, 1.0
	v_fmac_f32_e32 v71, v73, v71
	v_mul_f32_e32 v73, v72, v71
	v_fma_f32 v74, -v70, v73, v72
	v_fmac_f32_e32 v73, v74, v71
	v_fma_f32 v70, -v70, v73, v72
	v_div_fmas_f32 v70, v70, v71, v73
	v_div_fixup_f32 v68, v70, v68, 1.0
.LBB114_614:
	s_or_b64 exec, exec, s[0:1]
	v_cmp_ne_u32_e32 vcc, v69, v66
	s_and_saveexec_b64 s[0:1], vcc
	s_xor_b64 s[0:1], exec, s[0:1]
	s_cbranch_execz .LBB114_620
; %bb.615:
	v_cmp_eq_u32_e32 vcc, 36, v69
	s_and_saveexec_b64 s[2:3], vcc
	s_cbranch_execz .LBB114_619
; %bb.616:
	v_cmp_ne_u32_e32 vcc, 36, v66
	s_xor_b64 s[12:13], s[20:21], -1
	s_and_b64 s[14:15], s[12:13], vcc
	s_and_saveexec_b64 s[12:13], s[14:15]
	s_cbranch_execz .LBB114_618
; %bb.617:
	v_ashrrev_i32_e32 v67, 31, v66
	v_lshl_add_u64 v[70:71], v[66:67], 2, v[4:5]
	global_load_dword v67, v[70:71], off
	global_load_dword v69, v[4:5], off offset:144
	s_waitcnt vmcnt(1)
	global_store_dword v[4:5], v67, off offset:144
	s_waitcnt vmcnt(1)
	global_store_dword v[70:71], v69, off
.LBB114_618:
	s_or_b64 exec, exec, s[12:13]
	v_mov_b32_e32 v67, v66
	v_mov_b32_e32 v69, v66
.LBB114_619:
	s_or_b64 exec, exec, s[2:3]
.LBB114_620:
	s_andn2_saveexec_b64 s[0:1], s[0:1]
	s_cbranch_execz .LBB114_622
; %bb.621:
	v_pk_mov_b32 v[70:71], v[22:23], v[14:15] op_sel:[1,0]
	ds_write2_b32 v63, v70, v71 offset0:37 offset1:38
	v_pk_mov_b32 v[70:71], v[14:15], v[34:35] op_sel:[1,0]
	ds_write2_b32 v63, v70, v71 offset0:39 offset1:40
	;; [unrolled: 2-line block ×9, first 2 shown]
	v_pk_mov_b32 v[70:71], v[0:1], v[12:13] op_sel:[1,0]
	v_mov_b32_e32 v69, 36
	ds_write2_b32 v63, v70, v71 offset0:55 offset1:56
	ds_write_b32 v63, v13 offset:228
.LBB114_622:
	s_or_b64 exec, exec, s[0:1]
	v_cmp_lt_i32_e32 vcc, 36, v69
	s_waitcnt lgkmcnt(0)
	s_barrier
	s_and_saveexec_b64 s[0:1], vcc
	s_cbranch_execz .LBB114_624
; %bb.623:
	ds_read_b32 v66, v63 offset:148
	ds_read2_b32 v[70:71], v63 offset0:38 offset1:39
	ds_read2_b32 v[72:73], v63 offset0:40 offset1:41
	v_mul_f32_e32 v22, v68, v22
	ds_read2_b32 v[74:75], v63 offset0:42 offset1:43
	s_waitcnt lgkmcnt(3)
	v_fma_f32 v23, -v22, v66, v23
	s_waitcnt lgkmcnt(2)
	v_pk_fma_f32 v[14:15], v[22:23], v[70:71], v[14:15] op_sel_hi:[0,1,1] neg_lo:[1,0,0] neg_hi:[1,0,0]
	s_waitcnt lgkmcnt(1)
	v_pk_fma_f32 v[34:35], v[22:23], v[72:73], v[34:35] op_sel_hi:[0,1,1] neg_lo:[1,0,0] neg_hi:[1,0,0]
	ds_read2_b32 v[70:71], v63 offset0:44 offset1:45
	ds_read2_b32 v[72:73], v63 offset0:46 offset1:47
	s_waitcnt lgkmcnt(2)
	v_pk_fma_f32 v[24:25], v[22:23], v[74:75], v[24:25] op_sel_hi:[0,1,1] neg_lo:[1,0,0] neg_hi:[1,0,0]
	ds_read2_b32 v[74:75], v63 offset0:48 offset1:49
	ds_read2_b32 v[76:77], v63 offset0:50 offset1:51
	s_waitcnt lgkmcnt(3)
	v_pk_fma_f32 v[16:17], v[22:23], v[70:71], v[16:17] op_sel_hi:[0,1,1] neg_lo:[1,0,0] neg_hi:[1,0,0]
	s_waitcnt lgkmcnt(2)
	v_pk_fma_f32 v[8:9], v[22:23], v[72:73], v[8:9] op_sel_hi:[0,1,1] neg_lo:[1,0,0] neg_hi:[1,0,0]
	ds_read2_b32 v[70:71], v63 offset0:52 offset1:53
	ds_read2_b32 v[72:73], v63 offset0:54 offset1:55
	;; [unrolled: 1-line block ×3, first 2 shown]
	s_waitcnt lgkmcnt(4)
	v_pk_fma_f32 v[26:27], v[22:23], v[74:75], v[26:27] op_sel_hi:[0,1,1] neg_lo:[1,0,0] neg_hi:[1,0,0]
	s_waitcnt lgkmcnt(3)
	v_pk_fma_f32 v[18:19], v[22:23], v[76:77], v[18:19] op_sel_hi:[0,1,1] neg_lo:[1,0,0] neg_hi:[1,0,0]
	;; [unrolled: 2-line block ×5, first 2 shown]
.LBB114_624:
	s_or_b64 exec, exec, s[0:1]
	v_lshl_add_u32 v66, v69, 2, v63
	s_barrier
	ds_write_b32 v66, v23
	s_waitcnt lgkmcnt(0)
	s_barrier
	ds_read_b32 v68, v63 offset:148
	s_cmp_lt_i32 s22, 39
	v_mov_b32_e32 v66, 37
	s_cbranch_scc1 .LBB114_627
; %bb.625:
	v_add_u32_e32 v70, 0x98, v63
	v_mov_b32_e32 v66, 37
	s_mov_b32 s0, 38
.LBB114_626:                            ; =>This Inner Loop Header: Depth=1
	ds_read_b32 v71, v70
	v_mov_b32_e32 v72, s0
	s_add_i32 s0, s0, 1
	v_add_u32_e32 v70, 4, v70
	s_cmp_lg_u32 s22, s0
	s_waitcnt lgkmcnt(0)
	v_cmp_lt_f32_e64 vcc, |v68|, |v71|
	s_nop 1
	v_cndmask_b32_e32 v68, v68, v71, vcc
	v_cndmask_b32_e32 v66, v66, v72, vcc
	s_cbranch_scc1 .LBB114_626
.LBB114_627:
	s_waitcnt lgkmcnt(0)
	v_cmp_eq_f32_e32 vcc, 0, v68
	s_and_saveexec_b64 s[0:1], vcc
	s_xor_b64 s[0:1], exec, s[0:1]
; %bb.628:
	v_cmp_ne_u32_e32 vcc, 0, v65
	s_nop 1
	v_cndmask_b32_e32 v65, 38, v65, vcc
; %bb.629:
	s_andn2_saveexec_b64 s[0:1], s[0:1]
	s_cbranch_execz .LBB114_631
; %bb.630:
	v_div_scale_f32 v70, s[2:3], v68, v68, 1.0
	v_rcp_f32_e32 v71, v70
	v_div_scale_f32 v72, vcc, 1.0, v68, 1.0
	v_fma_f32 v73, -v70, v71, 1.0
	v_fmac_f32_e32 v71, v73, v71
	v_mul_f32_e32 v73, v72, v71
	v_fma_f32 v74, -v70, v73, v72
	v_fmac_f32_e32 v73, v74, v71
	v_fma_f32 v70, -v70, v73, v72
	v_div_fmas_f32 v70, v70, v71, v73
	v_div_fixup_f32 v68, v70, v68, 1.0
.LBB114_631:
	s_or_b64 exec, exec, s[0:1]
	v_cmp_ne_u32_e32 vcc, v69, v66
	s_and_saveexec_b64 s[0:1], vcc
	s_xor_b64 s[0:1], exec, s[0:1]
	s_cbranch_execz .LBB114_637
; %bb.632:
	v_cmp_eq_u32_e32 vcc, 37, v69
	s_and_saveexec_b64 s[2:3], vcc
	s_cbranch_execz .LBB114_636
; %bb.633:
	v_cmp_ne_u32_e32 vcc, 37, v66
	s_xor_b64 s[12:13], s[20:21], -1
	s_and_b64 s[14:15], s[12:13], vcc
	s_and_saveexec_b64 s[12:13], s[14:15]
	s_cbranch_execz .LBB114_635
; %bb.634:
	v_ashrrev_i32_e32 v67, 31, v66
	v_lshl_add_u64 v[70:71], v[66:67], 2, v[4:5]
	global_load_dword v67, v[70:71], off
	global_load_dword v69, v[4:5], off offset:148
	s_waitcnt vmcnt(1)
	global_store_dword v[4:5], v67, off offset:148
	s_waitcnt vmcnt(1)
	global_store_dword v[70:71], v69, off
.LBB114_635:
	s_or_b64 exec, exec, s[12:13]
	v_mov_b32_e32 v67, v66
	v_mov_b32_e32 v69, v66
.LBB114_636:
	s_or_b64 exec, exec, s[2:3]
.LBB114_637:
	s_andn2_saveexec_b64 s[0:1], s[0:1]
	s_cbranch_execz .LBB114_639
; %bb.638:
	v_mov_b32_e32 v69, 37
	ds_write2_b32 v63, v14, v15 offset0:38 offset1:39
	ds_write2_b32 v63, v34, v35 offset0:40 offset1:41
	;; [unrolled: 1-line block ×10, first 2 shown]
.LBB114_639:
	s_or_b64 exec, exec, s[0:1]
	v_cmp_lt_i32_e32 vcc, 37, v69
	s_waitcnt lgkmcnt(0)
	s_barrier
	s_and_saveexec_b64 s[0:1], vcc
	s_cbranch_execz .LBB114_641
; %bb.640:
	ds_read2_b32 v[70:71], v63 offset0:38 offset1:39
	ds_read2_b32 v[72:73], v63 offset0:40 offset1:41
	;; [unrolled: 1-line block ×3, first 2 shown]
	v_mul_f32_e32 v66, v68, v23
	ds_read2_b32 v[76:77], v63 offset0:44 offset1:45
	s_waitcnt lgkmcnt(3)
	v_pk_fma_f32 v[14:15], v[66:67], v[70:71], v[14:15] op_sel_hi:[0,1,1] neg_lo:[1,0,0] neg_hi:[1,0,0]
	ds_read2_b32 v[70:71], v63 offset0:46 offset1:47
	s_waitcnt lgkmcnt(3)
	v_pk_fma_f32 v[34:35], v[66:67], v[72:73], v[34:35] op_sel_hi:[0,1,1] neg_lo:[1,0,0] neg_hi:[1,0,0]
	s_waitcnt lgkmcnt(2)
	v_pk_fma_f32 v[24:25], v[66:67], v[74:75], v[24:25] op_sel_hi:[0,1,1] neg_lo:[1,0,0] neg_hi:[1,0,0]
	;; [unrolled: 2-line block ×3, first 2 shown]
	ds_read2_b32 v[72:73], v63 offset0:48 offset1:49
	ds_read2_b32 v[74:75], v63 offset0:50 offset1:51
	;; [unrolled: 1-line block ×3, first 2 shown]
	s_waitcnt lgkmcnt(3)
	v_pk_fma_f32 v[8:9], v[66:67], v[70:71], v[8:9] op_sel_hi:[0,1,1] neg_lo:[1,0,0] neg_hi:[1,0,0]
	ds_read2_b32 v[70:71], v63 offset0:54 offset1:55
	ds_read2_b32 v[78:79], v63 offset0:56 offset1:57
	s_waitcnt lgkmcnt(4)
	v_pk_fma_f32 v[26:27], v[66:67], v[72:73], v[26:27] op_sel_hi:[0,1,1] neg_lo:[1,0,0] neg_hi:[1,0,0]
	s_waitcnt lgkmcnt(3)
	v_pk_fma_f32 v[18:19], v[66:67], v[74:75], v[18:19] op_sel_hi:[0,1,1] neg_lo:[1,0,0] neg_hi:[1,0,0]
	;; [unrolled: 2-line block ×5, first 2 shown]
	v_mov_b32_e32 v23, v66
.LBB114_641:
	s_or_b64 exec, exec, s[0:1]
	v_lshl_add_u32 v66, v69, 2, v63
	s_barrier
	ds_write_b32 v66, v14
	s_waitcnt lgkmcnt(0)
	s_barrier
	ds_read_b32 v68, v63 offset:152
	s_cmp_lt_i32 s22, 40
	v_mov_b32_e32 v66, 38
	s_cbranch_scc1 .LBB114_644
; %bb.642:
	v_add_u32_e32 v70, 0x9c, v63
	v_mov_b32_e32 v66, 38
	s_mov_b32 s0, 39
.LBB114_643:                            ; =>This Inner Loop Header: Depth=1
	ds_read_b32 v71, v70
	v_mov_b32_e32 v72, s0
	s_add_i32 s0, s0, 1
	v_add_u32_e32 v70, 4, v70
	s_cmp_lg_u32 s22, s0
	s_waitcnt lgkmcnt(0)
	v_cmp_lt_f32_e64 vcc, |v68|, |v71|
	s_nop 1
	v_cndmask_b32_e32 v68, v68, v71, vcc
	v_cndmask_b32_e32 v66, v66, v72, vcc
	s_cbranch_scc1 .LBB114_643
.LBB114_644:
	s_waitcnt lgkmcnt(0)
	v_cmp_eq_f32_e32 vcc, 0, v68
	s_and_saveexec_b64 s[0:1], vcc
	s_xor_b64 s[0:1], exec, s[0:1]
; %bb.645:
	v_cmp_ne_u32_e32 vcc, 0, v65
	s_nop 1
	v_cndmask_b32_e32 v65, 39, v65, vcc
; %bb.646:
	s_andn2_saveexec_b64 s[0:1], s[0:1]
	s_cbranch_execz .LBB114_648
; %bb.647:
	v_div_scale_f32 v70, s[2:3], v68, v68, 1.0
	v_rcp_f32_e32 v71, v70
	v_div_scale_f32 v72, vcc, 1.0, v68, 1.0
	v_fma_f32 v73, -v70, v71, 1.0
	v_fmac_f32_e32 v71, v73, v71
	v_mul_f32_e32 v73, v72, v71
	v_fma_f32 v74, -v70, v73, v72
	v_fmac_f32_e32 v73, v74, v71
	v_fma_f32 v70, -v70, v73, v72
	v_div_fmas_f32 v70, v70, v71, v73
	v_div_fixup_f32 v68, v70, v68, 1.0
.LBB114_648:
	s_or_b64 exec, exec, s[0:1]
	v_cmp_ne_u32_e32 vcc, v69, v66
	s_and_saveexec_b64 s[0:1], vcc
	s_xor_b64 s[0:1], exec, s[0:1]
	s_cbranch_execz .LBB114_654
; %bb.649:
	v_cmp_eq_u32_e32 vcc, 38, v69
	s_and_saveexec_b64 s[2:3], vcc
	s_cbranch_execz .LBB114_653
; %bb.650:
	v_cmp_ne_u32_e32 vcc, 38, v66
	s_xor_b64 s[12:13], s[20:21], -1
	s_and_b64 s[14:15], s[12:13], vcc
	s_and_saveexec_b64 s[12:13], s[14:15]
	s_cbranch_execz .LBB114_652
; %bb.651:
	v_ashrrev_i32_e32 v67, 31, v66
	v_lshl_add_u64 v[70:71], v[66:67], 2, v[4:5]
	global_load_dword v67, v[70:71], off
	global_load_dword v69, v[4:5], off offset:152
	s_waitcnt vmcnt(1)
	global_store_dword v[4:5], v67, off offset:152
	s_waitcnt vmcnt(1)
	global_store_dword v[70:71], v69, off
.LBB114_652:
	s_or_b64 exec, exec, s[12:13]
	v_mov_b32_e32 v67, v66
	v_mov_b32_e32 v69, v66
.LBB114_653:
	s_or_b64 exec, exec, s[2:3]
.LBB114_654:
	s_andn2_saveexec_b64 s[0:1], s[0:1]
	s_cbranch_execz .LBB114_656
; %bb.655:
	v_pk_mov_b32 v[70:71], v[14:15], v[34:35] op_sel:[1,0]
	ds_write2_b32 v63, v70, v71 offset0:39 offset1:40
	v_pk_mov_b32 v[70:71], v[34:35], v[24:25] op_sel:[1,0]
	ds_write2_b32 v63, v70, v71 offset0:41 offset1:42
	;; [unrolled: 2-line block ×8, first 2 shown]
	v_pk_mov_b32 v[70:71], v[0:1], v[12:13] op_sel:[1,0]
	v_mov_b32_e32 v69, 38
	ds_write2_b32 v63, v70, v71 offset0:55 offset1:56
	ds_write_b32 v63, v13 offset:228
.LBB114_656:
	s_or_b64 exec, exec, s[0:1]
	v_cmp_lt_i32_e32 vcc, 38, v69
	s_waitcnt lgkmcnt(0)
	s_barrier
	s_and_saveexec_b64 s[0:1], vcc
	s_cbranch_execz .LBB114_658
; %bb.657:
	ds_read_b32 v66, v63 offset:156
	ds_read2_b32 v[70:71], v63 offset0:40 offset1:41
	ds_read2_b32 v[72:73], v63 offset0:42 offset1:43
	v_mul_f32_e32 v14, v68, v14
	ds_read2_b32 v[74:75], v63 offset0:44 offset1:45
	s_waitcnt lgkmcnt(3)
	v_fma_f32 v15, -v14, v66, v15
	s_waitcnt lgkmcnt(2)
	v_pk_fma_f32 v[34:35], v[14:15], v[70:71], v[34:35] op_sel_hi:[0,1,1] neg_lo:[1,0,0] neg_hi:[1,0,0]
	ds_read2_b32 v[70:71], v63 offset0:46 offset1:47
	s_waitcnt lgkmcnt(2)
	v_pk_fma_f32 v[24:25], v[14:15], v[72:73], v[24:25] op_sel_hi:[0,1,1] neg_lo:[1,0,0] neg_hi:[1,0,0]
	s_waitcnt lgkmcnt(1)
	v_pk_fma_f32 v[16:17], v[14:15], v[74:75], v[16:17] op_sel_hi:[0,1,1] neg_lo:[1,0,0] neg_hi:[1,0,0]
	ds_read2_b32 v[72:73], v63 offset0:48 offset1:49
	ds_read2_b32 v[74:75], v63 offset0:50 offset1:51
	;; [unrolled: 1-line block ×3, first 2 shown]
	s_waitcnt lgkmcnt(3)
	v_pk_fma_f32 v[8:9], v[14:15], v[70:71], v[8:9] op_sel_hi:[0,1,1] neg_lo:[1,0,0] neg_hi:[1,0,0]
	ds_read2_b32 v[70:71], v63 offset0:54 offset1:55
	ds_read2_b32 v[78:79], v63 offset0:56 offset1:57
	s_waitcnt lgkmcnt(4)
	v_pk_fma_f32 v[26:27], v[14:15], v[72:73], v[26:27] op_sel_hi:[0,1,1] neg_lo:[1,0,0] neg_hi:[1,0,0]
	s_waitcnt lgkmcnt(3)
	v_pk_fma_f32 v[18:19], v[14:15], v[74:75], v[18:19] op_sel_hi:[0,1,1] neg_lo:[1,0,0] neg_hi:[1,0,0]
	s_waitcnt lgkmcnt(2)
	v_pk_fma_f32 v[10:11], v[14:15], v[76:77], v[10:11] op_sel_hi:[0,1,1] neg_lo:[1,0,0] neg_hi:[1,0,0]
	s_waitcnt lgkmcnt(1)
	v_pk_fma_f32 v[0:1], v[14:15], v[70:71], v[0:1] op_sel_hi:[0,1,1] neg_lo:[1,0,0] neg_hi:[1,0,0]
	s_waitcnt lgkmcnt(0)
	v_pk_fma_f32 v[12:13], v[14:15], v[78:79], v[12:13] op_sel_hi:[0,1,1] neg_lo:[1,0,0] neg_hi:[1,0,0]
.LBB114_658:
	s_or_b64 exec, exec, s[0:1]
	v_lshl_add_u32 v66, v69, 2, v63
	s_barrier
	ds_write_b32 v66, v15
	s_waitcnt lgkmcnt(0)
	s_barrier
	ds_read_b32 v68, v63 offset:156
	s_cmp_lt_i32 s22, 41
	v_mov_b32_e32 v66, 39
	s_cbranch_scc1 .LBB114_661
; %bb.659:
	v_add_u32_e32 v70, 0xa0, v63
	v_mov_b32_e32 v66, 39
	s_mov_b32 s0, 40
.LBB114_660:                            ; =>This Inner Loop Header: Depth=1
	ds_read_b32 v71, v70
	v_mov_b32_e32 v72, s0
	s_add_i32 s0, s0, 1
	v_add_u32_e32 v70, 4, v70
	s_cmp_lg_u32 s22, s0
	s_waitcnt lgkmcnt(0)
	v_cmp_lt_f32_e64 vcc, |v68|, |v71|
	s_nop 1
	v_cndmask_b32_e32 v68, v68, v71, vcc
	v_cndmask_b32_e32 v66, v66, v72, vcc
	s_cbranch_scc1 .LBB114_660
.LBB114_661:
	s_waitcnt lgkmcnt(0)
	v_cmp_eq_f32_e32 vcc, 0, v68
	s_and_saveexec_b64 s[0:1], vcc
	s_xor_b64 s[0:1], exec, s[0:1]
; %bb.662:
	v_cmp_ne_u32_e32 vcc, 0, v65
	s_nop 1
	v_cndmask_b32_e32 v65, 40, v65, vcc
; %bb.663:
	s_andn2_saveexec_b64 s[0:1], s[0:1]
	s_cbranch_execz .LBB114_665
; %bb.664:
	v_div_scale_f32 v70, s[2:3], v68, v68, 1.0
	v_rcp_f32_e32 v71, v70
	v_div_scale_f32 v72, vcc, 1.0, v68, 1.0
	v_fma_f32 v73, -v70, v71, 1.0
	v_fmac_f32_e32 v71, v73, v71
	v_mul_f32_e32 v73, v72, v71
	v_fma_f32 v74, -v70, v73, v72
	v_fmac_f32_e32 v73, v74, v71
	v_fma_f32 v70, -v70, v73, v72
	v_div_fmas_f32 v70, v70, v71, v73
	v_div_fixup_f32 v68, v70, v68, 1.0
.LBB114_665:
	s_or_b64 exec, exec, s[0:1]
	v_cmp_ne_u32_e32 vcc, v69, v66
	s_and_saveexec_b64 s[0:1], vcc
	s_xor_b64 s[0:1], exec, s[0:1]
	s_cbranch_execz .LBB114_671
; %bb.666:
	v_cmp_eq_u32_e32 vcc, 39, v69
	s_and_saveexec_b64 s[2:3], vcc
	s_cbranch_execz .LBB114_670
; %bb.667:
	v_cmp_ne_u32_e32 vcc, 39, v66
	s_xor_b64 s[12:13], s[20:21], -1
	s_and_b64 s[14:15], s[12:13], vcc
	s_and_saveexec_b64 s[12:13], s[14:15]
	s_cbranch_execz .LBB114_669
; %bb.668:
	v_ashrrev_i32_e32 v67, 31, v66
	v_lshl_add_u64 v[70:71], v[66:67], 2, v[4:5]
	global_load_dword v67, v[70:71], off
	global_load_dword v69, v[4:5], off offset:156
	s_waitcnt vmcnt(1)
	global_store_dword v[4:5], v67, off offset:156
	s_waitcnt vmcnt(1)
	global_store_dword v[70:71], v69, off
.LBB114_669:
	s_or_b64 exec, exec, s[12:13]
	v_mov_b32_e32 v67, v66
	v_mov_b32_e32 v69, v66
.LBB114_670:
	s_or_b64 exec, exec, s[2:3]
.LBB114_671:
	s_andn2_saveexec_b64 s[0:1], s[0:1]
	s_cbranch_execz .LBB114_673
; %bb.672:
	v_mov_b32_e32 v69, 39
	ds_write2_b32 v63, v34, v35 offset0:40 offset1:41
	ds_write2_b32 v63, v24, v25 offset0:42 offset1:43
	;; [unrolled: 1-line block ×9, first 2 shown]
.LBB114_673:
	s_or_b64 exec, exec, s[0:1]
	v_cmp_lt_i32_e32 vcc, 39, v69
	s_waitcnt lgkmcnt(0)
	s_barrier
	s_and_saveexec_b64 s[0:1], vcc
	s_cbranch_execz .LBB114_675
; %bb.674:
	ds_read2_b32 v[70:71], v63 offset0:40 offset1:41
	ds_read2_b32 v[72:73], v63 offset0:42 offset1:43
	;; [unrolled: 1-line block ×4, first 2 shown]
	v_mul_f32_e32 v66, v68, v15
	s_waitcnt lgkmcnt(3)
	v_pk_fma_f32 v[34:35], v[66:67], v[70:71], v[34:35] op_sel_hi:[0,1,1] neg_lo:[1,0,0] neg_hi:[1,0,0]
	s_waitcnt lgkmcnt(2)
	v_pk_fma_f32 v[24:25], v[66:67], v[72:73], v[24:25] op_sel_hi:[0,1,1] neg_lo:[1,0,0] neg_hi:[1,0,0]
	;; [unrolled: 2-line block ×4, first 2 shown]
	ds_read2_b32 v[70:71], v63 offset0:48 offset1:49
	ds_read2_b32 v[72:73], v63 offset0:50 offset1:51
	;; [unrolled: 1-line block ×5, first 2 shown]
	s_waitcnt lgkmcnt(4)
	v_pk_fma_f32 v[26:27], v[66:67], v[70:71], v[26:27] op_sel_hi:[0,1,1] neg_lo:[1,0,0] neg_hi:[1,0,0]
	s_waitcnt lgkmcnt(3)
	v_pk_fma_f32 v[18:19], v[66:67], v[72:73], v[18:19] op_sel_hi:[0,1,1] neg_lo:[1,0,0] neg_hi:[1,0,0]
	;; [unrolled: 2-line block ×5, first 2 shown]
	v_mov_b32_e32 v15, v66
.LBB114_675:
	s_or_b64 exec, exec, s[0:1]
	v_lshl_add_u32 v66, v69, 2, v63
	s_barrier
	ds_write_b32 v66, v34
	s_waitcnt lgkmcnt(0)
	s_barrier
	ds_read_b32 v68, v63 offset:160
	s_cmp_lt_i32 s22, 42
	v_mov_b32_e32 v66, 40
	s_cbranch_scc1 .LBB114_678
; %bb.676:
	v_add_u32_e32 v70, 0xa4, v63
	v_mov_b32_e32 v66, 40
	s_mov_b32 s0, 41
.LBB114_677:                            ; =>This Inner Loop Header: Depth=1
	ds_read_b32 v71, v70
	v_mov_b32_e32 v72, s0
	s_add_i32 s0, s0, 1
	v_add_u32_e32 v70, 4, v70
	s_cmp_lg_u32 s22, s0
	s_waitcnt lgkmcnt(0)
	v_cmp_lt_f32_e64 vcc, |v68|, |v71|
	s_nop 1
	v_cndmask_b32_e32 v68, v68, v71, vcc
	v_cndmask_b32_e32 v66, v66, v72, vcc
	s_cbranch_scc1 .LBB114_677
.LBB114_678:
	s_waitcnt lgkmcnt(0)
	v_cmp_eq_f32_e32 vcc, 0, v68
	s_and_saveexec_b64 s[0:1], vcc
	s_xor_b64 s[0:1], exec, s[0:1]
; %bb.679:
	v_cmp_ne_u32_e32 vcc, 0, v65
	s_nop 1
	v_cndmask_b32_e32 v65, 41, v65, vcc
; %bb.680:
	s_andn2_saveexec_b64 s[0:1], s[0:1]
	s_cbranch_execz .LBB114_682
; %bb.681:
	v_div_scale_f32 v70, s[2:3], v68, v68, 1.0
	v_rcp_f32_e32 v71, v70
	v_div_scale_f32 v72, vcc, 1.0, v68, 1.0
	v_fma_f32 v73, -v70, v71, 1.0
	v_fmac_f32_e32 v71, v73, v71
	v_mul_f32_e32 v73, v72, v71
	v_fma_f32 v74, -v70, v73, v72
	v_fmac_f32_e32 v73, v74, v71
	v_fma_f32 v70, -v70, v73, v72
	v_div_fmas_f32 v70, v70, v71, v73
	v_div_fixup_f32 v68, v70, v68, 1.0
.LBB114_682:
	s_or_b64 exec, exec, s[0:1]
	v_cmp_ne_u32_e32 vcc, v69, v66
	s_and_saveexec_b64 s[0:1], vcc
	s_xor_b64 s[0:1], exec, s[0:1]
	s_cbranch_execz .LBB114_688
; %bb.683:
	v_cmp_eq_u32_e32 vcc, 40, v69
	s_and_saveexec_b64 s[2:3], vcc
	s_cbranch_execz .LBB114_687
; %bb.684:
	v_cmp_ne_u32_e32 vcc, 40, v66
	s_xor_b64 s[12:13], s[20:21], -1
	s_and_b64 s[14:15], s[12:13], vcc
	s_and_saveexec_b64 s[12:13], s[14:15]
	s_cbranch_execz .LBB114_686
; %bb.685:
	v_ashrrev_i32_e32 v67, 31, v66
	v_lshl_add_u64 v[70:71], v[66:67], 2, v[4:5]
	global_load_dword v67, v[70:71], off
	global_load_dword v69, v[4:5], off offset:160
	s_waitcnt vmcnt(1)
	global_store_dword v[4:5], v67, off offset:160
	s_waitcnt vmcnt(1)
	global_store_dword v[70:71], v69, off
.LBB114_686:
	s_or_b64 exec, exec, s[12:13]
	v_mov_b32_e32 v67, v66
	v_mov_b32_e32 v69, v66
.LBB114_687:
	s_or_b64 exec, exec, s[2:3]
.LBB114_688:
	s_andn2_saveexec_b64 s[0:1], s[0:1]
	s_cbranch_execz .LBB114_690
; %bb.689:
	v_pk_mov_b32 v[70:71], v[34:35], v[24:25] op_sel:[1,0]
	ds_write2_b32 v63, v70, v71 offset0:41 offset1:42
	v_pk_mov_b32 v[70:71], v[24:25], v[16:17] op_sel:[1,0]
	ds_write2_b32 v63, v70, v71 offset0:43 offset1:44
	;; [unrolled: 2-line block ×7, first 2 shown]
	v_pk_mov_b32 v[70:71], v[0:1], v[12:13] op_sel:[1,0]
	v_mov_b32_e32 v69, 40
	ds_write2_b32 v63, v70, v71 offset0:55 offset1:56
	ds_write_b32 v63, v13 offset:228
.LBB114_690:
	s_or_b64 exec, exec, s[0:1]
	v_cmp_lt_i32_e32 vcc, 40, v69
	s_waitcnt lgkmcnt(0)
	s_barrier
	s_and_saveexec_b64 s[0:1], vcc
	s_cbranch_execz .LBB114_692
; %bb.691:
	ds_read_b32 v66, v63 offset:164
	ds_read2_b32 v[70:71], v63 offset0:42 offset1:43
	ds_read2_b32 v[72:73], v63 offset0:44 offset1:45
	;; [unrolled: 1-line block ×3, first 2 shown]
	v_mul_f32_e32 v34, v68, v34
	s_waitcnt lgkmcnt(3)
	v_fma_f32 v35, -v34, v66, v35
	s_waitcnt lgkmcnt(2)
	v_pk_fma_f32 v[24:25], v[34:35], v[70:71], v[24:25] op_sel_hi:[0,1,1] neg_lo:[1,0,0] neg_hi:[1,0,0]
	s_waitcnt lgkmcnt(1)
	v_pk_fma_f32 v[16:17], v[34:35], v[72:73], v[16:17] op_sel_hi:[0,1,1] neg_lo:[1,0,0] neg_hi:[1,0,0]
	;; [unrolled: 2-line block ×3, first 2 shown]
	ds_read2_b32 v[70:71], v63 offset0:48 offset1:49
	ds_read2_b32 v[72:73], v63 offset0:50 offset1:51
	ds_read2_b32 v[74:75], v63 offset0:52 offset1:53
	ds_read2_b32 v[76:77], v63 offset0:54 offset1:55
	ds_read2_b32 v[78:79], v63 offset0:56 offset1:57
	s_waitcnt lgkmcnt(4)
	v_pk_fma_f32 v[26:27], v[34:35], v[70:71], v[26:27] op_sel_hi:[0,1,1] neg_lo:[1,0,0] neg_hi:[1,0,0]
	s_waitcnt lgkmcnt(3)
	v_pk_fma_f32 v[18:19], v[34:35], v[72:73], v[18:19] op_sel_hi:[0,1,1] neg_lo:[1,0,0] neg_hi:[1,0,0]
	s_waitcnt lgkmcnt(2)
	v_pk_fma_f32 v[10:11], v[34:35], v[74:75], v[10:11] op_sel_hi:[0,1,1] neg_lo:[1,0,0] neg_hi:[1,0,0]
	s_waitcnt lgkmcnt(1)
	v_pk_fma_f32 v[0:1], v[34:35], v[76:77], v[0:1] op_sel_hi:[0,1,1] neg_lo:[1,0,0] neg_hi:[1,0,0]
	s_waitcnt lgkmcnt(0)
	v_pk_fma_f32 v[12:13], v[34:35], v[78:79], v[12:13] op_sel_hi:[0,1,1] neg_lo:[1,0,0] neg_hi:[1,0,0]
.LBB114_692:
	s_or_b64 exec, exec, s[0:1]
	v_lshl_add_u32 v66, v69, 2, v63
	s_barrier
	ds_write_b32 v66, v35
	s_waitcnt lgkmcnt(0)
	s_barrier
	ds_read_b32 v68, v63 offset:164
	s_cmp_lt_i32 s22, 43
	v_mov_b32_e32 v66, 41
	s_cbranch_scc1 .LBB114_695
; %bb.693:
	v_add_u32_e32 v70, 0xa8, v63
	v_mov_b32_e32 v66, 41
	s_mov_b32 s0, 42
.LBB114_694:                            ; =>This Inner Loop Header: Depth=1
	ds_read_b32 v71, v70
	v_mov_b32_e32 v72, s0
	s_add_i32 s0, s0, 1
	v_add_u32_e32 v70, 4, v70
	s_cmp_lg_u32 s22, s0
	s_waitcnt lgkmcnt(0)
	v_cmp_lt_f32_e64 vcc, |v68|, |v71|
	s_nop 1
	v_cndmask_b32_e32 v68, v68, v71, vcc
	v_cndmask_b32_e32 v66, v66, v72, vcc
	s_cbranch_scc1 .LBB114_694
.LBB114_695:
	s_waitcnt lgkmcnt(0)
	v_cmp_eq_f32_e32 vcc, 0, v68
	s_and_saveexec_b64 s[0:1], vcc
	s_xor_b64 s[0:1], exec, s[0:1]
; %bb.696:
	v_cmp_ne_u32_e32 vcc, 0, v65
	s_nop 1
	v_cndmask_b32_e32 v65, 42, v65, vcc
; %bb.697:
	s_andn2_saveexec_b64 s[0:1], s[0:1]
	s_cbranch_execz .LBB114_699
; %bb.698:
	v_div_scale_f32 v70, s[2:3], v68, v68, 1.0
	v_rcp_f32_e32 v71, v70
	v_div_scale_f32 v72, vcc, 1.0, v68, 1.0
	v_fma_f32 v73, -v70, v71, 1.0
	v_fmac_f32_e32 v71, v73, v71
	v_mul_f32_e32 v73, v72, v71
	v_fma_f32 v74, -v70, v73, v72
	v_fmac_f32_e32 v73, v74, v71
	v_fma_f32 v70, -v70, v73, v72
	v_div_fmas_f32 v70, v70, v71, v73
	v_div_fixup_f32 v68, v70, v68, 1.0
.LBB114_699:
	s_or_b64 exec, exec, s[0:1]
	v_cmp_ne_u32_e32 vcc, v69, v66
	s_and_saveexec_b64 s[0:1], vcc
	s_xor_b64 s[0:1], exec, s[0:1]
	s_cbranch_execz .LBB114_705
; %bb.700:
	v_cmp_eq_u32_e32 vcc, 41, v69
	s_and_saveexec_b64 s[2:3], vcc
	s_cbranch_execz .LBB114_704
; %bb.701:
	v_cmp_ne_u32_e32 vcc, 41, v66
	s_xor_b64 s[12:13], s[20:21], -1
	s_and_b64 s[14:15], s[12:13], vcc
	s_and_saveexec_b64 s[12:13], s[14:15]
	s_cbranch_execz .LBB114_703
; %bb.702:
	v_ashrrev_i32_e32 v67, 31, v66
	v_lshl_add_u64 v[70:71], v[66:67], 2, v[4:5]
	global_load_dword v67, v[70:71], off
	global_load_dword v69, v[4:5], off offset:164
	s_waitcnt vmcnt(1)
	global_store_dword v[4:5], v67, off offset:164
	s_waitcnt vmcnt(1)
	global_store_dword v[70:71], v69, off
.LBB114_703:
	s_or_b64 exec, exec, s[12:13]
	v_mov_b32_e32 v67, v66
	v_mov_b32_e32 v69, v66
.LBB114_704:
	s_or_b64 exec, exec, s[2:3]
.LBB114_705:
	s_andn2_saveexec_b64 s[0:1], s[0:1]
	s_cbranch_execz .LBB114_707
; %bb.706:
	v_mov_b32_e32 v69, 41
	ds_write2_b32 v63, v24, v25 offset0:42 offset1:43
	ds_write2_b32 v63, v16, v17 offset0:44 offset1:45
	;; [unrolled: 1-line block ×8, first 2 shown]
.LBB114_707:
	s_or_b64 exec, exec, s[0:1]
	v_cmp_lt_i32_e32 vcc, 41, v69
	s_waitcnt lgkmcnt(0)
	s_barrier
	s_and_saveexec_b64 s[0:1], vcc
	s_cbranch_execz .LBB114_709
; %bb.708:
	ds_read2_b32 v[70:71], v63 offset0:42 offset1:43
	ds_read2_b32 v[72:73], v63 offset0:44 offset1:45
	;; [unrolled: 1-line block ×3, first 2 shown]
	v_mul_f32_e32 v66, v68, v35
	ds_read2_b32 v[76:77], v63 offset0:48 offset1:49
	s_waitcnt lgkmcnt(3)
	v_pk_fma_f32 v[24:25], v[66:67], v[70:71], v[24:25] op_sel_hi:[0,1,1] neg_lo:[1,0,0] neg_hi:[1,0,0]
	s_waitcnt lgkmcnt(2)
	v_pk_fma_f32 v[16:17], v[66:67], v[72:73], v[16:17] op_sel_hi:[0,1,1] neg_lo:[1,0,0] neg_hi:[1,0,0]
	;; [unrolled: 2-line block ×3, first 2 shown]
	ds_read2_b32 v[70:71], v63 offset0:50 offset1:51
	ds_read2_b32 v[72:73], v63 offset0:52 offset1:53
	ds_read2_b32 v[74:75], v63 offset0:54 offset1:55
	ds_read2_b32 v[78:79], v63 offset0:56 offset1:57
	s_waitcnt lgkmcnt(4)
	v_pk_fma_f32 v[26:27], v[66:67], v[76:77], v[26:27] op_sel_hi:[0,1,1] neg_lo:[1,0,0] neg_hi:[1,0,0]
	s_waitcnt lgkmcnt(3)
	v_pk_fma_f32 v[18:19], v[66:67], v[70:71], v[18:19] op_sel_hi:[0,1,1] neg_lo:[1,0,0] neg_hi:[1,0,0]
	;; [unrolled: 2-line block ×5, first 2 shown]
	v_mov_b32_e32 v35, v66
.LBB114_709:
	s_or_b64 exec, exec, s[0:1]
	v_lshl_add_u32 v66, v69, 2, v63
	s_barrier
	ds_write_b32 v66, v24
	s_waitcnt lgkmcnt(0)
	s_barrier
	ds_read_b32 v68, v63 offset:168
	s_cmp_lt_i32 s22, 44
	v_mov_b32_e32 v66, 42
	s_cbranch_scc1 .LBB114_712
; %bb.710:
	v_add_u32_e32 v70, 0xac, v63
	v_mov_b32_e32 v66, 42
	s_mov_b32 s0, 43
.LBB114_711:                            ; =>This Inner Loop Header: Depth=1
	ds_read_b32 v71, v70
	v_mov_b32_e32 v72, s0
	s_add_i32 s0, s0, 1
	v_add_u32_e32 v70, 4, v70
	s_cmp_lg_u32 s22, s0
	s_waitcnt lgkmcnt(0)
	v_cmp_lt_f32_e64 vcc, |v68|, |v71|
	s_nop 1
	v_cndmask_b32_e32 v68, v68, v71, vcc
	v_cndmask_b32_e32 v66, v66, v72, vcc
	s_cbranch_scc1 .LBB114_711
.LBB114_712:
	s_waitcnt lgkmcnt(0)
	v_cmp_eq_f32_e32 vcc, 0, v68
	s_and_saveexec_b64 s[0:1], vcc
	s_xor_b64 s[0:1], exec, s[0:1]
; %bb.713:
	v_cmp_ne_u32_e32 vcc, 0, v65
	s_nop 1
	v_cndmask_b32_e32 v65, 43, v65, vcc
; %bb.714:
	s_andn2_saveexec_b64 s[0:1], s[0:1]
	s_cbranch_execz .LBB114_716
; %bb.715:
	v_div_scale_f32 v70, s[2:3], v68, v68, 1.0
	v_rcp_f32_e32 v71, v70
	v_div_scale_f32 v72, vcc, 1.0, v68, 1.0
	v_fma_f32 v73, -v70, v71, 1.0
	v_fmac_f32_e32 v71, v73, v71
	v_mul_f32_e32 v73, v72, v71
	v_fma_f32 v74, -v70, v73, v72
	v_fmac_f32_e32 v73, v74, v71
	v_fma_f32 v70, -v70, v73, v72
	v_div_fmas_f32 v70, v70, v71, v73
	v_div_fixup_f32 v68, v70, v68, 1.0
.LBB114_716:
	s_or_b64 exec, exec, s[0:1]
	v_cmp_ne_u32_e32 vcc, v69, v66
	s_and_saveexec_b64 s[0:1], vcc
	s_xor_b64 s[0:1], exec, s[0:1]
	s_cbranch_execz .LBB114_722
; %bb.717:
	v_cmp_eq_u32_e32 vcc, 42, v69
	s_and_saveexec_b64 s[2:3], vcc
	s_cbranch_execz .LBB114_721
; %bb.718:
	v_cmp_ne_u32_e32 vcc, 42, v66
	s_xor_b64 s[12:13], s[20:21], -1
	s_and_b64 s[14:15], s[12:13], vcc
	s_and_saveexec_b64 s[12:13], s[14:15]
	s_cbranch_execz .LBB114_720
; %bb.719:
	v_ashrrev_i32_e32 v67, 31, v66
	v_lshl_add_u64 v[70:71], v[66:67], 2, v[4:5]
	global_load_dword v67, v[70:71], off
	global_load_dword v69, v[4:5], off offset:168
	s_waitcnt vmcnt(1)
	global_store_dword v[4:5], v67, off offset:168
	s_waitcnt vmcnt(1)
	global_store_dword v[70:71], v69, off
.LBB114_720:
	s_or_b64 exec, exec, s[12:13]
	v_mov_b32_e32 v67, v66
	v_mov_b32_e32 v69, v66
.LBB114_721:
	s_or_b64 exec, exec, s[2:3]
.LBB114_722:
	s_andn2_saveexec_b64 s[0:1], s[0:1]
	s_cbranch_execz .LBB114_724
; %bb.723:
	v_pk_mov_b32 v[70:71], v[24:25], v[16:17] op_sel:[1,0]
	ds_write2_b32 v63, v70, v71 offset0:43 offset1:44
	v_pk_mov_b32 v[70:71], v[16:17], v[8:9] op_sel:[1,0]
	ds_write2_b32 v63, v70, v71 offset0:45 offset1:46
	;; [unrolled: 2-line block ×6, first 2 shown]
	v_pk_mov_b32 v[70:71], v[0:1], v[12:13] op_sel:[1,0]
	v_mov_b32_e32 v69, 42
	ds_write2_b32 v63, v70, v71 offset0:55 offset1:56
	ds_write_b32 v63, v13 offset:228
.LBB114_724:
	s_or_b64 exec, exec, s[0:1]
	v_cmp_lt_i32_e32 vcc, 42, v69
	s_waitcnt lgkmcnt(0)
	s_barrier
	s_and_saveexec_b64 s[0:1], vcc
	s_cbranch_execz .LBB114_726
; %bb.725:
	ds_read_b32 v66, v63 offset:172
	ds_read2_b32 v[70:71], v63 offset0:44 offset1:45
	ds_read2_b32 v[72:73], v63 offset0:46 offset1:47
	v_mul_f32_e32 v24, v68, v24
	ds_read2_b32 v[74:75], v63 offset0:48 offset1:49
	s_waitcnt lgkmcnt(3)
	v_fma_f32 v25, -v24, v66, v25
	s_waitcnt lgkmcnt(2)
	v_pk_fma_f32 v[16:17], v[24:25], v[70:71], v[16:17] op_sel_hi:[0,1,1] neg_lo:[1,0,0] neg_hi:[1,0,0]
	s_waitcnt lgkmcnt(1)
	v_pk_fma_f32 v[8:9], v[24:25], v[72:73], v[8:9] op_sel_hi:[0,1,1] neg_lo:[1,0,0] neg_hi:[1,0,0]
	ds_read2_b32 v[70:71], v63 offset0:50 offset1:51
	ds_read2_b32 v[72:73], v63 offset0:52 offset1:53
	;; [unrolled: 1-line block ×4, first 2 shown]
	s_waitcnt lgkmcnt(4)
	v_pk_fma_f32 v[26:27], v[24:25], v[74:75], v[26:27] op_sel_hi:[0,1,1] neg_lo:[1,0,0] neg_hi:[1,0,0]
	s_waitcnt lgkmcnt(3)
	v_pk_fma_f32 v[18:19], v[24:25], v[70:71], v[18:19] op_sel_hi:[0,1,1] neg_lo:[1,0,0] neg_hi:[1,0,0]
	;; [unrolled: 2-line block ×5, first 2 shown]
.LBB114_726:
	s_or_b64 exec, exec, s[0:1]
	v_lshl_add_u32 v66, v69, 2, v63
	s_barrier
	ds_write_b32 v66, v25
	s_waitcnt lgkmcnt(0)
	s_barrier
	ds_read_b32 v68, v63 offset:172
	s_cmp_lt_i32 s22, 45
	v_mov_b32_e32 v66, 43
	s_cbranch_scc1 .LBB114_729
; %bb.727:
	v_add_u32_e32 v70, 0xb0, v63
	v_mov_b32_e32 v66, 43
	s_mov_b32 s0, 44
.LBB114_728:                            ; =>This Inner Loop Header: Depth=1
	ds_read_b32 v71, v70
	v_mov_b32_e32 v72, s0
	s_add_i32 s0, s0, 1
	v_add_u32_e32 v70, 4, v70
	s_cmp_lg_u32 s22, s0
	s_waitcnt lgkmcnt(0)
	v_cmp_lt_f32_e64 vcc, |v68|, |v71|
	s_nop 1
	v_cndmask_b32_e32 v68, v68, v71, vcc
	v_cndmask_b32_e32 v66, v66, v72, vcc
	s_cbranch_scc1 .LBB114_728
.LBB114_729:
	s_waitcnt lgkmcnt(0)
	v_cmp_eq_f32_e32 vcc, 0, v68
	s_and_saveexec_b64 s[0:1], vcc
	s_xor_b64 s[0:1], exec, s[0:1]
; %bb.730:
	v_cmp_ne_u32_e32 vcc, 0, v65
	s_nop 1
	v_cndmask_b32_e32 v65, 44, v65, vcc
; %bb.731:
	s_andn2_saveexec_b64 s[0:1], s[0:1]
	s_cbranch_execz .LBB114_733
; %bb.732:
	v_div_scale_f32 v70, s[2:3], v68, v68, 1.0
	v_rcp_f32_e32 v71, v70
	v_div_scale_f32 v72, vcc, 1.0, v68, 1.0
	v_fma_f32 v73, -v70, v71, 1.0
	v_fmac_f32_e32 v71, v73, v71
	v_mul_f32_e32 v73, v72, v71
	v_fma_f32 v74, -v70, v73, v72
	v_fmac_f32_e32 v73, v74, v71
	v_fma_f32 v70, -v70, v73, v72
	v_div_fmas_f32 v70, v70, v71, v73
	v_div_fixup_f32 v68, v70, v68, 1.0
.LBB114_733:
	s_or_b64 exec, exec, s[0:1]
	v_cmp_ne_u32_e32 vcc, v69, v66
	s_and_saveexec_b64 s[0:1], vcc
	s_xor_b64 s[0:1], exec, s[0:1]
	s_cbranch_execz .LBB114_739
; %bb.734:
	v_cmp_eq_u32_e32 vcc, 43, v69
	s_and_saveexec_b64 s[2:3], vcc
	s_cbranch_execz .LBB114_738
; %bb.735:
	v_cmp_ne_u32_e32 vcc, 43, v66
	s_xor_b64 s[12:13], s[20:21], -1
	s_and_b64 s[14:15], s[12:13], vcc
	s_and_saveexec_b64 s[12:13], s[14:15]
	s_cbranch_execz .LBB114_737
; %bb.736:
	v_ashrrev_i32_e32 v67, 31, v66
	v_lshl_add_u64 v[70:71], v[66:67], 2, v[4:5]
	global_load_dword v67, v[70:71], off
	global_load_dword v69, v[4:5], off offset:172
	s_waitcnt vmcnt(1)
	global_store_dword v[4:5], v67, off offset:172
	s_waitcnt vmcnt(1)
	global_store_dword v[70:71], v69, off
.LBB114_737:
	s_or_b64 exec, exec, s[12:13]
	v_mov_b32_e32 v67, v66
	v_mov_b32_e32 v69, v66
.LBB114_738:
	s_or_b64 exec, exec, s[2:3]
.LBB114_739:
	s_andn2_saveexec_b64 s[0:1], s[0:1]
	s_cbranch_execz .LBB114_741
; %bb.740:
	v_mov_b32_e32 v69, 43
	ds_write2_b32 v63, v16, v17 offset0:44 offset1:45
	ds_write2_b32 v63, v8, v9 offset0:46 offset1:47
	;; [unrolled: 1-line block ×7, first 2 shown]
.LBB114_741:
	s_or_b64 exec, exec, s[0:1]
	v_cmp_lt_i32_e32 vcc, 43, v69
	s_waitcnt lgkmcnt(0)
	s_barrier
	s_and_saveexec_b64 s[0:1], vcc
	s_cbranch_execz .LBB114_743
; %bb.742:
	ds_read2_b32 v[70:71], v63 offset0:44 offset1:45
	ds_read2_b32 v[72:73], v63 offset0:46 offset1:47
	v_mul_f32_e32 v66, v68, v25
	ds_read2_b32 v[74:75], v63 offset0:48 offset1:49
	ds_read2_b32 v[76:77], v63 offset0:50 offset1:51
	v_mov_b32_e32 v25, v66
	s_waitcnt lgkmcnt(3)
	v_pk_fma_f32 v[16:17], v[66:67], v[70:71], v[16:17] op_sel_hi:[0,1,1] neg_lo:[1,0,0] neg_hi:[1,0,0]
	s_waitcnt lgkmcnt(2)
	v_pk_fma_f32 v[8:9], v[66:67], v[72:73], v[8:9] op_sel_hi:[0,1,1] neg_lo:[1,0,0] neg_hi:[1,0,0]
	ds_read2_b32 v[70:71], v63 offset0:52 offset1:53
	ds_read2_b32 v[72:73], v63 offset0:54 offset1:55
	;; [unrolled: 1-line block ×3, first 2 shown]
	s_waitcnt lgkmcnt(4)
	v_pk_fma_f32 v[26:27], v[66:67], v[74:75], v[26:27] op_sel_hi:[0,1,1] neg_lo:[1,0,0] neg_hi:[1,0,0]
	s_waitcnt lgkmcnt(3)
	v_pk_fma_f32 v[18:19], v[66:67], v[76:77], v[18:19] op_sel_hi:[0,1,1] neg_lo:[1,0,0] neg_hi:[1,0,0]
	;; [unrolled: 2-line block ×5, first 2 shown]
.LBB114_743:
	s_or_b64 exec, exec, s[0:1]
	v_lshl_add_u32 v66, v69, 2, v63
	s_barrier
	ds_write_b32 v66, v16
	s_waitcnt lgkmcnt(0)
	s_barrier
	ds_read_b32 v68, v63 offset:176
	s_cmp_lt_i32 s22, 46
	v_mov_b32_e32 v66, 44
	s_cbranch_scc1 .LBB114_746
; %bb.744:
	v_add_u32_e32 v70, 0xb4, v63
	v_mov_b32_e32 v66, 44
	s_mov_b32 s0, 45
.LBB114_745:                            ; =>This Inner Loop Header: Depth=1
	ds_read_b32 v71, v70
	v_mov_b32_e32 v72, s0
	s_add_i32 s0, s0, 1
	v_add_u32_e32 v70, 4, v70
	s_cmp_lg_u32 s22, s0
	s_waitcnt lgkmcnt(0)
	v_cmp_lt_f32_e64 vcc, |v68|, |v71|
	s_nop 1
	v_cndmask_b32_e32 v68, v68, v71, vcc
	v_cndmask_b32_e32 v66, v66, v72, vcc
	s_cbranch_scc1 .LBB114_745
.LBB114_746:
	s_waitcnt lgkmcnt(0)
	v_cmp_eq_f32_e32 vcc, 0, v68
	s_and_saveexec_b64 s[0:1], vcc
	s_xor_b64 s[0:1], exec, s[0:1]
; %bb.747:
	v_cmp_ne_u32_e32 vcc, 0, v65
	s_nop 1
	v_cndmask_b32_e32 v65, 45, v65, vcc
; %bb.748:
	s_andn2_saveexec_b64 s[0:1], s[0:1]
	s_cbranch_execz .LBB114_750
; %bb.749:
	v_div_scale_f32 v70, s[2:3], v68, v68, 1.0
	v_rcp_f32_e32 v71, v70
	v_div_scale_f32 v72, vcc, 1.0, v68, 1.0
	v_fma_f32 v73, -v70, v71, 1.0
	v_fmac_f32_e32 v71, v73, v71
	v_mul_f32_e32 v73, v72, v71
	v_fma_f32 v74, -v70, v73, v72
	v_fmac_f32_e32 v73, v74, v71
	v_fma_f32 v70, -v70, v73, v72
	v_div_fmas_f32 v70, v70, v71, v73
	v_div_fixup_f32 v68, v70, v68, 1.0
.LBB114_750:
	s_or_b64 exec, exec, s[0:1]
	v_cmp_ne_u32_e32 vcc, v69, v66
	s_and_saveexec_b64 s[0:1], vcc
	s_xor_b64 s[0:1], exec, s[0:1]
	s_cbranch_execz .LBB114_756
; %bb.751:
	v_cmp_eq_u32_e32 vcc, 44, v69
	s_and_saveexec_b64 s[2:3], vcc
	s_cbranch_execz .LBB114_755
; %bb.752:
	v_cmp_ne_u32_e32 vcc, 44, v66
	s_xor_b64 s[12:13], s[20:21], -1
	s_and_b64 s[14:15], s[12:13], vcc
	s_and_saveexec_b64 s[12:13], s[14:15]
	s_cbranch_execz .LBB114_754
; %bb.753:
	v_ashrrev_i32_e32 v67, 31, v66
	v_lshl_add_u64 v[70:71], v[66:67], 2, v[4:5]
	global_load_dword v67, v[70:71], off
	global_load_dword v69, v[4:5], off offset:176
	s_waitcnt vmcnt(1)
	global_store_dword v[4:5], v67, off offset:176
	s_waitcnt vmcnt(1)
	global_store_dword v[70:71], v69, off
.LBB114_754:
	s_or_b64 exec, exec, s[12:13]
	v_mov_b32_e32 v67, v66
	v_mov_b32_e32 v69, v66
.LBB114_755:
	s_or_b64 exec, exec, s[2:3]
.LBB114_756:
	s_andn2_saveexec_b64 s[0:1], s[0:1]
	s_cbranch_execz .LBB114_758
; %bb.757:
	v_pk_mov_b32 v[70:71], v[16:17], v[8:9] op_sel:[1,0]
	ds_write2_b32 v63, v70, v71 offset0:45 offset1:46
	v_pk_mov_b32 v[70:71], v[8:9], v[26:27] op_sel:[1,0]
	ds_write2_b32 v63, v70, v71 offset0:47 offset1:48
	;; [unrolled: 2-line block ×5, first 2 shown]
	v_pk_mov_b32 v[70:71], v[0:1], v[12:13] op_sel:[1,0]
	v_mov_b32_e32 v69, 44
	ds_write2_b32 v63, v70, v71 offset0:55 offset1:56
	ds_write_b32 v63, v13 offset:228
.LBB114_758:
	s_or_b64 exec, exec, s[0:1]
	v_cmp_lt_i32_e32 vcc, 44, v69
	s_waitcnt lgkmcnt(0)
	s_barrier
	s_and_saveexec_b64 s[0:1], vcc
	s_cbranch_execz .LBB114_760
; %bb.759:
	ds_read_b32 v66, v63 offset:180
	ds_read2_b32 v[70:71], v63 offset0:46 offset1:47
	v_mul_f32_e32 v16, v68, v16
	ds_read2_b32 v[72:73], v63 offset0:48 offset1:49
	ds_read2_b32 v[74:75], v63 offset0:50 offset1:51
	s_waitcnt lgkmcnt(3)
	v_fma_f32 v17, -v16, v66, v17
	s_waitcnt lgkmcnt(2)
	v_pk_fma_f32 v[8:9], v[16:17], v[70:71], v[8:9] op_sel_hi:[0,1,1] neg_lo:[1,0,0] neg_hi:[1,0,0]
	ds_read2_b32 v[70:71], v63 offset0:52 offset1:53
	ds_read2_b32 v[76:77], v63 offset0:54 offset1:55
	;; [unrolled: 1-line block ×3, first 2 shown]
	s_waitcnt lgkmcnt(4)
	v_pk_fma_f32 v[26:27], v[16:17], v[72:73], v[26:27] op_sel_hi:[0,1,1] neg_lo:[1,0,0] neg_hi:[1,0,0]
	s_waitcnt lgkmcnt(3)
	v_pk_fma_f32 v[18:19], v[16:17], v[74:75], v[18:19] op_sel_hi:[0,1,1] neg_lo:[1,0,0] neg_hi:[1,0,0]
	s_waitcnt lgkmcnt(2)
	v_pk_fma_f32 v[10:11], v[16:17], v[70:71], v[10:11] op_sel_hi:[0,1,1] neg_lo:[1,0,0] neg_hi:[1,0,0]
	s_waitcnt lgkmcnt(1)
	v_pk_fma_f32 v[0:1], v[16:17], v[76:77], v[0:1] op_sel_hi:[0,1,1] neg_lo:[1,0,0] neg_hi:[1,0,0]
	s_waitcnt lgkmcnt(0)
	v_pk_fma_f32 v[12:13], v[16:17], v[78:79], v[12:13] op_sel_hi:[0,1,1] neg_lo:[1,0,0] neg_hi:[1,0,0]
.LBB114_760:
	s_or_b64 exec, exec, s[0:1]
	v_lshl_add_u32 v66, v69, 2, v63
	s_barrier
	ds_write_b32 v66, v17
	s_waitcnt lgkmcnt(0)
	s_barrier
	ds_read_b32 v68, v63 offset:180
	s_cmp_lt_i32 s22, 47
	v_mov_b32_e32 v66, 45
	s_cbranch_scc1 .LBB114_763
; %bb.761:
	v_add_u32_e32 v70, 0xb8, v63
	v_mov_b32_e32 v66, 45
	s_mov_b32 s0, 46
.LBB114_762:                            ; =>This Inner Loop Header: Depth=1
	ds_read_b32 v71, v70
	v_mov_b32_e32 v72, s0
	s_add_i32 s0, s0, 1
	v_add_u32_e32 v70, 4, v70
	s_cmp_lg_u32 s22, s0
	s_waitcnt lgkmcnt(0)
	v_cmp_lt_f32_e64 vcc, |v68|, |v71|
	s_nop 1
	v_cndmask_b32_e32 v68, v68, v71, vcc
	v_cndmask_b32_e32 v66, v66, v72, vcc
	s_cbranch_scc1 .LBB114_762
.LBB114_763:
	s_waitcnt lgkmcnt(0)
	v_cmp_eq_f32_e32 vcc, 0, v68
	s_and_saveexec_b64 s[0:1], vcc
	s_xor_b64 s[0:1], exec, s[0:1]
; %bb.764:
	v_cmp_ne_u32_e32 vcc, 0, v65
	s_nop 1
	v_cndmask_b32_e32 v65, 46, v65, vcc
; %bb.765:
	s_andn2_saveexec_b64 s[0:1], s[0:1]
	s_cbranch_execz .LBB114_767
; %bb.766:
	v_div_scale_f32 v70, s[2:3], v68, v68, 1.0
	v_rcp_f32_e32 v71, v70
	v_div_scale_f32 v72, vcc, 1.0, v68, 1.0
	v_fma_f32 v73, -v70, v71, 1.0
	v_fmac_f32_e32 v71, v73, v71
	v_mul_f32_e32 v73, v72, v71
	v_fma_f32 v74, -v70, v73, v72
	v_fmac_f32_e32 v73, v74, v71
	v_fma_f32 v70, -v70, v73, v72
	v_div_fmas_f32 v70, v70, v71, v73
	v_div_fixup_f32 v68, v70, v68, 1.0
.LBB114_767:
	s_or_b64 exec, exec, s[0:1]
	v_cmp_ne_u32_e32 vcc, v69, v66
	s_and_saveexec_b64 s[0:1], vcc
	s_xor_b64 s[0:1], exec, s[0:1]
	s_cbranch_execz .LBB114_773
; %bb.768:
	v_cmp_eq_u32_e32 vcc, 45, v69
	s_and_saveexec_b64 s[2:3], vcc
	s_cbranch_execz .LBB114_772
; %bb.769:
	v_cmp_ne_u32_e32 vcc, 45, v66
	s_xor_b64 s[12:13], s[20:21], -1
	s_and_b64 s[14:15], s[12:13], vcc
	s_and_saveexec_b64 s[12:13], s[14:15]
	s_cbranch_execz .LBB114_771
; %bb.770:
	v_ashrrev_i32_e32 v67, 31, v66
	v_lshl_add_u64 v[70:71], v[66:67], 2, v[4:5]
	global_load_dword v67, v[70:71], off
	global_load_dword v69, v[4:5], off offset:180
	s_waitcnt vmcnt(1)
	global_store_dword v[4:5], v67, off offset:180
	s_waitcnt vmcnt(1)
	global_store_dword v[70:71], v69, off
.LBB114_771:
	s_or_b64 exec, exec, s[12:13]
	v_mov_b32_e32 v67, v66
	v_mov_b32_e32 v69, v66
.LBB114_772:
	s_or_b64 exec, exec, s[2:3]
.LBB114_773:
	s_andn2_saveexec_b64 s[0:1], s[0:1]
	s_cbranch_execz .LBB114_775
; %bb.774:
	v_mov_b32_e32 v69, 45
	ds_write2_b32 v63, v8, v9 offset0:46 offset1:47
	ds_write2_b32 v63, v26, v27 offset0:48 offset1:49
	;; [unrolled: 1-line block ×6, first 2 shown]
.LBB114_775:
	s_or_b64 exec, exec, s[0:1]
	v_cmp_lt_i32_e32 vcc, 45, v69
	s_waitcnt lgkmcnt(0)
	s_barrier
	s_and_saveexec_b64 s[0:1], vcc
	s_cbranch_execz .LBB114_777
; %bb.776:
	ds_read2_b32 v[70:71], v63 offset0:46 offset1:47
	v_mul_f32_e32 v66, v68, v17
	ds_read2_b32 v[72:73], v63 offset0:48 offset1:49
	ds_read2_b32 v[74:75], v63 offset0:50 offset1:51
	ds_read2_b32 v[76:77], v63 offset0:52 offset1:53
	v_mov_b32_e32 v17, v66
	s_waitcnt lgkmcnt(2)
	v_pk_fma_f32 v[26:27], v[66:67], v[72:73], v[26:27] op_sel_hi:[0,1,1] neg_lo:[1,0,0] neg_hi:[1,0,0]
	v_pk_fma_f32 v[8:9], v[66:67], v[70:71], v[8:9] op_sel_hi:[0,1,1] neg_lo:[1,0,0] neg_hi:[1,0,0]
	ds_read2_b32 v[70:71], v63 offset0:54 offset1:55
	ds_read2_b32 v[78:79], v63 offset0:56 offset1:57
	s_waitcnt lgkmcnt(3)
	v_pk_fma_f32 v[18:19], v[66:67], v[74:75], v[18:19] op_sel_hi:[0,1,1] neg_lo:[1,0,0] neg_hi:[1,0,0]
	s_waitcnt lgkmcnt(2)
	v_pk_fma_f32 v[10:11], v[66:67], v[76:77], v[10:11] op_sel_hi:[0,1,1] neg_lo:[1,0,0] neg_hi:[1,0,0]
	;; [unrolled: 2-line block ×4, first 2 shown]
.LBB114_777:
	s_or_b64 exec, exec, s[0:1]
	v_lshl_add_u32 v66, v69, 2, v63
	s_barrier
	ds_write_b32 v66, v8
	s_waitcnt lgkmcnt(0)
	s_barrier
	ds_read_b32 v68, v63 offset:184
	s_cmp_lt_i32 s22, 48
	v_mov_b32_e32 v66, 46
	s_cbranch_scc1 .LBB114_780
; %bb.778:
	v_add_u32_e32 v70, 0xbc, v63
	v_mov_b32_e32 v66, 46
	s_mov_b32 s0, 47
.LBB114_779:                            ; =>This Inner Loop Header: Depth=1
	ds_read_b32 v71, v70
	v_mov_b32_e32 v72, s0
	s_add_i32 s0, s0, 1
	v_add_u32_e32 v70, 4, v70
	s_cmp_lg_u32 s22, s0
	s_waitcnt lgkmcnt(0)
	v_cmp_lt_f32_e64 vcc, |v68|, |v71|
	s_nop 1
	v_cndmask_b32_e32 v68, v68, v71, vcc
	v_cndmask_b32_e32 v66, v66, v72, vcc
	s_cbranch_scc1 .LBB114_779
.LBB114_780:
	s_waitcnt lgkmcnt(0)
	v_cmp_eq_f32_e32 vcc, 0, v68
	s_and_saveexec_b64 s[0:1], vcc
	s_xor_b64 s[0:1], exec, s[0:1]
; %bb.781:
	v_cmp_ne_u32_e32 vcc, 0, v65
	s_nop 1
	v_cndmask_b32_e32 v65, 47, v65, vcc
; %bb.782:
	s_andn2_saveexec_b64 s[0:1], s[0:1]
	s_cbranch_execz .LBB114_784
; %bb.783:
	v_div_scale_f32 v70, s[2:3], v68, v68, 1.0
	v_rcp_f32_e32 v71, v70
	v_div_scale_f32 v72, vcc, 1.0, v68, 1.0
	v_fma_f32 v73, -v70, v71, 1.0
	v_fmac_f32_e32 v71, v73, v71
	v_mul_f32_e32 v73, v72, v71
	v_fma_f32 v74, -v70, v73, v72
	v_fmac_f32_e32 v73, v74, v71
	v_fma_f32 v70, -v70, v73, v72
	v_div_fmas_f32 v70, v70, v71, v73
	v_div_fixup_f32 v68, v70, v68, 1.0
.LBB114_784:
	s_or_b64 exec, exec, s[0:1]
	v_cmp_ne_u32_e32 vcc, v69, v66
	s_and_saveexec_b64 s[0:1], vcc
	s_xor_b64 s[0:1], exec, s[0:1]
	s_cbranch_execz .LBB114_790
; %bb.785:
	v_cmp_eq_u32_e32 vcc, 46, v69
	s_and_saveexec_b64 s[2:3], vcc
	s_cbranch_execz .LBB114_789
; %bb.786:
	v_cmp_ne_u32_e32 vcc, 46, v66
	s_xor_b64 s[12:13], s[20:21], -1
	s_and_b64 s[14:15], s[12:13], vcc
	s_and_saveexec_b64 s[12:13], s[14:15]
	s_cbranch_execz .LBB114_788
; %bb.787:
	v_ashrrev_i32_e32 v67, 31, v66
	v_lshl_add_u64 v[70:71], v[66:67], 2, v[4:5]
	global_load_dword v67, v[70:71], off
	global_load_dword v69, v[4:5], off offset:184
	s_waitcnt vmcnt(1)
	global_store_dword v[4:5], v67, off offset:184
	s_waitcnt vmcnt(1)
	global_store_dword v[70:71], v69, off
.LBB114_788:
	s_or_b64 exec, exec, s[12:13]
	v_mov_b32_e32 v67, v66
	v_mov_b32_e32 v69, v66
.LBB114_789:
	s_or_b64 exec, exec, s[2:3]
.LBB114_790:
	s_andn2_saveexec_b64 s[0:1], s[0:1]
	s_cbranch_execz .LBB114_792
; %bb.791:
	v_pk_mov_b32 v[70:71], v[8:9], v[26:27] op_sel:[1,0]
	ds_write2_b32 v63, v70, v71 offset0:47 offset1:48
	v_pk_mov_b32 v[70:71], v[26:27], v[18:19] op_sel:[1,0]
	ds_write2_b32 v63, v70, v71 offset0:49 offset1:50
	v_pk_mov_b32 v[70:71], v[18:19], v[10:11] op_sel:[1,0]
	ds_write2_b32 v63, v70, v71 offset0:51 offset1:52
	v_pk_mov_b32 v[70:71], v[10:11], v[0:1] op_sel:[1,0]
	ds_write2_b32 v63, v70, v71 offset0:53 offset1:54
	v_pk_mov_b32 v[70:71], v[0:1], v[12:13] op_sel:[1,0]
	v_mov_b32_e32 v69, 46
	ds_write2_b32 v63, v70, v71 offset0:55 offset1:56
	ds_write_b32 v63, v13 offset:228
.LBB114_792:
	s_or_b64 exec, exec, s[0:1]
	v_cmp_lt_i32_e32 vcc, 46, v69
	s_waitcnt lgkmcnt(0)
	s_barrier
	s_and_saveexec_b64 s[0:1], vcc
	s_cbranch_execz .LBB114_794
; %bb.793:
	ds_read_b32 v66, v63 offset:188
	ds_read2_b32 v[70:71], v63 offset0:48 offset1:49
	ds_read2_b32 v[72:73], v63 offset0:50 offset1:51
	;; [unrolled: 1-line block ×5, first 2 shown]
	v_mul_f32_e32 v8, v68, v8
	s_waitcnt lgkmcnt(5)
	v_fma_f32 v9, -v8, v66, v9
	s_waitcnt lgkmcnt(4)
	v_pk_fma_f32 v[26:27], v[8:9], v[70:71], v[26:27] op_sel_hi:[0,1,1] neg_lo:[1,0,0] neg_hi:[1,0,0]
	s_waitcnt lgkmcnt(3)
	v_pk_fma_f32 v[18:19], v[8:9], v[72:73], v[18:19] op_sel_hi:[0,1,1] neg_lo:[1,0,0] neg_hi:[1,0,0]
	;; [unrolled: 2-line block ×5, first 2 shown]
.LBB114_794:
	s_or_b64 exec, exec, s[0:1]
	v_lshl_add_u32 v66, v69, 2, v63
	s_barrier
	ds_write_b32 v66, v9
	s_waitcnt lgkmcnt(0)
	s_barrier
	ds_read_b32 v68, v63 offset:188
	s_cmp_lt_i32 s22, 49
	v_mov_b32_e32 v66, 47
	s_cbranch_scc1 .LBB114_797
; %bb.795:
	v_add_u32_e32 v70, 0xc0, v63
	v_mov_b32_e32 v66, 47
	s_mov_b32 s0, 48
.LBB114_796:                            ; =>This Inner Loop Header: Depth=1
	ds_read_b32 v71, v70
	v_mov_b32_e32 v72, s0
	s_add_i32 s0, s0, 1
	v_add_u32_e32 v70, 4, v70
	s_cmp_lg_u32 s22, s0
	s_waitcnt lgkmcnt(0)
	v_cmp_lt_f32_e64 vcc, |v68|, |v71|
	s_nop 1
	v_cndmask_b32_e32 v68, v68, v71, vcc
	v_cndmask_b32_e32 v66, v66, v72, vcc
	s_cbranch_scc1 .LBB114_796
.LBB114_797:
	s_waitcnt lgkmcnt(0)
	v_cmp_eq_f32_e32 vcc, 0, v68
	s_and_saveexec_b64 s[0:1], vcc
	s_xor_b64 s[0:1], exec, s[0:1]
; %bb.798:
	v_cmp_ne_u32_e32 vcc, 0, v65
	s_nop 1
	v_cndmask_b32_e32 v65, 48, v65, vcc
; %bb.799:
	s_andn2_saveexec_b64 s[0:1], s[0:1]
	s_cbranch_execz .LBB114_801
; %bb.800:
	v_div_scale_f32 v70, s[2:3], v68, v68, 1.0
	v_rcp_f32_e32 v71, v70
	v_div_scale_f32 v72, vcc, 1.0, v68, 1.0
	v_fma_f32 v73, -v70, v71, 1.0
	v_fmac_f32_e32 v71, v73, v71
	v_mul_f32_e32 v73, v72, v71
	v_fma_f32 v74, -v70, v73, v72
	v_fmac_f32_e32 v73, v74, v71
	v_fma_f32 v70, -v70, v73, v72
	v_div_fmas_f32 v70, v70, v71, v73
	v_div_fixup_f32 v68, v70, v68, 1.0
.LBB114_801:
	s_or_b64 exec, exec, s[0:1]
	v_cmp_ne_u32_e32 vcc, v69, v66
	s_and_saveexec_b64 s[0:1], vcc
	s_xor_b64 s[0:1], exec, s[0:1]
	s_cbranch_execz .LBB114_807
; %bb.802:
	v_cmp_eq_u32_e32 vcc, 47, v69
	s_and_saveexec_b64 s[2:3], vcc
	s_cbranch_execz .LBB114_806
; %bb.803:
	v_cmp_ne_u32_e32 vcc, 47, v66
	s_xor_b64 s[12:13], s[20:21], -1
	s_and_b64 s[14:15], s[12:13], vcc
	s_and_saveexec_b64 s[12:13], s[14:15]
	s_cbranch_execz .LBB114_805
; %bb.804:
	v_ashrrev_i32_e32 v67, 31, v66
	v_lshl_add_u64 v[70:71], v[66:67], 2, v[4:5]
	global_load_dword v67, v[70:71], off
	global_load_dword v69, v[4:5], off offset:188
	s_waitcnt vmcnt(1)
	global_store_dword v[4:5], v67, off offset:188
	s_waitcnt vmcnt(1)
	global_store_dword v[70:71], v69, off
.LBB114_805:
	s_or_b64 exec, exec, s[12:13]
	v_mov_b32_e32 v67, v66
	v_mov_b32_e32 v69, v66
.LBB114_806:
	s_or_b64 exec, exec, s[2:3]
.LBB114_807:
	s_andn2_saveexec_b64 s[0:1], s[0:1]
	s_cbranch_execz .LBB114_809
; %bb.808:
	v_mov_b32_e32 v69, 47
	ds_write2_b32 v63, v26, v27 offset0:48 offset1:49
	ds_write2_b32 v63, v18, v19 offset0:50 offset1:51
	;; [unrolled: 1-line block ×5, first 2 shown]
.LBB114_809:
	s_or_b64 exec, exec, s[0:1]
	v_cmp_lt_i32_e32 vcc, 47, v69
	s_waitcnt lgkmcnt(0)
	s_barrier
	s_and_saveexec_b64 s[0:1], vcc
	s_cbranch_execz .LBB114_811
; %bb.810:
	ds_read2_b32 v[70:71], v63 offset0:48 offset1:49
	ds_read2_b32 v[72:73], v63 offset0:50 offset1:51
	;; [unrolled: 1-line block ×5, first 2 shown]
	v_mul_f32_e32 v66, v68, v9
	s_waitcnt lgkmcnt(4)
	v_pk_fma_f32 v[26:27], v[66:67], v[70:71], v[26:27] op_sel_hi:[0,1,1] neg_lo:[1,0,0] neg_hi:[1,0,0]
	s_waitcnt lgkmcnt(3)
	v_pk_fma_f32 v[18:19], v[66:67], v[72:73], v[18:19] op_sel_hi:[0,1,1] neg_lo:[1,0,0] neg_hi:[1,0,0]
	;; [unrolled: 2-line block ×5, first 2 shown]
	v_mov_b32_e32 v9, v66
.LBB114_811:
	s_or_b64 exec, exec, s[0:1]
	v_lshl_add_u32 v66, v69, 2, v63
	s_barrier
	ds_write_b32 v66, v26
	s_waitcnt lgkmcnt(0)
	s_barrier
	ds_read_b32 v68, v63 offset:192
	s_cmp_lt_i32 s22, 50
	v_mov_b32_e32 v66, 48
	s_cbranch_scc1 .LBB114_814
; %bb.812:
	v_add_u32_e32 v70, 0xc4, v63
	v_mov_b32_e32 v66, 48
	s_mov_b32 s0, 49
.LBB114_813:                            ; =>This Inner Loop Header: Depth=1
	ds_read_b32 v71, v70
	v_mov_b32_e32 v72, s0
	s_add_i32 s0, s0, 1
	v_add_u32_e32 v70, 4, v70
	s_cmp_lg_u32 s22, s0
	s_waitcnt lgkmcnt(0)
	v_cmp_lt_f32_e64 vcc, |v68|, |v71|
	s_nop 1
	v_cndmask_b32_e32 v68, v68, v71, vcc
	v_cndmask_b32_e32 v66, v66, v72, vcc
	s_cbranch_scc1 .LBB114_813
.LBB114_814:
	s_waitcnt lgkmcnt(0)
	v_cmp_eq_f32_e32 vcc, 0, v68
	s_and_saveexec_b64 s[0:1], vcc
	s_xor_b64 s[0:1], exec, s[0:1]
; %bb.815:
	v_cmp_ne_u32_e32 vcc, 0, v65
	s_nop 1
	v_cndmask_b32_e32 v65, 49, v65, vcc
; %bb.816:
	s_andn2_saveexec_b64 s[0:1], s[0:1]
	s_cbranch_execz .LBB114_818
; %bb.817:
	v_div_scale_f32 v70, s[2:3], v68, v68, 1.0
	v_rcp_f32_e32 v71, v70
	v_div_scale_f32 v72, vcc, 1.0, v68, 1.0
	v_fma_f32 v73, -v70, v71, 1.0
	v_fmac_f32_e32 v71, v73, v71
	v_mul_f32_e32 v73, v72, v71
	v_fma_f32 v74, -v70, v73, v72
	v_fmac_f32_e32 v73, v74, v71
	v_fma_f32 v70, -v70, v73, v72
	v_div_fmas_f32 v70, v70, v71, v73
	v_div_fixup_f32 v68, v70, v68, 1.0
.LBB114_818:
	s_or_b64 exec, exec, s[0:1]
	v_cmp_ne_u32_e32 vcc, v69, v66
	s_and_saveexec_b64 s[0:1], vcc
	s_xor_b64 s[0:1], exec, s[0:1]
	s_cbranch_execz .LBB114_824
; %bb.819:
	v_cmp_eq_u32_e32 vcc, 48, v69
	s_and_saveexec_b64 s[2:3], vcc
	s_cbranch_execz .LBB114_823
; %bb.820:
	v_cmp_ne_u32_e32 vcc, 48, v66
	s_xor_b64 s[12:13], s[20:21], -1
	s_and_b64 s[14:15], s[12:13], vcc
	s_and_saveexec_b64 s[12:13], s[14:15]
	s_cbranch_execz .LBB114_822
; %bb.821:
	v_ashrrev_i32_e32 v67, 31, v66
	v_lshl_add_u64 v[70:71], v[66:67], 2, v[4:5]
	global_load_dword v67, v[70:71], off
	global_load_dword v69, v[4:5], off offset:192
	s_waitcnt vmcnt(1)
	global_store_dword v[4:5], v67, off offset:192
	s_waitcnt vmcnt(1)
	global_store_dword v[70:71], v69, off
.LBB114_822:
	s_or_b64 exec, exec, s[12:13]
	v_mov_b32_e32 v67, v66
	v_mov_b32_e32 v69, v66
.LBB114_823:
	s_or_b64 exec, exec, s[2:3]
.LBB114_824:
	s_andn2_saveexec_b64 s[0:1], s[0:1]
	s_cbranch_execz .LBB114_826
; %bb.825:
	v_pk_mov_b32 v[70:71], v[26:27], v[18:19] op_sel:[1,0]
	ds_write2_b32 v63, v70, v71 offset0:49 offset1:50
	v_pk_mov_b32 v[70:71], v[18:19], v[10:11] op_sel:[1,0]
	ds_write2_b32 v63, v70, v71 offset0:51 offset1:52
	;; [unrolled: 2-line block ×3, first 2 shown]
	v_pk_mov_b32 v[70:71], v[0:1], v[12:13] op_sel:[1,0]
	v_mov_b32_e32 v69, 48
	ds_write2_b32 v63, v70, v71 offset0:55 offset1:56
	ds_write_b32 v63, v13 offset:228
.LBB114_826:
	s_or_b64 exec, exec, s[0:1]
	v_cmp_lt_i32_e32 vcc, 48, v69
	s_waitcnt lgkmcnt(0)
	s_barrier
	s_and_saveexec_b64 s[0:1], vcc
	s_cbranch_execz .LBB114_828
; %bb.827:
	ds_read_b32 v66, v63 offset:196
	ds_read2_b32 v[70:71], v63 offset0:50 offset1:51
	ds_read2_b32 v[72:73], v63 offset0:52 offset1:53
	;; [unrolled: 1-line block ×4, first 2 shown]
	v_mul_f32_e32 v26, v68, v26
	s_waitcnt lgkmcnt(4)
	v_fma_f32 v27, -v26, v66, v27
	s_waitcnt lgkmcnt(3)
	v_pk_fma_f32 v[18:19], v[26:27], v[70:71], v[18:19] op_sel_hi:[0,1,1] neg_lo:[1,0,0] neg_hi:[1,0,0]
	s_waitcnt lgkmcnt(2)
	v_pk_fma_f32 v[10:11], v[26:27], v[72:73], v[10:11] op_sel_hi:[0,1,1] neg_lo:[1,0,0] neg_hi:[1,0,0]
	;; [unrolled: 2-line block ×4, first 2 shown]
.LBB114_828:
	s_or_b64 exec, exec, s[0:1]
	v_lshl_add_u32 v66, v69, 2, v63
	s_barrier
	ds_write_b32 v66, v27
	s_waitcnt lgkmcnt(0)
	s_barrier
	ds_read_b32 v68, v63 offset:196
	s_cmp_lt_i32 s22, 51
	v_mov_b32_e32 v66, 49
	s_cbranch_scc1 .LBB114_831
; %bb.829:
	v_add_u32_e32 v70, 0xc8, v63
	v_mov_b32_e32 v66, 49
	s_mov_b32 s0, 50
.LBB114_830:                            ; =>This Inner Loop Header: Depth=1
	ds_read_b32 v71, v70
	v_mov_b32_e32 v72, s0
	s_add_i32 s0, s0, 1
	v_add_u32_e32 v70, 4, v70
	s_cmp_lg_u32 s22, s0
	s_waitcnt lgkmcnt(0)
	v_cmp_lt_f32_e64 vcc, |v68|, |v71|
	s_nop 1
	v_cndmask_b32_e32 v68, v68, v71, vcc
	v_cndmask_b32_e32 v66, v66, v72, vcc
	s_cbranch_scc1 .LBB114_830
.LBB114_831:
	s_waitcnt lgkmcnt(0)
	v_cmp_eq_f32_e32 vcc, 0, v68
	s_and_saveexec_b64 s[0:1], vcc
	s_xor_b64 s[0:1], exec, s[0:1]
; %bb.832:
	v_cmp_ne_u32_e32 vcc, 0, v65
	s_nop 1
	v_cndmask_b32_e32 v65, 50, v65, vcc
; %bb.833:
	s_andn2_saveexec_b64 s[0:1], s[0:1]
	s_cbranch_execz .LBB114_835
; %bb.834:
	v_div_scale_f32 v70, s[2:3], v68, v68, 1.0
	v_rcp_f32_e32 v71, v70
	v_div_scale_f32 v72, vcc, 1.0, v68, 1.0
	v_fma_f32 v73, -v70, v71, 1.0
	v_fmac_f32_e32 v71, v73, v71
	v_mul_f32_e32 v73, v72, v71
	v_fma_f32 v74, -v70, v73, v72
	v_fmac_f32_e32 v73, v74, v71
	v_fma_f32 v70, -v70, v73, v72
	v_div_fmas_f32 v70, v70, v71, v73
	v_div_fixup_f32 v68, v70, v68, 1.0
.LBB114_835:
	s_or_b64 exec, exec, s[0:1]
	v_cmp_ne_u32_e32 vcc, v69, v66
	s_and_saveexec_b64 s[0:1], vcc
	s_xor_b64 s[0:1], exec, s[0:1]
	s_cbranch_execz .LBB114_841
; %bb.836:
	v_cmp_eq_u32_e32 vcc, 49, v69
	s_and_saveexec_b64 s[2:3], vcc
	s_cbranch_execz .LBB114_840
; %bb.837:
	v_cmp_ne_u32_e32 vcc, 49, v66
	s_xor_b64 s[12:13], s[20:21], -1
	s_and_b64 s[14:15], s[12:13], vcc
	s_and_saveexec_b64 s[12:13], s[14:15]
	s_cbranch_execz .LBB114_839
; %bb.838:
	v_ashrrev_i32_e32 v67, 31, v66
	v_lshl_add_u64 v[70:71], v[66:67], 2, v[4:5]
	global_load_dword v67, v[70:71], off
	global_load_dword v69, v[4:5], off offset:196
	s_waitcnt vmcnt(1)
	global_store_dword v[4:5], v67, off offset:196
	s_waitcnt vmcnt(1)
	global_store_dword v[70:71], v69, off
.LBB114_839:
	s_or_b64 exec, exec, s[12:13]
	v_mov_b32_e32 v67, v66
	v_mov_b32_e32 v69, v66
.LBB114_840:
	s_or_b64 exec, exec, s[2:3]
.LBB114_841:
	s_andn2_saveexec_b64 s[0:1], s[0:1]
	s_cbranch_execz .LBB114_843
; %bb.842:
	v_mov_b32_e32 v69, 49
	ds_write2_b32 v63, v18, v19 offset0:50 offset1:51
	ds_write2_b32 v63, v10, v11 offset0:52 offset1:53
	;; [unrolled: 1-line block ×4, first 2 shown]
.LBB114_843:
	s_or_b64 exec, exec, s[0:1]
	v_cmp_lt_i32_e32 vcc, 49, v69
	s_waitcnt lgkmcnt(0)
	s_barrier
	s_and_saveexec_b64 s[0:1], vcc
	s_cbranch_execz .LBB114_845
; %bb.844:
	ds_read2_b32 v[70:71], v63 offset0:50 offset1:51
	ds_read2_b32 v[72:73], v63 offset0:52 offset1:53
	;; [unrolled: 1-line block ×4, first 2 shown]
	v_mul_f32_e32 v66, v68, v27
	s_waitcnt lgkmcnt(3)
	v_pk_fma_f32 v[18:19], v[66:67], v[70:71], v[18:19] op_sel_hi:[0,1,1] neg_lo:[1,0,0] neg_hi:[1,0,0]
	s_waitcnt lgkmcnt(2)
	v_pk_fma_f32 v[10:11], v[66:67], v[72:73], v[10:11] op_sel_hi:[0,1,1] neg_lo:[1,0,0] neg_hi:[1,0,0]
	;; [unrolled: 2-line block ×4, first 2 shown]
	v_mov_b32_e32 v27, v66
.LBB114_845:
	s_or_b64 exec, exec, s[0:1]
	v_lshl_add_u32 v66, v69, 2, v63
	s_barrier
	ds_write_b32 v66, v18
	s_waitcnt lgkmcnt(0)
	s_barrier
	ds_read_b32 v68, v63 offset:200
	s_cmp_lt_i32 s22, 52
	v_mov_b32_e32 v66, 50
	s_cbranch_scc1 .LBB114_848
; %bb.846:
	v_add_u32_e32 v70, 0xcc, v63
	v_mov_b32_e32 v66, 50
	s_mov_b32 s0, 51
.LBB114_847:                            ; =>This Inner Loop Header: Depth=1
	ds_read_b32 v71, v70
	v_mov_b32_e32 v72, s0
	s_add_i32 s0, s0, 1
	v_add_u32_e32 v70, 4, v70
	s_cmp_lg_u32 s22, s0
	s_waitcnt lgkmcnt(0)
	v_cmp_lt_f32_e64 vcc, |v68|, |v71|
	s_nop 1
	v_cndmask_b32_e32 v68, v68, v71, vcc
	v_cndmask_b32_e32 v66, v66, v72, vcc
	s_cbranch_scc1 .LBB114_847
.LBB114_848:
	s_waitcnt lgkmcnt(0)
	v_cmp_eq_f32_e32 vcc, 0, v68
	s_and_saveexec_b64 s[0:1], vcc
	s_xor_b64 s[0:1], exec, s[0:1]
; %bb.849:
	v_cmp_ne_u32_e32 vcc, 0, v65
	s_nop 1
	v_cndmask_b32_e32 v65, 51, v65, vcc
; %bb.850:
	s_andn2_saveexec_b64 s[0:1], s[0:1]
	s_cbranch_execz .LBB114_852
; %bb.851:
	v_div_scale_f32 v70, s[2:3], v68, v68, 1.0
	v_rcp_f32_e32 v71, v70
	v_div_scale_f32 v72, vcc, 1.0, v68, 1.0
	v_fma_f32 v73, -v70, v71, 1.0
	v_fmac_f32_e32 v71, v73, v71
	v_mul_f32_e32 v73, v72, v71
	v_fma_f32 v74, -v70, v73, v72
	v_fmac_f32_e32 v73, v74, v71
	v_fma_f32 v70, -v70, v73, v72
	v_div_fmas_f32 v70, v70, v71, v73
	v_div_fixup_f32 v68, v70, v68, 1.0
.LBB114_852:
	s_or_b64 exec, exec, s[0:1]
	v_cmp_ne_u32_e32 vcc, v69, v66
	s_and_saveexec_b64 s[0:1], vcc
	s_xor_b64 s[0:1], exec, s[0:1]
	s_cbranch_execz .LBB114_858
; %bb.853:
	v_cmp_eq_u32_e32 vcc, 50, v69
	s_and_saveexec_b64 s[2:3], vcc
	s_cbranch_execz .LBB114_857
; %bb.854:
	v_cmp_ne_u32_e32 vcc, 50, v66
	s_xor_b64 s[12:13], s[20:21], -1
	s_and_b64 s[14:15], s[12:13], vcc
	s_and_saveexec_b64 s[12:13], s[14:15]
	s_cbranch_execz .LBB114_856
; %bb.855:
	v_ashrrev_i32_e32 v67, 31, v66
	v_lshl_add_u64 v[70:71], v[66:67], 2, v[4:5]
	global_load_dword v67, v[70:71], off
	global_load_dword v69, v[4:5], off offset:200
	s_waitcnt vmcnt(1)
	global_store_dword v[4:5], v67, off offset:200
	s_waitcnt vmcnt(1)
	global_store_dword v[70:71], v69, off
.LBB114_856:
	s_or_b64 exec, exec, s[12:13]
	v_mov_b32_e32 v67, v66
	v_mov_b32_e32 v69, v66
.LBB114_857:
	s_or_b64 exec, exec, s[2:3]
.LBB114_858:
	s_andn2_saveexec_b64 s[0:1], s[0:1]
	s_cbranch_execz .LBB114_860
; %bb.859:
	v_pk_mov_b32 v[70:71], v[18:19], v[10:11] op_sel:[1,0]
	ds_write2_b32 v63, v70, v71 offset0:51 offset1:52
	v_pk_mov_b32 v[70:71], v[10:11], v[0:1] op_sel:[1,0]
	ds_write2_b32 v63, v70, v71 offset0:53 offset1:54
	v_pk_mov_b32 v[70:71], v[0:1], v[12:13] op_sel:[1,0]
	v_mov_b32_e32 v69, 50
	ds_write2_b32 v63, v70, v71 offset0:55 offset1:56
	ds_write_b32 v63, v13 offset:228
.LBB114_860:
	s_or_b64 exec, exec, s[0:1]
	v_cmp_lt_i32_e32 vcc, 50, v69
	s_waitcnt lgkmcnt(0)
	s_barrier
	s_and_saveexec_b64 s[0:1], vcc
	s_cbranch_execz .LBB114_862
; %bb.861:
	ds_read_b32 v66, v63 offset:204
	ds_read2_b32 v[70:71], v63 offset0:52 offset1:53
	ds_read2_b32 v[72:73], v63 offset0:54 offset1:55
	;; [unrolled: 1-line block ×3, first 2 shown]
	v_mul_f32_e32 v18, v68, v18
	s_waitcnt lgkmcnt(3)
	v_fma_f32 v19, -v18, v66, v19
	s_waitcnt lgkmcnt(2)
	v_pk_fma_f32 v[10:11], v[18:19], v[70:71], v[10:11] op_sel_hi:[0,1,1] neg_lo:[1,0,0] neg_hi:[1,0,0]
	s_waitcnt lgkmcnt(1)
	v_pk_fma_f32 v[0:1], v[18:19], v[72:73], v[0:1] op_sel_hi:[0,1,1] neg_lo:[1,0,0] neg_hi:[1,0,0]
	;; [unrolled: 2-line block ×3, first 2 shown]
.LBB114_862:
	s_or_b64 exec, exec, s[0:1]
	v_lshl_add_u32 v66, v69, 2, v63
	s_barrier
	ds_write_b32 v66, v19
	s_waitcnt lgkmcnt(0)
	s_barrier
	ds_read_b32 v68, v63 offset:204
	s_cmp_lt_i32 s22, 53
	v_mov_b32_e32 v66, 51
	s_cbranch_scc1 .LBB114_865
; %bb.863:
	v_add_u32_e32 v70, 0xd0, v63
	v_mov_b32_e32 v66, 51
	s_mov_b32 s0, 52
.LBB114_864:                            ; =>This Inner Loop Header: Depth=1
	ds_read_b32 v71, v70
	v_mov_b32_e32 v72, s0
	s_add_i32 s0, s0, 1
	v_add_u32_e32 v70, 4, v70
	s_cmp_lg_u32 s22, s0
	s_waitcnt lgkmcnt(0)
	v_cmp_lt_f32_e64 vcc, |v68|, |v71|
	s_nop 1
	v_cndmask_b32_e32 v68, v68, v71, vcc
	v_cndmask_b32_e32 v66, v66, v72, vcc
	s_cbranch_scc1 .LBB114_864
.LBB114_865:
	s_waitcnt lgkmcnt(0)
	v_cmp_eq_f32_e32 vcc, 0, v68
	s_and_saveexec_b64 s[0:1], vcc
	s_xor_b64 s[0:1], exec, s[0:1]
; %bb.866:
	v_cmp_ne_u32_e32 vcc, 0, v65
	s_nop 1
	v_cndmask_b32_e32 v65, 52, v65, vcc
; %bb.867:
	s_andn2_saveexec_b64 s[0:1], s[0:1]
	s_cbranch_execz .LBB114_869
; %bb.868:
	v_div_scale_f32 v70, s[2:3], v68, v68, 1.0
	v_rcp_f32_e32 v71, v70
	v_div_scale_f32 v72, vcc, 1.0, v68, 1.0
	v_fma_f32 v73, -v70, v71, 1.0
	v_fmac_f32_e32 v71, v73, v71
	v_mul_f32_e32 v73, v72, v71
	v_fma_f32 v74, -v70, v73, v72
	v_fmac_f32_e32 v73, v74, v71
	v_fma_f32 v70, -v70, v73, v72
	v_div_fmas_f32 v70, v70, v71, v73
	v_div_fixup_f32 v68, v70, v68, 1.0
.LBB114_869:
	s_or_b64 exec, exec, s[0:1]
	v_cmp_ne_u32_e32 vcc, v69, v66
	s_and_saveexec_b64 s[0:1], vcc
	s_xor_b64 s[0:1], exec, s[0:1]
	s_cbranch_execz .LBB114_875
; %bb.870:
	v_cmp_eq_u32_e32 vcc, 51, v69
	s_and_saveexec_b64 s[2:3], vcc
	s_cbranch_execz .LBB114_874
; %bb.871:
	v_cmp_ne_u32_e32 vcc, 51, v66
	s_xor_b64 s[12:13], s[20:21], -1
	s_and_b64 s[14:15], s[12:13], vcc
	s_and_saveexec_b64 s[12:13], s[14:15]
	s_cbranch_execz .LBB114_873
; %bb.872:
	v_ashrrev_i32_e32 v67, 31, v66
	v_lshl_add_u64 v[70:71], v[66:67], 2, v[4:5]
	global_load_dword v67, v[70:71], off
	global_load_dword v69, v[4:5], off offset:204
	s_waitcnt vmcnt(1)
	global_store_dword v[4:5], v67, off offset:204
	s_waitcnt vmcnt(1)
	global_store_dword v[70:71], v69, off
.LBB114_873:
	s_or_b64 exec, exec, s[12:13]
	v_mov_b32_e32 v67, v66
	v_mov_b32_e32 v69, v66
.LBB114_874:
	s_or_b64 exec, exec, s[2:3]
.LBB114_875:
	s_andn2_saveexec_b64 s[0:1], s[0:1]
	s_cbranch_execz .LBB114_877
; %bb.876:
	v_mov_b32_e32 v69, 51
	ds_write2_b32 v63, v10, v11 offset0:52 offset1:53
	ds_write2_b32 v63, v0, v1 offset0:54 offset1:55
	;; [unrolled: 1-line block ×3, first 2 shown]
.LBB114_877:
	s_or_b64 exec, exec, s[0:1]
	v_cmp_lt_i32_e32 vcc, 51, v69
	s_waitcnt lgkmcnt(0)
	s_barrier
	s_and_saveexec_b64 s[0:1], vcc
	s_cbranch_execz .LBB114_879
; %bb.878:
	ds_read2_b32 v[70:71], v63 offset0:52 offset1:53
	ds_read2_b32 v[72:73], v63 offset0:54 offset1:55
	;; [unrolled: 1-line block ×3, first 2 shown]
	v_mul_f32_e32 v66, v68, v19
	v_mov_b32_e32 v19, v66
	s_waitcnt lgkmcnt(2)
	v_pk_fma_f32 v[10:11], v[66:67], v[70:71], v[10:11] op_sel_hi:[0,1,1] neg_lo:[1,0,0] neg_hi:[1,0,0]
	s_waitcnt lgkmcnt(1)
	v_pk_fma_f32 v[0:1], v[66:67], v[72:73], v[0:1] op_sel_hi:[0,1,1] neg_lo:[1,0,0] neg_hi:[1,0,0]
	;; [unrolled: 2-line block ×3, first 2 shown]
.LBB114_879:
	s_or_b64 exec, exec, s[0:1]
	v_lshl_add_u32 v66, v69, 2, v63
	s_barrier
	ds_write_b32 v66, v10
	s_waitcnt lgkmcnt(0)
	s_barrier
	ds_read_b32 v68, v63 offset:208
	s_cmp_lt_i32 s22, 54
	v_mov_b32_e32 v66, 52
	s_cbranch_scc1 .LBB114_882
; %bb.880:
	v_add_u32_e32 v70, 0xd4, v63
	v_mov_b32_e32 v66, 52
	s_mov_b32 s0, 53
.LBB114_881:                            ; =>This Inner Loop Header: Depth=1
	ds_read_b32 v71, v70
	v_mov_b32_e32 v72, s0
	s_add_i32 s0, s0, 1
	v_add_u32_e32 v70, 4, v70
	s_cmp_lg_u32 s22, s0
	s_waitcnt lgkmcnt(0)
	v_cmp_lt_f32_e64 vcc, |v68|, |v71|
	s_nop 1
	v_cndmask_b32_e32 v68, v68, v71, vcc
	v_cndmask_b32_e32 v66, v66, v72, vcc
	s_cbranch_scc1 .LBB114_881
.LBB114_882:
	s_waitcnt lgkmcnt(0)
	v_cmp_eq_f32_e32 vcc, 0, v68
	s_and_saveexec_b64 s[0:1], vcc
	s_xor_b64 s[0:1], exec, s[0:1]
; %bb.883:
	v_cmp_ne_u32_e32 vcc, 0, v65
	s_nop 1
	v_cndmask_b32_e32 v65, 53, v65, vcc
; %bb.884:
	s_andn2_saveexec_b64 s[0:1], s[0:1]
	s_cbranch_execz .LBB114_886
; %bb.885:
	v_div_scale_f32 v70, s[2:3], v68, v68, 1.0
	v_rcp_f32_e32 v71, v70
	v_div_scale_f32 v72, vcc, 1.0, v68, 1.0
	v_fma_f32 v73, -v70, v71, 1.0
	v_fmac_f32_e32 v71, v73, v71
	v_mul_f32_e32 v73, v72, v71
	v_fma_f32 v74, -v70, v73, v72
	v_fmac_f32_e32 v73, v74, v71
	v_fma_f32 v70, -v70, v73, v72
	v_div_fmas_f32 v70, v70, v71, v73
	v_div_fixup_f32 v68, v70, v68, 1.0
.LBB114_886:
	s_or_b64 exec, exec, s[0:1]
	v_cmp_ne_u32_e32 vcc, v69, v66
	s_and_saveexec_b64 s[0:1], vcc
	s_xor_b64 s[0:1], exec, s[0:1]
	s_cbranch_execz .LBB114_892
; %bb.887:
	v_cmp_eq_u32_e32 vcc, 52, v69
	s_and_saveexec_b64 s[2:3], vcc
	s_cbranch_execz .LBB114_891
; %bb.888:
	v_cmp_ne_u32_e32 vcc, 52, v66
	s_xor_b64 s[12:13], s[20:21], -1
	s_and_b64 s[14:15], s[12:13], vcc
	s_and_saveexec_b64 s[12:13], s[14:15]
	s_cbranch_execz .LBB114_890
; %bb.889:
	v_ashrrev_i32_e32 v67, 31, v66
	v_lshl_add_u64 v[70:71], v[66:67], 2, v[4:5]
	global_load_dword v67, v[70:71], off
	global_load_dword v69, v[4:5], off offset:208
	s_waitcnt vmcnt(1)
	global_store_dword v[4:5], v67, off offset:208
	s_waitcnt vmcnt(1)
	global_store_dword v[70:71], v69, off
.LBB114_890:
	s_or_b64 exec, exec, s[12:13]
	v_mov_b32_e32 v67, v66
	v_mov_b32_e32 v69, v66
.LBB114_891:
	s_or_b64 exec, exec, s[2:3]
.LBB114_892:
	s_andn2_saveexec_b64 s[0:1], s[0:1]
	s_cbranch_execz .LBB114_894
; %bb.893:
	v_pk_mov_b32 v[70:71], v[10:11], v[0:1] op_sel:[1,0]
	ds_write2_b32 v63, v70, v71 offset0:53 offset1:54
	v_pk_mov_b32 v[70:71], v[0:1], v[12:13] op_sel:[1,0]
	v_mov_b32_e32 v69, 52
	ds_write2_b32 v63, v70, v71 offset0:55 offset1:56
	ds_write_b32 v63, v13 offset:228
.LBB114_894:
	s_or_b64 exec, exec, s[0:1]
	v_cmp_lt_i32_e32 vcc, 52, v69
	s_waitcnt lgkmcnt(0)
	s_barrier
	s_and_saveexec_b64 s[0:1], vcc
	s_cbranch_execz .LBB114_896
; %bb.895:
	ds_read_b32 v66, v63 offset:212
	ds_read2_b32 v[70:71], v63 offset0:54 offset1:55
	ds_read2_b32 v[72:73], v63 offset0:56 offset1:57
	v_mul_f32_e32 v10, v68, v10
	s_waitcnt lgkmcnt(2)
	v_fma_f32 v11, -v10, v66, v11
	s_waitcnt lgkmcnt(1)
	v_pk_fma_f32 v[0:1], v[10:11], v[70:71], v[0:1] op_sel_hi:[0,1,1] neg_lo:[1,0,0] neg_hi:[1,0,0]
	s_waitcnt lgkmcnt(0)
	v_pk_fma_f32 v[12:13], v[10:11], v[72:73], v[12:13] op_sel_hi:[0,1,1] neg_lo:[1,0,0] neg_hi:[1,0,0]
.LBB114_896:
	s_or_b64 exec, exec, s[0:1]
	v_lshl_add_u32 v66, v69, 2, v63
	s_barrier
	ds_write_b32 v66, v11
	s_waitcnt lgkmcnt(0)
	s_barrier
	ds_read_b32 v68, v63 offset:212
	s_cmp_lt_i32 s22, 55
	v_mov_b32_e32 v66, 53
	s_cbranch_scc1 .LBB114_899
; %bb.897:
	v_add_u32_e32 v70, 0xd8, v63
	v_mov_b32_e32 v66, 53
	s_mov_b32 s0, 54
.LBB114_898:                            ; =>This Inner Loop Header: Depth=1
	ds_read_b32 v71, v70
	v_mov_b32_e32 v72, s0
	s_add_i32 s0, s0, 1
	v_add_u32_e32 v70, 4, v70
	s_cmp_lg_u32 s22, s0
	s_waitcnt lgkmcnt(0)
	v_cmp_lt_f32_e64 vcc, |v68|, |v71|
	s_nop 1
	v_cndmask_b32_e32 v68, v68, v71, vcc
	v_cndmask_b32_e32 v66, v66, v72, vcc
	s_cbranch_scc1 .LBB114_898
.LBB114_899:
	s_waitcnt lgkmcnt(0)
	v_cmp_eq_f32_e32 vcc, 0, v68
	s_and_saveexec_b64 s[0:1], vcc
	s_xor_b64 s[0:1], exec, s[0:1]
; %bb.900:
	v_cmp_ne_u32_e32 vcc, 0, v65
	s_nop 1
	v_cndmask_b32_e32 v65, 54, v65, vcc
; %bb.901:
	s_andn2_saveexec_b64 s[0:1], s[0:1]
	s_cbranch_execz .LBB114_903
; %bb.902:
	v_div_scale_f32 v70, s[2:3], v68, v68, 1.0
	v_rcp_f32_e32 v71, v70
	v_div_scale_f32 v72, vcc, 1.0, v68, 1.0
	v_fma_f32 v73, -v70, v71, 1.0
	v_fmac_f32_e32 v71, v73, v71
	v_mul_f32_e32 v73, v72, v71
	v_fma_f32 v74, -v70, v73, v72
	v_fmac_f32_e32 v73, v74, v71
	v_fma_f32 v70, -v70, v73, v72
	v_div_fmas_f32 v70, v70, v71, v73
	v_div_fixup_f32 v68, v70, v68, 1.0
.LBB114_903:
	s_or_b64 exec, exec, s[0:1]
	v_cmp_ne_u32_e32 vcc, v69, v66
	s_and_saveexec_b64 s[0:1], vcc
	s_xor_b64 s[0:1], exec, s[0:1]
	s_cbranch_execz .LBB114_909
; %bb.904:
	v_cmp_eq_u32_e32 vcc, 53, v69
	s_and_saveexec_b64 s[2:3], vcc
	s_cbranch_execz .LBB114_908
; %bb.905:
	v_cmp_ne_u32_e32 vcc, 53, v66
	s_xor_b64 s[12:13], s[20:21], -1
	s_and_b64 s[14:15], s[12:13], vcc
	s_and_saveexec_b64 s[12:13], s[14:15]
	s_cbranch_execz .LBB114_907
; %bb.906:
	v_ashrrev_i32_e32 v67, 31, v66
	v_lshl_add_u64 v[70:71], v[66:67], 2, v[4:5]
	global_load_dword v67, v[70:71], off
	global_load_dword v69, v[4:5], off offset:212
	s_waitcnt vmcnt(1)
	global_store_dword v[4:5], v67, off offset:212
	s_waitcnt vmcnt(1)
	global_store_dword v[70:71], v69, off
.LBB114_907:
	s_or_b64 exec, exec, s[12:13]
	v_mov_b32_e32 v67, v66
	v_mov_b32_e32 v69, v66
.LBB114_908:
	s_or_b64 exec, exec, s[2:3]
.LBB114_909:
	s_andn2_saveexec_b64 s[0:1], s[0:1]
	s_cbranch_execz .LBB114_911
; %bb.910:
	v_mov_b32_e32 v69, 53
	ds_write2_b32 v63, v0, v1 offset0:54 offset1:55
	ds_write2_b32 v63, v12, v13 offset0:56 offset1:57
.LBB114_911:
	s_or_b64 exec, exec, s[0:1]
	v_cmp_lt_i32_e32 vcc, 53, v69
	s_waitcnt lgkmcnt(0)
	s_barrier
	s_and_saveexec_b64 s[0:1], vcc
	s_cbranch_execz .LBB114_913
; %bb.912:
	ds_read2_b32 v[70:71], v63 offset0:54 offset1:55
	ds_read2_b32 v[72:73], v63 offset0:56 offset1:57
	v_mul_f32_e32 v66, v68, v11
	v_mov_b32_e32 v11, v66
	s_waitcnt lgkmcnt(1)
	v_pk_fma_f32 v[0:1], v[66:67], v[70:71], v[0:1] op_sel_hi:[0,1,1] neg_lo:[1,0,0] neg_hi:[1,0,0]
	s_waitcnt lgkmcnt(0)
	v_pk_fma_f32 v[12:13], v[66:67], v[72:73], v[12:13] op_sel_hi:[0,1,1] neg_lo:[1,0,0] neg_hi:[1,0,0]
.LBB114_913:
	s_or_b64 exec, exec, s[0:1]
	v_lshl_add_u32 v66, v69, 2, v63
	s_barrier
	ds_write_b32 v66, v0
	s_waitcnt lgkmcnt(0)
	s_barrier
	ds_read_b32 v68, v63 offset:216
	s_cmp_lt_i32 s22, 56
	v_mov_b32_e32 v66, 54
	s_cbranch_scc1 .LBB114_916
; %bb.914:
	v_add_u32_e32 v70, 0xdc, v63
	v_mov_b32_e32 v66, 54
	s_mov_b32 s0, 55
.LBB114_915:                            ; =>This Inner Loop Header: Depth=1
	ds_read_b32 v71, v70
	v_mov_b32_e32 v72, s0
	s_add_i32 s0, s0, 1
	v_add_u32_e32 v70, 4, v70
	s_cmp_lg_u32 s22, s0
	s_waitcnt lgkmcnt(0)
	v_cmp_lt_f32_e64 vcc, |v68|, |v71|
	s_nop 1
	v_cndmask_b32_e32 v68, v68, v71, vcc
	v_cndmask_b32_e32 v66, v66, v72, vcc
	s_cbranch_scc1 .LBB114_915
.LBB114_916:
	s_waitcnt lgkmcnt(0)
	v_cmp_eq_f32_e32 vcc, 0, v68
	s_and_saveexec_b64 s[0:1], vcc
	s_xor_b64 s[0:1], exec, s[0:1]
; %bb.917:
	v_cmp_ne_u32_e32 vcc, 0, v65
	s_nop 1
	v_cndmask_b32_e32 v65, 55, v65, vcc
; %bb.918:
	s_andn2_saveexec_b64 s[0:1], s[0:1]
	s_cbranch_execz .LBB114_920
; %bb.919:
	v_div_scale_f32 v70, s[2:3], v68, v68, 1.0
	v_rcp_f32_e32 v71, v70
	v_div_scale_f32 v72, vcc, 1.0, v68, 1.0
	v_fma_f32 v73, -v70, v71, 1.0
	v_fmac_f32_e32 v71, v73, v71
	v_mul_f32_e32 v73, v72, v71
	v_fma_f32 v74, -v70, v73, v72
	v_fmac_f32_e32 v73, v74, v71
	v_fma_f32 v70, -v70, v73, v72
	v_div_fmas_f32 v70, v70, v71, v73
	v_div_fixup_f32 v68, v70, v68, 1.0
.LBB114_920:
	s_or_b64 exec, exec, s[0:1]
	v_cmp_ne_u32_e32 vcc, v69, v66
	s_and_saveexec_b64 s[0:1], vcc
	s_xor_b64 s[0:1], exec, s[0:1]
	s_cbranch_execz .LBB114_926
; %bb.921:
	v_cmp_eq_u32_e32 vcc, 54, v69
	s_and_saveexec_b64 s[2:3], vcc
	s_cbranch_execz .LBB114_925
; %bb.922:
	v_cmp_ne_u32_e32 vcc, 54, v66
	s_xor_b64 s[12:13], s[20:21], -1
	s_and_b64 s[14:15], s[12:13], vcc
	s_and_saveexec_b64 s[12:13], s[14:15]
	s_cbranch_execz .LBB114_924
; %bb.923:
	v_ashrrev_i32_e32 v67, 31, v66
	v_lshl_add_u64 v[70:71], v[66:67], 2, v[4:5]
	global_load_dword v67, v[70:71], off
	global_load_dword v69, v[4:5], off offset:216
	s_waitcnt vmcnt(1)
	global_store_dword v[4:5], v67, off offset:216
	s_waitcnt vmcnt(1)
	global_store_dword v[70:71], v69, off
.LBB114_924:
	s_or_b64 exec, exec, s[12:13]
	v_mov_b32_e32 v67, v66
	v_mov_b32_e32 v69, v66
.LBB114_925:
	s_or_b64 exec, exec, s[2:3]
.LBB114_926:
	s_andn2_saveexec_b64 s[0:1], s[0:1]
	s_cbranch_execz .LBB114_928
; %bb.927:
	v_pk_mov_b32 v[70:71], v[0:1], v[12:13] op_sel:[1,0]
	v_mov_b32_e32 v69, 54
	ds_write2_b32 v63, v70, v71 offset0:55 offset1:56
	ds_write_b32 v63, v13 offset:228
.LBB114_928:
	s_or_b64 exec, exec, s[0:1]
	v_cmp_lt_i32_e32 vcc, 54, v69
	s_waitcnt lgkmcnt(0)
	s_barrier
	s_and_saveexec_b64 s[0:1], vcc
	s_cbranch_execz .LBB114_930
; %bb.929:
	ds_read_b32 v66, v63 offset:220
	ds_read2_b32 v[70:71], v63 offset0:56 offset1:57
	v_mul_f32_e32 v0, v68, v0
	s_waitcnt lgkmcnt(1)
	v_fma_f32 v1, -v0, v66, v1
	s_waitcnt lgkmcnt(0)
	v_pk_fma_f32 v[12:13], v[0:1], v[70:71], v[12:13] op_sel_hi:[0,1,1] neg_lo:[1,0,0] neg_hi:[1,0,0]
.LBB114_930:
	s_or_b64 exec, exec, s[0:1]
	v_lshl_add_u32 v66, v69, 2, v63
	s_barrier
	ds_write_b32 v66, v1
	s_waitcnt lgkmcnt(0)
	s_barrier
	ds_read_b32 v68, v63 offset:220
	s_cmp_lt_i32 s22, 57
	v_mov_b32_e32 v66, 55
	s_cbranch_scc1 .LBB114_933
; %bb.931:
	v_add_u32_e32 v70, 0xe0, v63
	v_mov_b32_e32 v66, 55
	s_mov_b32 s0, 56
.LBB114_932:                            ; =>This Inner Loop Header: Depth=1
	ds_read_b32 v71, v70
	v_mov_b32_e32 v72, s0
	s_add_i32 s0, s0, 1
	v_add_u32_e32 v70, 4, v70
	s_cmp_lg_u32 s22, s0
	s_waitcnt lgkmcnt(0)
	v_cmp_lt_f32_e64 vcc, |v68|, |v71|
	s_nop 1
	v_cndmask_b32_e32 v68, v68, v71, vcc
	v_cndmask_b32_e32 v66, v66, v72, vcc
	s_cbranch_scc1 .LBB114_932
.LBB114_933:
	s_waitcnt lgkmcnt(0)
	v_cmp_eq_f32_e32 vcc, 0, v68
	s_and_saveexec_b64 s[0:1], vcc
	s_xor_b64 s[0:1], exec, s[0:1]
; %bb.934:
	v_cmp_ne_u32_e32 vcc, 0, v65
	s_nop 1
	v_cndmask_b32_e32 v65, 56, v65, vcc
; %bb.935:
	s_andn2_saveexec_b64 s[0:1], s[0:1]
	s_cbranch_execz .LBB114_937
; %bb.936:
	v_div_scale_f32 v70, s[2:3], v68, v68, 1.0
	v_rcp_f32_e32 v71, v70
	v_div_scale_f32 v72, vcc, 1.0, v68, 1.0
	v_fma_f32 v73, -v70, v71, 1.0
	v_fmac_f32_e32 v71, v73, v71
	v_mul_f32_e32 v73, v72, v71
	v_fma_f32 v74, -v70, v73, v72
	v_fmac_f32_e32 v73, v74, v71
	v_fma_f32 v70, -v70, v73, v72
	v_div_fmas_f32 v70, v70, v71, v73
	v_div_fixup_f32 v68, v70, v68, 1.0
.LBB114_937:
	s_or_b64 exec, exec, s[0:1]
	v_cmp_ne_u32_e32 vcc, v69, v66
	s_and_saveexec_b64 s[0:1], vcc
	s_xor_b64 s[0:1], exec, s[0:1]
	s_cbranch_execz .LBB114_943
; %bb.938:
	v_cmp_eq_u32_e32 vcc, 55, v69
	s_and_saveexec_b64 s[2:3], vcc
	s_cbranch_execz .LBB114_942
; %bb.939:
	v_cmp_ne_u32_e32 vcc, 55, v66
	s_xor_b64 s[12:13], s[20:21], -1
	s_and_b64 s[14:15], s[12:13], vcc
	s_and_saveexec_b64 s[12:13], s[14:15]
	s_cbranch_execz .LBB114_941
; %bb.940:
	v_ashrrev_i32_e32 v67, 31, v66
	v_lshl_add_u64 v[70:71], v[66:67], 2, v[4:5]
	global_load_dword v67, v[70:71], off
	global_load_dword v69, v[4:5], off offset:220
	s_waitcnt vmcnt(1)
	global_store_dword v[4:5], v67, off offset:220
	s_waitcnt vmcnt(1)
	global_store_dword v[70:71], v69, off
.LBB114_941:
	s_or_b64 exec, exec, s[12:13]
	v_mov_b32_e32 v67, v66
	v_mov_b32_e32 v69, v66
.LBB114_942:
	s_or_b64 exec, exec, s[2:3]
.LBB114_943:
	s_andn2_saveexec_b64 s[0:1], s[0:1]
; %bb.944:
	v_mov_b32_e32 v69, 55
	ds_write2_b32 v63, v12, v13 offset0:56 offset1:57
; %bb.945:
	s_or_b64 exec, exec, s[0:1]
	v_cmp_lt_i32_e32 vcc, 55, v69
	s_waitcnt lgkmcnt(0)
	s_barrier
	s_and_saveexec_b64 s[0:1], vcc
	s_cbranch_execz .LBB114_947
; %bb.946:
	ds_read2_b32 v[70:71], v63 offset0:56 offset1:57
	v_mul_f32_e32 v66, v68, v1
	v_mov_b32_e32 v1, v66
	s_waitcnt lgkmcnt(0)
	v_pk_fma_f32 v[12:13], v[66:67], v[70:71], v[12:13] op_sel_hi:[0,1,1] neg_lo:[1,0,0] neg_hi:[1,0,0]
.LBB114_947:
	s_or_b64 exec, exec, s[0:1]
	v_lshl_add_u32 v66, v69, 2, v63
	s_barrier
	ds_write_b32 v66, v12
	s_waitcnt lgkmcnt(0)
	s_barrier
	ds_read_b32 v68, v63 offset:224
	s_cmp_lt_i32 s22, 58
	v_mov_b32_e32 v66, 56
	s_cbranch_scc1 .LBB114_950
; %bb.948:
	v_add_u32_e32 v70, 0xe4, v63
	v_mov_b32_e32 v66, 56
	s_mov_b32 s0, 57
.LBB114_949:                            ; =>This Inner Loop Header: Depth=1
	ds_read_b32 v71, v70
	v_mov_b32_e32 v72, s0
	s_add_i32 s0, s0, 1
	v_add_u32_e32 v70, 4, v70
	s_cmp_lg_u32 s22, s0
	s_waitcnt lgkmcnt(0)
	v_cmp_lt_f32_e64 vcc, |v68|, |v71|
	s_nop 1
	v_cndmask_b32_e32 v68, v68, v71, vcc
	v_cndmask_b32_e32 v66, v66, v72, vcc
	s_cbranch_scc1 .LBB114_949
.LBB114_950:
	s_waitcnt lgkmcnt(0)
	v_cmp_eq_f32_e32 vcc, 0, v68
	s_and_saveexec_b64 s[0:1], vcc
	s_xor_b64 s[0:1], exec, s[0:1]
; %bb.951:
	v_cmp_ne_u32_e32 vcc, 0, v65
	s_nop 1
	v_cndmask_b32_e32 v65, 57, v65, vcc
; %bb.952:
	s_andn2_saveexec_b64 s[0:1], s[0:1]
	s_cbranch_execz .LBB114_954
; %bb.953:
	v_div_scale_f32 v70, s[2:3], v68, v68, 1.0
	v_rcp_f32_e32 v71, v70
	v_div_scale_f32 v72, vcc, 1.0, v68, 1.0
	v_fma_f32 v73, -v70, v71, 1.0
	v_fmac_f32_e32 v71, v73, v71
	v_mul_f32_e32 v73, v72, v71
	v_fma_f32 v74, -v70, v73, v72
	v_fmac_f32_e32 v73, v74, v71
	v_fma_f32 v70, -v70, v73, v72
	v_div_fmas_f32 v70, v70, v71, v73
	v_div_fixup_f32 v68, v70, v68, 1.0
.LBB114_954:
	s_or_b64 exec, exec, s[0:1]
	v_cmp_ne_u32_e32 vcc, v69, v66
	s_and_saveexec_b64 s[0:1], vcc
	s_xor_b64 s[0:1], exec, s[0:1]
	s_cbranch_execz .LBB114_960
; %bb.955:
	v_cmp_eq_u32_e32 vcc, 56, v69
	s_and_saveexec_b64 s[2:3], vcc
	s_cbranch_execz .LBB114_959
; %bb.956:
	v_cmp_ne_u32_e32 vcc, 56, v66
	s_xor_b64 s[12:13], s[20:21], -1
	s_and_b64 s[14:15], s[12:13], vcc
	s_and_saveexec_b64 s[12:13], s[14:15]
	s_cbranch_execz .LBB114_958
; %bb.957:
	v_ashrrev_i32_e32 v67, 31, v66
	v_lshl_add_u64 v[70:71], v[66:67], 2, v[4:5]
	global_load_dword v67, v[70:71], off
	global_load_dword v69, v[4:5], off offset:224
	s_waitcnt vmcnt(1)
	global_store_dword v[4:5], v67, off offset:224
	s_waitcnt vmcnt(1)
	global_store_dword v[70:71], v69, off
.LBB114_958:
	s_or_b64 exec, exec, s[12:13]
	v_mov_b32_e32 v67, v66
	v_mov_b32_e32 v69, v66
.LBB114_959:
	s_or_b64 exec, exec, s[2:3]
.LBB114_960:
	s_andn2_saveexec_b64 s[0:1], s[0:1]
; %bb.961:
	v_mov_b32_e32 v69, 56
	ds_write_b32 v63, v13 offset:228
; %bb.962:
	s_or_b64 exec, exec, s[0:1]
	v_cmp_lt_i32_e32 vcc, 56, v69
	s_waitcnt lgkmcnt(0)
	s_barrier
	s_and_saveexec_b64 s[0:1], vcc
	s_cbranch_execz .LBB114_964
; %bb.963:
	ds_read_b32 v66, v63 offset:228
	v_mul_f32_e32 v12, v68, v12
	s_waitcnt lgkmcnt(0)
	v_fma_f32 v13, -v12, v66, v13
.LBB114_964:
	s_or_b64 exec, exec, s[0:1]
	v_lshl_add_u32 v66, v69, 2, v63
	s_barrier
	ds_write_b32 v66, v13
	s_waitcnt lgkmcnt(0)
	s_barrier
	ds_read_b32 v70, v63 offset:228
	s_cmp_lt_i32 s22, 59
	v_mov_b32_e32 v66, 57
	s_cbranch_scc1 .LBB114_967
; %bb.965:
	v_add_u32_e32 v63, 0xe8, v63
	v_mov_b32_e32 v66, 57
	s_mov_b32 s0, 58
.LBB114_966:                            ; =>This Inner Loop Header: Depth=1
	ds_read_b32 v68, v63
	v_mov_b32_e32 v71, s0
	s_add_i32 s0, s0, 1
	v_add_u32_e32 v63, 4, v63
	s_cmp_lg_u32 s22, s0
	s_waitcnt lgkmcnt(0)
	v_cmp_lt_f32_e64 vcc, |v70|, |v68|
	s_nop 1
	v_cndmask_b32_e32 v70, v70, v68, vcc
	v_cndmask_b32_e32 v66, v66, v71, vcc
	s_cbranch_scc1 .LBB114_966
.LBB114_967:
	s_waitcnt lgkmcnt(0)
	v_cmp_eq_f32_e32 vcc, 0, v70
	s_and_saveexec_b64 s[0:1], vcc
	s_xor_b64 s[0:1], exec, s[0:1]
; %bb.968:
	v_cmp_ne_u32_e32 vcc, 0, v65
	s_nop 1
	v_cndmask_b32_e32 v65, 58, v65, vcc
; %bb.969:
	s_andn2_saveexec_b64 s[0:1], s[0:1]
	s_cbranch_execz .LBB114_971
; %bb.970:
	v_div_scale_f32 v63, s[2:3], v70, v70, 1.0
	v_rcp_f32_e32 v68, v63
	v_div_scale_f32 v71, vcc, 1.0, v70, 1.0
	v_fma_f32 v72, -v63, v68, 1.0
	v_fmac_f32_e32 v68, v72, v68
	v_mul_f32_e32 v72, v71, v68
	v_fma_f32 v73, -v63, v72, v71
	v_fmac_f32_e32 v72, v73, v68
	v_fma_f32 v63, -v63, v72, v71
	v_div_fmas_f32 v63, v63, v68, v72
	v_div_fixup_f32 v70, v63, v70, 1.0
.LBB114_971:
	s_or_b64 exec, exec, s[0:1]
	v_cmp_ne_u32_e32 vcc, v69, v66
	v_mov_b32_e32 v68, 57
	s_and_saveexec_b64 s[0:1], vcc
	s_cbranch_execz .LBB114_977
; %bb.972:
	v_cmp_eq_u32_e32 vcc, 57, v69
	s_and_saveexec_b64 s[2:3], vcc
	s_cbranch_execz .LBB114_976
; %bb.973:
	v_cmp_ne_u32_e32 vcc, 57, v66
	s_xor_b64 s[12:13], s[20:21], -1
	s_and_b64 s[14:15], s[12:13], vcc
	s_and_saveexec_b64 s[12:13], s[14:15]
	s_cbranch_execz .LBB114_975
; %bb.974:
	v_ashrrev_i32_e32 v67, 31, v66
	v_lshl_add_u64 v[68:69], v[66:67], 2, v[4:5]
	global_load_dword v63, v[68:69], off
	global_load_dword v67, v[4:5], off offset:228
	s_waitcnt vmcnt(1)
	global_store_dword v[4:5], v63, off offset:228
	s_waitcnt vmcnt(1)
	global_store_dword v[68:69], v67, off
.LBB114_975:
	s_or_b64 exec, exec, s[12:13]
	v_mov_b32_e32 v67, v66
	v_mov_b32_e32 v69, v66
.LBB114_976:
	s_or_b64 exec, exec, s[2:3]
	v_mov_b32_e32 v68, v69
.LBB114_977:
	s_or_b64 exec, exec, s[0:1]
	v_cmp_gt_i32_e32 vcc, 58, v68
	v_ashrrev_i32_e32 v69, 31, v68
	s_barrier
	s_barrier
	s_and_saveexec_b64 s[0:1], vcc
	s_cbranch_execz .LBB114_979
; %bb.978:
	v_mul_lo_u32 v63, s11, v2
	v_mul_lo_u32 v66, s10, v3
	v_mad_u64_u32 v[72:73], s[2:3], s10, v2, 0
	v_mov_b32_e32 v4, s6
	v_mov_b32_e32 v5, s7
	v_add3_u32 v73, v73, v66, v63
	v_lshl_add_u64 v[4:5], v[72:73], 2, v[4:5]
	v_lshl_add_u64 v[4:5], s[8:9], 2, v[4:5]
	;; [unrolled: 1-line block ×3, first 2 shown]
	v_add3_u32 v63, v67, s19, 1
	global_store_dword v[4:5], v63, off
.LBB114_979:
	s_or_b64 exec, exec, s[0:1]
	v_cmp_eq_u32_e32 vcc, 0, v68
	s_and_saveexec_b64 s[2:3], vcc
	s_cbranch_execz .LBB114_982
; %bb.980:
	v_mov_b32_e32 v4, s4
	v_mov_b32_e32 v5, s5
	v_lshl_add_u64 v[2:3], v[2:3], 2, v[4:5]
	global_load_dword v4, v[2:3], off
	v_cmp_ne_u32_e64 s[0:1], 0, v65
	s_waitcnt vmcnt(0)
	v_cmp_eq_u32_e32 vcc, 0, v4
	s_and_b64 s[0:1], vcc, s[0:1]
	s_and_b64 exec, exec, s[0:1]
	s_cbranch_execz .LBB114_982
; %bb.981:
	v_add_u32_e32 v4, s19, v65
	global_store_dword v[2:3], v4, off
.LBB114_982:
	s_or_b64 exec, exec, s[2:3]
	v_mul_f32_e32 v2, v70, v13
	v_cmp_lt_i32_e32 vcc, 57, v68
	s_nop 1
	v_cndmask_b32_e32 v13, v13, v2, vcc
	v_lshl_add_u64 v[2:3], v[68:69], 2, v[6:7]
	global_store_dword v[2:3], v62, off
	v_lshl_add_u64 v[2:3], s[16:17], 2, v[2:3]
	global_store_dword v[2:3], v64, off
	v_add_u32_e32 v2, s18, v68
	v_ashrrev_i32_e32 v3, 31, v2
	v_lshl_add_u64 v[4:5], v[2:3], 2, v[6:7]
	v_add_u32_e32 v2, s16, v2
	v_ashrrev_i32_e32 v3, 31, v2
	global_store_dword v[4:5], v60, off
	v_lshl_add_u64 v[4:5], v[2:3], 2, v[6:7]
	v_add_u32_e32 v2, s16, v2
	v_ashrrev_i32_e32 v3, 31, v2
	global_store_dword v[4:5], v61, off
	v_lshl_add_u64 v[4:5], v[2:3], 2, v[6:7]
	v_add_u32_e32 v2, s16, v2
	v_ashrrev_i32_e32 v3, 31, v2
	global_store_dword v[4:5], v58, off
	v_lshl_add_u64 v[4:5], v[2:3], 2, v[6:7]
	v_add_u32_e32 v2, s16, v2
	v_ashrrev_i32_e32 v3, 31, v2
	global_store_dword v[4:5], v59, off
	v_lshl_add_u64 v[4:5], v[2:3], 2, v[6:7]
	v_add_u32_e32 v2, s16, v2
	v_ashrrev_i32_e32 v3, 31, v2
	global_store_dword v[4:5], v56, off
	v_lshl_add_u64 v[4:5], v[2:3], 2, v[6:7]
	v_add_u32_e32 v2, s16, v2
	v_ashrrev_i32_e32 v3, 31, v2
	global_store_dword v[4:5], v57, off
	v_lshl_add_u64 v[4:5], v[2:3], 2, v[6:7]
	v_add_u32_e32 v2, s16, v2
	v_ashrrev_i32_e32 v3, 31, v2
	global_store_dword v[4:5], v54, off
	v_lshl_add_u64 v[4:5], v[2:3], 2, v[6:7]
	v_add_u32_e32 v2, s16, v2
	v_ashrrev_i32_e32 v3, 31, v2
	global_store_dword v[4:5], v55, off
	v_lshl_add_u64 v[4:5], v[2:3], 2, v[6:7]
	v_add_u32_e32 v2, s16, v2
	v_ashrrev_i32_e32 v3, 31, v2
	global_store_dword v[4:5], v50, off
	v_lshl_add_u64 v[4:5], v[2:3], 2, v[6:7]
	v_add_u32_e32 v2, s16, v2
	v_ashrrev_i32_e32 v3, 31, v2
	global_store_dword v[4:5], v51, off
	v_lshl_add_u64 v[4:5], v[2:3], 2, v[6:7]
	v_add_u32_e32 v2, s16, v2
	v_ashrrev_i32_e32 v3, 31, v2
	global_store_dword v[4:5], v44, off
	v_lshl_add_u64 v[4:5], v[2:3], 2, v[6:7]
	v_add_u32_e32 v2, s16, v2
	v_ashrrev_i32_e32 v3, 31, v2
	global_store_dword v[4:5], v45, off
	v_lshl_add_u64 v[4:5], v[2:3], 2, v[6:7]
	v_add_u32_e32 v2, s16, v2
	v_ashrrev_i32_e32 v3, 31, v2
	global_store_dword v[4:5], v36, off
	v_lshl_add_u64 v[4:5], v[2:3], 2, v[6:7]
	v_add_u32_e32 v2, s16, v2
	v_ashrrev_i32_e32 v3, 31, v2
	global_store_dword v[4:5], v37, off
	v_lshl_add_u64 v[4:5], v[2:3], 2, v[6:7]
	v_add_u32_e32 v2, s16, v2
	v_ashrrev_i32_e32 v3, 31, v2
	global_store_dword v[4:5], v52, off
	v_lshl_add_u64 v[4:5], v[2:3], 2, v[6:7]
	v_add_u32_e32 v2, s16, v2
	v_ashrrev_i32_e32 v3, 31, v2
	global_store_dword v[4:5], v53, off
	v_lshl_add_u64 v[4:5], v[2:3], 2, v[6:7]
	v_add_u32_e32 v2, s16, v2
	v_ashrrev_i32_e32 v3, 31, v2
	global_store_dword v[4:5], v46, off
	v_lshl_add_u64 v[4:5], v[2:3], 2, v[6:7]
	v_add_u32_e32 v2, s16, v2
	v_ashrrev_i32_e32 v3, 31, v2
	global_store_dword v[4:5], v47, off
	v_lshl_add_u64 v[4:5], v[2:3], 2, v[6:7]
	v_add_u32_e32 v2, s16, v2
	v_ashrrev_i32_e32 v3, 31, v2
	global_store_dword v[4:5], v38, off
	v_lshl_add_u64 v[4:5], v[2:3], 2, v[6:7]
	v_add_u32_e32 v2, s16, v2
	v_ashrrev_i32_e32 v3, 31, v2
	global_store_dword v[4:5], v39, off
	v_lshl_add_u64 v[4:5], v[2:3], 2, v[6:7]
	v_add_u32_e32 v2, s16, v2
	v_ashrrev_i32_e32 v3, 31, v2
	global_store_dword v[4:5], v28, off
	v_lshl_add_u64 v[4:5], v[2:3], 2, v[6:7]
	v_add_u32_e32 v2, s16, v2
	v_ashrrev_i32_e32 v3, 31, v2
	global_store_dword v[4:5], v29, off
	v_lshl_add_u64 v[4:5], v[2:3], 2, v[6:7]
	v_add_u32_e32 v2, s16, v2
	v_ashrrev_i32_e32 v3, 31, v2
	global_store_dword v[4:5], v48, off
	v_lshl_add_u64 v[4:5], v[2:3], 2, v[6:7]
	v_add_u32_e32 v2, s16, v2
	v_ashrrev_i32_e32 v3, 31, v2
	global_store_dword v[4:5], v49, off
	v_lshl_add_u64 v[4:5], v[2:3], 2, v[6:7]
	v_add_u32_e32 v2, s16, v2
	v_ashrrev_i32_e32 v3, 31, v2
	global_store_dword v[4:5], v40, off
	v_lshl_add_u64 v[4:5], v[2:3], 2, v[6:7]
	v_add_u32_e32 v2, s16, v2
	v_ashrrev_i32_e32 v3, 31, v2
	global_store_dword v[4:5], v41, off
	v_lshl_add_u64 v[4:5], v[2:3], 2, v[6:7]
	v_add_u32_e32 v2, s16, v2
	v_ashrrev_i32_e32 v3, 31, v2
	global_store_dword v[4:5], v30, off
	v_lshl_add_u64 v[4:5], v[2:3], 2, v[6:7]
	v_add_u32_e32 v2, s16, v2
	v_ashrrev_i32_e32 v3, 31, v2
	global_store_dword v[4:5], v31, off
	v_lshl_add_u64 v[4:5], v[2:3], 2, v[6:7]
	v_add_u32_e32 v2, s16, v2
	v_ashrrev_i32_e32 v3, 31, v2
	global_store_dword v[4:5], v20, off
	v_lshl_add_u64 v[4:5], v[2:3], 2, v[6:7]
	v_add_u32_e32 v2, s16, v2
	v_ashrrev_i32_e32 v3, 31, v2
	global_store_dword v[4:5], v21, off
	v_lshl_add_u64 v[4:5], v[2:3], 2, v[6:7]
	v_add_u32_e32 v2, s16, v2
	v_ashrrev_i32_e32 v3, 31, v2
	global_store_dword v[4:5], v42, off
	v_lshl_add_u64 v[4:5], v[2:3], 2, v[6:7]
	v_add_u32_e32 v2, s16, v2
	v_ashrrev_i32_e32 v3, 31, v2
	global_store_dword v[4:5], v43, off
	v_lshl_add_u64 v[4:5], v[2:3], 2, v[6:7]
	v_add_u32_e32 v2, s16, v2
	v_ashrrev_i32_e32 v3, 31, v2
	global_store_dword v[4:5], v32, off
	v_lshl_add_u64 v[4:5], v[2:3], 2, v[6:7]
	v_add_u32_e32 v2, s16, v2
	v_ashrrev_i32_e32 v3, 31, v2
	global_store_dword v[4:5], v33, off
	v_lshl_add_u64 v[4:5], v[2:3], 2, v[6:7]
	v_add_u32_e32 v2, s16, v2
	v_ashrrev_i32_e32 v3, 31, v2
	global_store_dword v[4:5], v22, off
	v_lshl_add_u64 v[4:5], v[2:3], 2, v[6:7]
	v_add_u32_e32 v2, s16, v2
	v_ashrrev_i32_e32 v3, 31, v2
	global_store_dword v[4:5], v23, off
	v_lshl_add_u64 v[4:5], v[2:3], 2, v[6:7]
	v_add_u32_e32 v2, s16, v2
	v_ashrrev_i32_e32 v3, 31, v2
	global_store_dword v[4:5], v14, off
	v_lshl_add_u64 v[4:5], v[2:3], 2, v[6:7]
	v_add_u32_e32 v2, s16, v2
	v_ashrrev_i32_e32 v3, 31, v2
	global_store_dword v[4:5], v15, off
	v_lshl_add_u64 v[4:5], v[2:3], 2, v[6:7]
	v_add_u32_e32 v2, s16, v2
	v_ashrrev_i32_e32 v3, 31, v2
	global_store_dword v[4:5], v34, off
	v_lshl_add_u64 v[4:5], v[2:3], 2, v[6:7]
	v_add_u32_e32 v2, s16, v2
	v_ashrrev_i32_e32 v3, 31, v2
	global_store_dword v[4:5], v35, off
	v_lshl_add_u64 v[4:5], v[2:3], 2, v[6:7]
	v_add_u32_e32 v2, s16, v2
	v_ashrrev_i32_e32 v3, 31, v2
	global_store_dword v[4:5], v24, off
	v_lshl_add_u64 v[4:5], v[2:3], 2, v[6:7]
	v_add_u32_e32 v2, s16, v2
	v_ashrrev_i32_e32 v3, 31, v2
	global_store_dword v[4:5], v25, off
	v_lshl_add_u64 v[4:5], v[2:3], 2, v[6:7]
	v_add_u32_e32 v2, s16, v2
	v_ashrrev_i32_e32 v3, 31, v2
	global_store_dword v[4:5], v16, off
	v_lshl_add_u64 v[4:5], v[2:3], 2, v[6:7]
	v_add_u32_e32 v2, s16, v2
	v_ashrrev_i32_e32 v3, 31, v2
	global_store_dword v[4:5], v17, off
	v_lshl_add_u64 v[4:5], v[2:3], 2, v[6:7]
	v_add_u32_e32 v2, s16, v2
	v_ashrrev_i32_e32 v3, 31, v2
	global_store_dword v[4:5], v8, off
	v_lshl_add_u64 v[4:5], v[2:3], 2, v[6:7]
	v_add_u32_e32 v2, s16, v2
	v_ashrrev_i32_e32 v3, 31, v2
	global_store_dword v[4:5], v9, off
	v_lshl_add_u64 v[4:5], v[2:3], 2, v[6:7]
	v_add_u32_e32 v2, s16, v2
	v_ashrrev_i32_e32 v3, 31, v2
	global_store_dword v[4:5], v26, off
	v_lshl_add_u64 v[4:5], v[2:3], 2, v[6:7]
	v_add_u32_e32 v2, s16, v2
	v_ashrrev_i32_e32 v3, 31, v2
	global_store_dword v[4:5], v27, off
	v_lshl_add_u64 v[4:5], v[2:3], 2, v[6:7]
	v_add_u32_e32 v2, s16, v2
	v_ashrrev_i32_e32 v3, 31, v2
	global_store_dword v[4:5], v18, off
	v_lshl_add_u64 v[4:5], v[2:3], 2, v[6:7]
	v_add_u32_e32 v2, s16, v2
	v_ashrrev_i32_e32 v3, 31, v2
	global_store_dword v[4:5], v19, off
	v_lshl_add_u64 v[4:5], v[2:3], 2, v[6:7]
	v_add_u32_e32 v2, s16, v2
	v_ashrrev_i32_e32 v3, 31, v2
	global_store_dword v[4:5], v10, off
	v_lshl_add_u64 v[4:5], v[2:3], 2, v[6:7]
	v_add_u32_e32 v2, s16, v2
	v_ashrrev_i32_e32 v3, 31, v2
	global_store_dword v[4:5], v11, off
	v_lshl_add_u64 v[4:5], v[2:3], 2, v[6:7]
	v_add_u32_e32 v2, s16, v2
	v_ashrrev_i32_e32 v3, 31, v2
	global_store_dword v[4:5], v0, off
	v_lshl_add_u64 v[4:5], v[2:3], 2, v[6:7]
	v_add_u32_e32 v0, s16, v2
	global_store_dword v[4:5], v1, off
	v_ashrrev_i32_e32 v1, 31, v0
	v_lshl_add_u64 v[2:3], v[0:1], 2, v[6:7]
	v_add_u32_e32 v0, s16, v0
	v_ashrrev_i32_e32 v1, 31, v0
	v_lshl_add_u64 v[0:1], v[0:1], 2, v[6:7]
	global_store_dword v[2:3], v12, off
	global_store_dword v[0:1], v13, off
.LBB114_983:
	s_endpgm
	.section	.rodata,"a",@progbits
	.p2align	6, 0x0
	.amdhsa_kernel _ZN9rocsolver6v33100L18getf2_small_kernelILi58EfiiPfEEvT1_T3_lS3_lPS3_llPT2_S3_S3_S5_l
		.amdhsa_group_segment_fixed_size 0
		.amdhsa_private_segment_fixed_size 0
		.amdhsa_kernarg_size 352
		.amdhsa_user_sgpr_count 2
		.amdhsa_user_sgpr_dispatch_ptr 0
		.amdhsa_user_sgpr_queue_ptr 0
		.amdhsa_user_sgpr_kernarg_segment_ptr 1
		.amdhsa_user_sgpr_dispatch_id 0
		.amdhsa_user_sgpr_kernarg_preload_length 0
		.amdhsa_user_sgpr_kernarg_preload_offset 0
		.amdhsa_user_sgpr_private_segment_size 0
		.amdhsa_uses_dynamic_stack 0
		.amdhsa_enable_private_segment 0
		.amdhsa_system_sgpr_workgroup_id_x 1
		.amdhsa_system_sgpr_workgroup_id_y 1
		.amdhsa_system_sgpr_workgroup_id_z 0
		.amdhsa_system_sgpr_workgroup_info 0
		.amdhsa_system_vgpr_workitem_id 1
		.amdhsa_next_free_vgpr 86
		.amdhsa_next_free_sgpr 26
		.amdhsa_accum_offset 88
		.amdhsa_reserve_vcc 1
		.amdhsa_float_round_mode_32 0
		.amdhsa_float_round_mode_16_64 0
		.amdhsa_float_denorm_mode_32 3
		.amdhsa_float_denorm_mode_16_64 3
		.amdhsa_dx10_clamp 1
		.amdhsa_ieee_mode 1
		.amdhsa_fp16_overflow 0
		.amdhsa_tg_split 0
		.amdhsa_exception_fp_ieee_invalid_op 0
		.amdhsa_exception_fp_denorm_src 0
		.amdhsa_exception_fp_ieee_div_zero 0
		.amdhsa_exception_fp_ieee_overflow 0
		.amdhsa_exception_fp_ieee_underflow 0
		.amdhsa_exception_fp_ieee_inexact 0
		.amdhsa_exception_int_div_zero 0
	.end_amdhsa_kernel
	.section	.text._ZN9rocsolver6v33100L18getf2_small_kernelILi58EfiiPfEEvT1_T3_lS3_lPS3_llPT2_S3_S3_S5_l,"axG",@progbits,_ZN9rocsolver6v33100L18getf2_small_kernelILi58EfiiPfEEvT1_T3_lS3_lPS3_llPT2_S3_S3_S5_l,comdat
.Lfunc_end114:
	.size	_ZN9rocsolver6v33100L18getf2_small_kernelILi58EfiiPfEEvT1_T3_lS3_lPS3_llPT2_S3_S3_S5_l, .Lfunc_end114-_ZN9rocsolver6v33100L18getf2_small_kernelILi58EfiiPfEEvT1_T3_lS3_lPS3_llPT2_S3_S3_S5_l
                                        ; -- End function
	.set _ZN9rocsolver6v33100L18getf2_small_kernelILi58EfiiPfEEvT1_T3_lS3_lPS3_llPT2_S3_S3_S5_l.num_vgpr, 86
	.set _ZN9rocsolver6v33100L18getf2_small_kernelILi58EfiiPfEEvT1_T3_lS3_lPS3_llPT2_S3_S3_S5_l.num_agpr, 0
	.set _ZN9rocsolver6v33100L18getf2_small_kernelILi58EfiiPfEEvT1_T3_lS3_lPS3_llPT2_S3_S3_S5_l.numbered_sgpr, 26
	.set _ZN9rocsolver6v33100L18getf2_small_kernelILi58EfiiPfEEvT1_T3_lS3_lPS3_llPT2_S3_S3_S5_l.num_named_barrier, 0
	.set _ZN9rocsolver6v33100L18getf2_small_kernelILi58EfiiPfEEvT1_T3_lS3_lPS3_llPT2_S3_S3_S5_l.private_seg_size, 0
	.set _ZN9rocsolver6v33100L18getf2_small_kernelILi58EfiiPfEEvT1_T3_lS3_lPS3_llPT2_S3_S3_S5_l.uses_vcc, 1
	.set _ZN9rocsolver6v33100L18getf2_small_kernelILi58EfiiPfEEvT1_T3_lS3_lPS3_llPT2_S3_S3_S5_l.uses_flat_scratch, 0
	.set _ZN9rocsolver6v33100L18getf2_small_kernelILi58EfiiPfEEvT1_T3_lS3_lPS3_llPT2_S3_S3_S5_l.has_dyn_sized_stack, 0
	.set _ZN9rocsolver6v33100L18getf2_small_kernelILi58EfiiPfEEvT1_T3_lS3_lPS3_llPT2_S3_S3_S5_l.has_recursion, 0
	.set _ZN9rocsolver6v33100L18getf2_small_kernelILi58EfiiPfEEvT1_T3_lS3_lPS3_llPT2_S3_S3_S5_l.has_indirect_call, 0
	.section	.AMDGPU.csdata,"",@progbits
; Kernel info:
; codeLenInByte = 52368
; TotalNumSgprs: 32
; NumVgprs: 86
; NumAgprs: 0
; TotalNumVgprs: 86
; ScratchSize: 0
; MemoryBound: 0
; FloatMode: 240
; IeeeMode: 1
; LDSByteSize: 0 bytes/workgroup (compile time only)
; SGPRBlocks: 3
; VGPRBlocks: 10
; NumSGPRsForWavesPerEU: 32
; NumVGPRsForWavesPerEU: 86
; AccumOffset: 88
; Occupancy: 5
; WaveLimiterHint : 0
; COMPUTE_PGM_RSRC2:SCRATCH_EN: 0
; COMPUTE_PGM_RSRC2:USER_SGPR: 2
; COMPUTE_PGM_RSRC2:TRAP_HANDLER: 0
; COMPUTE_PGM_RSRC2:TGID_X_EN: 1
; COMPUTE_PGM_RSRC2:TGID_Y_EN: 1
; COMPUTE_PGM_RSRC2:TGID_Z_EN: 0
; COMPUTE_PGM_RSRC2:TIDIG_COMP_CNT: 1
; COMPUTE_PGM_RSRC3_GFX90A:ACCUM_OFFSET: 21
; COMPUTE_PGM_RSRC3_GFX90A:TG_SPLIT: 0
	.section	.text._ZN9rocsolver6v33100L23getf2_npvt_small_kernelILi58EfiiPfEEvT1_T3_lS3_lPT2_S3_S3_,"axG",@progbits,_ZN9rocsolver6v33100L23getf2_npvt_small_kernelILi58EfiiPfEEvT1_T3_lS3_lPT2_S3_S3_,comdat
	.globl	_ZN9rocsolver6v33100L23getf2_npvt_small_kernelILi58EfiiPfEEvT1_T3_lS3_lPT2_S3_S3_ ; -- Begin function _ZN9rocsolver6v33100L23getf2_npvt_small_kernelILi58EfiiPfEEvT1_T3_lS3_lPT2_S3_S3_
	.p2align	8
	.type	_ZN9rocsolver6v33100L23getf2_npvt_small_kernelILi58EfiiPfEEvT1_T3_lS3_lPT2_S3_S3_,@function
_ZN9rocsolver6v33100L23getf2_npvt_small_kernelILi58EfiiPfEEvT1_T3_lS3_lPT2_S3_S3_: ; @_ZN9rocsolver6v33100L23getf2_npvt_small_kernelILi58EfiiPfEEvT1_T3_lS3_lPT2_S3_S3_
; %bb.0:
	s_load_dword s2, s[0:1], 0x44
	s_load_dwordx2 s[8:9], s[0:1], 0x30
	v_bfe_u32 v177, v0, 10, 10
	s_waitcnt lgkmcnt(0)
	s_lshr_b32 s10, s2, 16
	s_mul_i32 s3, s3, s10
	v_add_u32_e32 v24, s3, v177
	v_cmp_gt_i32_e32 vcc, s8, v24
	s_and_saveexec_b64 s[2:3], vcc
	s_cbranch_execz .LBB115_320
; %bb.1:
	s_load_dwordx4 s[12:15], s[0:1], 0x8
	s_load_dword s2, s[0:1], 0x18
	s_load_dwordx4 s[4:7], s[0:1], 0x20
	v_ashrrev_i32_e32 v25, 31, v24
	v_and_b32_e32 v175, 0x3ff, v0
	s_waitcnt lgkmcnt(0)
	v_mov_b32_e32 v0, s12
	v_mov_b32_e32 v1, s13
	v_mad_u64_u32 v[2:3], s[0:1], s4, v24, 0
	v_mul_lo_u32 v4, s5, v24
	v_mul_lo_u32 v5, s4, v25
	s_add_i32 s0, s2, s2
	v_add3_u32 v3, v3, v5, v4
	v_add_u32_e32 v4, s0, v175
	v_add_u32_e32 v6, s2, v4
	;; [unrolled: 1-line block ×54, first 2 shown]
	v_lshl_add_u64 v[0:1], v[2:3], 2, v[0:1]
	v_add_u32_e32 v116, s2, v112
	v_lshl_add_u64 v[114:115], s[14:15], 2, v[0:1]
	v_ashrrev_i32_e32 v5, 31, v4
	v_ashrrev_i32_e32 v7, 31, v6
	v_ashrrev_i32_e32 v9, 31, v8
	v_ashrrev_i32_e32 v11, 31, v10
	v_ashrrev_i32_e32 v13, 31, v12
	v_ashrrev_i32_e32 v15, 31, v14
	v_ashrrev_i32_e32 v17, 31, v16
	v_ashrrev_i32_e32 v19, 31, v18
	v_ashrrev_i32_e32 v21, 31, v20
	v_ashrrev_i32_e32 v23, 31, v22
	v_ashrrev_i32_e32 v27, 31, v26
	v_ashrrev_i32_e32 v29, 31, v28
	v_ashrrev_i32_e32 v31, 31, v30
	v_ashrrev_i32_e32 v33, 31, v32
	v_ashrrev_i32_e32 v35, 31, v34
	v_ashrrev_i32_e32 v37, 31, v36
	v_ashrrev_i32_e32 v39, 31, v38
	v_ashrrev_i32_e32 v41, 31, v40
	v_ashrrev_i32_e32 v43, 31, v42
	v_ashrrev_i32_e32 v45, 31, v44
	v_ashrrev_i32_e32 v47, 31, v46
	v_ashrrev_i32_e32 v49, 31, v48
	v_ashrrev_i32_e32 v51, 31, v50
	v_ashrrev_i32_e32 v53, 31, v52
	v_ashrrev_i32_e32 v55, 31, v54
	v_ashrrev_i32_e32 v57, 31, v56
	v_ashrrev_i32_e32 v59, 31, v58
	v_ashrrev_i32_e32 v61, 31, v60
	v_ashrrev_i32_e32 v63, 31, v62
	v_ashrrev_i32_e32 v65, 31, v64
	v_ashrrev_i32_e32 v67, 31, v66
	v_ashrrev_i32_e32 v69, 31, v68
	v_ashrrev_i32_e32 v71, 31, v70
	v_ashrrev_i32_e32 v73, 31, v72
	v_ashrrev_i32_e32 v75, 31, v74
	v_ashrrev_i32_e32 v77, 31, v76
	v_ashrrev_i32_e32 v79, 31, v78
	v_ashrrev_i32_e32 v81, 31, v80
	v_ashrrev_i32_e32 v83, 31, v82
	v_ashrrev_i32_e32 v85, 31, v84
	v_ashrrev_i32_e32 v87, 31, v86
	v_ashrrev_i32_e32 v89, 31, v88
	v_ashrrev_i32_e32 v91, 31, v90
	v_ashrrev_i32_e32 v93, 31, v92
	v_ashrrev_i32_e32 v95, 31, v94
	v_ashrrev_i32_e32 v97, 31, v96
	v_ashrrev_i32_e32 v99, 31, v98
	v_ashrrev_i32_e32 v101, 31, v100
	v_ashrrev_i32_e32 v103, 31, v102
	v_ashrrev_i32_e32 v105, 31, v104
	v_ashrrev_i32_e32 v107, 31, v106
	v_ashrrev_i32_e32 v109, 31, v108
	v_ashrrev_i32_e32 v111, 31, v110
	v_ashrrev_i32_e32 v113, 31, v112
	v_ashrrev_i32_e32 v117, 31, v116
	v_lshl_add_u64 v[2:3], v[4:5], 2, v[114:115]
	v_lshl_add_u64 v[4:5], v[6:7], 2, v[114:115]
	;; [unrolled: 1-line block ×55, first 2 shown]
	v_add_u32_e32 v116, s2, v116
	v_lshlrev_b32_e32 v0, 2, v175
	v_mov_b32_e32 v1, 0
	v_ashrrev_i32_e32 v117, 31, v116
	v_lshl_add_u64 v[0:1], v[114:115], 0, v[0:1]
	v_lshl_add_u64 v[114:115], v[116:117], 2, v[114:115]
	global_load_dword v162, v[14:15], off
	global_load_dword v163, v[16:17], off
	;; [unrolled: 1-line block ×50, first 2 shown]
	s_ashr_i32 s3, s2, 31
	v_lshl_add_u64 v[172:173], s[2:3], 2, v[0:1]
	global_load_dword v168, v[2:3], off
	global_load_dword v169, v[4:5], off
	;; [unrolled: 1-line block ×8, first 2 shown]
	s_mulk_i32 s10, 0xe8
	s_movk_i32 s0, 0xe8
	s_add_i32 s1, s10, 0
	v_mad_u32_u24 v179, v177, s0, 0
	v_lshl_add_u32 v177, v177, 2, s1
	v_cmp_ne_u32_e64 s[2:3], 0, v175
	v_cmp_eq_u32_e64 s[0:1], 0, v175
	s_and_saveexec_b64 s[4:5], s[0:1]
	s_cbranch_execz .LBB115_4
; %bb.2:
	s_waitcnt vmcnt(1)
	ds_write_b32 v177, v174
	s_waitcnt vmcnt(0)
	ds_write2_b32 v179, v176, v168 offset0:1 offset1:2
	ds_write2_b32 v179, v169, v170 offset0:3 offset1:4
	;; [unrolled: 1-line block ×28, first 2 shown]
	ds_write_b32 v179, v165 offset:228
	ds_read_b32 v178, v177
	s_waitcnt lgkmcnt(0)
	v_cmp_neq_f32_e32 vcc, 0, v178
	s_and_b64 exec, exec, vcc
	s_cbranch_execz .LBB115_4
; %bb.3:
	v_div_scale_f32 v180, s[10:11], v178, v178, 1.0
	v_rcp_f32_e32 v181, v180
	v_div_scale_f32 v182, vcc, 1.0, v178, 1.0
	v_fma_f32 v183, -v180, v181, 1.0
	v_fmac_f32_e32 v181, v183, v181
	v_mul_f32_e32 v183, v182, v181
	v_fma_f32 v184, -v180, v183, v182
	v_fmac_f32_e32 v183, v184, v181
	v_fma_f32 v180, -v180, v183, v182
	v_div_fmas_f32 v180, v180, v181, v183
	v_div_fixup_f32 v178, v180, v178, 1.0
	ds_write_b32 v177, v178
.LBB115_4:
	s_or_b64 exec, exec, s[4:5]
	s_waitcnt lgkmcnt(0)
	s_barrier
	ds_read_b32 v178, v177
	s_and_saveexec_b64 s[4:5], s[2:3]
	s_cbranch_execz .LBB115_6
; %bb.5:
	ds_read_b32 v188, v179 offset:4
	ds_read2_b64 v[180:183], v179 offset0:1 offset1:2
	ds_read2_b64 v[184:187], v179 offset0:3 offset1:4
	s_waitcnt vmcnt(1) lgkmcnt(3)
	v_mul_f32_e32 v174, v178, v174
	s_waitcnt vmcnt(0) lgkmcnt(2)
	v_fma_f32 v176, -v174, v188, v176
	s_waitcnt lgkmcnt(1)
	v_pk_fma_f32 v[168:169], v[174:175], v[180:181], v[168:169] op_sel_hi:[0,1,1] neg_lo:[1,0,0] neg_hi:[1,0,0]
	ds_read2_b64 v[188:191], v179 offset0:5 offset1:6
	v_pk_fma_f32 v[170:171], v[174:175], v[182:183], v[170:171] op_sel_hi:[0,1,1] neg_lo:[1,0,0] neg_hi:[1,0,0]
	s_waitcnt lgkmcnt(1)
	v_pk_fma_f32 v[166:167], v[174:175], v[184:185], v[166:167] op_sel_hi:[0,1,1] neg_lo:[1,0,0] neg_hi:[1,0,0]
	ds_read2_b64 v[180:183], v179 offset0:7 offset1:8
	v_pk_fma_f32 v[162:163], v[174:175], v[186:187], v[162:163] op_sel_hi:[0,1,1] neg_lo:[1,0,0] neg_hi:[1,0,0]
	ds_read2_b64 v[184:187], v179 offset0:9 offset1:10
	s_waitcnt lgkmcnt(2)
	v_pk_fma_f32 v[138:139], v[174:175], v[188:189], v[138:139] op_sel_hi:[0,1,1] neg_lo:[1,0,0] neg_hi:[1,0,0]
	v_pk_fma_f32 v[160:161], v[174:175], v[190:191], v[160:161] op_sel_hi:[0,1,1] neg_lo:[1,0,0] neg_hi:[1,0,0]
	s_waitcnt lgkmcnt(1)
	v_pk_fma_f32 v[136:137], v[174:175], v[180:181], v[136:137] op_sel_hi:[0,1,1] neg_lo:[1,0,0] neg_hi:[1,0,0]
	ds_read2_b64 v[188:191], v179 offset0:11 offset1:12
	v_pk_fma_f32 v[158:159], v[174:175], v[182:183], v[158:159] op_sel_hi:[0,1,1] neg_lo:[1,0,0] neg_hi:[1,0,0]
	s_waitcnt lgkmcnt(1)
	v_pk_fma_f32 v[134:135], v[174:175], v[184:185], v[134:135] op_sel_hi:[0,1,1] neg_lo:[1,0,0] neg_hi:[1,0,0]
	ds_read2_b64 v[180:183], v179 offset0:13 offset1:14
	v_pk_fma_f32 v[156:157], v[174:175], v[186:187], v[156:157] op_sel_hi:[0,1,1] neg_lo:[1,0,0] neg_hi:[1,0,0]
	ds_read2_b64 v[184:187], v179 offset0:15 offset1:16
	s_waitcnt lgkmcnt(2)
	v_pk_fma_f32 v[132:133], v[174:175], v[188:189], v[132:133] op_sel_hi:[0,1,1] neg_lo:[1,0,0] neg_hi:[1,0,0]
	v_pk_fma_f32 v[154:155], v[174:175], v[190:191], v[154:155] op_sel_hi:[0,1,1] neg_lo:[1,0,0] neg_hi:[1,0,0]
	;; [unrolled: 12-line block ×3, first 2 shown]
	s_waitcnt lgkmcnt(1)
	v_pk_fma_f32 v[124:125], v[174:175], v[180:181], v[124:125] op_sel_hi:[0,1,1] neg_lo:[1,0,0] neg_hi:[1,0,0]
	v_pk_fma_f32 v[146:147], v[174:175], v[182:183], v[146:147] op_sel_hi:[0,1,1] neg_lo:[1,0,0] neg_hi:[1,0,0]
	ds_read2_b64 v[180:183], v179 offset0:23 offset1:24
	ds_read2_b64 v[188:191], v179 offset0:25 offset1:26
	s_waitcnt lgkmcnt(2)
	v_pk_fma_f32 v[122:123], v[174:175], v[184:185], v[122:123] op_sel_hi:[0,1,1] neg_lo:[1,0,0] neg_hi:[1,0,0]
	v_pk_fma_f32 v[144:145], v[174:175], v[186:187], v[144:145] op_sel_hi:[0,1,1] neg_lo:[1,0,0] neg_hi:[1,0,0]
	ds_read2_b64 v[184:187], v179 offset0:27 offset1:28
	s_waitcnt lgkmcnt(2)
	v_pk_fma_f32 v[120:121], v[174:175], v[180:181], v[120:121] op_sel_hi:[0,1,1] neg_lo:[1,0,0] neg_hi:[1,0,0]
	v_pk_fma_f32 v[142:143], v[174:175], v[182:183], v[142:143] op_sel_hi:[0,1,1] neg_lo:[1,0,0] neg_hi:[1,0,0]
	s_waitcnt lgkmcnt(1)
	v_pk_fma_f32 v[118:119], v[174:175], v[188:189], v[118:119] op_sel_hi:[0,1,1] neg_lo:[1,0,0] neg_hi:[1,0,0]
	v_pk_fma_f32 v[140:141], v[174:175], v[190:191], v[140:141] op_sel_hi:[0,1,1] neg_lo:[1,0,0] neg_hi:[1,0,0]
	;; [unrolled: 3-line block ×3, first 2 shown]
.LBB115_6:
	s_or_b64 exec, exec, s[4:5]
	v_cmp_eq_u32_e32 vcc, 1, v175
	s_waitcnt lgkmcnt(0)
	s_barrier
	s_and_saveexec_b64 s[2:3], vcc
	s_cbranch_execz .LBB115_9
; %bb.7:
	s_waitcnt vmcnt(0)
	ds_write_b32 v177, v176
	ds_write2_b64 v179, v[168:169], v[170:171] offset0:1 offset1:2
	ds_write2_b64 v179, v[166:167], v[162:163] offset0:3 offset1:4
	;; [unrolled: 1-line block ×14, first 2 shown]
	ds_read_b32 v180, v177
	s_waitcnt lgkmcnt(0)
	v_cmp_neq_f32_e32 vcc, 0, v180
	s_and_b64 exec, exec, vcc
	s_cbranch_execz .LBB115_9
; %bb.8:
	v_div_scale_f32 v181, s[4:5], v180, v180, 1.0
	v_rcp_f32_e32 v182, v181
	v_div_scale_f32 v183, vcc, 1.0, v180, 1.0
	v_fma_f32 v184, -v181, v182, 1.0
	v_fmac_f32_e32 v182, v184, v182
	v_mul_f32_e32 v184, v183, v182
	v_fma_f32 v185, -v181, v184, v183
	v_fmac_f32_e32 v184, v185, v182
	v_fma_f32 v181, -v181, v184, v183
	v_div_fmas_f32 v181, v181, v182, v184
	v_div_fixup_f32 v180, v181, v180, 1.0
	ds_write_b32 v177, v180
.LBB115_9:
	s_or_b64 exec, exec, s[2:3]
	s_waitcnt lgkmcnt(0)
	s_barrier
	ds_read_b32 v180, v177
	v_cmp_lt_u32_e32 vcc, 1, v175
	s_and_saveexec_b64 s[2:3], vcc
	s_cbranch_execz .LBB115_11
; %bb.10:
	ds_read2_b64 v[182:185], v179 offset0:1 offset1:2
	ds_read2_b64 v[186:189], v179 offset0:3 offset1:4
	s_waitcnt vmcnt(0) lgkmcnt(2)
	v_mul_f32_e32 v176, v180, v176
	ds_read2_b64 v[190:193], v179 offset0:5 offset1:6
	s_waitcnt lgkmcnt(2)
	v_pk_fma_f32 v[168:169], v[176:177], v[182:183], v[168:169] op_sel_hi:[0,1,1] neg_lo:[1,0,0] neg_hi:[1,0,0]
	v_pk_fma_f32 v[170:171], v[176:177], v[184:185], v[170:171] op_sel_hi:[0,1,1] neg_lo:[1,0,0] neg_hi:[1,0,0]
	s_waitcnt lgkmcnt(1)
	v_pk_fma_f32 v[166:167], v[176:177], v[186:187], v[166:167] op_sel_hi:[0,1,1] neg_lo:[1,0,0] neg_hi:[1,0,0]
	ds_read2_b64 v[182:185], v179 offset0:7 offset1:8
	v_pk_fma_f32 v[162:163], v[176:177], v[188:189], v[162:163] op_sel_hi:[0,1,1] neg_lo:[1,0,0] neg_hi:[1,0,0]
	ds_read2_b64 v[186:189], v179 offset0:9 offset1:10
	s_waitcnt lgkmcnt(2)
	v_pk_fma_f32 v[138:139], v[176:177], v[190:191], v[138:139] op_sel_hi:[0,1,1] neg_lo:[1,0,0] neg_hi:[1,0,0]
	v_pk_fma_f32 v[160:161], v[176:177], v[192:193], v[160:161] op_sel_hi:[0,1,1] neg_lo:[1,0,0] neg_hi:[1,0,0]
	s_waitcnt lgkmcnt(1)
	v_pk_fma_f32 v[136:137], v[176:177], v[182:183], v[136:137] op_sel_hi:[0,1,1] neg_lo:[1,0,0] neg_hi:[1,0,0]
	ds_read2_b64 v[190:193], v179 offset0:11 offset1:12
	v_pk_fma_f32 v[158:159], v[176:177], v[184:185], v[158:159] op_sel_hi:[0,1,1] neg_lo:[1,0,0] neg_hi:[1,0,0]
	s_waitcnt lgkmcnt(1)
	v_pk_fma_f32 v[134:135], v[176:177], v[186:187], v[134:135] op_sel_hi:[0,1,1] neg_lo:[1,0,0] neg_hi:[1,0,0]
	ds_read2_b64 v[182:185], v179 offset0:13 offset1:14
	v_pk_fma_f32 v[156:157], v[176:177], v[188:189], v[156:157] op_sel_hi:[0,1,1] neg_lo:[1,0,0] neg_hi:[1,0,0]
	ds_read2_b64 v[186:189], v179 offset0:15 offset1:16
	s_waitcnt lgkmcnt(2)
	v_pk_fma_f32 v[132:133], v[176:177], v[190:191], v[132:133] op_sel_hi:[0,1,1] neg_lo:[1,0,0] neg_hi:[1,0,0]
	v_pk_fma_f32 v[154:155], v[176:177], v[192:193], v[154:155] op_sel_hi:[0,1,1] neg_lo:[1,0,0] neg_hi:[1,0,0]
	s_waitcnt lgkmcnt(1)
	v_pk_fma_f32 v[130:131], v[176:177], v[182:183], v[130:131] op_sel_hi:[0,1,1] neg_lo:[1,0,0] neg_hi:[1,0,0]
	ds_read2_b64 v[190:193], v179 offset0:17 offset1:18
	v_pk_fma_f32 v[152:153], v[176:177], v[184:185], v[152:153] op_sel_hi:[0,1,1] neg_lo:[1,0,0] neg_hi:[1,0,0]
	s_waitcnt lgkmcnt(1)
	v_pk_fma_f32 v[128:129], v[176:177], v[186:187], v[128:129] op_sel_hi:[0,1,1] neg_lo:[1,0,0] neg_hi:[1,0,0]
	ds_read2_b64 v[182:185], v179 offset0:19 offset1:20
	v_pk_fma_f32 v[150:151], v[176:177], v[188:189], v[150:151] op_sel_hi:[0,1,1] neg_lo:[1,0,0] neg_hi:[1,0,0]
	ds_read2_b64 v[186:189], v179 offset0:21 offset1:22
	s_waitcnt lgkmcnt(2)
	v_pk_fma_f32 v[126:127], v[176:177], v[190:191], v[126:127] op_sel_hi:[0,1,1] neg_lo:[1,0,0] neg_hi:[1,0,0]
	v_pk_fma_f32 v[148:149], v[176:177], v[192:193], v[148:149] op_sel_hi:[0,1,1] neg_lo:[1,0,0] neg_hi:[1,0,0]
	s_waitcnt lgkmcnt(1)
	v_pk_fma_f32 v[124:125], v[176:177], v[182:183], v[124:125] op_sel_hi:[0,1,1] neg_lo:[1,0,0] neg_hi:[1,0,0]
	v_pk_fma_f32 v[146:147], v[176:177], v[184:185], v[146:147] op_sel_hi:[0,1,1] neg_lo:[1,0,0] neg_hi:[1,0,0]
	ds_read2_b64 v[182:185], v179 offset0:23 offset1:24
	s_waitcnt lgkmcnt(1)
	v_pk_fma_f32 v[122:123], v[176:177], v[186:187], v[122:123] op_sel_hi:[0,1,1] neg_lo:[1,0,0] neg_hi:[1,0,0]
	ds_read2_b64 v[190:193], v179 offset0:25 offset1:26
	v_pk_fma_f32 v[144:145], v[176:177], v[188:189], v[144:145] op_sel_hi:[0,1,1] neg_lo:[1,0,0] neg_hi:[1,0,0]
	ds_read2_b64 v[186:189], v179 offset0:27 offset1:28
	s_waitcnt lgkmcnt(2)
	v_pk_fma_f32 v[120:121], v[176:177], v[182:183], v[120:121] op_sel_hi:[0,1,1] neg_lo:[1,0,0] neg_hi:[1,0,0]
	v_pk_fma_f32 v[142:143], v[176:177], v[184:185], v[142:143] op_sel_hi:[0,1,1] neg_lo:[1,0,0] neg_hi:[1,0,0]
	s_waitcnt lgkmcnt(1)
	v_pk_fma_f32 v[118:119], v[176:177], v[190:191], v[118:119] op_sel_hi:[0,1,1] neg_lo:[1,0,0] neg_hi:[1,0,0]
	v_pk_fma_f32 v[140:141], v[176:177], v[192:193], v[140:141] op_sel_hi:[0,1,1] neg_lo:[1,0,0] neg_hi:[1,0,0]
	;; [unrolled: 3-line block ×3, first 2 shown]
.LBB115_11:
	s_or_b64 exec, exec, s[2:3]
	v_cmp_eq_u32_e32 vcc, 2, v175
	s_waitcnt lgkmcnt(0)
	s_barrier
	s_and_saveexec_b64 s[2:3], vcc
	s_cbranch_execz .LBB115_14
; %bb.12:
	s_waitcnt vmcnt(4)
	v_pk_mov_b32 v[182:183], v[168:169], v[170:171] op_sel:[1,0]
	ds_write_b32 v177, v168
	ds_write2_b32 v179, v182, v183 offset0:3 offset1:4
	s_waitcnt vmcnt(2)
	v_pk_mov_b32 v[182:183], v[170:171], v[166:167] op_sel:[1,0]
	ds_write2_b32 v179, v182, v183 offset0:5 offset1:6
	v_pk_mov_b32 v[182:183], v[166:167], v[162:163] op_sel:[1,0]
	ds_write2_b32 v179, v182, v183 offset0:7 offset1:8
	;; [unrolled: 2-line block ×26, first 2 shown]
	ds_write_b32 v179, v165 offset:228
	ds_read_b32 v181, v177
	s_waitcnt lgkmcnt(0)
	v_cmp_neq_f32_e32 vcc, 0, v181
	s_and_b64 exec, exec, vcc
	s_cbranch_execz .LBB115_14
; %bb.13:
	v_div_scale_f32 v182, s[4:5], v181, v181, 1.0
	v_rcp_f32_e32 v183, v182
	v_div_scale_f32 v184, vcc, 1.0, v181, 1.0
	v_fma_f32 v185, -v182, v183, 1.0
	v_fmac_f32_e32 v183, v185, v183
	v_mul_f32_e32 v185, v184, v183
	v_fma_f32 v186, -v182, v185, v184
	v_fmac_f32_e32 v185, v186, v183
	v_fma_f32 v182, -v182, v185, v184
	v_div_fmas_f32 v182, v182, v183, v185
	v_div_fixup_f32 v181, v182, v181, 1.0
	ds_write_b32 v177, v181
.LBB115_14:
	s_or_b64 exec, exec, s[2:3]
	s_waitcnt lgkmcnt(0)
	s_barrier
	ds_read_b32 v181, v177
	v_cmp_lt_u32_e32 vcc, 2, v175
	s_and_saveexec_b64 s[2:3], vcc
	s_cbranch_execz .LBB115_16
; %bb.15:
	ds_read_b32 v194, v179 offset:12
	ds_read2_b64 v[182:185], v179 offset0:2 offset1:3
	ds_read2_b64 v[186:189], v179 offset0:4 offset1:5
	;; [unrolled: 1-line block ×3, first 2 shown]
	s_waitcnt vmcnt(7) lgkmcnt(4)
	v_mul_f32_e32 v168, v181, v168
	s_waitcnt vmcnt(6) lgkmcnt(3)
	v_fma_f32 v169, -v168, v194, v169
	s_waitcnt vmcnt(4) lgkmcnt(2)
	v_pk_fma_f32 v[170:171], v[168:169], v[182:183], v[170:171] op_sel_hi:[0,1,1] neg_lo:[1,0,0] neg_hi:[1,0,0]
	s_waitcnt vmcnt(2)
	v_pk_fma_f32 v[166:167], v[168:169], v[184:185], v[166:167] op_sel_hi:[0,1,1] neg_lo:[1,0,0] neg_hi:[1,0,0]
	s_waitcnt lgkmcnt(1)
	v_pk_fma_f32 v[162:163], v[168:169], v[186:187], v[162:163] op_sel_hi:[0,1,1] neg_lo:[1,0,0] neg_hi:[1,0,0]
	ds_read2_b64 v[182:185], v179 offset0:8 offset1:9
	v_pk_fma_f32 v[138:139], v[168:169], v[188:189], v[138:139] op_sel_hi:[0,1,1] neg_lo:[1,0,0] neg_hi:[1,0,0]
	ds_read2_b64 v[186:189], v179 offset0:10 offset1:11
	s_waitcnt lgkmcnt(2)
	v_pk_fma_f32 v[160:161], v[168:169], v[190:191], v[160:161] op_sel_hi:[0,1,1] neg_lo:[1,0,0] neg_hi:[1,0,0]
	v_pk_fma_f32 v[136:137], v[168:169], v[192:193], v[136:137] op_sel_hi:[0,1,1] neg_lo:[1,0,0] neg_hi:[1,0,0]
	s_waitcnt lgkmcnt(1)
	v_pk_fma_f32 v[158:159], v[168:169], v[182:183], v[158:159] op_sel_hi:[0,1,1] neg_lo:[1,0,0] neg_hi:[1,0,0]
	ds_read2_b64 v[190:193], v179 offset0:12 offset1:13
	v_pk_fma_f32 v[134:135], v[168:169], v[184:185], v[134:135] op_sel_hi:[0,1,1] neg_lo:[1,0,0] neg_hi:[1,0,0]
	s_waitcnt lgkmcnt(1)
	v_pk_fma_f32 v[156:157], v[168:169], v[186:187], v[156:157] op_sel_hi:[0,1,1] neg_lo:[1,0,0] neg_hi:[1,0,0]
	ds_read2_b64 v[182:185], v179 offset0:14 offset1:15
	v_pk_fma_f32 v[132:133], v[168:169], v[188:189], v[132:133] op_sel_hi:[0,1,1] neg_lo:[1,0,0] neg_hi:[1,0,0]
	ds_read2_b64 v[186:189], v179 offset0:16 offset1:17
	s_waitcnt lgkmcnt(2)
	v_pk_fma_f32 v[154:155], v[168:169], v[190:191], v[154:155] op_sel_hi:[0,1,1] neg_lo:[1,0,0] neg_hi:[1,0,0]
	v_pk_fma_f32 v[130:131], v[168:169], v[192:193], v[130:131] op_sel_hi:[0,1,1] neg_lo:[1,0,0] neg_hi:[1,0,0]
	s_waitcnt lgkmcnt(1)
	v_pk_fma_f32 v[152:153], v[168:169], v[182:183], v[152:153] op_sel_hi:[0,1,1] neg_lo:[1,0,0] neg_hi:[1,0,0]
	ds_read2_b64 v[190:193], v179 offset0:18 offset1:19
	v_pk_fma_f32 v[128:129], v[168:169], v[184:185], v[128:129] op_sel_hi:[0,1,1] neg_lo:[1,0,0] neg_hi:[1,0,0]
	s_waitcnt lgkmcnt(1)
	v_pk_fma_f32 v[150:151], v[168:169], v[186:187], v[150:151] op_sel_hi:[0,1,1] neg_lo:[1,0,0] neg_hi:[1,0,0]
	ds_read2_b64 v[182:185], v179 offset0:20 offset1:21
	v_pk_fma_f32 v[126:127], v[168:169], v[188:189], v[126:127] op_sel_hi:[0,1,1] neg_lo:[1,0,0] neg_hi:[1,0,0]
	ds_read2_b64 v[186:189], v179 offset0:22 offset1:23
	s_waitcnt lgkmcnt(2)
	v_pk_fma_f32 v[148:149], v[168:169], v[190:191], v[148:149] op_sel_hi:[0,1,1] neg_lo:[1,0,0] neg_hi:[1,0,0]
	v_pk_fma_f32 v[124:125], v[168:169], v[192:193], v[124:125] op_sel_hi:[0,1,1] neg_lo:[1,0,0] neg_hi:[1,0,0]
	s_waitcnt lgkmcnt(1)
	v_pk_fma_f32 v[146:147], v[168:169], v[182:183], v[146:147] op_sel_hi:[0,1,1] neg_lo:[1,0,0] neg_hi:[1,0,0]
	v_pk_fma_f32 v[122:123], v[168:169], v[184:185], v[122:123] op_sel_hi:[0,1,1] neg_lo:[1,0,0] neg_hi:[1,0,0]
	ds_read2_b64 v[182:185], v179 offset0:24 offset1:25
	ds_read2_b64 v[190:193], v179 offset0:26 offset1:27
	s_waitcnt lgkmcnt(2)
	v_pk_fma_f32 v[144:145], v[168:169], v[186:187], v[144:145] op_sel_hi:[0,1,1] neg_lo:[1,0,0] neg_hi:[1,0,0]
	ds_read_b64 v[186:187], v179 offset:224
	v_pk_fma_f32 v[120:121], v[168:169], v[188:189], v[120:121] op_sel_hi:[0,1,1] neg_lo:[1,0,0] neg_hi:[1,0,0]
	s_waitcnt lgkmcnt(2)
	v_pk_fma_f32 v[142:143], v[168:169], v[182:183], v[142:143] op_sel_hi:[0,1,1] neg_lo:[1,0,0] neg_hi:[1,0,0]
	v_pk_fma_f32 v[118:119], v[168:169], v[184:185], v[118:119] op_sel_hi:[0,1,1] neg_lo:[1,0,0] neg_hi:[1,0,0]
	s_waitcnt lgkmcnt(1)
	v_pk_fma_f32 v[140:141], v[168:169], v[190:191], v[140:141] op_sel_hi:[0,1,1] neg_lo:[1,0,0] neg_hi:[1,0,0]
	;; [unrolled: 3-line block ×3, first 2 shown]
.LBB115_16:
	s_or_b64 exec, exec, s[2:3]
	v_cmp_eq_u32_e32 vcc, 3, v175
	s_waitcnt lgkmcnt(0)
	s_barrier
	s_and_saveexec_b64 s[2:3], vcc
	s_cbranch_execz .LBB115_19
; %bb.17:
	s_waitcnt vmcnt(5)
	v_mov_b32_e32 v182, v170
	s_waitcnt vmcnt(4)
	v_mov_b32_e32 v183, v171
	;; [unrolled: 2-line block ×4, first 2 shown]
	ds_write_b32 v177, v169
	ds_write2_b64 v179, v[182:183], v[184:185] offset0:2 offset1:3
	v_mov_b32_e32 v182, v162
	v_mov_b32_e32 v183, v163
	v_mov_b32_e32 v184, v138
	v_mov_b32_e32 v185, v139
	ds_write2_b64 v179, v[182:183], v[184:185] offset0:4 offset1:5
	v_mov_b32_e32 v182, v160
	v_mov_b32_e32 v183, v161
	v_mov_b32_e32 v184, v136
	v_mov_b32_e32 v185, v137
	;; [unrolled: 5-line block ×12, first 2 shown]
	ds_write2_b64 v179, v[182:183], v[184:185] offset0:26 offset1:27
	ds_write_b64 v179, v[164:165] offset:224
	ds_read_b32 v182, v177
	s_waitcnt lgkmcnt(0)
	v_cmp_neq_f32_e32 vcc, 0, v182
	s_and_b64 exec, exec, vcc
	s_cbranch_execz .LBB115_19
; %bb.18:
	v_div_scale_f32 v183, s[4:5], v182, v182, 1.0
	v_rcp_f32_e32 v184, v183
	v_div_scale_f32 v185, vcc, 1.0, v182, 1.0
	v_fma_f32 v186, -v183, v184, 1.0
	v_fmac_f32_e32 v184, v186, v184
	v_mul_f32_e32 v186, v185, v184
	v_fma_f32 v187, -v183, v186, v185
	v_fmac_f32_e32 v186, v187, v184
	v_fma_f32 v183, -v183, v186, v185
	v_div_fmas_f32 v183, v183, v184, v186
	v_div_fixup_f32 v182, v183, v182, 1.0
	ds_write_b32 v177, v182
.LBB115_19:
	s_or_b64 exec, exec, s[2:3]
	s_waitcnt lgkmcnt(0)
	s_barrier
	ds_read_b32 v182, v177
	v_cmp_lt_u32_e32 vcc, 3, v175
	s_and_saveexec_b64 s[2:3], vcc
	s_cbranch_execz .LBB115_21
; %bb.20:
	ds_read2_b64 v[184:187], v179 offset0:2 offset1:3
	ds_read2_b64 v[188:191], v179 offset0:4 offset1:5
	s_waitcnt vmcnt(6) lgkmcnt(2)
	v_mul_f32_e32 v196, v182, v169
	ds_read2_b64 v[192:195], v179 offset0:6 offset1:7
	v_mov_b32_e32 v169, v196
	s_waitcnt vmcnt(4) lgkmcnt(2)
	v_pk_fma_f32 v[170:171], v[196:197], v[184:185], v[170:171] op_sel_hi:[0,1,1] neg_lo:[1,0,0] neg_hi:[1,0,0]
	s_waitcnt vmcnt(2)
	v_pk_fma_f32 v[166:167], v[196:197], v[186:187], v[166:167] op_sel_hi:[0,1,1] neg_lo:[1,0,0] neg_hi:[1,0,0]
	s_waitcnt lgkmcnt(1)
	v_pk_fma_f32 v[162:163], v[196:197], v[188:189], v[162:163] op_sel_hi:[0,1,1] neg_lo:[1,0,0] neg_hi:[1,0,0]
	ds_read2_b64 v[184:187], v179 offset0:8 offset1:9
	v_pk_fma_f32 v[138:139], v[196:197], v[190:191], v[138:139] op_sel_hi:[0,1,1] neg_lo:[1,0,0] neg_hi:[1,0,0]
	ds_read2_b64 v[188:191], v179 offset0:10 offset1:11
	s_waitcnt lgkmcnt(2)
	v_pk_fma_f32 v[160:161], v[196:197], v[192:193], v[160:161] op_sel_hi:[0,1,1] neg_lo:[1,0,0] neg_hi:[1,0,0]
	v_pk_fma_f32 v[136:137], v[196:197], v[194:195], v[136:137] op_sel_hi:[0,1,1] neg_lo:[1,0,0] neg_hi:[1,0,0]
	s_waitcnt lgkmcnt(1)
	v_pk_fma_f32 v[158:159], v[196:197], v[184:185], v[158:159] op_sel_hi:[0,1,1] neg_lo:[1,0,0] neg_hi:[1,0,0]
	ds_read2_b64 v[192:195], v179 offset0:12 offset1:13
	v_pk_fma_f32 v[134:135], v[196:197], v[186:187], v[134:135] op_sel_hi:[0,1,1] neg_lo:[1,0,0] neg_hi:[1,0,0]
	s_waitcnt lgkmcnt(1)
	v_pk_fma_f32 v[156:157], v[196:197], v[188:189], v[156:157] op_sel_hi:[0,1,1] neg_lo:[1,0,0] neg_hi:[1,0,0]
	ds_read2_b64 v[184:187], v179 offset0:14 offset1:15
	v_pk_fma_f32 v[132:133], v[196:197], v[190:191], v[132:133] op_sel_hi:[0,1,1] neg_lo:[1,0,0] neg_hi:[1,0,0]
	ds_read2_b64 v[188:191], v179 offset0:16 offset1:17
	s_waitcnt lgkmcnt(2)
	v_pk_fma_f32 v[154:155], v[196:197], v[192:193], v[154:155] op_sel_hi:[0,1,1] neg_lo:[1,0,0] neg_hi:[1,0,0]
	v_pk_fma_f32 v[130:131], v[196:197], v[194:195], v[130:131] op_sel_hi:[0,1,1] neg_lo:[1,0,0] neg_hi:[1,0,0]
	s_waitcnt lgkmcnt(1)
	v_pk_fma_f32 v[152:153], v[196:197], v[184:185], v[152:153] op_sel_hi:[0,1,1] neg_lo:[1,0,0] neg_hi:[1,0,0]
	ds_read2_b64 v[192:195], v179 offset0:18 offset1:19
	v_pk_fma_f32 v[128:129], v[196:197], v[186:187], v[128:129] op_sel_hi:[0,1,1] neg_lo:[1,0,0] neg_hi:[1,0,0]
	s_waitcnt lgkmcnt(1)
	v_pk_fma_f32 v[150:151], v[196:197], v[188:189], v[150:151] op_sel_hi:[0,1,1] neg_lo:[1,0,0] neg_hi:[1,0,0]
	ds_read2_b64 v[184:187], v179 offset0:20 offset1:21
	v_pk_fma_f32 v[126:127], v[196:197], v[190:191], v[126:127] op_sel_hi:[0,1,1] neg_lo:[1,0,0] neg_hi:[1,0,0]
	ds_read2_b64 v[188:191], v179 offset0:22 offset1:23
	s_waitcnt lgkmcnt(2)
	v_pk_fma_f32 v[148:149], v[196:197], v[192:193], v[148:149] op_sel_hi:[0,1,1] neg_lo:[1,0,0] neg_hi:[1,0,0]
	v_pk_fma_f32 v[124:125], v[196:197], v[194:195], v[124:125] op_sel_hi:[0,1,1] neg_lo:[1,0,0] neg_hi:[1,0,0]
	s_waitcnt lgkmcnt(1)
	v_pk_fma_f32 v[146:147], v[196:197], v[184:185], v[146:147] op_sel_hi:[0,1,1] neg_lo:[1,0,0] neg_hi:[1,0,0]
	v_pk_fma_f32 v[122:123], v[196:197], v[186:187], v[122:123] op_sel_hi:[0,1,1] neg_lo:[1,0,0] neg_hi:[1,0,0]
	ds_read2_b64 v[184:187], v179 offset0:24 offset1:25
	s_waitcnt lgkmcnt(1)
	v_pk_fma_f32 v[144:145], v[196:197], v[188:189], v[144:145] op_sel_hi:[0,1,1] neg_lo:[1,0,0] neg_hi:[1,0,0]
	ds_read2_b64 v[192:195], v179 offset0:26 offset1:27
	ds_read_b64 v[188:189], v179 offset:224
	v_pk_fma_f32 v[120:121], v[196:197], v[190:191], v[120:121] op_sel_hi:[0,1,1] neg_lo:[1,0,0] neg_hi:[1,0,0]
	s_waitcnt lgkmcnt(2)
	v_pk_fma_f32 v[142:143], v[196:197], v[184:185], v[142:143] op_sel_hi:[0,1,1] neg_lo:[1,0,0] neg_hi:[1,0,0]
	v_pk_fma_f32 v[118:119], v[196:197], v[186:187], v[118:119] op_sel_hi:[0,1,1] neg_lo:[1,0,0] neg_hi:[1,0,0]
	s_waitcnt lgkmcnt(1)
	v_pk_fma_f32 v[140:141], v[196:197], v[192:193], v[140:141] op_sel_hi:[0,1,1] neg_lo:[1,0,0] neg_hi:[1,0,0]
	;; [unrolled: 3-line block ×3, first 2 shown]
.LBB115_21:
	s_or_b64 exec, exec, s[2:3]
	v_cmp_eq_u32_e32 vcc, 4, v175
	s_waitcnt lgkmcnt(0)
	s_barrier
	s_and_saveexec_b64 s[2:3], vcc
	s_cbranch_execz .LBB115_24
; %bb.22:
	s_waitcnt vmcnt(2)
	v_pk_mov_b32 v[184:185], v[170:171], v[166:167] op_sel:[1,0]
	ds_write_b32 v177, v170
	ds_write2_b32 v179, v184, v185 offset0:5 offset1:6
	v_pk_mov_b32 v[184:185], v[166:167], v[162:163] op_sel:[1,0]
	ds_write2_b32 v179, v184, v185 offset0:7 offset1:8
	v_pk_mov_b32 v[184:185], v[162:163], v[138:139] op_sel:[1,0]
	;; [unrolled: 2-line block ×25, first 2 shown]
	ds_write2_b32 v179, v184, v185 offset0:55 offset1:56
	ds_write_b32 v179, v165 offset:228
	ds_read_b32 v183, v177
	s_waitcnt lgkmcnt(0)
	v_cmp_neq_f32_e32 vcc, 0, v183
	s_and_b64 exec, exec, vcc
	s_cbranch_execz .LBB115_24
; %bb.23:
	v_div_scale_f32 v184, s[4:5], v183, v183, 1.0
	v_rcp_f32_e32 v185, v184
	v_div_scale_f32 v186, vcc, 1.0, v183, 1.0
	v_fma_f32 v187, -v184, v185, 1.0
	v_fmac_f32_e32 v185, v187, v185
	v_mul_f32_e32 v187, v186, v185
	v_fma_f32 v188, -v184, v187, v186
	v_fmac_f32_e32 v187, v188, v185
	v_fma_f32 v184, -v184, v187, v186
	v_div_fmas_f32 v184, v184, v185, v187
	v_div_fixup_f32 v183, v184, v183, 1.0
	ds_write_b32 v177, v183
.LBB115_24:
	s_or_b64 exec, exec, s[2:3]
	s_waitcnt lgkmcnt(0)
	s_barrier
	ds_read_b32 v183, v177
	v_cmp_lt_u32_e32 vcc, 4, v175
	s_and_saveexec_b64 s[2:3], vcc
	s_cbranch_execz .LBB115_26
; %bb.25:
	ds_read_b32 v196, v179 offset:20
	ds_read2_b64 v[184:187], v179 offset0:3 offset1:4
	s_waitcnt vmcnt(5) lgkmcnt(2)
	v_mul_f32_e32 v170, v183, v170
	ds_read2_b64 v[188:191], v179 offset0:5 offset1:6
	ds_read2_b64 v[192:195], v179 offset0:7 offset1:8
	s_waitcnt vmcnt(4) lgkmcnt(3)
	v_fma_f32 v171, -v170, v196, v171
	s_waitcnt vmcnt(2) lgkmcnt(2)
	v_pk_fma_f32 v[166:167], v[170:171], v[184:185], v[166:167] op_sel_hi:[0,1,1] neg_lo:[1,0,0] neg_hi:[1,0,0]
	v_pk_fma_f32 v[162:163], v[170:171], v[186:187], v[162:163] op_sel_hi:[0,1,1] neg_lo:[1,0,0] neg_hi:[1,0,0]
	ds_read2_b64 v[184:187], v179 offset0:9 offset1:10
	s_waitcnt lgkmcnt(2)
	v_pk_fma_f32 v[138:139], v[170:171], v[188:189], v[138:139] op_sel_hi:[0,1,1] neg_lo:[1,0,0] neg_hi:[1,0,0]
	v_pk_fma_f32 v[160:161], v[170:171], v[190:191], v[160:161] op_sel_hi:[0,1,1] neg_lo:[1,0,0] neg_hi:[1,0,0]
	s_waitcnt lgkmcnt(1)
	v_pk_fma_f32 v[136:137], v[170:171], v[192:193], v[136:137] op_sel_hi:[0,1,1] neg_lo:[1,0,0] neg_hi:[1,0,0]
	ds_read2_b64 v[188:191], v179 offset0:11 offset1:12
	v_pk_fma_f32 v[158:159], v[170:171], v[194:195], v[158:159] op_sel_hi:[0,1,1] neg_lo:[1,0,0] neg_hi:[1,0,0]
	s_waitcnt lgkmcnt(1)
	v_pk_fma_f32 v[134:135], v[170:171], v[184:185], v[134:135] op_sel_hi:[0,1,1] neg_lo:[1,0,0] neg_hi:[1,0,0]
	ds_read2_b64 v[192:195], v179 offset0:13 offset1:14
	v_pk_fma_f32 v[156:157], v[170:171], v[186:187], v[156:157] op_sel_hi:[0,1,1] neg_lo:[1,0,0] neg_hi:[1,0,0]
	ds_read2_b64 v[184:187], v179 offset0:15 offset1:16
	s_waitcnt lgkmcnt(2)
	v_pk_fma_f32 v[132:133], v[170:171], v[188:189], v[132:133] op_sel_hi:[0,1,1] neg_lo:[1,0,0] neg_hi:[1,0,0]
	v_pk_fma_f32 v[154:155], v[170:171], v[190:191], v[154:155] op_sel_hi:[0,1,1] neg_lo:[1,0,0] neg_hi:[1,0,0]
	s_waitcnt lgkmcnt(1)
	v_pk_fma_f32 v[130:131], v[170:171], v[192:193], v[130:131] op_sel_hi:[0,1,1] neg_lo:[1,0,0] neg_hi:[1,0,0]
	ds_read2_b64 v[188:191], v179 offset0:17 offset1:18
	v_pk_fma_f32 v[152:153], v[170:171], v[194:195], v[152:153] op_sel_hi:[0,1,1] neg_lo:[1,0,0] neg_hi:[1,0,0]
	s_waitcnt lgkmcnt(1)
	v_pk_fma_f32 v[128:129], v[170:171], v[184:185], v[128:129] op_sel_hi:[0,1,1] neg_lo:[1,0,0] neg_hi:[1,0,0]
	ds_read2_b64 v[192:195], v179 offset0:19 offset1:20
	v_pk_fma_f32 v[150:151], v[170:171], v[186:187], v[150:151] op_sel_hi:[0,1,1] neg_lo:[1,0,0] neg_hi:[1,0,0]
	ds_read2_b64 v[184:187], v179 offset0:21 offset1:22
	s_waitcnt lgkmcnt(2)
	v_pk_fma_f32 v[126:127], v[170:171], v[188:189], v[126:127] op_sel_hi:[0,1,1] neg_lo:[1,0,0] neg_hi:[1,0,0]
	v_pk_fma_f32 v[148:149], v[170:171], v[190:191], v[148:149] op_sel_hi:[0,1,1] neg_lo:[1,0,0] neg_hi:[1,0,0]
	s_waitcnt lgkmcnt(1)
	v_pk_fma_f32 v[124:125], v[170:171], v[192:193], v[124:125] op_sel_hi:[0,1,1] neg_lo:[1,0,0] neg_hi:[1,0,0]
	v_pk_fma_f32 v[146:147], v[170:171], v[194:195], v[146:147] op_sel_hi:[0,1,1] neg_lo:[1,0,0] neg_hi:[1,0,0]
	ds_read2_b64 v[188:191], v179 offset0:23 offset1:24
	s_waitcnt lgkmcnt(1)
	v_pk_fma_f32 v[122:123], v[170:171], v[184:185], v[122:123] op_sel_hi:[0,1,1] neg_lo:[1,0,0] neg_hi:[1,0,0]
	ds_read2_b64 v[192:195], v179 offset0:25 offset1:26
	v_pk_fma_f32 v[144:145], v[170:171], v[186:187], v[144:145] op_sel_hi:[0,1,1] neg_lo:[1,0,0] neg_hi:[1,0,0]
	ds_read2_b64 v[184:187], v179 offset0:27 offset1:28
	s_waitcnt lgkmcnt(2)
	v_pk_fma_f32 v[120:121], v[170:171], v[188:189], v[120:121] op_sel_hi:[0,1,1] neg_lo:[1,0,0] neg_hi:[1,0,0]
	v_pk_fma_f32 v[142:143], v[170:171], v[190:191], v[142:143] op_sel_hi:[0,1,1] neg_lo:[1,0,0] neg_hi:[1,0,0]
	s_waitcnt lgkmcnt(1)
	v_pk_fma_f32 v[118:119], v[170:171], v[192:193], v[118:119] op_sel_hi:[0,1,1] neg_lo:[1,0,0] neg_hi:[1,0,0]
	v_pk_fma_f32 v[140:141], v[170:171], v[194:195], v[140:141] op_sel_hi:[0,1,1] neg_lo:[1,0,0] neg_hi:[1,0,0]
	;; [unrolled: 3-line block ×3, first 2 shown]
.LBB115_26:
	s_or_b64 exec, exec, s[2:3]
	v_cmp_ne_u32_e32 vcc, 5, v175
	s_waitcnt lgkmcnt(0)
	s_barrier
	s_and_saveexec_b64 s[2:3], vcc
	s_xor_b64 s[2:3], exec, s[2:3]
	s_andn2_saveexec_b64 s[2:3], s[2:3]
	s_cbranch_execz .LBB115_30
; %bb.27:
	s_waitcnt vmcnt(4)
	ds_write_b32 v177, v171
	s_waitcnt vmcnt(2)
	ds_write2_b64 v179, v[166:167], v[162:163] offset0:3 offset1:4
	ds_write2_b64 v179, v[138:139], v[160:161] offset0:5 offset1:6
	;; [unrolled: 1-line block ×13, first 2 shown]
	ds_read_b32 v184, v177
	s_waitcnt lgkmcnt(0)
	v_cmp_neq_f32_e32 vcc, 0, v184
	s_and_saveexec_b64 s[4:5], vcc
	s_cbranch_execz .LBB115_29
; %bb.28:
	v_div_scale_f32 v185, s[10:11], v184, v184, 1.0
	v_rcp_f32_e32 v186, v185
	v_div_scale_f32 v187, vcc, 1.0, v184, 1.0
	v_fma_f32 v188, -v185, v186, 1.0
	v_fmac_f32_e32 v186, v188, v186
	v_mul_f32_e32 v188, v187, v186
	v_fma_f32 v189, -v185, v188, v187
	v_fmac_f32_e32 v188, v189, v186
	v_fma_f32 v185, -v185, v188, v187
	v_div_fmas_f32 v185, v185, v186, v188
	v_div_fixup_f32 v184, v185, v184, 1.0
	ds_write_b32 v177, v184
.LBB115_29:
	s_or_b64 exec, exec, s[4:5]
.LBB115_30:
	s_or_b64 exec, exec, s[2:3]
	s_waitcnt lgkmcnt(0)
	s_barrier
	ds_read_b32 v184, v177
	v_cmp_lt_u32_e32 vcc, 5, v175
	s_and_saveexec_b64 s[2:3], vcc
	s_cbranch_execz .LBB115_32
; %bb.31:
	ds_read2_b64 v[186:189], v179 offset0:3 offset1:4
	ds_read2_b64 v[190:193], v179 offset0:5 offset1:6
	s_waitcnt vmcnt(4) lgkmcnt(2)
	v_mul_f32_e32 v198, v184, v171
	ds_read2_b64 v[194:197], v179 offset0:7 offset1:8
	v_mov_b32_e32 v171, v198
	s_waitcnt vmcnt(2) lgkmcnt(2)
	v_pk_fma_f32 v[166:167], v[198:199], v[186:187], v[166:167] op_sel_hi:[0,1,1] neg_lo:[1,0,0] neg_hi:[1,0,0]
	v_pk_fma_f32 v[162:163], v[198:199], v[188:189], v[162:163] op_sel_hi:[0,1,1] neg_lo:[1,0,0] neg_hi:[1,0,0]
	ds_read2_b64 v[186:189], v179 offset0:9 offset1:10
	s_waitcnt lgkmcnt(2)
	v_pk_fma_f32 v[138:139], v[198:199], v[190:191], v[138:139] op_sel_hi:[0,1,1] neg_lo:[1,0,0] neg_hi:[1,0,0]
	v_pk_fma_f32 v[160:161], v[198:199], v[192:193], v[160:161] op_sel_hi:[0,1,1] neg_lo:[1,0,0] neg_hi:[1,0,0]
	s_waitcnt lgkmcnt(1)
	v_pk_fma_f32 v[136:137], v[198:199], v[194:195], v[136:137] op_sel_hi:[0,1,1] neg_lo:[1,0,0] neg_hi:[1,0,0]
	ds_read2_b64 v[190:193], v179 offset0:11 offset1:12
	v_pk_fma_f32 v[158:159], v[198:199], v[196:197], v[158:159] op_sel_hi:[0,1,1] neg_lo:[1,0,0] neg_hi:[1,0,0]
	s_waitcnt lgkmcnt(1)
	v_pk_fma_f32 v[134:135], v[198:199], v[186:187], v[134:135] op_sel_hi:[0,1,1] neg_lo:[1,0,0] neg_hi:[1,0,0]
	ds_read2_b64 v[194:197], v179 offset0:13 offset1:14
	v_pk_fma_f32 v[156:157], v[198:199], v[188:189], v[156:157] op_sel_hi:[0,1,1] neg_lo:[1,0,0] neg_hi:[1,0,0]
	ds_read2_b64 v[186:189], v179 offset0:15 offset1:16
	s_waitcnt lgkmcnt(2)
	v_pk_fma_f32 v[132:133], v[198:199], v[190:191], v[132:133] op_sel_hi:[0,1,1] neg_lo:[1,0,0] neg_hi:[1,0,0]
	v_pk_fma_f32 v[154:155], v[198:199], v[192:193], v[154:155] op_sel_hi:[0,1,1] neg_lo:[1,0,0] neg_hi:[1,0,0]
	s_waitcnt lgkmcnt(1)
	v_pk_fma_f32 v[130:131], v[198:199], v[194:195], v[130:131] op_sel_hi:[0,1,1] neg_lo:[1,0,0] neg_hi:[1,0,0]
	ds_read2_b64 v[190:193], v179 offset0:17 offset1:18
	v_pk_fma_f32 v[152:153], v[198:199], v[196:197], v[152:153] op_sel_hi:[0,1,1] neg_lo:[1,0,0] neg_hi:[1,0,0]
	s_waitcnt lgkmcnt(1)
	v_pk_fma_f32 v[128:129], v[198:199], v[186:187], v[128:129] op_sel_hi:[0,1,1] neg_lo:[1,0,0] neg_hi:[1,0,0]
	ds_read2_b64 v[194:197], v179 offset0:19 offset1:20
	v_pk_fma_f32 v[150:151], v[198:199], v[188:189], v[150:151] op_sel_hi:[0,1,1] neg_lo:[1,0,0] neg_hi:[1,0,0]
	ds_read2_b64 v[186:189], v179 offset0:21 offset1:22
	s_waitcnt lgkmcnt(2)
	v_pk_fma_f32 v[126:127], v[198:199], v[190:191], v[126:127] op_sel_hi:[0,1,1] neg_lo:[1,0,0] neg_hi:[1,0,0]
	v_pk_fma_f32 v[148:149], v[198:199], v[192:193], v[148:149] op_sel_hi:[0,1,1] neg_lo:[1,0,0] neg_hi:[1,0,0]
	s_waitcnt lgkmcnt(1)
	v_pk_fma_f32 v[124:125], v[198:199], v[194:195], v[124:125] op_sel_hi:[0,1,1] neg_lo:[1,0,0] neg_hi:[1,0,0]
	v_pk_fma_f32 v[146:147], v[198:199], v[196:197], v[146:147] op_sel_hi:[0,1,1] neg_lo:[1,0,0] neg_hi:[1,0,0]
	ds_read2_b64 v[190:193], v179 offset0:23 offset1:24
	ds_read2_b64 v[194:197], v179 offset0:25 offset1:26
	s_waitcnt lgkmcnt(2)
	v_pk_fma_f32 v[122:123], v[198:199], v[186:187], v[122:123] op_sel_hi:[0,1,1] neg_lo:[1,0,0] neg_hi:[1,0,0]
	v_pk_fma_f32 v[144:145], v[198:199], v[188:189], v[144:145] op_sel_hi:[0,1,1] neg_lo:[1,0,0] neg_hi:[1,0,0]
	ds_read2_b64 v[186:189], v179 offset0:27 offset1:28
	s_waitcnt lgkmcnt(2)
	v_pk_fma_f32 v[120:121], v[198:199], v[190:191], v[120:121] op_sel_hi:[0,1,1] neg_lo:[1,0,0] neg_hi:[1,0,0]
	v_pk_fma_f32 v[142:143], v[198:199], v[192:193], v[142:143] op_sel_hi:[0,1,1] neg_lo:[1,0,0] neg_hi:[1,0,0]
	s_waitcnt lgkmcnt(1)
	v_pk_fma_f32 v[118:119], v[198:199], v[194:195], v[118:119] op_sel_hi:[0,1,1] neg_lo:[1,0,0] neg_hi:[1,0,0]
	v_pk_fma_f32 v[140:141], v[198:199], v[196:197], v[140:141] op_sel_hi:[0,1,1] neg_lo:[1,0,0] neg_hi:[1,0,0]
	;; [unrolled: 3-line block ×3, first 2 shown]
.LBB115_32:
	s_or_b64 exec, exec, s[2:3]
	v_cmp_eq_u32_e32 vcc, 6, v175
	s_waitcnt lgkmcnt(0)
	s_barrier
	s_and_saveexec_b64 s[2:3], vcc
	s_cbranch_execz .LBB115_35
; %bb.33:
	s_waitcnt vmcnt(2)
	v_pk_mov_b32 v[186:187], v[166:167], v[162:163] op_sel:[1,0]
	ds_write_b32 v177, v166
	ds_write2_b32 v179, v186, v187 offset0:7 offset1:8
	v_pk_mov_b32 v[186:187], v[162:163], v[138:139] op_sel:[1,0]
	ds_write2_b32 v179, v186, v187 offset0:9 offset1:10
	v_pk_mov_b32 v[186:187], v[138:139], v[160:161] op_sel:[1,0]
	ds_write2_b32 v179, v186, v187 offset0:11 offset1:12
	v_pk_mov_b32 v[186:187], v[160:161], v[136:137] op_sel:[1,0]
	ds_write2_b32 v179, v186, v187 offset0:13 offset1:14
	v_pk_mov_b32 v[186:187], v[136:137], v[158:159] op_sel:[1,0]
	ds_write2_b32 v179, v186, v187 offset0:15 offset1:16
	v_pk_mov_b32 v[186:187], v[158:159], v[134:135] op_sel:[1,0]
	ds_write2_b32 v179, v186, v187 offset0:17 offset1:18
	v_pk_mov_b32 v[186:187], v[134:135], v[156:157] op_sel:[1,0]
	ds_write2_b32 v179, v186, v187 offset0:19 offset1:20
	v_pk_mov_b32 v[186:187], v[156:157], v[132:133] op_sel:[1,0]
	ds_write2_b32 v179, v186, v187 offset0:21 offset1:22
	v_pk_mov_b32 v[186:187], v[132:133], v[154:155] op_sel:[1,0]
	ds_write2_b32 v179, v186, v187 offset0:23 offset1:24
	v_pk_mov_b32 v[186:187], v[154:155], v[130:131] op_sel:[1,0]
	ds_write2_b32 v179, v186, v187 offset0:25 offset1:26
	v_pk_mov_b32 v[186:187], v[130:131], v[152:153] op_sel:[1,0]
	ds_write2_b32 v179, v186, v187 offset0:27 offset1:28
	v_pk_mov_b32 v[186:187], v[152:153], v[128:129] op_sel:[1,0]
	ds_write2_b32 v179, v186, v187 offset0:29 offset1:30
	v_pk_mov_b32 v[186:187], v[128:129], v[150:151] op_sel:[1,0]
	ds_write2_b32 v179, v186, v187 offset0:31 offset1:32
	v_pk_mov_b32 v[186:187], v[150:151], v[126:127] op_sel:[1,0]
	ds_write2_b32 v179, v186, v187 offset0:33 offset1:34
	v_pk_mov_b32 v[186:187], v[126:127], v[148:149] op_sel:[1,0]
	ds_write2_b32 v179, v186, v187 offset0:35 offset1:36
	v_pk_mov_b32 v[186:187], v[148:149], v[124:125] op_sel:[1,0]
	ds_write2_b32 v179, v186, v187 offset0:37 offset1:38
	v_pk_mov_b32 v[186:187], v[124:125], v[146:147] op_sel:[1,0]
	ds_write2_b32 v179, v186, v187 offset0:39 offset1:40
	v_pk_mov_b32 v[186:187], v[146:147], v[122:123] op_sel:[1,0]
	ds_write2_b32 v179, v186, v187 offset0:41 offset1:42
	v_pk_mov_b32 v[186:187], v[122:123], v[144:145] op_sel:[1,0]
	ds_write2_b32 v179, v186, v187 offset0:43 offset1:44
	v_pk_mov_b32 v[186:187], v[144:145], v[120:121] op_sel:[1,0]
	ds_write2_b32 v179, v186, v187 offset0:45 offset1:46
	v_pk_mov_b32 v[186:187], v[120:121], v[142:143] op_sel:[1,0]
	ds_write2_b32 v179, v186, v187 offset0:47 offset1:48
	v_pk_mov_b32 v[186:187], v[142:143], v[118:119] op_sel:[1,0]
	ds_write2_b32 v179, v186, v187 offset0:49 offset1:50
	v_pk_mov_b32 v[186:187], v[118:119], v[140:141] op_sel:[1,0]
	ds_write2_b32 v179, v186, v187 offset0:51 offset1:52
	v_pk_mov_b32 v[186:187], v[140:141], v[116:117] op_sel:[1,0]
	ds_write2_b32 v179, v186, v187 offset0:53 offset1:54
	v_pk_mov_b32 v[186:187], v[116:117], v[164:165] op_sel:[1,0]
	ds_write2_b32 v179, v186, v187 offset0:55 offset1:56
	ds_write_b32 v179, v165 offset:228
	ds_read_b32 v185, v177
	s_waitcnt lgkmcnt(0)
	v_cmp_neq_f32_e32 vcc, 0, v185
	s_and_b64 exec, exec, vcc
	s_cbranch_execz .LBB115_35
; %bb.34:
	v_div_scale_f32 v186, s[4:5], v185, v185, 1.0
	v_rcp_f32_e32 v187, v186
	v_div_scale_f32 v188, vcc, 1.0, v185, 1.0
	v_fma_f32 v189, -v186, v187, 1.0
	v_fmac_f32_e32 v187, v189, v187
	v_mul_f32_e32 v189, v188, v187
	v_fma_f32 v190, -v186, v189, v188
	v_fmac_f32_e32 v189, v190, v187
	v_fma_f32 v186, -v186, v189, v188
	v_div_fmas_f32 v186, v186, v187, v189
	v_div_fixup_f32 v185, v186, v185, 1.0
	ds_write_b32 v177, v185
.LBB115_35:
	s_or_b64 exec, exec, s[2:3]
	s_waitcnt lgkmcnt(0)
	s_barrier
	ds_read_b32 v185, v177
	v_cmp_lt_u32_e32 vcc, 6, v175
	s_and_saveexec_b64 s[2:3], vcc
	s_cbranch_execz .LBB115_37
; %bb.36:
	ds_read_b32 v198, v179 offset:28
	ds_read2_b64 v[186:189], v179 offset0:4 offset1:5
	s_waitcnt vmcnt(3) lgkmcnt(2)
	v_mul_f32_e32 v166, v185, v166
	ds_read2_b64 v[190:193], v179 offset0:6 offset1:7
	ds_read2_b64 v[194:197], v179 offset0:8 offset1:9
	s_waitcnt vmcnt(2) lgkmcnt(3)
	v_fma_f32 v167, -v166, v198, v167
	s_waitcnt lgkmcnt(2)
	v_pk_fma_f32 v[162:163], v[166:167], v[186:187], v[162:163] op_sel_hi:[0,1,1] neg_lo:[1,0,0] neg_hi:[1,0,0]
	v_pk_fma_f32 v[138:139], v[166:167], v[188:189], v[138:139] op_sel_hi:[0,1,1] neg_lo:[1,0,0] neg_hi:[1,0,0]
	ds_read2_b64 v[186:189], v179 offset0:10 offset1:11
	s_waitcnt lgkmcnt(2)
	v_pk_fma_f32 v[160:161], v[166:167], v[190:191], v[160:161] op_sel_hi:[0,1,1] neg_lo:[1,0,0] neg_hi:[1,0,0]
	v_pk_fma_f32 v[136:137], v[166:167], v[192:193], v[136:137] op_sel_hi:[0,1,1] neg_lo:[1,0,0] neg_hi:[1,0,0]
	s_waitcnt lgkmcnt(1)
	v_pk_fma_f32 v[158:159], v[166:167], v[194:195], v[158:159] op_sel_hi:[0,1,1] neg_lo:[1,0,0] neg_hi:[1,0,0]
	ds_read2_b64 v[190:193], v179 offset0:12 offset1:13
	v_pk_fma_f32 v[134:135], v[166:167], v[196:197], v[134:135] op_sel_hi:[0,1,1] neg_lo:[1,0,0] neg_hi:[1,0,0]
	s_waitcnt lgkmcnt(1)
	v_pk_fma_f32 v[156:157], v[166:167], v[186:187], v[156:157] op_sel_hi:[0,1,1] neg_lo:[1,0,0] neg_hi:[1,0,0]
	ds_read2_b64 v[194:197], v179 offset0:14 offset1:15
	v_pk_fma_f32 v[132:133], v[166:167], v[188:189], v[132:133] op_sel_hi:[0,1,1] neg_lo:[1,0,0] neg_hi:[1,0,0]
	ds_read2_b64 v[186:189], v179 offset0:16 offset1:17
	s_waitcnt lgkmcnt(2)
	v_pk_fma_f32 v[154:155], v[166:167], v[190:191], v[154:155] op_sel_hi:[0,1,1] neg_lo:[1,0,0] neg_hi:[1,0,0]
	v_pk_fma_f32 v[130:131], v[166:167], v[192:193], v[130:131] op_sel_hi:[0,1,1] neg_lo:[1,0,0] neg_hi:[1,0,0]
	s_waitcnt lgkmcnt(1)
	v_pk_fma_f32 v[152:153], v[166:167], v[194:195], v[152:153] op_sel_hi:[0,1,1] neg_lo:[1,0,0] neg_hi:[1,0,0]
	ds_read2_b64 v[190:193], v179 offset0:18 offset1:19
	v_pk_fma_f32 v[128:129], v[166:167], v[196:197], v[128:129] op_sel_hi:[0,1,1] neg_lo:[1,0,0] neg_hi:[1,0,0]
	s_waitcnt lgkmcnt(1)
	v_pk_fma_f32 v[150:151], v[166:167], v[186:187], v[150:151] op_sel_hi:[0,1,1] neg_lo:[1,0,0] neg_hi:[1,0,0]
	ds_read2_b64 v[194:197], v179 offset0:20 offset1:21
	v_pk_fma_f32 v[126:127], v[166:167], v[188:189], v[126:127] op_sel_hi:[0,1,1] neg_lo:[1,0,0] neg_hi:[1,0,0]
	ds_read2_b64 v[186:189], v179 offset0:22 offset1:23
	s_waitcnt lgkmcnt(2)
	v_pk_fma_f32 v[148:149], v[166:167], v[190:191], v[148:149] op_sel_hi:[0,1,1] neg_lo:[1,0,0] neg_hi:[1,0,0]
	v_pk_fma_f32 v[124:125], v[166:167], v[192:193], v[124:125] op_sel_hi:[0,1,1] neg_lo:[1,0,0] neg_hi:[1,0,0]
	s_waitcnt lgkmcnt(1)
	v_pk_fma_f32 v[146:147], v[166:167], v[194:195], v[146:147] op_sel_hi:[0,1,1] neg_lo:[1,0,0] neg_hi:[1,0,0]
	v_pk_fma_f32 v[122:123], v[166:167], v[196:197], v[122:123] op_sel_hi:[0,1,1] neg_lo:[1,0,0] neg_hi:[1,0,0]
	ds_read2_b64 v[190:193], v179 offset0:24 offset1:25
	s_waitcnt lgkmcnt(1)
	v_pk_fma_f32 v[144:145], v[166:167], v[186:187], v[144:145] op_sel_hi:[0,1,1] neg_lo:[1,0,0] neg_hi:[1,0,0]
	ds_read2_b64 v[194:197], v179 offset0:26 offset1:27
	ds_read_b64 v[186:187], v179 offset:224
	v_pk_fma_f32 v[120:121], v[166:167], v[188:189], v[120:121] op_sel_hi:[0,1,1] neg_lo:[1,0,0] neg_hi:[1,0,0]
	s_waitcnt lgkmcnt(2)
	v_pk_fma_f32 v[142:143], v[166:167], v[190:191], v[142:143] op_sel_hi:[0,1,1] neg_lo:[1,0,0] neg_hi:[1,0,0]
	v_pk_fma_f32 v[118:119], v[166:167], v[192:193], v[118:119] op_sel_hi:[0,1,1] neg_lo:[1,0,0] neg_hi:[1,0,0]
	s_waitcnt lgkmcnt(1)
	v_pk_fma_f32 v[140:141], v[166:167], v[194:195], v[140:141] op_sel_hi:[0,1,1] neg_lo:[1,0,0] neg_hi:[1,0,0]
	;; [unrolled: 3-line block ×3, first 2 shown]
.LBB115_37:
	s_or_b64 exec, exec, s[2:3]
	v_cmp_ne_u32_e32 vcc, 7, v175
	s_waitcnt lgkmcnt(0)
	s_barrier
	s_and_saveexec_b64 s[2:3], vcc
	s_xor_b64 s[2:3], exec, s[2:3]
	s_andn2_saveexec_b64 s[2:3], s[2:3]
	s_cbranch_execz .LBB115_41
; %bb.38:
	s_waitcnt vmcnt(57)
	v_mov_b32_e32 v186, v162
	s_waitcnt vmcnt(56)
	v_mov_b32_e32 v187, v163
	;; [unrolled: 2-line block ×4, first 2 shown]
	s_waitcnt vmcnt(2)
	ds_write_b32 v177, v167
	ds_write2_b64 v179, v[186:187], v[188:189] offset0:4 offset1:5
	v_mov_b32_e32 v186, v160
	v_mov_b32_e32 v187, v161
	v_mov_b32_e32 v188, v136
	v_mov_b32_e32 v189, v137
	ds_write2_b64 v179, v[186:187], v[188:189] offset0:6 offset1:7
	v_mov_b32_e32 v186, v158
	v_mov_b32_e32 v187, v159
	v_mov_b32_e32 v188, v134
	v_mov_b32_e32 v189, v135
	ds_write2_b64 v179, v[186:187], v[188:189] offset0:8 offset1:9
	v_mov_b32_e32 v186, v156
	v_mov_b32_e32 v187, v157
	v_mov_b32_e32 v188, v132
	v_mov_b32_e32 v189, v133
	ds_write2_b64 v179, v[186:187], v[188:189] offset0:10 offset1:11
	v_mov_b32_e32 v186, v154
	v_mov_b32_e32 v187, v155
	v_mov_b32_e32 v188, v130
	v_mov_b32_e32 v189, v131
	ds_write2_b64 v179, v[186:187], v[188:189] offset0:12 offset1:13
	v_mov_b32_e32 v186, v152
	v_mov_b32_e32 v187, v153
	v_mov_b32_e32 v188, v128
	v_mov_b32_e32 v189, v129
	ds_write2_b64 v179, v[186:187], v[188:189] offset0:14 offset1:15
	v_mov_b32_e32 v186, v150
	v_mov_b32_e32 v187, v151
	v_mov_b32_e32 v188, v126
	v_mov_b32_e32 v189, v127
	ds_write2_b64 v179, v[186:187], v[188:189] offset0:16 offset1:17
	v_mov_b32_e32 v186, v148
	v_mov_b32_e32 v187, v149
	v_mov_b32_e32 v188, v124
	v_mov_b32_e32 v189, v125
	ds_write2_b64 v179, v[186:187], v[188:189] offset0:18 offset1:19
	v_mov_b32_e32 v186, v146
	v_mov_b32_e32 v187, v147
	v_mov_b32_e32 v188, v122
	v_mov_b32_e32 v189, v123
	ds_write2_b64 v179, v[186:187], v[188:189] offset0:20 offset1:21
	v_mov_b32_e32 v186, v144
	v_mov_b32_e32 v187, v145
	v_mov_b32_e32 v188, v120
	v_mov_b32_e32 v189, v121
	ds_write2_b64 v179, v[186:187], v[188:189] offset0:22 offset1:23
	v_mov_b32_e32 v186, v142
	v_mov_b32_e32 v187, v143
	v_mov_b32_e32 v188, v118
	v_mov_b32_e32 v189, v119
	ds_write2_b64 v179, v[186:187], v[188:189] offset0:24 offset1:25
	v_mov_b32_e32 v186, v140
	v_mov_b32_e32 v187, v141
	v_mov_b32_e32 v188, v116
	v_mov_b32_e32 v189, v117
	ds_write2_b64 v179, v[186:187], v[188:189] offset0:26 offset1:27
	ds_write_b64 v179, v[164:165] offset:224
	ds_read_b32 v186, v177
	s_waitcnt lgkmcnt(0)
	v_cmp_neq_f32_e32 vcc, 0, v186
	s_and_saveexec_b64 s[4:5], vcc
	s_cbranch_execz .LBB115_40
; %bb.39:
	v_div_scale_f32 v187, s[10:11], v186, v186, 1.0
	v_rcp_f32_e32 v188, v187
	v_div_scale_f32 v189, vcc, 1.0, v186, 1.0
	v_fma_f32 v190, -v187, v188, 1.0
	v_fmac_f32_e32 v188, v190, v188
	v_mul_f32_e32 v190, v189, v188
	v_fma_f32 v191, -v187, v190, v189
	v_fmac_f32_e32 v190, v191, v188
	v_fma_f32 v187, -v187, v190, v189
	v_div_fmas_f32 v187, v187, v188, v190
	v_div_fixup_f32 v186, v187, v186, 1.0
	ds_write_b32 v177, v186
.LBB115_40:
	s_or_b64 exec, exec, s[4:5]
.LBB115_41:
	s_or_b64 exec, exec, s[2:3]
	s_waitcnt lgkmcnt(0)
	s_barrier
	ds_read_b32 v186, v177
	v_cmp_lt_u32_e32 vcc, 7, v175
	s_and_saveexec_b64 s[2:3], vcc
	s_cbranch_execz .LBB115_43
; %bb.42:
	ds_read2_b64 v[188:191], v179 offset0:4 offset1:5
	ds_read2_b64 v[192:195], v179 offset0:6 offset1:7
	s_waitcnt vmcnt(2) lgkmcnt(2)
	v_mul_f32_e32 v200, v186, v167
	ds_read2_b64 v[196:199], v179 offset0:8 offset1:9
	v_mov_b32_e32 v167, v200
	s_waitcnt lgkmcnt(2)
	v_pk_fma_f32 v[162:163], v[200:201], v[188:189], v[162:163] op_sel_hi:[0,1,1] neg_lo:[1,0,0] neg_hi:[1,0,0]
	v_pk_fma_f32 v[138:139], v[200:201], v[190:191], v[138:139] op_sel_hi:[0,1,1] neg_lo:[1,0,0] neg_hi:[1,0,0]
	ds_read2_b64 v[188:191], v179 offset0:10 offset1:11
	s_waitcnt lgkmcnt(2)
	v_pk_fma_f32 v[160:161], v[200:201], v[192:193], v[160:161] op_sel_hi:[0,1,1] neg_lo:[1,0,0] neg_hi:[1,0,0]
	v_pk_fma_f32 v[136:137], v[200:201], v[194:195], v[136:137] op_sel_hi:[0,1,1] neg_lo:[1,0,0] neg_hi:[1,0,0]
	s_waitcnt lgkmcnt(1)
	v_pk_fma_f32 v[158:159], v[200:201], v[196:197], v[158:159] op_sel_hi:[0,1,1] neg_lo:[1,0,0] neg_hi:[1,0,0]
	ds_read2_b64 v[192:195], v179 offset0:12 offset1:13
	v_pk_fma_f32 v[134:135], v[200:201], v[198:199], v[134:135] op_sel_hi:[0,1,1] neg_lo:[1,0,0] neg_hi:[1,0,0]
	s_waitcnt lgkmcnt(1)
	v_pk_fma_f32 v[156:157], v[200:201], v[188:189], v[156:157] op_sel_hi:[0,1,1] neg_lo:[1,0,0] neg_hi:[1,0,0]
	ds_read2_b64 v[196:199], v179 offset0:14 offset1:15
	v_pk_fma_f32 v[132:133], v[200:201], v[190:191], v[132:133] op_sel_hi:[0,1,1] neg_lo:[1,0,0] neg_hi:[1,0,0]
	ds_read2_b64 v[188:191], v179 offset0:16 offset1:17
	s_waitcnt lgkmcnt(2)
	v_pk_fma_f32 v[154:155], v[200:201], v[192:193], v[154:155] op_sel_hi:[0,1,1] neg_lo:[1,0,0] neg_hi:[1,0,0]
	v_pk_fma_f32 v[130:131], v[200:201], v[194:195], v[130:131] op_sel_hi:[0,1,1] neg_lo:[1,0,0] neg_hi:[1,0,0]
	s_waitcnt lgkmcnt(1)
	v_pk_fma_f32 v[152:153], v[200:201], v[196:197], v[152:153] op_sel_hi:[0,1,1] neg_lo:[1,0,0] neg_hi:[1,0,0]
	ds_read2_b64 v[192:195], v179 offset0:18 offset1:19
	v_pk_fma_f32 v[128:129], v[200:201], v[198:199], v[128:129] op_sel_hi:[0,1,1] neg_lo:[1,0,0] neg_hi:[1,0,0]
	s_waitcnt lgkmcnt(1)
	v_pk_fma_f32 v[150:151], v[200:201], v[188:189], v[150:151] op_sel_hi:[0,1,1] neg_lo:[1,0,0] neg_hi:[1,0,0]
	ds_read2_b64 v[196:199], v179 offset0:20 offset1:21
	v_pk_fma_f32 v[126:127], v[200:201], v[190:191], v[126:127] op_sel_hi:[0,1,1] neg_lo:[1,0,0] neg_hi:[1,0,0]
	ds_read2_b64 v[188:191], v179 offset0:22 offset1:23
	s_waitcnt lgkmcnt(2)
	v_pk_fma_f32 v[148:149], v[200:201], v[192:193], v[148:149] op_sel_hi:[0,1,1] neg_lo:[1,0,0] neg_hi:[1,0,0]
	v_pk_fma_f32 v[124:125], v[200:201], v[194:195], v[124:125] op_sel_hi:[0,1,1] neg_lo:[1,0,0] neg_hi:[1,0,0]
	s_waitcnt lgkmcnt(1)
	v_pk_fma_f32 v[146:147], v[200:201], v[196:197], v[146:147] op_sel_hi:[0,1,1] neg_lo:[1,0,0] neg_hi:[1,0,0]
	v_pk_fma_f32 v[122:123], v[200:201], v[198:199], v[122:123] op_sel_hi:[0,1,1] neg_lo:[1,0,0] neg_hi:[1,0,0]
	ds_read2_b64 v[192:195], v179 offset0:24 offset1:25
	ds_read2_b64 v[196:199], v179 offset0:26 offset1:27
	s_waitcnt lgkmcnt(2)
	v_pk_fma_f32 v[144:145], v[200:201], v[188:189], v[144:145] op_sel_hi:[0,1,1] neg_lo:[1,0,0] neg_hi:[1,0,0]
	ds_read_b64 v[188:189], v179 offset:224
	v_pk_fma_f32 v[120:121], v[200:201], v[190:191], v[120:121] op_sel_hi:[0,1,1] neg_lo:[1,0,0] neg_hi:[1,0,0]
	s_waitcnt lgkmcnt(2)
	v_pk_fma_f32 v[142:143], v[200:201], v[192:193], v[142:143] op_sel_hi:[0,1,1] neg_lo:[1,0,0] neg_hi:[1,0,0]
	v_pk_fma_f32 v[118:119], v[200:201], v[194:195], v[118:119] op_sel_hi:[0,1,1] neg_lo:[1,0,0] neg_hi:[1,0,0]
	s_waitcnt lgkmcnt(1)
	v_pk_fma_f32 v[140:141], v[200:201], v[196:197], v[140:141] op_sel_hi:[0,1,1] neg_lo:[1,0,0] neg_hi:[1,0,0]
	;; [unrolled: 3-line block ×3, first 2 shown]
.LBB115_43:
	s_or_b64 exec, exec, s[2:3]
	v_cmp_eq_u32_e32 vcc, 8, v175
	s_waitcnt lgkmcnt(0)
	s_barrier
	s_and_saveexec_b64 s[2:3], vcc
	s_cbranch_execz .LBB115_46
; %bb.44:
	s_waitcnt vmcnt(54)
	v_pk_mov_b32 v[188:189], v[162:163], v[138:139] op_sel:[1,0]
	ds_write_b32 v177, v162
	ds_write2_b32 v179, v188, v189 offset0:9 offset1:10
	s_waitcnt vmcnt(52)
	v_pk_mov_b32 v[188:189], v[138:139], v[160:161] op_sel:[1,0]
	ds_write2_b32 v179, v188, v189 offset0:11 offset1:12
	s_waitcnt vmcnt(50)
	v_pk_mov_b32 v[188:189], v[160:161], v[136:137] op_sel:[1,0]
	;; [unrolled: 3-line block ×23, first 2 shown]
	ds_write2_b32 v179, v188, v189 offset0:55 offset1:56
	ds_write_b32 v179, v165 offset:228
	ds_read_b32 v187, v177
	s_waitcnt lgkmcnt(0)
	v_cmp_neq_f32_e32 vcc, 0, v187
	s_and_b64 exec, exec, vcc
	s_cbranch_execz .LBB115_46
; %bb.45:
	v_div_scale_f32 v188, s[4:5], v187, v187, 1.0
	v_rcp_f32_e32 v189, v188
	v_div_scale_f32 v190, vcc, 1.0, v187, 1.0
	v_fma_f32 v191, -v188, v189, 1.0
	v_fmac_f32_e32 v189, v191, v189
	v_mul_f32_e32 v191, v190, v189
	v_fma_f32 v192, -v188, v191, v190
	v_fmac_f32_e32 v191, v192, v189
	v_fma_f32 v188, -v188, v191, v190
	v_div_fmas_f32 v188, v188, v189, v191
	v_div_fixup_f32 v187, v188, v187, 1.0
	ds_write_b32 v177, v187
.LBB115_46:
	s_or_b64 exec, exec, s[2:3]
	s_waitcnt lgkmcnt(0)
	s_barrier
	ds_read_b32 v187, v177
	v_cmp_lt_u32_e32 vcc, 8, v175
	s_and_saveexec_b64 s[2:3], vcc
	s_cbranch_execz .LBB115_48
; %bb.47:
	ds_read_b32 v200, v179 offset:36
	ds_read2_b64 v[188:191], v179 offset0:5 offset1:6
	ds_read2_b64 v[192:195], v179 offset0:7 offset1:8
	;; [unrolled: 1-line block ×3, first 2 shown]
	s_waitcnt vmcnt(57) lgkmcnt(4)
	v_mul_f32_e32 v162, v187, v162
	s_waitcnt vmcnt(56) lgkmcnt(3)
	v_fma_f32 v163, -v162, v200, v163
	s_waitcnt vmcnt(54) lgkmcnt(2)
	v_pk_fma_f32 v[138:139], v[162:163], v[188:189], v[138:139] op_sel_hi:[0,1,1] neg_lo:[1,0,0] neg_hi:[1,0,0]
	s_waitcnt vmcnt(52)
	v_pk_fma_f32 v[160:161], v[162:163], v[190:191], v[160:161] op_sel_hi:[0,1,1] neg_lo:[1,0,0] neg_hi:[1,0,0]
	s_waitcnt vmcnt(50) lgkmcnt(1)
	v_pk_fma_f32 v[136:137], v[162:163], v[192:193], v[136:137] op_sel_hi:[0,1,1] neg_lo:[1,0,0] neg_hi:[1,0,0]
	ds_read2_b64 v[188:191], v179 offset0:11 offset1:12
	s_waitcnt vmcnt(48)
	v_pk_fma_f32 v[158:159], v[162:163], v[194:195], v[158:159] op_sel_hi:[0,1,1] neg_lo:[1,0,0] neg_hi:[1,0,0]
	s_waitcnt vmcnt(46) lgkmcnt(1)
	v_pk_fma_f32 v[134:135], v[162:163], v[196:197], v[134:135] op_sel_hi:[0,1,1] neg_lo:[1,0,0] neg_hi:[1,0,0]
	ds_read2_b64 v[192:195], v179 offset0:13 offset1:14
	s_waitcnt vmcnt(44)
	v_pk_fma_f32 v[156:157], v[162:163], v[198:199], v[156:157] op_sel_hi:[0,1,1] neg_lo:[1,0,0] neg_hi:[1,0,0]
	ds_read2_b64 v[196:199], v179 offset0:15 offset1:16
	s_waitcnt vmcnt(42) lgkmcnt(2)
	v_pk_fma_f32 v[132:133], v[162:163], v[188:189], v[132:133] op_sel_hi:[0,1,1] neg_lo:[1,0,0] neg_hi:[1,0,0]
	s_waitcnt vmcnt(40)
	v_pk_fma_f32 v[154:155], v[162:163], v[190:191], v[154:155] op_sel_hi:[0,1,1] neg_lo:[1,0,0] neg_hi:[1,0,0]
	s_waitcnt vmcnt(38) lgkmcnt(1)
	v_pk_fma_f32 v[130:131], v[162:163], v[192:193], v[130:131] op_sel_hi:[0,1,1] neg_lo:[1,0,0] neg_hi:[1,0,0]
	ds_read2_b64 v[188:191], v179 offset0:17 offset1:18
	s_waitcnt vmcnt(36)
	v_pk_fma_f32 v[152:153], v[162:163], v[194:195], v[152:153] op_sel_hi:[0,1,1] neg_lo:[1,0,0] neg_hi:[1,0,0]
	s_waitcnt vmcnt(34) lgkmcnt(1)
	v_pk_fma_f32 v[128:129], v[162:163], v[196:197], v[128:129] op_sel_hi:[0,1,1] neg_lo:[1,0,0] neg_hi:[1,0,0]
	ds_read2_b64 v[192:195], v179 offset0:19 offset1:20
	s_waitcnt vmcnt(32)
	v_pk_fma_f32 v[150:151], v[162:163], v[198:199], v[150:151] op_sel_hi:[0,1,1] neg_lo:[1,0,0] neg_hi:[1,0,0]
	ds_read2_b64 v[196:199], v179 offset0:21 offset1:22
	s_waitcnt vmcnt(30) lgkmcnt(2)
	v_pk_fma_f32 v[126:127], v[162:163], v[188:189], v[126:127] op_sel_hi:[0,1,1] neg_lo:[1,0,0] neg_hi:[1,0,0]
	s_waitcnt vmcnt(28)
	v_pk_fma_f32 v[148:149], v[162:163], v[190:191], v[148:149] op_sel_hi:[0,1,1] neg_lo:[1,0,0] neg_hi:[1,0,0]
	s_waitcnt vmcnt(26) lgkmcnt(1)
	v_pk_fma_f32 v[124:125], v[162:163], v[192:193], v[124:125] op_sel_hi:[0,1,1] neg_lo:[1,0,0] neg_hi:[1,0,0]
	s_waitcnt vmcnt(24)
	v_pk_fma_f32 v[146:147], v[162:163], v[194:195], v[146:147] op_sel_hi:[0,1,1] neg_lo:[1,0,0] neg_hi:[1,0,0]
	ds_read2_b64 v[188:191], v179 offset0:23 offset1:24
	ds_read2_b64 v[192:195], v179 offset0:25 offset1:26
	s_waitcnt vmcnt(22) lgkmcnt(2)
	v_pk_fma_f32 v[122:123], v[162:163], v[196:197], v[122:123] op_sel_hi:[0,1,1] neg_lo:[1,0,0] neg_hi:[1,0,0]
	s_waitcnt vmcnt(20)
	v_pk_fma_f32 v[144:145], v[162:163], v[198:199], v[144:145] op_sel_hi:[0,1,1] neg_lo:[1,0,0] neg_hi:[1,0,0]
	ds_read2_b64 v[196:199], v179 offset0:27 offset1:28
	s_waitcnt vmcnt(18) lgkmcnt(2)
	v_pk_fma_f32 v[120:121], v[162:163], v[188:189], v[120:121] op_sel_hi:[0,1,1] neg_lo:[1,0,0] neg_hi:[1,0,0]
	s_waitcnt vmcnt(16)
	v_pk_fma_f32 v[142:143], v[162:163], v[190:191], v[142:143] op_sel_hi:[0,1,1] neg_lo:[1,0,0] neg_hi:[1,0,0]
	s_waitcnt vmcnt(14) lgkmcnt(1)
	v_pk_fma_f32 v[118:119], v[162:163], v[192:193], v[118:119] op_sel_hi:[0,1,1] neg_lo:[1,0,0] neg_hi:[1,0,0]
	s_waitcnt vmcnt(12)
	v_pk_fma_f32 v[140:141], v[162:163], v[194:195], v[140:141] op_sel_hi:[0,1,1] neg_lo:[1,0,0] neg_hi:[1,0,0]
	;; [unrolled: 4-line block ×3, first 2 shown]
.LBB115_48:
	s_or_b64 exec, exec, s[2:3]
	v_cmp_ne_u32_e32 vcc, 9, v175
	s_waitcnt lgkmcnt(0)
	s_barrier
	s_and_saveexec_b64 s[2:3], vcc
	s_xor_b64 s[2:3], exec, s[2:3]
	s_andn2_saveexec_b64 s[2:3], s[2:3]
	s_cbranch_execz .LBB115_52
; %bb.49:
	s_waitcnt vmcnt(56)
	ds_write_b32 v177, v163
	s_waitcnt vmcnt(52)
	ds_write2_b64 v179, v[138:139], v[160:161] offset0:5 offset1:6
	s_waitcnt vmcnt(48)
	ds_write2_b64 v179, v[136:137], v[158:159] offset0:7 offset1:8
	;; [unrolled: 2-line block ×12, first 2 shown]
	ds_read_b32 v188, v177
	s_waitcnt lgkmcnt(0)
	v_cmp_neq_f32_e32 vcc, 0, v188
	s_and_saveexec_b64 s[4:5], vcc
	s_cbranch_execz .LBB115_51
; %bb.50:
	v_div_scale_f32 v189, s[10:11], v188, v188, 1.0
	v_rcp_f32_e32 v190, v189
	v_div_scale_f32 v191, vcc, 1.0, v188, 1.0
	v_fma_f32 v192, -v189, v190, 1.0
	v_fmac_f32_e32 v190, v192, v190
	v_mul_f32_e32 v192, v191, v190
	v_fma_f32 v193, -v189, v192, v191
	v_fmac_f32_e32 v192, v193, v190
	v_fma_f32 v189, -v189, v192, v191
	v_div_fmas_f32 v189, v189, v190, v192
	v_div_fixup_f32 v188, v189, v188, 1.0
	ds_write_b32 v177, v188
.LBB115_51:
	s_or_b64 exec, exec, s[4:5]
.LBB115_52:
	s_or_b64 exec, exec, s[2:3]
	s_waitcnt lgkmcnt(0)
	s_barrier
	ds_read_b32 v188, v177
	v_cmp_lt_u32_e32 vcc, 9, v175
	s_and_saveexec_b64 s[2:3], vcc
	s_cbranch_execz .LBB115_54
; %bb.53:
	ds_read2_b64 v[190:193], v179 offset0:5 offset1:6
	ds_read2_b64 v[194:197], v179 offset0:7 offset1:8
	;; [unrolled: 1-line block ×3, first 2 shown]
	s_waitcnt vmcnt(56) lgkmcnt(3)
	v_mul_f32_e32 v202, v188, v163
	v_mov_b32_e32 v163, v202
	s_waitcnt vmcnt(54) lgkmcnt(2)
	v_pk_fma_f32 v[138:139], v[202:203], v[190:191], v[138:139] op_sel_hi:[0,1,1] neg_lo:[1,0,0] neg_hi:[1,0,0]
	s_waitcnt vmcnt(52)
	v_pk_fma_f32 v[160:161], v[202:203], v[192:193], v[160:161] op_sel_hi:[0,1,1] neg_lo:[1,0,0] neg_hi:[1,0,0]
	s_waitcnt vmcnt(50) lgkmcnt(1)
	v_pk_fma_f32 v[136:137], v[202:203], v[194:195], v[136:137] op_sel_hi:[0,1,1] neg_lo:[1,0,0] neg_hi:[1,0,0]
	ds_read2_b64 v[190:193], v179 offset0:11 offset1:12
	s_waitcnt vmcnt(48)
	v_pk_fma_f32 v[158:159], v[202:203], v[196:197], v[158:159] op_sel_hi:[0,1,1] neg_lo:[1,0,0] neg_hi:[1,0,0]
	s_waitcnt vmcnt(46) lgkmcnt(1)
	v_pk_fma_f32 v[134:135], v[202:203], v[198:199], v[134:135] op_sel_hi:[0,1,1] neg_lo:[1,0,0] neg_hi:[1,0,0]
	ds_read2_b64 v[194:197], v179 offset0:13 offset1:14
	s_waitcnt vmcnt(44)
	v_pk_fma_f32 v[156:157], v[202:203], v[200:201], v[156:157] op_sel_hi:[0,1,1] neg_lo:[1,0,0] neg_hi:[1,0,0]
	ds_read2_b64 v[198:201], v179 offset0:15 offset1:16
	s_waitcnt vmcnt(42) lgkmcnt(2)
	v_pk_fma_f32 v[132:133], v[202:203], v[190:191], v[132:133] op_sel_hi:[0,1,1] neg_lo:[1,0,0] neg_hi:[1,0,0]
	s_waitcnt vmcnt(40)
	v_pk_fma_f32 v[154:155], v[202:203], v[192:193], v[154:155] op_sel_hi:[0,1,1] neg_lo:[1,0,0] neg_hi:[1,0,0]
	s_waitcnt vmcnt(38) lgkmcnt(1)
	v_pk_fma_f32 v[130:131], v[202:203], v[194:195], v[130:131] op_sel_hi:[0,1,1] neg_lo:[1,0,0] neg_hi:[1,0,0]
	ds_read2_b64 v[190:193], v179 offset0:17 offset1:18
	s_waitcnt vmcnt(36)
	v_pk_fma_f32 v[152:153], v[202:203], v[196:197], v[152:153] op_sel_hi:[0,1,1] neg_lo:[1,0,0] neg_hi:[1,0,0]
	s_waitcnt vmcnt(34) lgkmcnt(1)
	v_pk_fma_f32 v[128:129], v[202:203], v[198:199], v[128:129] op_sel_hi:[0,1,1] neg_lo:[1,0,0] neg_hi:[1,0,0]
	ds_read2_b64 v[194:197], v179 offset0:19 offset1:20
	s_waitcnt vmcnt(32)
	v_pk_fma_f32 v[150:151], v[202:203], v[200:201], v[150:151] op_sel_hi:[0,1,1] neg_lo:[1,0,0] neg_hi:[1,0,0]
	ds_read2_b64 v[198:201], v179 offset0:21 offset1:22
	s_waitcnt vmcnt(30) lgkmcnt(2)
	v_pk_fma_f32 v[126:127], v[202:203], v[190:191], v[126:127] op_sel_hi:[0,1,1] neg_lo:[1,0,0] neg_hi:[1,0,0]
	s_waitcnt vmcnt(28)
	v_pk_fma_f32 v[148:149], v[202:203], v[192:193], v[148:149] op_sel_hi:[0,1,1] neg_lo:[1,0,0] neg_hi:[1,0,0]
	s_waitcnt vmcnt(26) lgkmcnt(1)
	v_pk_fma_f32 v[124:125], v[202:203], v[194:195], v[124:125] op_sel_hi:[0,1,1] neg_lo:[1,0,0] neg_hi:[1,0,0]
	s_waitcnt vmcnt(24)
	v_pk_fma_f32 v[146:147], v[202:203], v[196:197], v[146:147] op_sel_hi:[0,1,1] neg_lo:[1,0,0] neg_hi:[1,0,0]
	ds_read2_b64 v[190:193], v179 offset0:23 offset1:24
	s_waitcnt vmcnt(22) lgkmcnt(1)
	v_pk_fma_f32 v[122:123], v[202:203], v[198:199], v[122:123] op_sel_hi:[0,1,1] neg_lo:[1,0,0] neg_hi:[1,0,0]
	ds_read2_b64 v[194:197], v179 offset0:25 offset1:26
	s_waitcnt vmcnt(20)
	v_pk_fma_f32 v[144:145], v[202:203], v[200:201], v[144:145] op_sel_hi:[0,1,1] neg_lo:[1,0,0] neg_hi:[1,0,0]
	ds_read2_b64 v[198:201], v179 offset0:27 offset1:28
	s_waitcnt vmcnt(18) lgkmcnt(2)
	v_pk_fma_f32 v[120:121], v[202:203], v[190:191], v[120:121] op_sel_hi:[0,1,1] neg_lo:[1,0,0] neg_hi:[1,0,0]
	s_waitcnt vmcnt(16)
	v_pk_fma_f32 v[142:143], v[202:203], v[192:193], v[142:143] op_sel_hi:[0,1,1] neg_lo:[1,0,0] neg_hi:[1,0,0]
	s_waitcnt vmcnt(14) lgkmcnt(1)
	v_pk_fma_f32 v[118:119], v[202:203], v[194:195], v[118:119] op_sel_hi:[0,1,1] neg_lo:[1,0,0] neg_hi:[1,0,0]
	s_waitcnt vmcnt(12)
	v_pk_fma_f32 v[140:141], v[202:203], v[196:197], v[140:141] op_sel_hi:[0,1,1] neg_lo:[1,0,0] neg_hi:[1,0,0]
	s_waitcnt vmcnt(10) lgkmcnt(0)
	v_pk_fma_f32 v[116:117], v[202:203], v[198:199], v[116:117] op_sel_hi:[0,1,1] neg_lo:[1,0,0] neg_hi:[1,0,0]
	s_waitcnt vmcnt(8)
	v_pk_fma_f32 v[164:165], v[202:203], v[200:201], v[164:165] op_sel_hi:[0,1,1] neg_lo:[1,0,0] neg_hi:[1,0,0]
.LBB115_54:
	s_or_b64 exec, exec, s[2:3]
	v_cmp_eq_u32_e32 vcc, 10, v175
	s_waitcnt lgkmcnt(0)
	s_barrier
	s_and_saveexec_b64 s[2:3], vcc
	s_cbranch_execz .LBB115_57
; %bb.55:
	s_waitcnt vmcnt(52)
	v_pk_mov_b32 v[190:191], v[138:139], v[160:161] op_sel:[1,0]
	ds_write_b32 v177, v138
	ds_write2_b32 v179, v190, v191 offset0:11 offset1:12
	s_waitcnt vmcnt(50)
	v_pk_mov_b32 v[190:191], v[160:161], v[136:137] op_sel:[1,0]
	ds_write2_b32 v179, v190, v191 offset0:13 offset1:14
	s_waitcnt vmcnt(48)
	v_pk_mov_b32 v[190:191], v[136:137], v[158:159] op_sel:[1,0]
	;; [unrolled: 3-line block ×22, first 2 shown]
	ds_write2_b32 v179, v190, v191 offset0:55 offset1:56
	ds_write_b32 v179, v165 offset:228
	ds_read_b32 v189, v177
	s_waitcnt lgkmcnt(0)
	v_cmp_neq_f32_e32 vcc, 0, v189
	s_and_b64 exec, exec, vcc
	s_cbranch_execz .LBB115_57
; %bb.56:
	v_div_scale_f32 v190, s[4:5], v189, v189, 1.0
	v_rcp_f32_e32 v191, v190
	v_div_scale_f32 v192, vcc, 1.0, v189, 1.0
	v_fma_f32 v193, -v190, v191, 1.0
	v_fmac_f32_e32 v191, v193, v191
	v_mul_f32_e32 v193, v192, v191
	v_fma_f32 v194, -v190, v193, v192
	v_fmac_f32_e32 v193, v194, v191
	v_fma_f32 v190, -v190, v193, v192
	v_div_fmas_f32 v190, v190, v191, v193
	v_div_fixup_f32 v189, v190, v189, 1.0
	ds_write_b32 v177, v189
.LBB115_57:
	s_or_b64 exec, exec, s[2:3]
	s_waitcnt lgkmcnt(0)
	s_barrier
	ds_read_b32 v189, v177
	v_cmp_lt_u32_e32 vcc, 10, v175
	s_and_saveexec_b64 s[2:3], vcc
	s_cbranch_execz .LBB115_59
; %bb.58:
	ds_read_b32 v202, v179 offset:44
	ds_read2_b64 v[190:193], v179 offset0:6 offset1:7
	ds_read2_b64 v[194:197], v179 offset0:8 offset1:9
	;; [unrolled: 1-line block ×3, first 2 shown]
	s_waitcnt vmcnt(55) lgkmcnt(4)
	v_mul_f32_e32 v138, v189, v138
	s_waitcnt vmcnt(54) lgkmcnt(3)
	v_fma_f32 v139, -v138, v202, v139
	s_waitcnt vmcnt(52) lgkmcnt(2)
	v_pk_fma_f32 v[160:161], v[138:139], v[190:191], v[160:161] op_sel_hi:[0,1,1] neg_lo:[1,0,0] neg_hi:[1,0,0]
	s_waitcnt vmcnt(50)
	v_pk_fma_f32 v[136:137], v[138:139], v[192:193], v[136:137] op_sel_hi:[0,1,1] neg_lo:[1,0,0] neg_hi:[1,0,0]
	s_waitcnt vmcnt(48) lgkmcnt(1)
	v_pk_fma_f32 v[158:159], v[138:139], v[194:195], v[158:159] op_sel_hi:[0,1,1] neg_lo:[1,0,0] neg_hi:[1,0,0]
	ds_read2_b64 v[190:193], v179 offset0:12 offset1:13
	s_waitcnt vmcnt(46)
	v_pk_fma_f32 v[134:135], v[138:139], v[196:197], v[134:135] op_sel_hi:[0,1,1] neg_lo:[1,0,0] neg_hi:[1,0,0]
	s_waitcnt vmcnt(44) lgkmcnt(1)
	v_pk_fma_f32 v[156:157], v[138:139], v[198:199], v[156:157] op_sel_hi:[0,1,1] neg_lo:[1,0,0] neg_hi:[1,0,0]
	ds_read2_b64 v[194:197], v179 offset0:14 offset1:15
	s_waitcnt vmcnt(42)
	v_pk_fma_f32 v[132:133], v[138:139], v[200:201], v[132:133] op_sel_hi:[0,1,1] neg_lo:[1,0,0] neg_hi:[1,0,0]
	ds_read2_b64 v[198:201], v179 offset0:16 offset1:17
	s_waitcnt vmcnt(40) lgkmcnt(2)
	v_pk_fma_f32 v[154:155], v[138:139], v[190:191], v[154:155] op_sel_hi:[0,1,1] neg_lo:[1,0,0] neg_hi:[1,0,0]
	s_waitcnt vmcnt(38)
	v_pk_fma_f32 v[130:131], v[138:139], v[192:193], v[130:131] op_sel_hi:[0,1,1] neg_lo:[1,0,0] neg_hi:[1,0,0]
	s_waitcnt vmcnt(36) lgkmcnt(1)
	v_pk_fma_f32 v[152:153], v[138:139], v[194:195], v[152:153] op_sel_hi:[0,1,1] neg_lo:[1,0,0] neg_hi:[1,0,0]
	ds_read2_b64 v[190:193], v179 offset0:18 offset1:19
	s_waitcnt vmcnt(34)
	v_pk_fma_f32 v[128:129], v[138:139], v[196:197], v[128:129] op_sel_hi:[0,1,1] neg_lo:[1,0,0] neg_hi:[1,0,0]
	s_waitcnt vmcnt(32) lgkmcnt(1)
	v_pk_fma_f32 v[150:151], v[138:139], v[198:199], v[150:151] op_sel_hi:[0,1,1] neg_lo:[1,0,0] neg_hi:[1,0,0]
	ds_read2_b64 v[194:197], v179 offset0:20 offset1:21
	s_waitcnt vmcnt(30)
	v_pk_fma_f32 v[126:127], v[138:139], v[200:201], v[126:127] op_sel_hi:[0,1,1] neg_lo:[1,0,0] neg_hi:[1,0,0]
	ds_read2_b64 v[198:201], v179 offset0:22 offset1:23
	s_waitcnt vmcnt(28) lgkmcnt(2)
	v_pk_fma_f32 v[148:149], v[138:139], v[190:191], v[148:149] op_sel_hi:[0,1,1] neg_lo:[1,0,0] neg_hi:[1,0,0]
	s_waitcnt vmcnt(26)
	v_pk_fma_f32 v[124:125], v[138:139], v[192:193], v[124:125] op_sel_hi:[0,1,1] neg_lo:[1,0,0] neg_hi:[1,0,0]
	s_waitcnt vmcnt(24) lgkmcnt(1)
	v_pk_fma_f32 v[146:147], v[138:139], v[194:195], v[146:147] op_sel_hi:[0,1,1] neg_lo:[1,0,0] neg_hi:[1,0,0]
	s_waitcnt vmcnt(22)
	v_pk_fma_f32 v[122:123], v[138:139], v[196:197], v[122:123] op_sel_hi:[0,1,1] neg_lo:[1,0,0] neg_hi:[1,0,0]
	ds_read2_b64 v[190:193], v179 offset0:24 offset1:25
	ds_read2_b64 v[194:197], v179 offset0:26 offset1:27
	s_waitcnt vmcnt(20) lgkmcnt(2)
	v_pk_fma_f32 v[144:145], v[138:139], v[198:199], v[144:145] op_sel_hi:[0,1,1] neg_lo:[1,0,0] neg_hi:[1,0,0]
	ds_read_b64 v[198:199], v179 offset:224
	s_waitcnt vmcnt(18)
	v_pk_fma_f32 v[120:121], v[138:139], v[200:201], v[120:121] op_sel_hi:[0,1,1] neg_lo:[1,0,0] neg_hi:[1,0,0]
	s_waitcnt vmcnt(16) lgkmcnt(2)
	v_pk_fma_f32 v[142:143], v[138:139], v[190:191], v[142:143] op_sel_hi:[0,1,1] neg_lo:[1,0,0] neg_hi:[1,0,0]
	s_waitcnt vmcnt(14)
	v_pk_fma_f32 v[118:119], v[138:139], v[192:193], v[118:119] op_sel_hi:[0,1,1] neg_lo:[1,0,0] neg_hi:[1,0,0]
	s_waitcnt vmcnt(12) lgkmcnt(1)
	v_pk_fma_f32 v[140:141], v[138:139], v[194:195], v[140:141] op_sel_hi:[0,1,1] neg_lo:[1,0,0] neg_hi:[1,0,0]
	;; [unrolled: 4-line block ×3, first 2 shown]
.LBB115_59:
	s_or_b64 exec, exec, s[2:3]
	v_cmp_ne_u32_e32 vcc, 11, v175
	s_waitcnt lgkmcnt(0)
	s_barrier
	s_and_saveexec_b64 s[2:3], vcc
	s_xor_b64 s[2:3], exec, s[2:3]
	s_andn2_saveexec_b64 s[2:3], s[2:3]
	s_cbranch_execz .LBB115_63
; %bb.60:
	s_waitcnt vmcnt(53)
	v_mov_b32_e32 v190, v160
	s_waitcnt vmcnt(52)
	v_mov_b32_e32 v191, v161
	s_waitcnt vmcnt(51)
	v_mov_b32_e32 v192, v136
	s_waitcnt vmcnt(50)
	v_mov_b32_e32 v193, v137
	ds_write_b32 v177, v139
	ds_write2_b64 v179, v[190:191], v[192:193] offset0:6 offset1:7
	s_waitcnt vmcnt(49)
	v_mov_b32_e32 v190, v158
	s_waitcnt vmcnt(48)
	v_mov_b32_e32 v191, v159
	s_waitcnt vmcnt(47)
	v_mov_b32_e32 v192, v134
	s_waitcnt vmcnt(46)
	v_mov_b32_e32 v193, v135
	ds_write2_b64 v179, v[190:191], v[192:193] offset0:8 offset1:9
	s_waitcnt vmcnt(45)
	v_mov_b32_e32 v190, v156
	s_waitcnt vmcnt(44)
	v_mov_b32_e32 v191, v157
	s_waitcnt vmcnt(43)
	v_mov_b32_e32 v192, v132
	s_waitcnt vmcnt(42)
	v_mov_b32_e32 v193, v133
	;; [unrolled: 9-line block ×10, first 2 shown]
	ds_write2_b64 v179, v[190:191], v[192:193] offset0:26 offset1:27
	s_waitcnt vmcnt(8)
	ds_write_b64 v179, v[164:165] offset:224
	ds_read_b32 v190, v177
	s_waitcnt lgkmcnt(0)
	v_cmp_neq_f32_e32 vcc, 0, v190
	s_and_saveexec_b64 s[4:5], vcc
	s_cbranch_execz .LBB115_62
; %bb.61:
	v_div_scale_f32 v191, s[10:11], v190, v190, 1.0
	v_rcp_f32_e32 v192, v191
	v_div_scale_f32 v193, vcc, 1.0, v190, 1.0
	v_fma_f32 v194, -v191, v192, 1.0
	v_fmac_f32_e32 v192, v194, v192
	v_mul_f32_e32 v194, v193, v192
	v_fma_f32 v195, -v191, v194, v193
	v_fmac_f32_e32 v194, v195, v192
	v_fma_f32 v191, -v191, v194, v193
	v_div_fmas_f32 v191, v191, v192, v194
	v_div_fixup_f32 v190, v191, v190, 1.0
	ds_write_b32 v177, v190
.LBB115_62:
	s_or_b64 exec, exec, s[4:5]
.LBB115_63:
	s_or_b64 exec, exec, s[2:3]
	s_waitcnt lgkmcnt(0)
	s_barrier
	ds_read_b32 v190, v177
	v_cmp_lt_u32_e32 vcc, 11, v175
	s_and_saveexec_b64 s[2:3], vcc
	s_cbranch_execz .LBB115_65
; %bb.64:
	ds_read2_b64 v[192:195], v179 offset0:6 offset1:7
	ds_read2_b64 v[196:199], v179 offset0:8 offset1:9
	;; [unrolled: 1-line block ×3, first 2 shown]
	s_waitcnt vmcnt(54) lgkmcnt(3)
	v_mul_f32_e32 v204, v190, v139
	v_mov_b32_e32 v139, v204
	s_waitcnt vmcnt(52) lgkmcnt(2)
	v_pk_fma_f32 v[160:161], v[204:205], v[192:193], v[160:161] op_sel_hi:[0,1,1] neg_lo:[1,0,0] neg_hi:[1,0,0]
	s_waitcnt vmcnt(50)
	v_pk_fma_f32 v[136:137], v[204:205], v[194:195], v[136:137] op_sel_hi:[0,1,1] neg_lo:[1,0,0] neg_hi:[1,0,0]
	s_waitcnt vmcnt(48) lgkmcnt(1)
	v_pk_fma_f32 v[158:159], v[204:205], v[196:197], v[158:159] op_sel_hi:[0,1,1] neg_lo:[1,0,0] neg_hi:[1,0,0]
	ds_read2_b64 v[192:195], v179 offset0:12 offset1:13
	s_waitcnt vmcnt(46)
	v_pk_fma_f32 v[134:135], v[204:205], v[198:199], v[134:135] op_sel_hi:[0,1,1] neg_lo:[1,0,0] neg_hi:[1,0,0]
	s_waitcnt vmcnt(44) lgkmcnt(1)
	v_pk_fma_f32 v[156:157], v[204:205], v[200:201], v[156:157] op_sel_hi:[0,1,1] neg_lo:[1,0,0] neg_hi:[1,0,0]
	ds_read2_b64 v[196:199], v179 offset0:14 offset1:15
	s_waitcnt vmcnt(42)
	v_pk_fma_f32 v[132:133], v[204:205], v[202:203], v[132:133] op_sel_hi:[0,1,1] neg_lo:[1,0,0] neg_hi:[1,0,0]
	ds_read2_b64 v[200:203], v179 offset0:16 offset1:17
	s_waitcnt vmcnt(40) lgkmcnt(2)
	v_pk_fma_f32 v[154:155], v[204:205], v[192:193], v[154:155] op_sel_hi:[0,1,1] neg_lo:[1,0,0] neg_hi:[1,0,0]
	s_waitcnt vmcnt(38)
	v_pk_fma_f32 v[130:131], v[204:205], v[194:195], v[130:131] op_sel_hi:[0,1,1] neg_lo:[1,0,0] neg_hi:[1,0,0]
	s_waitcnt vmcnt(36) lgkmcnt(1)
	v_pk_fma_f32 v[152:153], v[204:205], v[196:197], v[152:153] op_sel_hi:[0,1,1] neg_lo:[1,0,0] neg_hi:[1,0,0]
	ds_read2_b64 v[192:195], v179 offset0:18 offset1:19
	s_waitcnt vmcnt(34)
	v_pk_fma_f32 v[128:129], v[204:205], v[198:199], v[128:129] op_sel_hi:[0,1,1] neg_lo:[1,0,0] neg_hi:[1,0,0]
	s_waitcnt vmcnt(32) lgkmcnt(1)
	v_pk_fma_f32 v[150:151], v[204:205], v[200:201], v[150:151] op_sel_hi:[0,1,1] neg_lo:[1,0,0] neg_hi:[1,0,0]
	ds_read2_b64 v[196:199], v179 offset0:20 offset1:21
	s_waitcnt vmcnt(30)
	v_pk_fma_f32 v[126:127], v[204:205], v[202:203], v[126:127] op_sel_hi:[0,1,1] neg_lo:[1,0,0] neg_hi:[1,0,0]
	ds_read2_b64 v[200:203], v179 offset0:22 offset1:23
	s_waitcnt vmcnt(28) lgkmcnt(2)
	v_pk_fma_f32 v[148:149], v[204:205], v[192:193], v[148:149] op_sel_hi:[0,1,1] neg_lo:[1,0,0] neg_hi:[1,0,0]
	s_waitcnt vmcnt(26)
	v_pk_fma_f32 v[124:125], v[204:205], v[194:195], v[124:125] op_sel_hi:[0,1,1] neg_lo:[1,0,0] neg_hi:[1,0,0]
	s_waitcnt vmcnt(24) lgkmcnt(1)
	v_pk_fma_f32 v[146:147], v[204:205], v[196:197], v[146:147] op_sel_hi:[0,1,1] neg_lo:[1,0,0] neg_hi:[1,0,0]
	s_waitcnt vmcnt(22)
	v_pk_fma_f32 v[122:123], v[204:205], v[198:199], v[122:123] op_sel_hi:[0,1,1] neg_lo:[1,0,0] neg_hi:[1,0,0]
	ds_read2_b64 v[192:195], v179 offset0:24 offset1:25
	s_waitcnt vmcnt(20) lgkmcnt(1)
	v_pk_fma_f32 v[144:145], v[204:205], v[200:201], v[144:145] op_sel_hi:[0,1,1] neg_lo:[1,0,0] neg_hi:[1,0,0]
	ds_read2_b64 v[196:199], v179 offset0:26 offset1:27
	ds_read_b64 v[200:201], v179 offset:224
	s_waitcnt vmcnt(18)
	v_pk_fma_f32 v[120:121], v[204:205], v[202:203], v[120:121] op_sel_hi:[0,1,1] neg_lo:[1,0,0] neg_hi:[1,0,0]
	s_waitcnt vmcnt(16) lgkmcnt(2)
	v_pk_fma_f32 v[142:143], v[204:205], v[192:193], v[142:143] op_sel_hi:[0,1,1] neg_lo:[1,0,0] neg_hi:[1,0,0]
	s_waitcnt vmcnt(14)
	v_pk_fma_f32 v[118:119], v[204:205], v[194:195], v[118:119] op_sel_hi:[0,1,1] neg_lo:[1,0,0] neg_hi:[1,0,0]
	s_waitcnt vmcnt(12) lgkmcnt(1)
	v_pk_fma_f32 v[140:141], v[204:205], v[196:197], v[140:141] op_sel_hi:[0,1,1] neg_lo:[1,0,0] neg_hi:[1,0,0]
	;; [unrolled: 4-line block ×3, first 2 shown]
.LBB115_65:
	s_or_b64 exec, exec, s[2:3]
	v_cmp_eq_u32_e32 vcc, 12, v175
	s_waitcnt lgkmcnt(0)
	s_barrier
	s_and_saveexec_b64 s[2:3], vcc
	s_cbranch_execz .LBB115_68
; %bb.66:
	s_waitcnt vmcnt(50)
	v_pk_mov_b32 v[192:193], v[160:161], v[136:137] op_sel:[1,0]
	ds_write_b32 v177, v160
	ds_write2_b32 v179, v192, v193 offset0:13 offset1:14
	s_waitcnt vmcnt(48)
	v_pk_mov_b32 v[192:193], v[136:137], v[158:159] op_sel:[1,0]
	ds_write2_b32 v179, v192, v193 offset0:15 offset1:16
	s_waitcnt vmcnt(46)
	v_pk_mov_b32 v[192:193], v[158:159], v[134:135] op_sel:[1,0]
	;; [unrolled: 3-line block ×21, first 2 shown]
	ds_write2_b32 v179, v192, v193 offset0:55 offset1:56
	ds_write_b32 v179, v165 offset:228
	ds_read_b32 v191, v177
	s_waitcnt lgkmcnt(0)
	v_cmp_neq_f32_e32 vcc, 0, v191
	s_and_b64 exec, exec, vcc
	s_cbranch_execz .LBB115_68
; %bb.67:
	v_div_scale_f32 v192, s[4:5], v191, v191, 1.0
	v_rcp_f32_e32 v193, v192
	v_div_scale_f32 v194, vcc, 1.0, v191, 1.0
	v_fma_f32 v195, -v192, v193, 1.0
	v_fmac_f32_e32 v193, v195, v193
	v_mul_f32_e32 v195, v194, v193
	v_fma_f32 v196, -v192, v195, v194
	v_fmac_f32_e32 v195, v196, v193
	v_fma_f32 v192, -v192, v195, v194
	v_div_fmas_f32 v192, v192, v193, v195
	v_div_fixup_f32 v191, v192, v191, 1.0
	ds_write_b32 v177, v191
.LBB115_68:
	s_or_b64 exec, exec, s[2:3]
	s_waitcnt lgkmcnt(0)
	s_barrier
	ds_read_b32 v191, v177
	v_cmp_lt_u32_e32 vcc, 12, v175
	s_and_saveexec_b64 s[2:3], vcc
	s_cbranch_execz .LBB115_70
; %bb.69:
	ds_read_b32 v204, v179 offset:52
	ds_read2_b64 v[192:195], v179 offset0:7 offset1:8
	ds_read2_b64 v[196:199], v179 offset0:9 offset1:10
	;; [unrolled: 1-line block ×3, first 2 shown]
	s_waitcnt vmcnt(53) lgkmcnt(4)
	v_mul_f32_e32 v160, v191, v160
	s_waitcnt vmcnt(52) lgkmcnt(3)
	v_fma_f32 v161, -v160, v204, v161
	s_waitcnt vmcnt(50) lgkmcnt(2)
	v_pk_fma_f32 v[136:137], v[160:161], v[192:193], v[136:137] op_sel_hi:[0,1,1] neg_lo:[1,0,0] neg_hi:[1,0,0]
	s_waitcnt vmcnt(48)
	v_pk_fma_f32 v[158:159], v[160:161], v[194:195], v[158:159] op_sel_hi:[0,1,1] neg_lo:[1,0,0] neg_hi:[1,0,0]
	s_waitcnt vmcnt(46) lgkmcnt(1)
	v_pk_fma_f32 v[134:135], v[160:161], v[196:197], v[134:135] op_sel_hi:[0,1,1] neg_lo:[1,0,0] neg_hi:[1,0,0]
	ds_read2_b64 v[192:195], v179 offset0:13 offset1:14
	s_waitcnt vmcnt(44)
	v_pk_fma_f32 v[156:157], v[160:161], v[198:199], v[156:157] op_sel_hi:[0,1,1] neg_lo:[1,0,0] neg_hi:[1,0,0]
	ds_read2_b64 v[196:199], v179 offset0:15 offset1:16
	s_waitcnt vmcnt(42) lgkmcnt(2)
	v_pk_fma_f32 v[132:133], v[160:161], v[200:201], v[132:133] op_sel_hi:[0,1,1] neg_lo:[1,0,0] neg_hi:[1,0,0]
	s_waitcnt vmcnt(40)
	v_pk_fma_f32 v[154:155], v[160:161], v[202:203], v[154:155] op_sel_hi:[0,1,1] neg_lo:[1,0,0] neg_hi:[1,0,0]
	s_waitcnt vmcnt(38) lgkmcnt(1)
	v_pk_fma_f32 v[130:131], v[160:161], v[192:193], v[130:131] op_sel_hi:[0,1,1] neg_lo:[1,0,0] neg_hi:[1,0,0]
	ds_read2_b64 v[200:203], v179 offset0:17 offset1:18
	s_waitcnt vmcnt(36)
	v_pk_fma_f32 v[152:153], v[160:161], v[194:195], v[152:153] op_sel_hi:[0,1,1] neg_lo:[1,0,0] neg_hi:[1,0,0]
	s_waitcnt vmcnt(34) lgkmcnt(1)
	v_pk_fma_f32 v[128:129], v[160:161], v[196:197], v[128:129] op_sel_hi:[0,1,1] neg_lo:[1,0,0] neg_hi:[1,0,0]
	ds_read2_b64 v[192:195], v179 offset0:19 offset1:20
	s_waitcnt vmcnt(32)
	v_pk_fma_f32 v[150:151], v[160:161], v[198:199], v[150:151] op_sel_hi:[0,1,1] neg_lo:[1,0,0] neg_hi:[1,0,0]
	ds_read2_b64 v[196:199], v179 offset0:21 offset1:22
	s_waitcnt vmcnt(30) lgkmcnt(2)
	v_pk_fma_f32 v[126:127], v[160:161], v[200:201], v[126:127] op_sel_hi:[0,1,1] neg_lo:[1,0,0] neg_hi:[1,0,0]
	s_waitcnt vmcnt(28)
	v_pk_fma_f32 v[148:149], v[160:161], v[202:203], v[148:149] op_sel_hi:[0,1,1] neg_lo:[1,0,0] neg_hi:[1,0,0]
	s_waitcnt vmcnt(26) lgkmcnt(1)
	v_pk_fma_f32 v[124:125], v[160:161], v[192:193], v[124:125] op_sel_hi:[0,1,1] neg_lo:[1,0,0] neg_hi:[1,0,0]
	s_waitcnt vmcnt(24)
	v_pk_fma_f32 v[146:147], v[160:161], v[194:195], v[146:147] op_sel_hi:[0,1,1] neg_lo:[1,0,0] neg_hi:[1,0,0]
	ds_read2_b64 v[192:195], v179 offset0:23 offset1:24
	s_waitcnt vmcnt(22) lgkmcnt(1)
	v_pk_fma_f32 v[122:123], v[160:161], v[196:197], v[122:123] op_sel_hi:[0,1,1] neg_lo:[1,0,0] neg_hi:[1,0,0]
	ds_read2_b64 v[200:203], v179 offset0:25 offset1:26
	s_waitcnt vmcnt(20)
	v_pk_fma_f32 v[144:145], v[160:161], v[198:199], v[144:145] op_sel_hi:[0,1,1] neg_lo:[1,0,0] neg_hi:[1,0,0]
	ds_read2_b64 v[196:199], v179 offset0:27 offset1:28
	s_waitcnt vmcnt(18) lgkmcnt(2)
	v_pk_fma_f32 v[120:121], v[160:161], v[192:193], v[120:121] op_sel_hi:[0,1,1] neg_lo:[1,0,0] neg_hi:[1,0,0]
	s_waitcnt vmcnt(16)
	v_pk_fma_f32 v[142:143], v[160:161], v[194:195], v[142:143] op_sel_hi:[0,1,1] neg_lo:[1,0,0] neg_hi:[1,0,0]
	s_waitcnt vmcnt(14) lgkmcnt(1)
	v_pk_fma_f32 v[118:119], v[160:161], v[200:201], v[118:119] op_sel_hi:[0,1,1] neg_lo:[1,0,0] neg_hi:[1,0,0]
	s_waitcnt vmcnt(12)
	v_pk_fma_f32 v[140:141], v[160:161], v[202:203], v[140:141] op_sel_hi:[0,1,1] neg_lo:[1,0,0] neg_hi:[1,0,0]
	s_waitcnt vmcnt(10) lgkmcnt(0)
	v_pk_fma_f32 v[116:117], v[160:161], v[196:197], v[116:117] op_sel_hi:[0,1,1] neg_lo:[1,0,0] neg_hi:[1,0,0]
	s_waitcnt vmcnt(8)
	v_pk_fma_f32 v[164:165], v[160:161], v[198:199], v[164:165] op_sel_hi:[0,1,1] neg_lo:[1,0,0] neg_hi:[1,0,0]
.LBB115_70:
	s_or_b64 exec, exec, s[2:3]
	v_cmp_ne_u32_e32 vcc, 13, v175
	s_waitcnt lgkmcnt(0)
	s_barrier
	s_and_saveexec_b64 s[2:3], vcc
	s_xor_b64 s[2:3], exec, s[2:3]
	s_andn2_saveexec_b64 s[2:3], s[2:3]
	s_cbranch_execz .LBB115_74
; %bb.71:
	s_waitcnt vmcnt(52)
	ds_write_b32 v177, v161
	s_waitcnt vmcnt(48)
	ds_write2_b64 v179, v[136:137], v[158:159] offset0:7 offset1:8
	s_waitcnt vmcnt(44)
	ds_write2_b64 v179, v[134:135], v[156:157] offset0:9 offset1:10
	;; [unrolled: 2-line block ×11, first 2 shown]
	ds_read_b32 v192, v177
	s_waitcnt lgkmcnt(0)
	v_cmp_neq_f32_e32 vcc, 0, v192
	s_and_saveexec_b64 s[4:5], vcc
	s_cbranch_execz .LBB115_73
; %bb.72:
	v_div_scale_f32 v193, s[10:11], v192, v192, 1.0
	v_rcp_f32_e32 v194, v193
	v_div_scale_f32 v195, vcc, 1.0, v192, 1.0
	v_fma_f32 v196, -v193, v194, 1.0
	v_fmac_f32_e32 v194, v196, v194
	v_mul_f32_e32 v196, v195, v194
	v_fma_f32 v197, -v193, v196, v195
	v_fmac_f32_e32 v196, v197, v194
	v_fma_f32 v193, -v193, v196, v195
	v_div_fmas_f32 v193, v193, v194, v196
	v_div_fixup_f32 v192, v193, v192, 1.0
	ds_write_b32 v177, v192
.LBB115_73:
	s_or_b64 exec, exec, s[4:5]
.LBB115_74:
	s_or_b64 exec, exec, s[2:3]
	s_waitcnt lgkmcnt(0)
	s_barrier
	ds_read_b32 v192, v177
	v_cmp_lt_u32_e32 vcc, 13, v175
	s_and_saveexec_b64 s[2:3], vcc
	s_cbranch_execz .LBB115_76
; %bb.75:
	ds_read2_b64 v[194:197], v179 offset0:7 offset1:8
	ds_read2_b64 v[198:201], v179 offset0:9 offset1:10
	s_waitcnt vmcnt(52) lgkmcnt(2)
	v_mul_f32_e32 v206, v192, v161
	ds_read2_b64 v[202:205], v179 offset0:11 offset1:12
	v_mov_b32_e32 v161, v206
	s_waitcnt vmcnt(50) lgkmcnt(2)
	v_pk_fma_f32 v[136:137], v[206:207], v[194:195], v[136:137] op_sel_hi:[0,1,1] neg_lo:[1,0,0] neg_hi:[1,0,0]
	s_waitcnt vmcnt(48)
	v_pk_fma_f32 v[158:159], v[206:207], v[196:197], v[158:159] op_sel_hi:[0,1,1] neg_lo:[1,0,0] neg_hi:[1,0,0]
	s_waitcnt vmcnt(46) lgkmcnt(1)
	v_pk_fma_f32 v[134:135], v[206:207], v[198:199], v[134:135] op_sel_hi:[0,1,1] neg_lo:[1,0,0] neg_hi:[1,0,0]
	ds_read2_b64 v[194:197], v179 offset0:13 offset1:14
	s_waitcnt vmcnt(44)
	v_pk_fma_f32 v[156:157], v[206:207], v[200:201], v[156:157] op_sel_hi:[0,1,1] neg_lo:[1,0,0] neg_hi:[1,0,0]
	ds_read2_b64 v[198:201], v179 offset0:15 offset1:16
	s_waitcnt vmcnt(42) lgkmcnt(2)
	v_pk_fma_f32 v[132:133], v[206:207], v[202:203], v[132:133] op_sel_hi:[0,1,1] neg_lo:[1,0,0] neg_hi:[1,0,0]
	s_waitcnt vmcnt(40)
	v_pk_fma_f32 v[154:155], v[206:207], v[204:205], v[154:155] op_sel_hi:[0,1,1] neg_lo:[1,0,0] neg_hi:[1,0,0]
	s_waitcnt vmcnt(38) lgkmcnt(1)
	v_pk_fma_f32 v[130:131], v[206:207], v[194:195], v[130:131] op_sel_hi:[0,1,1] neg_lo:[1,0,0] neg_hi:[1,0,0]
	ds_read2_b64 v[202:205], v179 offset0:17 offset1:18
	s_waitcnt vmcnt(36)
	v_pk_fma_f32 v[152:153], v[206:207], v[196:197], v[152:153] op_sel_hi:[0,1,1] neg_lo:[1,0,0] neg_hi:[1,0,0]
	s_waitcnt vmcnt(34) lgkmcnt(1)
	v_pk_fma_f32 v[128:129], v[206:207], v[198:199], v[128:129] op_sel_hi:[0,1,1] neg_lo:[1,0,0] neg_hi:[1,0,0]
	ds_read2_b64 v[194:197], v179 offset0:19 offset1:20
	s_waitcnt vmcnt(32)
	v_pk_fma_f32 v[150:151], v[206:207], v[200:201], v[150:151] op_sel_hi:[0,1,1] neg_lo:[1,0,0] neg_hi:[1,0,0]
	ds_read2_b64 v[198:201], v179 offset0:21 offset1:22
	s_waitcnt vmcnt(30) lgkmcnt(2)
	v_pk_fma_f32 v[126:127], v[206:207], v[202:203], v[126:127] op_sel_hi:[0,1,1] neg_lo:[1,0,0] neg_hi:[1,0,0]
	s_waitcnt vmcnt(28)
	v_pk_fma_f32 v[148:149], v[206:207], v[204:205], v[148:149] op_sel_hi:[0,1,1] neg_lo:[1,0,0] neg_hi:[1,0,0]
	s_waitcnt vmcnt(26) lgkmcnt(1)
	v_pk_fma_f32 v[124:125], v[206:207], v[194:195], v[124:125] op_sel_hi:[0,1,1] neg_lo:[1,0,0] neg_hi:[1,0,0]
	s_waitcnt vmcnt(24)
	v_pk_fma_f32 v[146:147], v[206:207], v[196:197], v[146:147] op_sel_hi:[0,1,1] neg_lo:[1,0,0] neg_hi:[1,0,0]
	ds_read2_b64 v[194:197], v179 offset0:23 offset1:24
	ds_read2_b64 v[202:205], v179 offset0:25 offset1:26
	s_waitcnt vmcnt(22) lgkmcnt(2)
	v_pk_fma_f32 v[122:123], v[206:207], v[198:199], v[122:123] op_sel_hi:[0,1,1] neg_lo:[1,0,0] neg_hi:[1,0,0]
	s_waitcnt vmcnt(20)
	v_pk_fma_f32 v[144:145], v[206:207], v[200:201], v[144:145] op_sel_hi:[0,1,1] neg_lo:[1,0,0] neg_hi:[1,0,0]
	ds_read2_b64 v[198:201], v179 offset0:27 offset1:28
	s_waitcnt vmcnt(18) lgkmcnt(2)
	v_pk_fma_f32 v[120:121], v[206:207], v[194:195], v[120:121] op_sel_hi:[0,1,1] neg_lo:[1,0,0] neg_hi:[1,0,0]
	s_waitcnt vmcnt(16)
	v_pk_fma_f32 v[142:143], v[206:207], v[196:197], v[142:143] op_sel_hi:[0,1,1] neg_lo:[1,0,0] neg_hi:[1,0,0]
	s_waitcnt vmcnt(14) lgkmcnt(1)
	v_pk_fma_f32 v[118:119], v[206:207], v[202:203], v[118:119] op_sel_hi:[0,1,1] neg_lo:[1,0,0] neg_hi:[1,0,0]
	s_waitcnt vmcnt(12)
	v_pk_fma_f32 v[140:141], v[206:207], v[204:205], v[140:141] op_sel_hi:[0,1,1] neg_lo:[1,0,0] neg_hi:[1,0,0]
	;; [unrolled: 4-line block ×3, first 2 shown]
.LBB115_76:
	s_or_b64 exec, exec, s[2:3]
	v_cmp_eq_u32_e32 vcc, 14, v175
	s_waitcnt lgkmcnt(0)
	s_barrier
	s_and_saveexec_b64 s[2:3], vcc
	s_cbranch_execz .LBB115_79
; %bb.77:
	s_waitcnt vmcnt(48)
	v_pk_mov_b32 v[194:195], v[136:137], v[158:159] op_sel:[1,0]
	ds_write_b32 v177, v136
	ds_write2_b32 v179, v194, v195 offset0:15 offset1:16
	s_waitcnt vmcnt(46)
	v_pk_mov_b32 v[194:195], v[158:159], v[134:135] op_sel:[1,0]
	ds_write2_b32 v179, v194, v195 offset0:17 offset1:18
	s_waitcnt vmcnt(44)
	v_pk_mov_b32 v[194:195], v[134:135], v[156:157] op_sel:[1,0]
	;; [unrolled: 3-line block ×20, first 2 shown]
	ds_write2_b32 v179, v194, v195 offset0:55 offset1:56
	ds_write_b32 v179, v165 offset:228
	ds_read_b32 v193, v177
	s_waitcnt lgkmcnt(0)
	v_cmp_neq_f32_e32 vcc, 0, v193
	s_and_b64 exec, exec, vcc
	s_cbranch_execz .LBB115_79
; %bb.78:
	v_div_scale_f32 v194, s[4:5], v193, v193, 1.0
	v_rcp_f32_e32 v195, v194
	v_div_scale_f32 v196, vcc, 1.0, v193, 1.0
	v_fma_f32 v197, -v194, v195, 1.0
	v_fmac_f32_e32 v195, v197, v195
	v_mul_f32_e32 v197, v196, v195
	v_fma_f32 v198, -v194, v197, v196
	v_fmac_f32_e32 v197, v198, v195
	v_fma_f32 v194, -v194, v197, v196
	v_div_fmas_f32 v194, v194, v195, v197
	v_div_fixup_f32 v193, v194, v193, 1.0
	ds_write_b32 v177, v193
.LBB115_79:
	s_or_b64 exec, exec, s[2:3]
	s_waitcnt lgkmcnt(0)
	s_barrier
	ds_read_b32 v193, v177
	v_cmp_lt_u32_e32 vcc, 14, v175
	s_and_saveexec_b64 s[2:3], vcc
	s_cbranch_execz .LBB115_81
; %bb.80:
	ds_read_b32 v206, v179 offset:60
	ds_read2_b64 v[194:197], v179 offset0:8 offset1:9
	ds_read2_b64 v[198:201], v179 offset0:10 offset1:11
	;; [unrolled: 1-line block ×3, first 2 shown]
	s_waitcnt vmcnt(51) lgkmcnt(4)
	v_mul_f32_e32 v136, v193, v136
	s_waitcnt vmcnt(50) lgkmcnt(3)
	v_fma_f32 v137, -v136, v206, v137
	s_waitcnt vmcnt(48) lgkmcnt(2)
	v_pk_fma_f32 v[158:159], v[136:137], v[194:195], v[158:159] op_sel_hi:[0,1,1] neg_lo:[1,0,0] neg_hi:[1,0,0]
	s_waitcnt vmcnt(46)
	v_pk_fma_f32 v[134:135], v[136:137], v[196:197], v[134:135] op_sel_hi:[0,1,1] neg_lo:[1,0,0] neg_hi:[1,0,0]
	s_waitcnt vmcnt(44) lgkmcnt(1)
	v_pk_fma_f32 v[156:157], v[136:137], v[198:199], v[156:157] op_sel_hi:[0,1,1] neg_lo:[1,0,0] neg_hi:[1,0,0]
	ds_read2_b64 v[194:197], v179 offset0:14 offset1:15
	s_waitcnt vmcnt(42)
	v_pk_fma_f32 v[132:133], v[136:137], v[200:201], v[132:133] op_sel_hi:[0,1,1] neg_lo:[1,0,0] neg_hi:[1,0,0]
	ds_read2_b64 v[198:201], v179 offset0:16 offset1:17
	s_waitcnt vmcnt(40) lgkmcnt(2)
	v_pk_fma_f32 v[154:155], v[136:137], v[202:203], v[154:155] op_sel_hi:[0,1,1] neg_lo:[1,0,0] neg_hi:[1,0,0]
	s_waitcnt vmcnt(38)
	v_pk_fma_f32 v[130:131], v[136:137], v[204:205], v[130:131] op_sel_hi:[0,1,1] neg_lo:[1,0,0] neg_hi:[1,0,0]
	s_waitcnt vmcnt(36) lgkmcnt(1)
	v_pk_fma_f32 v[152:153], v[136:137], v[194:195], v[152:153] op_sel_hi:[0,1,1] neg_lo:[1,0,0] neg_hi:[1,0,0]
	ds_read2_b64 v[202:205], v179 offset0:18 offset1:19
	s_waitcnt vmcnt(34)
	v_pk_fma_f32 v[128:129], v[136:137], v[196:197], v[128:129] op_sel_hi:[0,1,1] neg_lo:[1,0,0] neg_hi:[1,0,0]
	s_waitcnt vmcnt(32) lgkmcnt(1)
	v_pk_fma_f32 v[150:151], v[136:137], v[198:199], v[150:151] op_sel_hi:[0,1,1] neg_lo:[1,0,0] neg_hi:[1,0,0]
	ds_read2_b64 v[194:197], v179 offset0:20 offset1:21
	s_waitcnt vmcnt(30)
	v_pk_fma_f32 v[126:127], v[136:137], v[200:201], v[126:127] op_sel_hi:[0,1,1] neg_lo:[1,0,0] neg_hi:[1,0,0]
	ds_read2_b64 v[198:201], v179 offset0:22 offset1:23
	s_waitcnt vmcnt(28) lgkmcnt(2)
	v_pk_fma_f32 v[148:149], v[136:137], v[202:203], v[148:149] op_sel_hi:[0,1,1] neg_lo:[1,0,0] neg_hi:[1,0,0]
	s_waitcnt vmcnt(26)
	v_pk_fma_f32 v[124:125], v[136:137], v[204:205], v[124:125] op_sel_hi:[0,1,1] neg_lo:[1,0,0] neg_hi:[1,0,0]
	s_waitcnt vmcnt(24) lgkmcnt(1)
	v_pk_fma_f32 v[146:147], v[136:137], v[194:195], v[146:147] op_sel_hi:[0,1,1] neg_lo:[1,0,0] neg_hi:[1,0,0]
	s_waitcnt vmcnt(22)
	v_pk_fma_f32 v[122:123], v[136:137], v[196:197], v[122:123] op_sel_hi:[0,1,1] neg_lo:[1,0,0] neg_hi:[1,0,0]
	ds_read2_b64 v[194:197], v179 offset0:24 offset1:25
	s_waitcnt vmcnt(20) lgkmcnt(1)
	v_pk_fma_f32 v[144:145], v[136:137], v[198:199], v[144:145] op_sel_hi:[0,1,1] neg_lo:[1,0,0] neg_hi:[1,0,0]
	ds_read2_b64 v[202:205], v179 offset0:26 offset1:27
	ds_read_b64 v[198:199], v179 offset:224
	s_waitcnt vmcnt(18)
	v_pk_fma_f32 v[120:121], v[136:137], v[200:201], v[120:121] op_sel_hi:[0,1,1] neg_lo:[1,0,0] neg_hi:[1,0,0]
	s_waitcnt vmcnt(16) lgkmcnt(2)
	v_pk_fma_f32 v[142:143], v[136:137], v[194:195], v[142:143] op_sel_hi:[0,1,1] neg_lo:[1,0,0] neg_hi:[1,0,0]
	s_waitcnt vmcnt(14)
	v_pk_fma_f32 v[118:119], v[136:137], v[196:197], v[118:119] op_sel_hi:[0,1,1] neg_lo:[1,0,0] neg_hi:[1,0,0]
	s_waitcnt vmcnt(12) lgkmcnt(1)
	v_pk_fma_f32 v[140:141], v[136:137], v[202:203], v[140:141] op_sel_hi:[0,1,1] neg_lo:[1,0,0] neg_hi:[1,0,0]
	;; [unrolled: 4-line block ×3, first 2 shown]
.LBB115_81:
	s_or_b64 exec, exec, s[2:3]
	v_cmp_ne_u32_e32 vcc, 15, v175
	s_waitcnt lgkmcnt(0)
	s_barrier
	s_and_saveexec_b64 s[2:3], vcc
	s_xor_b64 s[2:3], exec, s[2:3]
	s_andn2_saveexec_b64 s[2:3], s[2:3]
	s_cbranch_execz .LBB115_85
; %bb.82:
	s_waitcnt vmcnt(49)
	v_mov_b32_e32 v194, v158
	s_waitcnt vmcnt(48)
	v_mov_b32_e32 v195, v159
	;; [unrolled: 2-line block ×4, first 2 shown]
	ds_write_b32 v177, v137
	ds_write2_b64 v179, v[194:195], v[196:197] offset0:8 offset1:9
	s_waitcnt vmcnt(45)
	v_mov_b32_e32 v194, v156
	s_waitcnt vmcnt(44)
	v_mov_b32_e32 v195, v157
	s_waitcnt vmcnt(43)
	v_mov_b32_e32 v196, v132
	s_waitcnt vmcnt(42)
	v_mov_b32_e32 v197, v133
	ds_write2_b64 v179, v[194:195], v[196:197] offset0:10 offset1:11
	s_waitcnt vmcnt(41)
	v_mov_b32_e32 v194, v154
	s_waitcnt vmcnt(40)
	v_mov_b32_e32 v195, v155
	s_waitcnt vmcnt(39)
	v_mov_b32_e32 v196, v130
	s_waitcnt vmcnt(38)
	v_mov_b32_e32 v197, v131
	;; [unrolled: 9-line block ×9, first 2 shown]
	ds_write2_b64 v179, v[194:195], v[196:197] offset0:26 offset1:27
	s_waitcnt vmcnt(8)
	ds_write_b64 v179, v[164:165] offset:224
	ds_read_b32 v194, v177
	s_waitcnt lgkmcnt(0)
	v_cmp_neq_f32_e32 vcc, 0, v194
	s_and_saveexec_b64 s[4:5], vcc
	s_cbranch_execz .LBB115_84
; %bb.83:
	v_div_scale_f32 v195, s[10:11], v194, v194, 1.0
	v_rcp_f32_e32 v196, v195
	v_div_scale_f32 v197, vcc, 1.0, v194, 1.0
	v_fma_f32 v198, -v195, v196, 1.0
	v_fmac_f32_e32 v196, v198, v196
	v_mul_f32_e32 v198, v197, v196
	v_fma_f32 v199, -v195, v198, v197
	v_fmac_f32_e32 v198, v199, v196
	v_fma_f32 v195, -v195, v198, v197
	v_div_fmas_f32 v195, v195, v196, v198
	v_div_fixup_f32 v194, v195, v194, 1.0
	ds_write_b32 v177, v194
.LBB115_84:
	s_or_b64 exec, exec, s[4:5]
.LBB115_85:
	s_or_b64 exec, exec, s[2:3]
	s_waitcnt lgkmcnt(0)
	s_barrier
	ds_read_b32 v194, v177
	v_cmp_lt_u32_e32 vcc, 15, v175
	s_and_saveexec_b64 s[2:3], vcc
	s_cbranch_execz .LBB115_87
; %bb.86:
	ds_read2_b64 v[196:199], v179 offset0:8 offset1:9
	ds_read2_b64 v[200:203], v179 offset0:10 offset1:11
	s_waitcnt vmcnt(50) lgkmcnt(2)
	v_mul_f32_e32 v208, v194, v137
	ds_read2_b64 v[204:207], v179 offset0:12 offset1:13
	v_mov_b32_e32 v137, v208
	s_waitcnt vmcnt(48) lgkmcnt(2)
	v_pk_fma_f32 v[158:159], v[208:209], v[196:197], v[158:159] op_sel_hi:[0,1,1] neg_lo:[1,0,0] neg_hi:[1,0,0]
	s_waitcnt vmcnt(46)
	v_pk_fma_f32 v[134:135], v[208:209], v[198:199], v[134:135] op_sel_hi:[0,1,1] neg_lo:[1,0,0] neg_hi:[1,0,0]
	s_waitcnt vmcnt(44) lgkmcnt(1)
	v_pk_fma_f32 v[156:157], v[208:209], v[200:201], v[156:157] op_sel_hi:[0,1,1] neg_lo:[1,0,0] neg_hi:[1,0,0]
	ds_read2_b64 v[196:199], v179 offset0:14 offset1:15
	s_waitcnt vmcnt(42)
	v_pk_fma_f32 v[132:133], v[208:209], v[202:203], v[132:133] op_sel_hi:[0,1,1] neg_lo:[1,0,0] neg_hi:[1,0,0]
	ds_read2_b64 v[200:203], v179 offset0:16 offset1:17
	s_waitcnt vmcnt(40) lgkmcnt(2)
	v_pk_fma_f32 v[154:155], v[208:209], v[204:205], v[154:155] op_sel_hi:[0,1,1] neg_lo:[1,0,0] neg_hi:[1,0,0]
	s_waitcnt vmcnt(38)
	v_pk_fma_f32 v[130:131], v[208:209], v[206:207], v[130:131] op_sel_hi:[0,1,1] neg_lo:[1,0,0] neg_hi:[1,0,0]
	s_waitcnt vmcnt(36) lgkmcnt(1)
	v_pk_fma_f32 v[152:153], v[208:209], v[196:197], v[152:153] op_sel_hi:[0,1,1] neg_lo:[1,0,0] neg_hi:[1,0,0]
	ds_read2_b64 v[204:207], v179 offset0:18 offset1:19
	s_waitcnt vmcnt(34)
	v_pk_fma_f32 v[128:129], v[208:209], v[198:199], v[128:129] op_sel_hi:[0,1,1] neg_lo:[1,0,0] neg_hi:[1,0,0]
	s_waitcnt vmcnt(32) lgkmcnt(1)
	v_pk_fma_f32 v[150:151], v[208:209], v[200:201], v[150:151] op_sel_hi:[0,1,1] neg_lo:[1,0,0] neg_hi:[1,0,0]
	ds_read2_b64 v[196:199], v179 offset0:20 offset1:21
	s_waitcnt vmcnt(30)
	v_pk_fma_f32 v[126:127], v[208:209], v[202:203], v[126:127] op_sel_hi:[0,1,1] neg_lo:[1,0,0] neg_hi:[1,0,0]
	ds_read2_b64 v[200:203], v179 offset0:22 offset1:23
	s_waitcnt vmcnt(28) lgkmcnt(2)
	v_pk_fma_f32 v[148:149], v[208:209], v[204:205], v[148:149] op_sel_hi:[0,1,1] neg_lo:[1,0,0] neg_hi:[1,0,0]
	s_waitcnt vmcnt(26)
	v_pk_fma_f32 v[124:125], v[208:209], v[206:207], v[124:125] op_sel_hi:[0,1,1] neg_lo:[1,0,0] neg_hi:[1,0,0]
	s_waitcnt vmcnt(24) lgkmcnt(1)
	v_pk_fma_f32 v[146:147], v[208:209], v[196:197], v[146:147] op_sel_hi:[0,1,1] neg_lo:[1,0,0] neg_hi:[1,0,0]
	s_waitcnt vmcnt(22)
	v_pk_fma_f32 v[122:123], v[208:209], v[198:199], v[122:123] op_sel_hi:[0,1,1] neg_lo:[1,0,0] neg_hi:[1,0,0]
	ds_read2_b64 v[196:199], v179 offset0:24 offset1:25
	ds_read2_b64 v[204:207], v179 offset0:26 offset1:27
	s_waitcnt vmcnt(20) lgkmcnt(2)
	v_pk_fma_f32 v[144:145], v[208:209], v[200:201], v[144:145] op_sel_hi:[0,1,1] neg_lo:[1,0,0] neg_hi:[1,0,0]
	ds_read_b64 v[200:201], v179 offset:224
	s_waitcnt vmcnt(18)
	v_pk_fma_f32 v[120:121], v[208:209], v[202:203], v[120:121] op_sel_hi:[0,1,1] neg_lo:[1,0,0] neg_hi:[1,0,0]
	s_waitcnt vmcnt(16) lgkmcnt(2)
	v_pk_fma_f32 v[142:143], v[208:209], v[196:197], v[142:143] op_sel_hi:[0,1,1] neg_lo:[1,0,0] neg_hi:[1,0,0]
	s_waitcnt vmcnt(14)
	v_pk_fma_f32 v[118:119], v[208:209], v[198:199], v[118:119] op_sel_hi:[0,1,1] neg_lo:[1,0,0] neg_hi:[1,0,0]
	s_waitcnt vmcnt(12) lgkmcnt(1)
	v_pk_fma_f32 v[140:141], v[208:209], v[204:205], v[140:141] op_sel_hi:[0,1,1] neg_lo:[1,0,0] neg_hi:[1,0,0]
	;; [unrolled: 4-line block ×3, first 2 shown]
.LBB115_87:
	s_or_b64 exec, exec, s[2:3]
	v_cmp_eq_u32_e32 vcc, 16, v175
	s_waitcnt lgkmcnt(0)
	s_barrier
	s_and_saveexec_b64 s[2:3], vcc
	s_cbranch_execz .LBB115_90
; %bb.88:
	s_waitcnt vmcnt(46)
	v_pk_mov_b32 v[196:197], v[158:159], v[134:135] op_sel:[1,0]
	ds_write_b32 v177, v158
	ds_write2_b32 v179, v196, v197 offset0:17 offset1:18
	s_waitcnt vmcnt(44)
	v_pk_mov_b32 v[196:197], v[134:135], v[156:157] op_sel:[1,0]
	ds_write2_b32 v179, v196, v197 offset0:19 offset1:20
	s_waitcnt vmcnt(42)
	v_pk_mov_b32 v[196:197], v[156:157], v[132:133] op_sel:[1,0]
	;; [unrolled: 3-line block ×19, first 2 shown]
	ds_write2_b32 v179, v196, v197 offset0:55 offset1:56
	ds_write_b32 v179, v165 offset:228
	ds_read_b32 v195, v177
	s_waitcnt lgkmcnt(0)
	v_cmp_neq_f32_e32 vcc, 0, v195
	s_and_b64 exec, exec, vcc
	s_cbranch_execz .LBB115_90
; %bb.89:
	v_div_scale_f32 v196, s[4:5], v195, v195, 1.0
	v_rcp_f32_e32 v197, v196
	v_div_scale_f32 v198, vcc, 1.0, v195, 1.0
	v_fma_f32 v199, -v196, v197, 1.0
	v_fmac_f32_e32 v197, v199, v197
	v_mul_f32_e32 v199, v198, v197
	v_fma_f32 v200, -v196, v199, v198
	v_fmac_f32_e32 v199, v200, v197
	v_fma_f32 v196, -v196, v199, v198
	v_div_fmas_f32 v196, v196, v197, v199
	v_div_fixup_f32 v195, v196, v195, 1.0
	ds_write_b32 v177, v195
.LBB115_90:
	s_or_b64 exec, exec, s[2:3]
	s_waitcnt lgkmcnt(0)
	s_barrier
	ds_read_b32 v195, v177
	v_cmp_lt_u32_e32 vcc, 16, v175
	s_and_saveexec_b64 s[2:3], vcc
	s_cbranch_execz .LBB115_92
; %bb.91:
	ds_read_b32 v208, v179 offset:68
	ds_read2_b64 v[196:199], v179 offset0:9 offset1:10
	s_waitcnt vmcnt(49) lgkmcnt(2)
	v_mul_f32_e32 v158, v195, v158
	ds_read2_b64 v[200:203], v179 offset0:11 offset1:12
	ds_read2_b64 v[204:207], v179 offset0:13 offset1:14
	s_waitcnt vmcnt(48) lgkmcnt(3)
	v_fma_f32 v159, -v158, v208, v159
	s_waitcnt vmcnt(46) lgkmcnt(2)
	v_pk_fma_f32 v[134:135], v[158:159], v[196:197], v[134:135] op_sel_hi:[0,1,1] neg_lo:[1,0,0] neg_hi:[1,0,0]
	s_waitcnt vmcnt(44)
	v_pk_fma_f32 v[156:157], v[158:159], v[198:199], v[156:157] op_sel_hi:[0,1,1] neg_lo:[1,0,0] neg_hi:[1,0,0]
	ds_read2_b64 v[196:199], v179 offset0:15 offset1:16
	s_waitcnt vmcnt(42) lgkmcnt(2)
	v_pk_fma_f32 v[132:133], v[158:159], v[200:201], v[132:133] op_sel_hi:[0,1,1] neg_lo:[1,0,0] neg_hi:[1,0,0]
	s_waitcnt vmcnt(40)
	v_pk_fma_f32 v[154:155], v[158:159], v[202:203], v[154:155] op_sel_hi:[0,1,1] neg_lo:[1,0,0] neg_hi:[1,0,0]
	s_waitcnt vmcnt(38) lgkmcnt(1)
	v_pk_fma_f32 v[130:131], v[158:159], v[204:205], v[130:131] op_sel_hi:[0,1,1] neg_lo:[1,0,0] neg_hi:[1,0,0]
	ds_read2_b64 v[200:203], v179 offset0:17 offset1:18
	s_waitcnt vmcnt(36)
	v_pk_fma_f32 v[152:153], v[158:159], v[206:207], v[152:153] op_sel_hi:[0,1,1] neg_lo:[1,0,0] neg_hi:[1,0,0]
	s_waitcnt vmcnt(34) lgkmcnt(1)
	v_pk_fma_f32 v[128:129], v[158:159], v[196:197], v[128:129] op_sel_hi:[0,1,1] neg_lo:[1,0,0] neg_hi:[1,0,0]
	ds_read2_b64 v[204:207], v179 offset0:19 offset1:20
	s_waitcnt vmcnt(32)
	v_pk_fma_f32 v[150:151], v[158:159], v[198:199], v[150:151] op_sel_hi:[0,1,1] neg_lo:[1,0,0] neg_hi:[1,0,0]
	ds_read2_b64 v[196:199], v179 offset0:21 offset1:22
	s_waitcnt vmcnt(30) lgkmcnt(2)
	v_pk_fma_f32 v[126:127], v[158:159], v[200:201], v[126:127] op_sel_hi:[0,1,1] neg_lo:[1,0,0] neg_hi:[1,0,0]
	s_waitcnt vmcnt(28)
	v_pk_fma_f32 v[148:149], v[158:159], v[202:203], v[148:149] op_sel_hi:[0,1,1] neg_lo:[1,0,0] neg_hi:[1,0,0]
	s_waitcnt vmcnt(26) lgkmcnt(1)
	v_pk_fma_f32 v[124:125], v[158:159], v[204:205], v[124:125] op_sel_hi:[0,1,1] neg_lo:[1,0,0] neg_hi:[1,0,0]
	s_waitcnt vmcnt(24)
	v_pk_fma_f32 v[146:147], v[158:159], v[206:207], v[146:147] op_sel_hi:[0,1,1] neg_lo:[1,0,0] neg_hi:[1,0,0]
	ds_read2_b64 v[200:203], v179 offset0:23 offset1:24
	ds_read2_b64 v[204:207], v179 offset0:25 offset1:26
	s_waitcnt vmcnt(22) lgkmcnt(2)
	v_pk_fma_f32 v[122:123], v[158:159], v[196:197], v[122:123] op_sel_hi:[0,1,1] neg_lo:[1,0,0] neg_hi:[1,0,0]
	s_waitcnt vmcnt(20)
	v_pk_fma_f32 v[144:145], v[158:159], v[198:199], v[144:145] op_sel_hi:[0,1,1] neg_lo:[1,0,0] neg_hi:[1,0,0]
	ds_read2_b64 v[196:199], v179 offset0:27 offset1:28
	s_waitcnt vmcnt(18) lgkmcnt(2)
	v_pk_fma_f32 v[120:121], v[158:159], v[200:201], v[120:121] op_sel_hi:[0,1,1] neg_lo:[1,0,0] neg_hi:[1,0,0]
	s_waitcnt vmcnt(16)
	v_pk_fma_f32 v[142:143], v[158:159], v[202:203], v[142:143] op_sel_hi:[0,1,1] neg_lo:[1,0,0] neg_hi:[1,0,0]
	s_waitcnt vmcnt(14) lgkmcnt(1)
	v_pk_fma_f32 v[118:119], v[158:159], v[204:205], v[118:119] op_sel_hi:[0,1,1] neg_lo:[1,0,0] neg_hi:[1,0,0]
	s_waitcnt vmcnt(12)
	v_pk_fma_f32 v[140:141], v[158:159], v[206:207], v[140:141] op_sel_hi:[0,1,1] neg_lo:[1,0,0] neg_hi:[1,0,0]
	s_waitcnt vmcnt(10) lgkmcnt(0)
	v_pk_fma_f32 v[116:117], v[158:159], v[196:197], v[116:117] op_sel_hi:[0,1,1] neg_lo:[1,0,0] neg_hi:[1,0,0]
	s_waitcnt vmcnt(8)
	v_pk_fma_f32 v[164:165], v[158:159], v[198:199], v[164:165] op_sel_hi:[0,1,1] neg_lo:[1,0,0] neg_hi:[1,0,0]
.LBB115_92:
	s_or_b64 exec, exec, s[2:3]
	v_cmp_ne_u32_e32 vcc, 17, v175
	s_waitcnt lgkmcnt(0)
	s_barrier
	s_and_saveexec_b64 s[2:3], vcc
	s_xor_b64 s[2:3], exec, s[2:3]
	s_andn2_saveexec_b64 s[2:3], s[2:3]
	s_cbranch_execz .LBB115_96
; %bb.93:
	s_waitcnt vmcnt(48)
	ds_write_b32 v177, v159
	s_waitcnt vmcnt(44)
	ds_write2_b64 v179, v[134:135], v[156:157] offset0:9 offset1:10
	s_waitcnt vmcnt(40)
	ds_write2_b64 v179, v[132:133], v[154:155] offset0:11 offset1:12
	;; [unrolled: 2-line block ×10, first 2 shown]
	ds_read_b32 v196, v177
	s_waitcnt lgkmcnt(0)
	v_cmp_neq_f32_e32 vcc, 0, v196
	s_and_saveexec_b64 s[4:5], vcc
	s_cbranch_execz .LBB115_95
; %bb.94:
	v_div_scale_f32 v197, s[10:11], v196, v196, 1.0
	v_rcp_f32_e32 v198, v197
	v_div_scale_f32 v199, vcc, 1.0, v196, 1.0
	v_fma_f32 v200, -v197, v198, 1.0
	v_fmac_f32_e32 v198, v200, v198
	v_mul_f32_e32 v200, v199, v198
	v_fma_f32 v201, -v197, v200, v199
	v_fmac_f32_e32 v200, v201, v198
	v_fma_f32 v197, -v197, v200, v199
	v_div_fmas_f32 v197, v197, v198, v200
	v_div_fixup_f32 v196, v197, v196, 1.0
	ds_write_b32 v177, v196
.LBB115_95:
	s_or_b64 exec, exec, s[4:5]
.LBB115_96:
	s_or_b64 exec, exec, s[2:3]
	s_waitcnt lgkmcnt(0)
	s_barrier
	ds_read_b32 v196, v177
	v_cmp_lt_u32_e32 vcc, 17, v175
	s_and_saveexec_b64 s[2:3], vcc
	s_cbranch_execz .LBB115_98
; %bb.97:
	ds_read2_b64 v[198:201], v179 offset0:9 offset1:10
	ds_read2_b64 v[202:205], v179 offset0:11 offset1:12
	s_waitcnt vmcnt(48) lgkmcnt(2)
	v_mul_f32_e32 v210, v196, v159
	ds_read2_b64 v[206:209], v179 offset0:13 offset1:14
	v_mov_b32_e32 v159, v210
	s_waitcnt vmcnt(46) lgkmcnt(2)
	v_pk_fma_f32 v[134:135], v[210:211], v[198:199], v[134:135] op_sel_hi:[0,1,1] neg_lo:[1,0,0] neg_hi:[1,0,0]
	s_waitcnt vmcnt(44)
	v_pk_fma_f32 v[156:157], v[210:211], v[200:201], v[156:157] op_sel_hi:[0,1,1] neg_lo:[1,0,0] neg_hi:[1,0,0]
	ds_read2_b64 v[198:201], v179 offset0:15 offset1:16
	s_waitcnt vmcnt(42) lgkmcnt(2)
	v_pk_fma_f32 v[132:133], v[210:211], v[202:203], v[132:133] op_sel_hi:[0,1,1] neg_lo:[1,0,0] neg_hi:[1,0,0]
	s_waitcnt vmcnt(40)
	v_pk_fma_f32 v[154:155], v[210:211], v[204:205], v[154:155] op_sel_hi:[0,1,1] neg_lo:[1,0,0] neg_hi:[1,0,0]
	s_waitcnt vmcnt(38) lgkmcnt(1)
	v_pk_fma_f32 v[130:131], v[210:211], v[206:207], v[130:131] op_sel_hi:[0,1,1] neg_lo:[1,0,0] neg_hi:[1,0,0]
	ds_read2_b64 v[202:205], v179 offset0:17 offset1:18
	s_waitcnt vmcnt(36)
	v_pk_fma_f32 v[152:153], v[210:211], v[208:209], v[152:153] op_sel_hi:[0,1,1] neg_lo:[1,0,0] neg_hi:[1,0,0]
	s_waitcnt vmcnt(34) lgkmcnt(1)
	v_pk_fma_f32 v[128:129], v[210:211], v[198:199], v[128:129] op_sel_hi:[0,1,1] neg_lo:[1,0,0] neg_hi:[1,0,0]
	ds_read2_b64 v[206:209], v179 offset0:19 offset1:20
	s_waitcnt vmcnt(32)
	v_pk_fma_f32 v[150:151], v[210:211], v[200:201], v[150:151] op_sel_hi:[0,1,1] neg_lo:[1,0,0] neg_hi:[1,0,0]
	ds_read2_b64 v[198:201], v179 offset0:21 offset1:22
	s_waitcnt vmcnt(30) lgkmcnt(2)
	v_pk_fma_f32 v[126:127], v[210:211], v[202:203], v[126:127] op_sel_hi:[0,1,1] neg_lo:[1,0,0] neg_hi:[1,0,0]
	s_waitcnt vmcnt(28)
	v_pk_fma_f32 v[148:149], v[210:211], v[204:205], v[148:149] op_sel_hi:[0,1,1] neg_lo:[1,0,0] neg_hi:[1,0,0]
	s_waitcnt vmcnt(26) lgkmcnt(1)
	v_pk_fma_f32 v[124:125], v[210:211], v[206:207], v[124:125] op_sel_hi:[0,1,1] neg_lo:[1,0,0] neg_hi:[1,0,0]
	s_waitcnt vmcnt(24)
	v_pk_fma_f32 v[146:147], v[210:211], v[208:209], v[146:147] op_sel_hi:[0,1,1] neg_lo:[1,0,0] neg_hi:[1,0,0]
	ds_read2_b64 v[202:205], v179 offset0:23 offset1:24
	s_waitcnt vmcnt(22) lgkmcnt(1)
	v_pk_fma_f32 v[122:123], v[210:211], v[198:199], v[122:123] op_sel_hi:[0,1,1] neg_lo:[1,0,0] neg_hi:[1,0,0]
	ds_read2_b64 v[206:209], v179 offset0:25 offset1:26
	s_waitcnt vmcnt(20)
	v_pk_fma_f32 v[144:145], v[210:211], v[200:201], v[144:145] op_sel_hi:[0,1,1] neg_lo:[1,0,0] neg_hi:[1,0,0]
	ds_read2_b64 v[198:201], v179 offset0:27 offset1:28
	s_waitcnt vmcnt(18) lgkmcnt(2)
	v_pk_fma_f32 v[120:121], v[210:211], v[202:203], v[120:121] op_sel_hi:[0,1,1] neg_lo:[1,0,0] neg_hi:[1,0,0]
	s_waitcnt vmcnt(16)
	v_pk_fma_f32 v[142:143], v[210:211], v[204:205], v[142:143] op_sel_hi:[0,1,1] neg_lo:[1,0,0] neg_hi:[1,0,0]
	s_waitcnt vmcnt(14) lgkmcnt(1)
	v_pk_fma_f32 v[118:119], v[210:211], v[206:207], v[118:119] op_sel_hi:[0,1,1] neg_lo:[1,0,0] neg_hi:[1,0,0]
	s_waitcnt vmcnt(12)
	v_pk_fma_f32 v[140:141], v[210:211], v[208:209], v[140:141] op_sel_hi:[0,1,1] neg_lo:[1,0,0] neg_hi:[1,0,0]
	;; [unrolled: 4-line block ×3, first 2 shown]
.LBB115_98:
	s_or_b64 exec, exec, s[2:3]
	v_cmp_eq_u32_e32 vcc, 18, v175
	s_waitcnt lgkmcnt(0)
	s_barrier
	s_and_saveexec_b64 s[2:3], vcc
	s_cbranch_execz .LBB115_101
; %bb.99:
	s_waitcnt vmcnt(44)
	v_pk_mov_b32 v[198:199], v[134:135], v[156:157] op_sel:[1,0]
	ds_write_b32 v177, v134
	ds_write2_b32 v179, v198, v199 offset0:19 offset1:20
	s_waitcnt vmcnt(42)
	v_pk_mov_b32 v[198:199], v[156:157], v[132:133] op_sel:[1,0]
	ds_write2_b32 v179, v198, v199 offset0:21 offset1:22
	s_waitcnt vmcnt(40)
	v_pk_mov_b32 v[198:199], v[132:133], v[154:155] op_sel:[1,0]
	;; [unrolled: 3-line block ×18, first 2 shown]
	ds_write2_b32 v179, v198, v199 offset0:55 offset1:56
	ds_write_b32 v179, v165 offset:228
	ds_read_b32 v197, v177
	s_waitcnt lgkmcnt(0)
	v_cmp_neq_f32_e32 vcc, 0, v197
	s_and_b64 exec, exec, vcc
	s_cbranch_execz .LBB115_101
; %bb.100:
	v_div_scale_f32 v198, s[4:5], v197, v197, 1.0
	v_rcp_f32_e32 v199, v198
	v_div_scale_f32 v200, vcc, 1.0, v197, 1.0
	v_fma_f32 v201, -v198, v199, 1.0
	v_fmac_f32_e32 v199, v201, v199
	v_mul_f32_e32 v201, v200, v199
	v_fma_f32 v202, -v198, v201, v200
	v_fmac_f32_e32 v201, v202, v199
	v_fma_f32 v198, -v198, v201, v200
	v_div_fmas_f32 v198, v198, v199, v201
	v_div_fixup_f32 v197, v198, v197, 1.0
	ds_write_b32 v177, v197
.LBB115_101:
	s_or_b64 exec, exec, s[2:3]
	s_waitcnt lgkmcnt(0)
	s_barrier
	ds_read_b32 v197, v177
	v_cmp_lt_u32_e32 vcc, 18, v175
	s_and_saveexec_b64 s[2:3], vcc
	s_cbranch_execz .LBB115_103
; %bb.102:
	ds_read_b32 v210, v179 offset:76
	ds_read2_b64 v[198:201], v179 offset0:10 offset1:11
	s_waitcnt vmcnt(47) lgkmcnt(2)
	v_mul_f32_e32 v134, v197, v134
	ds_read2_b64 v[202:205], v179 offset0:12 offset1:13
	ds_read2_b64 v[206:209], v179 offset0:14 offset1:15
	s_waitcnt vmcnt(46) lgkmcnt(3)
	v_fma_f32 v135, -v134, v210, v135
	s_waitcnt vmcnt(44) lgkmcnt(2)
	v_pk_fma_f32 v[156:157], v[134:135], v[198:199], v[156:157] op_sel_hi:[0,1,1] neg_lo:[1,0,0] neg_hi:[1,0,0]
	s_waitcnt vmcnt(42)
	v_pk_fma_f32 v[132:133], v[134:135], v[200:201], v[132:133] op_sel_hi:[0,1,1] neg_lo:[1,0,0] neg_hi:[1,0,0]
	ds_read2_b64 v[198:201], v179 offset0:16 offset1:17
	s_waitcnt vmcnt(40) lgkmcnt(2)
	v_pk_fma_f32 v[154:155], v[134:135], v[202:203], v[154:155] op_sel_hi:[0,1,1] neg_lo:[1,0,0] neg_hi:[1,0,0]
	s_waitcnt vmcnt(38)
	v_pk_fma_f32 v[130:131], v[134:135], v[204:205], v[130:131] op_sel_hi:[0,1,1] neg_lo:[1,0,0] neg_hi:[1,0,0]
	s_waitcnt vmcnt(36) lgkmcnt(1)
	v_pk_fma_f32 v[152:153], v[134:135], v[206:207], v[152:153] op_sel_hi:[0,1,1] neg_lo:[1,0,0] neg_hi:[1,0,0]
	ds_read2_b64 v[202:205], v179 offset0:18 offset1:19
	s_waitcnt vmcnt(34)
	v_pk_fma_f32 v[128:129], v[134:135], v[208:209], v[128:129] op_sel_hi:[0,1,1] neg_lo:[1,0,0] neg_hi:[1,0,0]
	s_waitcnt vmcnt(32) lgkmcnt(1)
	v_pk_fma_f32 v[150:151], v[134:135], v[198:199], v[150:151] op_sel_hi:[0,1,1] neg_lo:[1,0,0] neg_hi:[1,0,0]
	ds_read2_b64 v[206:209], v179 offset0:20 offset1:21
	s_waitcnt vmcnt(30)
	v_pk_fma_f32 v[126:127], v[134:135], v[200:201], v[126:127] op_sel_hi:[0,1,1] neg_lo:[1,0,0] neg_hi:[1,0,0]
	ds_read2_b64 v[198:201], v179 offset0:22 offset1:23
	s_waitcnt vmcnt(28) lgkmcnt(2)
	v_pk_fma_f32 v[148:149], v[134:135], v[202:203], v[148:149] op_sel_hi:[0,1,1] neg_lo:[1,0,0] neg_hi:[1,0,0]
	s_waitcnt vmcnt(26)
	v_pk_fma_f32 v[124:125], v[134:135], v[204:205], v[124:125] op_sel_hi:[0,1,1] neg_lo:[1,0,0] neg_hi:[1,0,0]
	s_waitcnt vmcnt(24) lgkmcnt(1)
	v_pk_fma_f32 v[146:147], v[134:135], v[206:207], v[146:147] op_sel_hi:[0,1,1] neg_lo:[1,0,0] neg_hi:[1,0,0]
	s_waitcnt vmcnt(22)
	v_pk_fma_f32 v[122:123], v[134:135], v[208:209], v[122:123] op_sel_hi:[0,1,1] neg_lo:[1,0,0] neg_hi:[1,0,0]
	ds_read2_b64 v[202:205], v179 offset0:24 offset1:25
	ds_read2_b64 v[206:209], v179 offset0:26 offset1:27
	s_waitcnt vmcnt(20) lgkmcnt(2)
	v_pk_fma_f32 v[144:145], v[134:135], v[198:199], v[144:145] op_sel_hi:[0,1,1] neg_lo:[1,0,0] neg_hi:[1,0,0]
	ds_read_b64 v[198:199], v179 offset:224
	s_waitcnt vmcnt(18)
	v_pk_fma_f32 v[120:121], v[134:135], v[200:201], v[120:121] op_sel_hi:[0,1,1] neg_lo:[1,0,0] neg_hi:[1,0,0]
	s_waitcnt vmcnt(16) lgkmcnt(2)
	v_pk_fma_f32 v[142:143], v[134:135], v[202:203], v[142:143] op_sel_hi:[0,1,1] neg_lo:[1,0,0] neg_hi:[1,0,0]
	s_waitcnt vmcnt(14)
	v_pk_fma_f32 v[118:119], v[134:135], v[204:205], v[118:119] op_sel_hi:[0,1,1] neg_lo:[1,0,0] neg_hi:[1,0,0]
	s_waitcnt vmcnt(12) lgkmcnt(1)
	v_pk_fma_f32 v[140:141], v[134:135], v[206:207], v[140:141] op_sel_hi:[0,1,1] neg_lo:[1,0,0] neg_hi:[1,0,0]
	;; [unrolled: 4-line block ×3, first 2 shown]
.LBB115_103:
	s_or_b64 exec, exec, s[2:3]
	v_cmp_ne_u32_e32 vcc, 19, v175
	s_waitcnt lgkmcnt(0)
	s_barrier
	s_and_saveexec_b64 s[2:3], vcc
	s_xor_b64 s[2:3], exec, s[2:3]
	s_andn2_saveexec_b64 s[2:3], s[2:3]
	s_cbranch_execz .LBB115_107
; %bb.104:
	s_waitcnt vmcnt(45)
	v_mov_b32_e32 v198, v156
	s_waitcnt vmcnt(44)
	v_mov_b32_e32 v199, v157
	;; [unrolled: 2-line block ×4, first 2 shown]
	ds_write_b32 v177, v135
	ds_write2_b64 v179, v[198:199], v[200:201] offset0:10 offset1:11
	s_waitcnt vmcnt(41)
	v_mov_b32_e32 v198, v154
	s_waitcnt vmcnt(40)
	v_mov_b32_e32 v199, v155
	s_waitcnt vmcnt(39)
	v_mov_b32_e32 v200, v130
	s_waitcnt vmcnt(38)
	v_mov_b32_e32 v201, v131
	ds_write2_b64 v179, v[198:199], v[200:201] offset0:12 offset1:13
	s_waitcnt vmcnt(37)
	v_mov_b32_e32 v198, v152
	s_waitcnt vmcnt(36)
	v_mov_b32_e32 v199, v153
	s_waitcnt vmcnt(35)
	v_mov_b32_e32 v200, v128
	s_waitcnt vmcnt(34)
	v_mov_b32_e32 v201, v129
	;; [unrolled: 9-line block ×8, first 2 shown]
	ds_write2_b64 v179, v[198:199], v[200:201] offset0:26 offset1:27
	s_waitcnt vmcnt(8)
	ds_write_b64 v179, v[164:165] offset:224
	ds_read_b32 v198, v177
	s_waitcnt lgkmcnt(0)
	v_cmp_neq_f32_e32 vcc, 0, v198
	s_and_saveexec_b64 s[4:5], vcc
	s_cbranch_execz .LBB115_106
; %bb.105:
	v_div_scale_f32 v199, s[10:11], v198, v198, 1.0
	v_rcp_f32_e32 v200, v199
	v_div_scale_f32 v201, vcc, 1.0, v198, 1.0
	v_fma_f32 v202, -v199, v200, 1.0
	v_fmac_f32_e32 v200, v202, v200
	v_mul_f32_e32 v202, v201, v200
	v_fma_f32 v203, -v199, v202, v201
	v_fmac_f32_e32 v202, v203, v200
	v_fma_f32 v199, -v199, v202, v201
	v_div_fmas_f32 v199, v199, v200, v202
	v_div_fixup_f32 v198, v199, v198, 1.0
	ds_write_b32 v177, v198
.LBB115_106:
	s_or_b64 exec, exec, s[4:5]
.LBB115_107:
	s_or_b64 exec, exec, s[2:3]
	s_waitcnt lgkmcnt(0)
	s_barrier
	ds_read_b32 v198, v177
	v_cmp_lt_u32_e32 vcc, 19, v175
	s_and_saveexec_b64 s[2:3], vcc
	s_cbranch_execz .LBB115_109
; %bb.108:
	ds_read2_b64 v[200:203], v179 offset0:10 offset1:11
	ds_read2_b64 v[204:207], v179 offset0:12 offset1:13
	s_waitcnt vmcnt(46) lgkmcnt(2)
	v_mul_f32_e32 v212, v198, v135
	ds_read2_b64 v[208:211], v179 offset0:14 offset1:15
	v_mov_b32_e32 v135, v212
	s_waitcnt vmcnt(44) lgkmcnt(2)
	v_pk_fma_f32 v[156:157], v[212:213], v[200:201], v[156:157] op_sel_hi:[0,1,1] neg_lo:[1,0,0] neg_hi:[1,0,0]
	s_waitcnt vmcnt(42)
	v_pk_fma_f32 v[132:133], v[212:213], v[202:203], v[132:133] op_sel_hi:[0,1,1] neg_lo:[1,0,0] neg_hi:[1,0,0]
	ds_read2_b64 v[200:203], v179 offset0:16 offset1:17
	s_waitcnt vmcnt(40) lgkmcnt(2)
	v_pk_fma_f32 v[154:155], v[212:213], v[204:205], v[154:155] op_sel_hi:[0,1,1] neg_lo:[1,0,0] neg_hi:[1,0,0]
	s_waitcnt vmcnt(38)
	v_pk_fma_f32 v[130:131], v[212:213], v[206:207], v[130:131] op_sel_hi:[0,1,1] neg_lo:[1,0,0] neg_hi:[1,0,0]
	s_waitcnt vmcnt(36) lgkmcnt(1)
	v_pk_fma_f32 v[152:153], v[212:213], v[208:209], v[152:153] op_sel_hi:[0,1,1] neg_lo:[1,0,0] neg_hi:[1,0,0]
	ds_read2_b64 v[204:207], v179 offset0:18 offset1:19
	s_waitcnt vmcnt(34)
	v_pk_fma_f32 v[128:129], v[212:213], v[210:211], v[128:129] op_sel_hi:[0,1,1] neg_lo:[1,0,0] neg_hi:[1,0,0]
	s_waitcnt vmcnt(32) lgkmcnt(1)
	v_pk_fma_f32 v[150:151], v[212:213], v[200:201], v[150:151] op_sel_hi:[0,1,1] neg_lo:[1,0,0] neg_hi:[1,0,0]
	ds_read2_b64 v[208:211], v179 offset0:20 offset1:21
	s_waitcnt vmcnt(30)
	v_pk_fma_f32 v[126:127], v[212:213], v[202:203], v[126:127] op_sel_hi:[0,1,1] neg_lo:[1,0,0] neg_hi:[1,0,0]
	ds_read2_b64 v[200:203], v179 offset0:22 offset1:23
	s_waitcnt vmcnt(28) lgkmcnt(2)
	v_pk_fma_f32 v[148:149], v[212:213], v[204:205], v[148:149] op_sel_hi:[0,1,1] neg_lo:[1,0,0] neg_hi:[1,0,0]
	s_waitcnt vmcnt(26)
	v_pk_fma_f32 v[124:125], v[212:213], v[206:207], v[124:125] op_sel_hi:[0,1,1] neg_lo:[1,0,0] neg_hi:[1,0,0]
	s_waitcnt vmcnt(24) lgkmcnt(1)
	v_pk_fma_f32 v[146:147], v[212:213], v[208:209], v[146:147] op_sel_hi:[0,1,1] neg_lo:[1,0,0] neg_hi:[1,0,0]
	s_waitcnt vmcnt(22)
	v_pk_fma_f32 v[122:123], v[212:213], v[210:211], v[122:123] op_sel_hi:[0,1,1] neg_lo:[1,0,0] neg_hi:[1,0,0]
	ds_read2_b64 v[204:207], v179 offset0:24 offset1:25
	s_waitcnt vmcnt(20) lgkmcnt(1)
	v_pk_fma_f32 v[144:145], v[212:213], v[200:201], v[144:145] op_sel_hi:[0,1,1] neg_lo:[1,0,0] neg_hi:[1,0,0]
	ds_read2_b64 v[208:211], v179 offset0:26 offset1:27
	ds_read_b64 v[200:201], v179 offset:224
	s_waitcnt vmcnt(18)
	v_pk_fma_f32 v[120:121], v[212:213], v[202:203], v[120:121] op_sel_hi:[0,1,1] neg_lo:[1,0,0] neg_hi:[1,0,0]
	s_waitcnt vmcnt(16) lgkmcnt(2)
	v_pk_fma_f32 v[142:143], v[212:213], v[204:205], v[142:143] op_sel_hi:[0,1,1] neg_lo:[1,0,0] neg_hi:[1,0,0]
	s_waitcnt vmcnt(14)
	v_pk_fma_f32 v[118:119], v[212:213], v[206:207], v[118:119] op_sel_hi:[0,1,1] neg_lo:[1,0,0] neg_hi:[1,0,0]
	s_waitcnt vmcnt(12) lgkmcnt(1)
	v_pk_fma_f32 v[140:141], v[212:213], v[208:209], v[140:141] op_sel_hi:[0,1,1] neg_lo:[1,0,0] neg_hi:[1,0,0]
	;; [unrolled: 4-line block ×3, first 2 shown]
.LBB115_109:
	s_or_b64 exec, exec, s[2:3]
	v_cmp_eq_u32_e32 vcc, 20, v175
	s_waitcnt lgkmcnt(0)
	s_barrier
	s_and_saveexec_b64 s[2:3], vcc
	s_cbranch_execz .LBB115_112
; %bb.110:
	s_waitcnt vmcnt(42)
	v_pk_mov_b32 v[200:201], v[156:157], v[132:133] op_sel:[1,0]
	ds_write_b32 v177, v156
	ds_write2_b32 v179, v200, v201 offset0:21 offset1:22
	s_waitcnt vmcnt(40)
	v_pk_mov_b32 v[200:201], v[132:133], v[154:155] op_sel:[1,0]
	ds_write2_b32 v179, v200, v201 offset0:23 offset1:24
	s_waitcnt vmcnt(38)
	v_pk_mov_b32 v[200:201], v[154:155], v[130:131] op_sel:[1,0]
	;; [unrolled: 3-line block ×17, first 2 shown]
	ds_write2_b32 v179, v200, v201 offset0:55 offset1:56
	ds_write_b32 v179, v165 offset:228
	ds_read_b32 v199, v177
	s_waitcnt lgkmcnt(0)
	v_cmp_neq_f32_e32 vcc, 0, v199
	s_and_b64 exec, exec, vcc
	s_cbranch_execz .LBB115_112
; %bb.111:
	v_div_scale_f32 v200, s[4:5], v199, v199, 1.0
	v_rcp_f32_e32 v201, v200
	v_div_scale_f32 v202, vcc, 1.0, v199, 1.0
	v_fma_f32 v203, -v200, v201, 1.0
	v_fmac_f32_e32 v201, v203, v201
	v_mul_f32_e32 v203, v202, v201
	v_fma_f32 v204, -v200, v203, v202
	v_fmac_f32_e32 v203, v204, v201
	v_fma_f32 v200, -v200, v203, v202
	v_div_fmas_f32 v200, v200, v201, v203
	v_div_fixup_f32 v199, v200, v199, 1.0
	ds_write_b32 v177, v199
.LBB115_112:
	s_or_b64 exec, exec, s[2:3]
	s_waitcnt lgkmcnt(0)
	s_barrier
	ds_read_b32 v199, v177
	v_cmp_lt_u32_e32 vcc, 20, v175
	s_and_saveexec_b64 s[2:3], vcc
	s_cbranch_execz .LBB115_114
; %bb.113:
	ds_read_b32 v212, v179 offset:84
	ds_read2_b64 v[200:203], v179 offset0:11 offset1:12
	ds_read2_b64 v[204:207], v179 offset0:13 offset1:14
	;; [unrolled: 1-line block ×3, first 2 shown]
	s_waitcnt vmcnt(45) lgkmcnt(4)
	v_mul_f32_e32 v156, v199, v156
	s_waitcnt vmcnt(44) lgkmcnt(3)
	v_fma_f32 v157, -v156, v212, v157
	s_waitcnt vmcnt(42) lgkmcnt(2)
	v_pk_fma_f32 v[132:133], v[156:157], v[200:201], v[132:133] op_sel_hi:[0,1,1] neg_lo:[1,0,0] neg_hi:[1,0,0]
	s_waitcnt vmcnt(40)
	v_pk_fma_f32 v[154:155], v[156:157], v[202:203], v[154:155] op_sel_hi:[0,1,1] neg_lo:[1,0,0] neg_hi:[1,0,0]
	s_waitcnt vmcnt(38) lgkmcnt(1)
	v_pk_fma_f32 v[130:131], v[156:157], v[204:205], v[130:131] op_sel_hi:[0,1,1] neg_lo:[1,0,0] neg_hi:[1,0,0]
	ds_read2_b64 v[200:203], v179 offset0:17 offset1:18
	s_waitcnt vmcnt(36)
	v_pk_fma_f32 v[152:153], v[156:157], v[206:207], v[152:153] op_sel_hi:[0,1,1] neg_lo:[1,0,0] neg_hi:[1,0,0]
	s_waitcnt vmcnt(34) lgkmcnt(1)
	v_pk_fma_f32 v[128:129], v[156:157], v[208:209], v[128:129] op_sel_hi:[0,1,1] neg_lo:[1,0,0] neg_hi:[1,0,0]
	ds_read2_b64 v[204:207], v179 offset0:19 offset1:20
	s_waitcnt vmcnt(32)
	v_pk_fma_f32 v[150:151], v[156:157], v[210:211], v[150:151] op_sel_hi:[0,1,1] neg_lo:[1,0,0] neg_hi:[1,0,0]
	ds_read2_b64 v[208:211], v179 offset0:21 offset1:22
	s_waitcnt vmcnt(30) lgkmcnt(2)
	v_pk_fma_f32 v[126:127], v[156:157], v[200:201], v[126:127] op_sel_hi:[0,1,1] neg_lo:[1,0,0] neg_hi:[1,0,0]
	s_waitcnt vmcnt(28)
	v_pk_fma_f32 v[148:149], v[156:157], v[202:203], v[148:149] op_sel_hi:[0,1,1] neg_lo:[1,0,0] neg_hi:[1,0,0]
	s_waitcnt vmcnt(26) lgkmcnt(1)
	v_pk_fma_f32 v[124:125], v[156:157], v[204:205], v[124:125] op_sel_hi:[0,1,1] neg_lo:[1,0,0] neg_hi:[1,0,0]
	s_waitcnt vmcnt(24)
	v_pk_fma_f32 v[146:147], v[156:157], v[206:207], v[146:147] op_sel_hi:[0,1,1] neg_lo:[1,0,0] neg_hi:[1,0,0]
	ds_read2_b64 v[200:203], v179 offset0:23 offset1:24
	s_waitcnt vmcnt(22) lgkmcnt(1)
	v_pk_fma_f32 v[122:123], v[156:157], v[208:209], v[122:123] op_sel_hi:[0,1,1] neg_lo:[1,0,0] neg_hi:[1,0,0]
	ds_read2_b64 v[204:207], v179 offset0:25 offset1:26
	s_waitcnt vmcnt(20)
	v_pk_fma_f32 v[144:145], v[156:157], v[210:211], v[144:145] op_sel_hi:[0,1,1] neg_lo:[1,0,0] neg_hi:[1,0,0]
	ds_read2_b64 v[208:211], v179 offset0:27 offset1:28
	s_waitcnt vmcnt(18) lgkmcnt(2)
	v_pk_fma_f32 v[120:121], v[156:157], v[200:201], v[120:121] op_sel_hi:[0,1,1] neg_lo:[1,0,0] neg_hi:[1,0,0]
	s_waitcnt vmcnt(16)
	v_pk_fma_f32 v[142:143], v[156:157], v[202:203], v[142:143] op_sel_hi:[0,1,1] neg_lo:[1,0,0] neg_hi:[1,0,0]
	s_waitcnt vmcnt(14) lgkmcnt(1)
	v_pk_fma_f32 v[118:119], v[156:157], v[204:205], v[118:119] op_sel_hi:[0,1,1] neg_lo:[1,0,0] neg_hi:[1,0,0]
	s_waitcnt vmcnt(12)
	v_pk_fma_f32 v[140:141], v[156:157], v[206:207], v[140:141] op_sel_hi:[0,1,1] neg_lo:[1,0,0] neg_hi:[1,0,0]
	;; [unrolled: 4-line block ×3, first 2 shown]
.LBB115_114:
	s_or_b64 exec, exec, s[2:3]
	v_cmp_ne_u32_e32 vcc, 21, v175
	s_waitcnt lgkmcnt(0)
	s_barrier
	s_and_saveexec_b64 s[2:3], vcc
	s_xor_b64 s[2:3], exec, s[2:3]
	s_andn2_saveexec_b64 s[2:3], s[2:3]
	s_cbranch_execz .LBB115_118
; %bb.115:
	s_waitcnt vmcnt(44)
	ds_write_b32 v177, v157
	s_waitcnt vmcnt(40)
	ds_write2_b64 v179, v[132:133], v[154:155] offset0:11 offset1:12
	s_waitcnt vmcnt(36)
	ds_write2_b64 v179, v[130:131], v[152:153] offset0:13 offset1:14
	;; [unrolled: 2-line block ×9, first 2 shown]
	ds_read_b32 v200, v177
	s_waitcnt lgkmcnt(0)
	v_cmp_neq_f32_e32 vcc, 0, v200
	s_and_saveexec_b64 s[4:5], vcc
	s_cbranch_execz .LBB115_117
; %bb.116:
	v_div_scale_f32 v201, s[10:11], v200, v200, 1.0
	v_rcp_f32_e32 v202, v201
	v_div_scale_f32 v203, vcc, 1.0, v200, 1.0
	v_fma_f32 v204, -v201, v202, 1.0
	v_fmac_f32_e32 v202, v204, v202
	v_mul_f32_e32 v204, v203, v202
	v_fma_f32 v205, -v201, v204, v203
	v_fmac_f32_e32 v204, v205, v202
	v_fma_f32 v201, -v201, v204, v203
	v_div_fmas_f32 v201, v201, v202, v204
	v_div_fixup_f32 v200, v201, v200, 1.0
	ds_write_b32 v177, v200
.LBB115_117:
	s_or_b64 exec, exec, s[4:5]
.LBB115_118:
	s_or_b64 exec, exec, s[2:3]
	s_waitcnt lgkmcnt(0)
	s_barrier
	ds_read_b32 v200, v177
	v_cmp_lt_u32_e32 vcc, 21, v175
	s_and_saveexec_b64 s[2:3], vcc
	s_cbranch_execz .LBB115_120
; %bb.119:
	ds_read2_b64 v[202:205], v179 offset0:11 offset1:12
	ds_read2_b64 v[206:209], v179 offset0:13 offset1:14
	;; [unrolled: 1-line block ×3, first 2 shown]
	s_waitcnt vmcnt(44) lgkmcnt(3)
	v_mul_f32_e32 v214, v200, v157
	v_mov_b32_e32 v157, v214
	s_waitcnt vmcnt(42) lgkmcnt(2)
	v_pk_fma_f32 v[132:133], v[214:215], v[202:203], v[132:133] op_sel_hi:[0,1,1] neg_lo:[1,0,0] neg_hi:[1,0,0]
	s_waitcnt vmcnt(40)
	v_pk_fma_f32 v[154:155], v[214:215], v[204:205], v[154:155] op_sel_hi:[0,1,1] neg_lo:[1,0,0] neg_hi:[1,0,0]
	s_waitcnt vmcnt(38) lgkmcnt(1)
	v_pk_fma_f32 v[130:131], v[214:215], v[206:207], v[130:131] op_sel_hi:[0,1,1] neg_lo:[1,0,0] neg_hi:[1,0,0]
	ds_read2_b64 v[202:205], v179 offset0:17 offset1:18
	s_waitcnt vmcnt(36)
	v_pk_fma_f32 v[152:153], v[214:215], v[208:209], v[152:153] op_sel_hi:[0,1,1] neg_lo:[1,0,0] neg_hi:[1,0,0]
	s_waitcnt vmcnt(34) lgkmcnt(1)
	v_pk_fma_f32 v[128:129], v[214:215], v[210:211], v[128:129] op_sel_hi:[0,1,1] neg_lo:[1,0,0] neg_hi:[1,0,0]
	ds_read2_b64 v[206:209], v179 offset0:19 offset1:20
	s_waitcnt vmcnt(32)
	v_pk_fma_f32 v[150:151], v[214:215], v[212:213], v[150:151] op_sel_hi:[0,1,1] neg_lo:[1,0,0] neg_hi:[1,0,0]
	ds_read2_b64 v[210:213], v179 offset0:21 offset1:22
	s_waitcnt vmcnt(30) lgkmcnt(2)
	v_pk_fma_f32 v[126:127], v[214:215], v[202:203], v[126:127] op_sel_hi:[0,1,1] neg_lo:[1,0,0] neg_hi:[1,0,0]
	s_waitcnt vmcnt(28)
	v_pk_fma_f32 v[148:149], v[214:215], v[204:205], v[148:149] op_sel_hi:[0,1,1] neg_lo:[1,0,0] neg_hi:[1,0,0]
	s_waitcnt vmcnt(26) lgkmcnt(1)
	v_pk_fma_f32 v[124:125], v[214:215], v[206:207], v[124:125] op_sel_hi:[0,1,1] neg_lo:[1,0,0] neg_hi:[1,0,0]
	s_waitcnt vmcnt(24)
	v_pk_fma_f32 v[146:147], v[214:215], v[208:209], v[146:147] op_sel_hi:[0,1,1] neg_lo:[1,0,0] neg_hi:[1,0,0]
	ds_read2_b64 v[202:205], v179 offset0:23 offset1:24
	ds_read2_b64 v[206:209], v179 offset0:25 offset1:26
	s_waitcnt vmcnt(22) lgkmcnt(2)
	v_pk_fma_f32 v[122:123], v[214:215], v[210:211], v[122:123] op_sel_hi:[0,1,1] neg_lo:[1,0,0] neg_hi:[1,0,0]
	s_waitcnt vmcnt(20)
	v_pk_fma_f32 v[144:145], v[214:215], v[212:213], v[144:145] op_sel_hi:[0,1,1] neg_lo:[1,0,0] neg_hi:[1,0,0]
	ds_read2_b64 v[210:213], v179 offset0:27 offset1:28
	s_waitcnt vmcnt(18) lgkmcnt(2)
	v_pk_fma_f32 v[120:121], v[214:215], v[202:203], v[120:121] op_sel_hi:[0,1,1] neg_lo:[1,0,0] neg_hi:[1,0,0]
	s_waitcnt vmcnt(16)
	v_pk_fma_f32 v[142:143], v[214:215], v[204:205], v[142:143] op_sel_hi:[0,1,1] neg_lo:[1,0,0] neg_hi:[1,0,0]
	s_waitcnt vmcnt(14) lgkmcnt(1)
	v_pk_fma_f32 v[118:119], v[214:215], v[206:207], v[118:119] op_sel_hi:[0,1,1] neg_lo:[1,0,0] neg_hi:[1,0,0]
	s_waitcnt vmcnt(12)
	v_pk_fma_f32 v[140:141], v[214:215], v[208:209], v[140:141] op_sel_hi:[0,1,1] neg_lo:[1,0,0] neg_hi:[1,0,0]
	;; [unrolled: 4-line block ×3, first 2 shown]
.LBB115_120:
	s_or_b64 exec, exec, s[2:3]
	v_cmp_eq_u32_e32 vcc, 22, v175
	s_waitcnt lgkmcnt(0)
	s_barrier
	s_and_saveexec_b64 s[2:3], vcc
	s_cbranch_execz .LBB115_123
; %bb.121:
	s_waitcnt vmcnt(40)
	v_pk_mov_b32 v[202:203], v[132:133], v[154:155] op_sel:[1,0]
	ds_write_b32 v177, v132
	ds_write2_b32 v179, v202, v203 offset0:23 offset1:24
	s_waitcnt vmcnt(38)
	v_pk_mov_b32 v[202:203], v[154:155], v[130:131] op_sel:[1,0]
	ds_write2_b32 v179, v202, v203 offset0:25 offset1:26
	s_waitcnt vmcnt(36)
	v_pk_mov_b32 v[202:203], v[130:131], v[152:153] op_sel:[1,0]
	;; [unrolled: 3-line block ×16, first 2 shown]
	ds_write2_b32 v179, v202, v203 offset0:55 offset1:56
	ds_write_b32 v179, v165 offset:228
	ds_read_b32 v201, v177
	s_waitcnt lgkmcnt(0)
	v_cmp_neq_f32_e32 vcc, 0, v201
	s_and_b64 exec, exec, vcc
	s_cbranch_execz .LBB115_123
; %bb.122:
	v_div_scale_f32 v202, s[4:5], v201, v201, 1.0
	v_rcp_f32_e32 v203, v202
	v_div_scale_f32 v204, vcc, 1.0, v201, 1.0
	v_fma_f32 v205, -v202, v203, 1.0
	v_fmac_f32_e32 v203, v205, v203
	v_mul_f32_e32 v205, v204, v203
	v_fma_f32 v206, -v202, v205, v204
	v_fmac_f32_e32 v205, v206, v203
	v_fma_f32 v202, -v202, v205, v204
	v_div_fmas_f32 v202, v202, v203, v205
	v_div_fixup_f32 v201, v202, v201, 1.0
	ds_write_b32 v177, v201
.LBB115_123:
	s_or_b64 exec, exec, s[2:3]
	s_waitcnt lgkmcnt(0)
	s_barrier
	ds_read_b32 v201, v177
	v_cmp_lt_u32_e32 vcc, 22, v175
	s_and_saveexec_b64 s[2:3], vcc
	s_cbranch_execz .LBB115_125
; %bb.124:
	ds_read_b32 v214, v179 offset:92
	ds_read2_b64 v[202:205], v179 offset0:12 offset1:13
	ds_read2_b64 v[206:209], v179 offset0:14 offset1:15
	;; [unrolled: 1-line block ×3, first 2 shown]
	s_waitcnt vmcnt(43) lgkmcnt(4)
	v_mul_f32_e32 v132, v201, v132
	s_waitcnt vmcnt(42) lgkmcnt(3)
	v_fma_f32 v133, -v132, v214, v133
	s_waitcnt vmcnt(40) lgkmcnt(2)
	v_pk_fma_f32 v[154:155], v[132:133], v[202:203], v[154:155] op_sel_hi:[0,1,1] neg_lo:[1,0,0] neg_hi:[1,0,0]
	s_waitcnt vmcnt(38)
	v_pk_fma_f32 v[130:131], v[132:133], v[204:205], v[130:131] op_sel_hi:[0,1,1] neg_lo:[1,0,0] neg_hi:[1,0,0]
	s_waitcnt vmcnt(36) lgkmcnt(1)
	v_pk_fma_f32 v[152:153], v[132:133], v[206:207], v[152:153] op_sel_hi:[0,1,1] neg_lo:[1,0,0] neg_hi:[1,0,0]
	ds_read2_b64 v[202:205], v179 offset0:18 offset1:19
	s_waitcnt vmcnt(34)
	v_pk_fma_f32 v[128:129], v[132:133], v[208:209], v[128:129] op_sel_hi:[0,1,1] neg_lo:[1,0,0] neg_hi:[1,0,0]
	s_waitcnt vmcnt(32) lgkmcnt(1)
	v_pk_fma_f32 v[150:151], v[132:133], v[210:211], v[150:151] op_sel_hi:[0,1,1] neg_lo:[1,0,0] neg_hi:[1,0,0]
	ds_read2_b64 v[206:209], v179 offset0:20 offset1:21
	s_waitcnt vmcnt(30)
	v_pk_fma_f32 v[126:127], v[132:133], v[212:213], v[126:127] op_sel_hi:[0,1,1] neg_lo:[1,0,0] neg_hi:[1,0,0]
	ds_read2_b64 v[210:213], v179 offset0:22 offset1:23
	s_waitcnt vmcnt(28) lgkmcnt(2)
	v_pk_fma_f32 v[148:149], v[132:133], v[202:203], v[148:149] op_sel_hi:[0,1,1] neg_lo:[1,0,0] neg_hi:[1,0,0]
	s_waitcnt vmcnt(26)
	v_pk_fma_f32 v[124:125], v[132:133], v[204:205], v[124:125] op_sel_hi:[0,1,1] neg_lo:[1,0,0] neg_hi:[1,0,0]
	s_waitcnt vmcnt(24) lgkmcnt(1)
	v_pk_fma_f32 v[146:147], v[132:133], v[206:207], v[146:147] op_sel_hi:[0,1,1] neg_lo:[1,0,0] neg_hi:[1,0,0]
	s_waitcnt vmcnt(22)
	v_pk_fma_f32 v[122:123], v[132:133], v[208:209], v[122:123] op_sel_hi:[0,1,1] neg_lo:[1,0,0] neg_hi:[1,0,0]
	ds_read2_b64 v[202:205], v179 offset0:24 offset1:25
	s_waitcnt vmcnt(20) lgkmcnt(1)
	v_pk_fma_f32 v[144:145], v[132:133], v[210:211], v[144:145] op_sel_hi:[0,1,1] neg_lo:[1,0,0] neg_hi:[1,0,0]
	ds_read2_b64 v[206:209], v179 offset0:26 offset1:27
	ds_read_b64 v[210:211], v179 offset:224
	s_waitcnt vmcnt(18)
	v_pk_fma_f32 v[120:121], v[132:133], v[212:213], v[120:121] op_sel_hi:[0,1,1] neg_lo:[1,0,0] neg_hi:[1,0,0]
	s_waitcnt vmcnt(16) lgkmcnt(2)
	v_pk_fma_f32 v[142:143], v[132:133], v[202:203], v[142:143] op_sel_hi:[0,1,1] neg_lo:[1,0,0] neg_hi:[1,0,0]
	s_waitcnt vmcnt(14)
	v_pk_fma_f32 v[118:119], v[132:133], v[204:205], v[118:119] op_sel_hi:[0,1,1] neg_lo:[1,0,0] neg_hi:[1,0,0]
	s_waitcnt vmcnt(12) lgkmcnt(1)
	v_pk_fma_f32 v[140:141], v[132:133], v[206:207], v[140:141] op_sel_hi:[0,1,1] neg_lo:[1,0,0] neg_hi:[1,0,0]
	;; [unrolled: 4-line block ×3, first 2 shown]
.LBB115_125:
	s_or_b64 exec, exec, s[2:3]
	v_cmp_ne_u32_e32 vcc, 23, v175
	s_waitcnt lgkmcnt(0)
	s_barrier
	s_and_saveexec_b64 s[2:3], vcc
	s_xor_b64 s[2:3], exec, s[2:3]
	s_andn2_saveexec_b64 s[2:3], s[2:3]
	s_cbranch_execz .LBB115_129
; %bb.126:
	s_waitcnt vmcnt(41)
	v_mov_b32_e32 v202, v154
	s_waitcnt vmcnt(40)
	v_mov_b32_e32 v203, v155
	;; [unrolled: 2-line block ×4, first 2 shown]
	ds_write_b32 v177, v133
	ds_write2_b64 v179, v[202:203], v[204:205] offset0:12 offset1:13
	s_waitcnt vmcnt(37)
	v_mov_b32_e32 v202, v152
	s_waitcnt vmcnt(36)
	v_mov_b32_e32 v203, v153
	s_waitcnt vmcnt(35)
	v_mov_b32_e32 v204, v128
	s_waitcnt vmcnt(34)
	v_mov_b32_e32 v205, v129
	ds_write2_b64 v179, v[202:203], v[204:205] offset0:14 offset1:15
	s_waitcnt vmcnt(33)
	v_mov_b32_e32 v202, v150
	s_waitcnt vmcnt(32)
	v_mov_b32_e32 v203, v151
	s_waitcnt vmcnt(31)
	v_mov_b32_e32 v204, v126
	s_waitcnt vmcnt(30)
	v_mov_b32_e32 v205, v127
	;; [unrolled: 9-line block ×7, first 2 shown]
	ds_write2_b64 v179, v[202:203], v[204:205] offset0:26 offset1:27
	s_waitcnt vmcnt(8)
	ds_write_b64 v179, v[164:165] offset:224
	ds_read_b32 v202, v177
	s_waitcnt lgkmcnt(0)
	v_cmp_neq_f32_e32 vcc, 0, v202
	s_and_saveexec_b64 s[4:5], vcc
	s_cbranch_execz .LBB115_128
; %bb.127:
	v_div_scale_f32 v203, s[10:11], v202, v202, 1.0
	v_rcp_f32_e32 v204, v203
	v_div_scale_f32 v205, vcc, 1.0, v202, 1.0
	v_fma_f32 v206, -v203, v204, 1.0
	v_fmac_f32_e32 v204, v206, v204
	v_mul_f32_e32 v206, v205, v204
	v_fma_f32 v207, -v203, v206, v205
	v_fmac_f32_e32 v206, v207, v204
	v_fma_f32 v203, -v203, v206, v205
	v_div_fmas_f32 v203, v203, v204, v206
	v_div_fixup_f32 v202, v203, v202, 1.0
	ds_write_b32 v177, v202
.LBB115_128:
	s_or_b64 exec, exec, s[4:5]
.LBB115_129:
	s_or_b64 exec, exec, s[2:3]
	s_waitcnt lgkmcnt(0)
	s_barrier
	ds_read_b32 v202, v177
	v_cmp_lt_u32_e32 vcc, 23, v175
	s_and_saveexec_b64 s[2:3], vcc
	s_cbranch_execz .LBB115_131
; %bb.130:
	ds_read2_b64 v[204:207], v179 offset0:12 offset1:13
	ds_read2_b64 v[208:211], v179 offset0:14 offset1:15
	;; [unrolled: 1-line block ×3, first 2 shown]
	s_waitcnt vmcnt(42) lgkmcnt(3)
	v_mul_f32_e32 v216, v202, v133
	v_mov_b32_e32 v133, v216
	s_waitcnt vmcnt(40) lgkmcnt(2)
	v_pk_fma_f32 v[154:155], v[216:217], v[204:205], v[154:155] op_sel_hi:[0,1,1] neg_lo:[1,0,0] neg_hi:[1,0,0]
	s_waitcnt vmcnt(38)
	v_pk_fma_f32 v[130:131], v[216:217], v[206:207], v[130:131] op_sel_hi:[0,1,1] neg_lo:[1,0,0] neg_hi:[1,0,0]
	s_waitcnt vmcnt(36) lgkmcnt(1)
	v_pk_fma_f32 v[152:153], v[216:217], v[208:209], v[152:153] op_sel_hi:[0,1,1] neg_lo:[1,0,0] neg_hi:[1,0,0]
	ds_read2_b64 v[204:207], v179 offset0:18 offset1:19
	s_waitcnt vmcnt(34)
	v_pk_fma_f32 v[128:129], v[216:217], v[210:211], v[128:129] op_sel_hi:[0,1,1] neg_lo:[1,0,0] neg_hi:[1,0,0]
	s_waitcnt vmcnt(32) lgkmcnt(1)
	v_pk_fma_f32 v[150:151], v[216:217], v[212:213], v[150:151] op_sel_hi:[0,1,1] neg_lo:[1,0,0] neg_hi:[1,0,0]
	ds_read2_b64 v[208:211], v179 offset0:20 offset1:21
	s_waitcnt vmcnt(30)
	v_pk_fma_f32 v[126:127], v[216:217], v[214:215], v[126:127] op_sel_hi:[0,1,1] neg_lo:[1,0,0] neg_hi:[1,0,0]
	ds_read2_b64 v[212:215], v179 offset0:22 offset1:23
	s_waitcnt vmcnt(28) lgkmcnt(2)
	v_pk_fma_f32 v[148:149], v[216:217], v[204:205], v[148:149] op_sel_hi:[0,1,1] neg_lo:[1,0,0] neg_hi:[1,0,0]
	s_waitcnt vmcnt(26)
	v_pk_fma_f32 v[124:125], v[216:217], v[206:207], v[124:125] op_sel_hi:[0,1,1] neg_lo:[1,0,0] neg_hi:[1,0,0]
	s_waitcnt vmcnt(24) lgkmcnt(1)
	v_pk_fma_f32 v[146:147], v[216:217], v[208:209], v[146:147] op_sel_hi:[0,1,1] neg_lo:[1,0,0] neg_hi:[1,0,0]
	s_waitcnt vmcnt(22)
	v_pk_fma_f32 v[122:123], v[216:217], v[210:211], v[122:123] op_sel_hi:[0,1,1] neg_lo:[1,0,0] neg_hi:[1,0,0]
	ds_read2_b64 v[204:207], v179 offset0:24 offset1:25
	ds_read2_b64 v[208:211], v179 offset0:26 offset1:27
	s_waitcnt vmcnt(20) lgkmcnt(2)
	v_pk_fma_f32 v[144:145], v[216:217], v[212:213], v[144:145] op_sel_hi:[0,1,1] neg_lo:[1,0,0] neg_hi:[1,0,0]
	ds_read_b64 v[212:213], v179 offset:224
	s_waitcnt vmcnt(18)
	v_pk_fma_f32 v[120:121], v[216:217], v[214:215], v[120:121] op_sel_hi:[0,1,1] neg_lo:[1,0,0] neg_hi:[1,0,0]
	s_waitcnt vmcnt(16) lgkmcnt(2)
	v_pk_fma_f32 v[142:143], v[216:217], v[204:205], v[142:143] op_sel_hi:[0,1,1] neg_lo:[1,0,0] neg_hi:[1,0,0]
	s_waitcnt vmcnt(14)
	v_pk_fma_f32 v[118:119], v[216:217], v[206:207], v[118:119] op_sel_hi:[0,1,1] neg_lo:[1,0,0] neg_hi:[1,0,0]
	s_waitcnt vmcnt(12) lgkmcnt(1)
	v_pk_fma_f32 v[140:141], v[216:217], v[208:209], v[140:141] op_sel_hi:[0,1,1] neg_lo:[1,0,0] neg_hi:[1,0,0]
	;; [unrolled: 4-line block ×3, first 2 shown]
.LBB115_131:
	s_or_b64 exec, exec, s[2:3]
	v_cmp_eq_u32_e32 vcc, 24, v175
	s_waitcnt lgkmcnt(0)
	s_barrier
	s_and_saveexec_b64 s[2:3], vcc
	s_cbranch_execz .LBB115_134
; %bb.132:
	s_waitcnt vmcnt(38)
	v_pk_mov_b32 v[204:205], v[154:155], v[130:131] op_sel:[1,0]
	ds_write_b32 v177, v154
	ds_write2_b32 v179, v204, v205 offset0:25 offset1:26
	s_waitcnt vmcnt(36)
	v_pk_mov_b32 v[204:205], v[130:131], v[152:153] op_sel:[1,0]
	ds_write2_b32 v179, v204, v205 offset0:27 offset1:28
	s_waitcnt vmcnt(34)
	v_pk_mov_b32 v[204:205], v[152:153], v[128:129] op_sel:[1,0]
	;; [unrolled: 3-line block ×15, first 2 shown]
	ds_write2_b32 v179, v204, v205 offset0:55 offset1:56
	ds_write_b32 v179, v165 offset:228
	ds_read_b32 v203, v177
	s_waitcnt lgkmcnt(0)
	v_cmp_neq_f32_e32 vcc, 0, v203
	s_and_b64 exec, exec, vcc
	s_cbranch_execz .LBB115_134
; %bb.133:
	v_div_scale_f32 v204, s[4:5], v203, v203, 1.0
	v_rcp_f32_e32 v205, v204
	v_div_scale_f32 v206, vcc, 1.0, v203, 1.0
	v_fma_f32 v207, -v204, v205, 1.0
	v_fmac_f32_e32 v205, v207, v205
	v_mul_f32_e32 v207, v206, v205
	v_fma_f32 v208, -v204, v207, v206
	v_fmac_f32_e32 v207, v208, v205
	v_fma_f32 v204, -v204, v207, v206
	v_div_fmas_f32 v204, v204, v205, v207
	v_div_fixup_f32 v203, v204, v203, 1.0
	ds_write_b32 v177, v203
.LBB115_134:
	s_or_b64 exec, exec, s[2:3]
	s_waitcnt lgkmcnt(0)
	s_barrier
	ds_read_b32 v203, v177
	v_cmp_lt_u32_e32 vcc, 24, v175
	s_and_saveexec_b64 s[2:3], vcc
	s_cbranch_execz .LBB115_136
; %bb.135:
	ds_read_b32 v216, v179 offset:100
	ds_read2_b64 v[204:207], v179 offset0:13 offset1:14
	ds_read2_b64 v[208:211], v179 offset0:15 offset1:16
	;; [unrolled: 1-line block ×3, first 2 shown]
	s_waitcnt vmcnt(41) lgkmcnt(4)
	v_mul_f32_e32 v154, v203, v154
	s_waitcnt vmcnt(40) lgkmcnt(3)
	v_fma_f32 v155, -v154, v216, v155
	s_waitcnt vmcnt(38) lgkmcnt(2)
	v_pk_fma_f32 v[130:131], v[154:155], v[204:205], v[130:131] op_sel_hi:[0,1,1] neg_lo:[1,0,0] neg_hi:[1,0,0]
	s_waitcnt vmcnt(36)
	v_pk_fma_f32 v[152:153], v[154:155], v[206:207], v[152:153] op_sel_hi:[0,1,1] neg_lo:[1,0,0] neg_hi:[1,0,0]
	s_waitcnt vmcnt(34) lgkmcnt(1)
	v_pk_fma_f32 v[128:129], v[154:155], v[208:209], v[128:129] op_sel_hi:[0,1,1] neg_lo:[1,0,0] neg_hi:[1,0,0]
	ds_read2_b64 v[204:207], v179 offset0:19 offset1:20
	s_waitcnt vmcnt(32)
	v_pk_fma_f32 v[150:151], v[154:155], v[210:211], v[150:151] op_sel_hi:[0,1,1] neg_lo:[1,0,0] neg_hi:[1,0,0]
	ds_read2_b64 v[208:211], v179 offset0:21 offset1:22
	s_waitcnt vmcnt(30) lgkmcnt(2)
	v_pk_fma_f32 v[126:127], v[154:155], v[212:213], v[126:127] op_sel_hi:[0,1,1] neg_lo:[1,0,0] neg_hi:[1,0,0]
	s_waitcnt vmcnt(28)
	v_pk_fma_f32 v[148:149], v[154:155], v[214:215], v[148:149] op_sel_hi:[0,1,1] neg_lo:[1,0,0] neg_hi:[1,0,0]
	s_waitcnt vmcnt(26) lgkmcnt(1)
	v_pk_fma_f32 v[124:125], v[154:155], v[204:205], v[124:125] op_sel_hi:[0,1,1] neg_lo:[1,0,0] neg_hi:[1,0,0]
	s_waitcnt vmcnt(24)
	v_pk_fma_f32 v[146:147], v[154:155], v[206:207], v[146:147] op_sel_hi:[0,1,1] neg_lo:[1,0,0] neg_hi:[1,0,0]
	ds_read2_b64 v[204:207], v179 offset0:23 offset1:24
	ds_read2_b64 v[212:215], v179 offset0:25 offset1:26
	s_waitcnt vmcnt(22) lgkmcnt(2)
	v_pk_fma_f32 v[122:123], v[154:155], v[208:209], v[122:123] op_sel_hi:[0,1,1] neg_lo:[1,0,0] neg_hi:[1,0,0]
	s_waitcnt vmcnt(20)
	v_pk_fma_f32 v[144:145], v[154:155], v[210:211], v[144:145] op_sel_hi:[0,1,1] neg_lo:[1,0,0] neg_hi:[1,0,0]
	ds_read2_b64 v[208:211], v179 offset0:27 offset1:28
	s_waitcnt vmcnt(18) lgkmcnt(2)
	v_pk_fma_f32 v[120:121], v[154:155], v[204:205], v[120:121] op_sel_hi:[0,1,1] neg_lo:[1,0,0] neg_hi:[1,0,0]
	s_waitcnt vmcnt(16)
	v_pk_fma_f32 v[142:143], v[154:155], v[206:207], v[142:143] op_sel_hi:[0,1,1] neg_lo:[1,0,0] neg_hi:[1,0,0]
	s_waitcnt vmcnt(14) lgkmcnt(1)
	v_pk_fma_f32 v[118:119], v[154:155], v[212:213], v[118:119] op_sel_hi:[0,1,1] neg_lo:[1,0,0] neg_hi:[1,0,0]
	s_waitcnt vmcnt(12)
	v_pk_fma_f32 v[140:141], v[154:155], v[214:215], v[140:141] op_sel_hi:[0,1,1] neg_lo:[1,0,0] neg_hi:[1,0,0]
	;; [unrolled: 4-line block ×3, first 2 shown]
.LBB115_136:
	s_or_b64 exec, exec, s[2:3]
	v_cmp_ne_u32_e32 vcc, 25, v175
	s_waitcnt lgkmcnt(0)
	s_barrier
	s_and_saveexec_b64 s[2:3], vcc
	s_xor_b64 s[2:3], exec, s[2:3]
	s_andn2_saveexec_b64 s[2:3], s[2:3]
	s_cbranch_execz .LBB115_140
; %bb.137:
	s_waitcnt vmcnt(40)
	ds_write_b32 v177, v155
	s_waitcnt vmcnt(36)
	ds_write2_b64 v179, v[130:131], v[152:153] offset0:13 offset1:14
	s_waitcnt vmcnt(32)
	ds_write2_b64 v179, v[128:129], v[150:151] offset0:15 offset1:16
	;; [unrolled: 2-line block ×8, first 2 shown]
	ds_read_b32 v204, v177
	s_waitcnt lgkmcnt(0)
	v_cmp_neq_f32_e32 vcc, 0, v204
	s_and_saveexec_b64 s[4:5], vcc
	s_cbranch_execz .LBB115_139
; %bb.138:
	v_div_scale_f32 v205, s[10:11], v204, v204, 1.0
	v_rcp_f32_e32 v206, v205
	v_div_scale_f32 v207, vcc, 1.0, v204, 1.0
	v_fma_f32 v208, -v205, v206, 1.0
	v_fmac_f32_e32 v206, v208, v206
	v_mul_f32_e32 v208, v207, v206
	v_fma_f32 v209, -v205, v208, v207
	v_fmac_f32_e32 v208, v209, v206
	v_fma_f32 v205, -v205, v208, v207
	v_div_fmas_f32 v205, v205, v206, v208
	v_div_fixup_f32 v204, v205, v204, 1.0
	ds_write_b32 v177, v204
.LBB115_139:
	s_or_b64 exec, exec, s[4:5]
.LBB115_140:
	s_or_b64 exec, exec, s[2:3]
	s_waitcnt lgkmcnt(0)
	s_barrier
	ds_read_b32 v204, v177
	v_cmp_lt_u32_e32 vcc, 25, v175
	s_and_saveexec_b64 s[2:3], vcc
	s_cbranch_execz .LBB115_142
; %bb.141:
	ds_read2_b64 v[206:209], v179 offset0:13 offset1:14
	ds_read2_b64 v[210:213], v179 offset0:15 offset1:16
	s_waitcnt vmcnt(40) lgkmcnt(2)
	v_mul_f32_e32 v218, v204, v155
	ds_read2_b64 v[214:217], v179 offset0:17 offset1:18
	v_mov_b32_e32 v155, v218
	s_waitcnt vmcnt(38) lgkmcnt(2)
	v_pk_fma_f32 v[130:131], v[218:219], v[206:207], v[130:131] op_sel_hi:[0,1,1] neg_lo:[1,0,0] neg_hi:[1,0,0]
	s_waitcnt vmcnt(36)
	v_pk_fma_f32 v[152:153], v[218:219], v[208:209], v[152:153] op_sel_hi:[0,1,1] neg_lo:[1,0,0] neg_hi:[1,0,0]
	s_waitcnt vmcnt(34) lgkmcnt(1)
	v_pk_fma_f32 v[128:129], v[218:219], v[210:211], v[128:129] op_sel_hi:[0,1,1] neg_lo:[1,0,0] neg_hi:[1,0,0]
	ds_read2_b64 v[206:209], v179 offset0:19 offset1:20
	s_waitcnt vmcnt(32)
	v_pk_fma_f32 v[150:151], v[218:219], v[212:213], v[150:151] op_sel_hi:[0,1,1] neg_lo:[1,0,0] neg_hi:[1,0,0]
	ds_read2_b64 v[210:213], v179 offset0:21 offset1:22
	s_waitcnt vmcnt(30) lgkmcnt(2)
	v_pk_fma_f32 v[126:127], v[218:219], v[214:215], v[126:127] op_sel_hi:[0,1,1] neg_lo:[1,0,0] neg_hi:[1,0,0]
	s_waitcnt vmcnt(28)
	v_pk_fma_f32 v[148:149], v[218:219], v[216:217], v[148:149] op_sel_hi:[0,1,1] neg_lo:[1,0,0] neg_hi:[1,0,0]
	s_waitcnt vmcnt(26) lgkmcnt(1)
	v_pk_fma_f32 v[124:125], v[218:219], v[206:207], v[124:125] op_sel_hi:[0,1,1] neg_lo:[1,0,0] neg_hi:[1,0,0]
	s_waitcnt vmcnt(24)
	v_pk_fma_f32 v[146:147], v[218:219], v[208:209], v[146:147] op_sel_hi:[0,1,1] neg_lo:[1,0,0] neg_hi:[1,0,0]
	ds_read2_b64 v[206:209], v179 offset0:23 offset1:24
	s_waitcnt vmcnt(22) lgkmcnt(1)
	v_pk_fma_f32 v[122:123], v[218:219], v[210:211], v[122:123] op_sel_hi:[0,1,1] neg_lo:[1,0,0] neg_hi:[1,0,0]
	ds_read2_b64 v[214:217], v179 offset0:25 offset1:26
	s_waitcnt vmcnt(20)
	v_pk_fma_f32 v[144:145], v[218:219], v[212:213], v[144:145] op_sel_hi:[0,1,1] neg_lo:[1,0,0] neg_hi:[1,0,0]
	ds_read2_b64 v[210:213], v179 offset0:27 offset1:28
	s_waitcnt vmcnt(18) lgkmcnt(2)
	v_pk_fma_f32 v[120:121], v[218:219], v[206:207], v[120:121] op_sel_hi:[0,1,1] neg_lo:[1,0,0] neg_hi:[1,0,0]
	s_waitcnt vmcnt(16)
	v_pk_fma_f32 v[142:143], v[218:219], v[208:209], v[142:143] op_sel_hi:[0,1,1] neg_lo:[1,0,0] neg_hi:[1,0,0]
	s_waitcnt vmcnt(14) lgkmcnt(1)
	v_pk_fma_f32 v[118:119], v[218:219], v[214:215], v[118:119] op_sel_hi:[0,1,1] neg_lo:[1,0,0] neg_hi:[1,0,0]
	s_waitcnt vmcnt(12)
	v_pk_fma_f32 v[140:141], v[218:219], v[216:217], v[140:141] op_sel_hi:[0,1,1] neg_lo:[1,0,0] neg_hi:[1,0,0]
	;; [unrolled: 4-line block ×3, first 2 shown]
.LBB115_142:
	s_or_b64 exec, exec, s[2:3]
	v_cmp_eq_u32_e32 vcc, 26, v175
	s_waitcnt lgkmcnt(0)
	s_barrier
	s_and_saveexec_b64 s[2:3], vcc
	s_cbranch_execz .LBB115_145
; %bb.143:
	s_waitcnt vmcnt(36)
	v_pk_mov_b32 v[206:207], v[130:131], v[152:153] op_sel:[1,0]
	ds_write_b32 v177, v130
	ds_write2_b32 v179, v206, v207 offset0:27 offset1:28
	s_waitcnt vmcnt(34)
	v_pk_mov_b32 v[206:207], v[152:153], v[128:129] op_sel:[1,0]
	ds_write2_b32 v179, v206, v207 offset0:29 offset1:30
	s_waitcnt vmcnt(32)
	v_pk_mov_b32 v[206:207], v[128:129], v[150:151] op_sel:[1,0]
	ds_write2_b32 v179, v206, v207 offset0:31 offset1:32
	s_waitcnt vmcnt(30)
	v_pk_mov_b32 v[206:207], v[150:151], v[126:127] op_sel:[1,0]
	ds_write2_b32 v179, v206, v207 offset0:33 offset1:34
	s_waitcnt vmcnt(28)
	v_pk_mov_b32 v[206:207], v[126:127], v[148:149] op_sel:[1,0]
	ds_write2_b32 v179, v206, v207 offset0:35 offset1:36
	s_waitcnt vmcnt(26)
	v_pk_mov_b32 v[206:207], v[148:149], v[124:125] op_sel:[1,0]
	ds_write2_b32 v179, v206, v207 offset0:37 offset1:38
	s_waitcnt vmcnt(24)
	v_pk_mov_b32 v[206:207], v[124:125], v[146:147] op_sel:[1,0]
	ds_write2_b32 v179, v206, v207 offset0:39 offset1:40
	s_waitcnt vmcnt(22)
	v_pk_mov_b32 v[206:207], v[146:147], v[122:123] op_sel:[1,0]
	ds_write2_b32 v179, v206, v207 offset0:41 offset1:42
	s_waitcnt vmcnt(20)
	v_pk_mov_b32 v[206:207], v[122:123], v[144:145] op_sel:[1,0]
	ds_write2_b32 v179, v206, v207 offset0:43 offset1:44
	s_waitcnt vmcnt(18)
	v_pk_mov_b32 v[206:207], v[144:145], v[120:121] op_sel:[1,0]
	ds_write2_b32 v179, v206, v207 offset0:45 offset1:46
	s_waitcnt vmcnt(16)
	v_pk_mov_b32 v[206:207], v[120:121], v[142:143] op_sel:[1,0]
	ds_write2_b32 v179, v206, v207 offset0:47 offset1:48
	s_waitcnt vmcnt(14)
	v_pk_mov_b32 v[206:207], v[142:143], v[118:119] op_sel:[1,0]
	ds_write2_b32 v179, v206, v207 offset0:49 offset1:50
	s_waitcnt vmcnt(12)
	v_pk_mov_b32 v[206:207], v[118:119], v[140:141] op_sel:[1,0]
	ds_write2_b32 v179, v206, v207 offset0:51 offset1:52
	s_waitcnt vmcnt(10)
	v_pk_mov_b32 v[206:207], v[140:141], v[116:117] op_sel:[1,0]
	ds_write2_b32 v179, v206, v207 offset0:53 offset1:54
	s_waitcnt vmcnt(8)
	v_pk_mov_b32 v[206:207], v[116:117], v[164:165] op_sel:[1,0]
	ds_write2_b32 v179, v206, v207 offset0:55 offset1:56
	ds_write_b32 v179, v165 offset:228
	ds_read_b32 v205, v177
	s_waitcnt lgkmcnt(0)
	v_cmp_neq_f32_e32 vcc, 0, v205
	s_and_b64 exec, exec, vcc
	s_cbranch_execz .LBB115_145
; %bb.144:
	v_div_scale_f32 v206, s[4:5], v205, v205, 1.0
	v_rcp_f32_e32 v207, v206
	v_div_scale_f32 v208, vcc, 1.0, v205, 1.0
	v_fma_f32 v209, -v206, v207, 1.0
	v_fmac_f32_e32 v207, v209, v207
	v_mul_f32_e32 v209, v208, v207
	v_fma_f32 v210, -v206, v209, v208
	v_fmac_f32_e32 v209, v210, v207
	v_fma_f32 v206, -v206, v209, v208
	v_div_fmas_f32 v206, v206, v207, v209
	v_div_fixup_f32 v205, v206, v205, 1.0
	ds_write_b32 v177, v205
.LBB115_145:
	s_or_b64 exec, exec, s[2:3]
	s_waitcnt lgkmcnt(0)
	s_barrier
	ds_read_b32 v205, v177
	v_cmp_lt_u32_e32 vcc, 26, v175
	s_and_saveexec_b64 s[2:3], vcc
	s_cbranch_execz .LBB115_147
; %bb.146:
	ds_read_b32 v218, v179 offset:108
	ds_read2_b64 v[206:209], v179 offset0:14 offset1:15
	ds_read2_b64 v[210:213], v179 offset0:16 offset1:17
	ds_read2_b64 v[214:217], v179 offset0:18 offset1:19
	s_waitcnt vmcnt(39) lgkmcnt(4)
	v_mul_f32_e32 v130, v205, v130
	s_waitcnt vmcnt(38) lgkmcnt(3)
	v_fma_f32 v131, -v130, v218, v131
	s_waitcnt vmcnt(36) lgkmcnt(2)
	v_pk_fma_f32 v[152:153], v[130:131], v[206:207], v[152:153] op_sel_hi:[0,1,1] neg_lo:[1,0,0] neg_hi:[1,0,0]
	s_waitcnt vmcnt(34)
	v_pk_fma_f32 v[128:129], v[130:131], v[208:209], v[128:129] op_sel_hi:[0,1,1] neg_lo:[1,0,0] neg_hi:[1,0,0]
	s_waitcnt vmcnt(32) lgkmcnt(1)
	v_pk_fma_f32 v[150:151], v[130:131], v[210:211], v[150:151] op_sel_hi:[0,1,1] neg_lo:[1,0,0] neg_hi:[1,0,0]
	ds_read2_b64 v[206:209], v179 offset0:20 offset1:21
	s_waitcnt vmcnt(30)
	v_pk_fma_f32 v[126:127], v[130:131], v[212:213], v[126:127] op_sel_hi:[0,1,1] neg_lo:[1,0,0] neg_hi:[1,0,0]
	ds_read2_b64 v[210:213], v179 offset0:22 offset1:23
	s_waitcnt vmcnt(28) lgkmcnt(2)
	v_pk_fma_f32 v[148:149], v[130:131], v[214:215], v[148:149] op_sel_hi:[0,1,1] neg_lo:[1,0,0] neg_hi:[1,0,0]
	s_waitcnt vmcnt(26)
	v_pk_fma_f32 v[124:125], v[130:131], v[216:217], v[124:125] op_sel_hi:[0,1,1] neg_lo:[1,0,0] neg_hi:[1,0,0]
	s_waitcnt vmcnt(24) lgkmcnt(1)
	v_pk_fma_f32 v[146:147], v[130:131], v[206:207], v[146:147] op_sel_hi:[0,1,1] neg_lo:[1,0,0] neg_hi:[1,0,0]
	s_waitcnt vmcnt(22)
	v_pk_fma_f32 v[122:123], v[130:131], v[208:209], v[122:123] op_sel_hi:[0,1,1] neg_lo:[1,0,0] neg_hi:[1,0,0]
	ds_read2_b64 v[206:209], v179 offset0:24 offset1:25
	ds_read2_b64 v[214:217], v179 offset0:26 offset1:27
	s_waitcnt vmcnt(20) lgkmcnt(2)
	v_pk_fma_f32 v[144:145], v[130:131], v[210:211], v[144:145] op_sel_hi:[0,1,1] neg_lo:[1,0,0] neg_hi:[1,0,0]
	ds_read_b64 v[210:211], v179 offset:224
	s_waitcnt vmcnt(18)
	v_pk_fma_f32 v[120:121], v[130:131], v[212:213], v[120:121] op_sel_hi:[0,1,1] neg_lo:[1,0,0] neg_hi:[1,0,0]
	s_waitcnt vmcnt(16) lgkmcnt(2)
	v_pk_fma_f32 v[142:143], v[130:131], v[206:207], v[142:143] op_sel_hi:[0,1,1] neg_lo:[1,0,0] neg_hi:[1,0,0]
	s_waitcnt vmcnt(14)
	v_pk_fma_f32 v[118:119], v[130:131], v[208:209], v[118:119] op_sel_hi:[0,1,1] neg_lo:[1,0,0] neg_hi:[1,0,0]
	s_waitcnt vmcnt(12) lgkmcnt(1)
	v_pk_fma_f32 v[140:141], v[130:131], v[214:215], v[140:141] op_sel_hi:[0,1,1] neg_lo:[1,0,0] neg_hi:[1,0,0]
	;; [unrolled: 4-line block ×3, first 2 shown]
.LBB115_147:
	s_or_b64 exec, exec, s[2:3]
	v_cmp_ne_u32_e32 vcc, 27, v175
	s_waitcnt lgkmcnt(0)
	s_barrier
	s_and_saveexec_b64 s[2:3], vcc
	s_xor_b64 s[2:3], exec, s[2:3]
	s_andn2_saveexec_b64 s[2:3], s[2:3]
	s_cbranch_execz .LBB115_151
; %bb.148:
	s_waitcnt vmcnt(37)
	v_mov_b32_e32 v206, v152
	s_waitcnt vmcnt(36)
	v_mov_b32_e32 v207, v153
	;; [unrolled: 2-line block ×4, first 2 shown]
	ds_write_b32 v177, v131
	ds_write2_b64 v179, v[206:207], v[208:209] offset0:14 offset1:15
	s_waitcnt vmcnt(33)
	v_mov_b32_e32 v206, v150
	s_waitcnt vmcnt(32)
	v_mov_b32_e32 v207, v151
	s_waitcnt vmcnt(31)
	v_mov_b32_e32 v208, v126
	s_waitcnt vmcnt(30)
	v_mov_b32_e32 v209, v127
	ds_write2_b64 v179, v[206:207], v[208:209] offset0:16 offset1:17
	s_waitcnt vmcnt(29)
	v_mov_b32_e32 v206, v148
	s_waitcnt vmcnt(28)
	v_mov_b32_e32 v207, v149
	s_waitcnt vmcnt(27)
	v_mov_b32_e32 v208, v124
	s_waitcnt vmcnt(26)
	v_mov_b32_e32 v209, v125
	;; [unrolled: 9-line block ×6, first 2 shown]
	ds_write2_b64 v179, v[206:207], v[208:209] offset0:26 offset1:27
	s_waitcnt vmcnt(8)
	ds_write_b64 v179, v[164:165] offset:224
	ds_read_b32 v206, v177
	s_waitcnt lgkmcnt(0)
	v_cmp_neq_f32_e32 vcc, 0, v206
	s_and_saveexec_b64 s[4:5], vcc
	s_cbranch_execz .LBB115_150
; %bb.149:
	v_div_scale_f32 v207, s[10:11], v206, v206, 1.0
	v_rcp_f32_e32 v208, v207
	v_div_scale_f32 v209, vcc, 1.0, v206, 1.0
	v_fma_f32 v210, -v207, v208, 1.0
	v_fmac_f32_e32 v208, v210, v208
	v_mul_f32_e32 v210, v209, v208
	v_fma_f32 v211, -v207, v210, v209
	v_fmac_f32_e32 v210, v211, v208
	v_fma_f32 v207, -v207, v210, v209
	v_div_fmas_f32 v207, v207, v208, v210
	v_div_fixup_f32 v206, v207, v206, 1.0
	ds_write_b32 v177, v206
.LBB115_150:
	s_or_b64 exec, exec, s[4:5]
.LBB115_151:
	s_or_b64 exec, exec, s[2:3]
	s_waitcnt lgkmcnt(0)
	s_barrier
	ds_read_b32 v206, v177
	v_cmp_lt_u32_e32 vcc, 27, v175
	s_and_saveexec_b64 s[2:3], vcc
	s_cbranch_execz .LBB115_153
; %bb.152:
	ds_read2_b64 v[208:211], v179 offset0:14 offset1:15
	ds_read2_b64 v[212:215], v179 offset0:16 offset1:17
	s_waitcnt vmcnt(38) lgkmcnt(2)
	v_mul_f32_e32 v220, v206, v131
	ds_read2_b64 v[216:219], v179 offset0:18 offset1:19
	v_mov_b32_e32 v131, v220
	s_waitcnt vmcnt(36) lgkmcnt(2)
	v_pk_fma_f32 v[152:153], v[220:221], v[208:209], v[152:153] op_sel_hi:[0,1,1] neg_lo:[1,0,0] neg_hi:[1,0,0]
	s_waitcnt vmcnt(34)
	v_pk_fma_f32 v[128:129], v[220:221], v[210:211], v[128:129] op_sel_hi:[0,1,1] neg_lo:[1,0,0] neg_hi:[1,0,0]
	s_waitcnt vmcnt(32) lgkmcnt(1)
	v_pk_fma_f32 v[150:151], v[220:221], v[212:213], v[150:151] op_sel_hi:[0,1,1] neg_lo:[1,0,0] neg_hi:[1,0,0]
	ds_read2_b64 v[208:211], v179 offset0:20 offset1:21
	s_waitcnt vmcnt(30)
	v_pk_fma_f32 v[126:127], v[220:221], v[214:215], v[126:127] op_sel_hi:[0,1,1] neg_lo:[1,0,0] neg_hi:[1,0,0]
	ds_read2_b64 v[212:215], v179 offset0:22 offset1:23
	s_waitcnt vmcnt(28) lgkmcnt(2)
	v_pk_fma_f32 v[148:149], v[220:221], v[216:217], v[148:149] op_sel_hi:[0,1,1] neg_lo:[1,0,0] neg_hi:[1,0,0]
	s_waitcnt vmcnt(26)
	v_pk_fma_f32 v[124:125], v[220:221], v[218:219], v[124:125] op_sel_hi:[0,1,1] neg_lo:[1,0,0] neg_hi:[1,0,0]
	s_waitcnt vmcnt(24) lgkmcnt(1)
	v_pk_fma_f32 v[146:147], v[220:221], v[208:209], v[146:147] op_sel_hi:[0,1,1] neg_lo:[1,0,0] neg_hi:[1,0,0]
	s_waitcnt vmcnt(22)
	v_pk_fma_f32 v[122:123], v[220:221], v[210:211], v[122:123] op_sel_hi:[0,1,1] neg_lo:[1,0,0] neg_hi:[1,0,0]
	ds_read2_b64 v[208:211], v179 offset0:24 offset1:25
	s_waitcnt vmcnt(20) lgkmcnt(1)
	v_pk_fma_f32 v[144:145], v[220:221], v[212:213], v[144:145] op_sel_hi:[0,1,1] neg_lo:[1,0,0] neg_hi:[1,0,0]
	ds_read2_b64 v[216:219], v179 offset0:26 offset1:27
	ds_read_b64 v[212:213], v179 offset:224
	s_waitcnt vmcnt(18)
	v_pk_fma_f32 v[120:121], v[220:221], v[214:215], v[120:121] op_sel_hi:[0,1,1] neg_lo:[1,0,0] neg_hi:[1,0,0]
	s_waitcnt vmcnt(16) lgkmcnt(2)
	v_pk_fma_f32 v[142:143], v[220:221], v[208:209], v[142:143] op_sel_hi:[0,1,1] neg_lo:[1,0,0] neg_hi:[1,0,0]
	s_waitcnt vmcnt(14)
	v_pk_fma_f32 v[118:119], v[220:221], v[210:211], v[118:119] op_sel_hi:[0,1,1] neg_lo:[1,0,0] neg_hi:[1,0,0]
	s_waitcnt vmcnt(12) lgkmcnt(1)
	v_pk_fma_f32 v[140:141], v[220:221], v[216:217], v[140:141] op_sel_hi:[0,1,1] neg_lo:[1,0,0] neg_hi:[1,0,0]
	;; [unrolled: 4-line block ×3, first 2 shown]
.LBB115_153:
	s_or_b64 exec, exec, s[2:3]
	v_cmp_eq_u32_e32 vcc, 28, v175
	s_waitcnt lgkmcnt(0)
	s_barrier
	s_and_saveexec_b64 s[2:3], vcc
	s_cbranch_execz .LBB115_156
; %bb.154:
	s_waitcnt vmcnt(34)
	v_pk_mov_b32 v[208:209], v[152:153], v[128:129] op_sel:[1,0]
	ds_write_b32 v177, v152
	ds_write2_b32 v179, v208, v209 offset0:29 offset1:30
	s_waitcnt vmcnt(32)
	v_pk_mov_b32 v[208:209], v[128:129], v[150:151] op_sel:[1,0]
	ds_write2_b32 v179, v208, v209 offset0:31 offset1:32
	s_waitcnt vmcnt(30)
	v_pk_mov_b32 v[208:209], v[150:151], v[126:127] op_sel:[1,0]
	;; [unrolled: 3-line block ×13, first 2 shown]
	ds_write2_b32 v179, v208, v209 offset0:55 offset1:56
	ds_write_b32 v179, v165 offset:228
	ds_read_b32 v207, v177
	s_waitcnt lgkmcnt(0)
	v_cmp_neq_f32_e32 vcc, 0, v207
	s_and_b64 exec, exec, vcc
	s_cbranch_execz .LBB115_156
; %bb.155:
	v_div_scale_f32 v208, s[4:5], v207, v207, 1.0
	v_rcp_f32_e32 v209, v208
	v_div_scale_f32 v210, vcc, 1.0, v207, 1.0
	v_fma_f32 v211, -v208, v209, 1.0
	v_fmac_f32_e32 v209, v211, v209
	v_mul_f32_e32 v211, v210, v209
	v_fma_f32 v212, -v208, v211, v210
	v_fmac_f32_e32 v211, v212, v209
	v_fma_f32 v208, -v208, v211, v210
	v_div_fmas_f32 v208, v208, v209, v211
	v_div_fixup_f32 v207, v208, v207, 1.0
	ds_write_b32 v177, v207
.LBB115_156:
	s_or_b64 exec, exec, s[2:3]
	s_waitcnt lgkmcnt(0)
	s_barrier
	ds_read_b32 v207, v177
	v_cmp_lt_u32_e32 vcc, 28, v175
	s_and_saveexec_b64 s[2:3], vcc
	s_cbranch_execz .LBB115_158
; %bb.157:
	ds_read_b32 v220, v179 offset:116
	ds_read2_b64 v[208:211], v179 offset0:15 offset1:16
	s_waitcnt vmcnt(37) lgkmcnt(2)
	v_mul_f32_e32 v152, v207, v152
	ds_read2_b64 v[212:215], v179 offset0:17 offset1:18
	ds_read2_b64 v[216:219], v179 offset0:19 offset1:20
	s_waitcnt vmcnt(36) lgkmcnt(3)
	v_fma_f32 v153, -v152, v220, v153
	s_waitcnt vmcnt(34) lgkmcnt(2)
	v_pk_fma_f32 v[128:129], v[152:153], v[208:209], v[128:129] op_sel_hi:[0,1,1] neg_lo:[1,0,0] neg_hi:[1,0,0]
	s_waitcnt vmcnt(32)
	v_pk_fma_f32 v[150:151], v[152:153], v[210:211], v[150:151] op_sel_hi:[0,1,1] neg_lo:[1,0,0] neg_hi:[1,0,0]
	ds_read2_b64 v[208:211], v179 offset0:21 offset1:22
	s_waitcnt vmcnt(30) lgkmcnt(2)
	v_pk_fma_f32 v[126:127], v[152:153], v[212:213], v[126:127] op_sel_hi:[0,1,1] neg_lo:[1,0,0] neg_hi:[1,0,0]
	s_waitcnt vmcnt(28)
	v_pk_fma_f32 v[148:149], v[152:153], v[214:215], v[148:149] op_sel_hi:[0,1,1] neg_lo:[1,0,0] neg_hi:[1,0,0]
	s_waitcnt vmcnt(26) lgkmcnt(1)
	v_pk_fma_f32 v[124:125], v[152:153], v[216:217], v[124:125] op_sel_hi:[0,1,1] neg_lo:[1,0,0] neg_hi:[1,0,0]
	s_waitcnt vmcnt(24)
	v_pk_fma_f32 v[146:147], v[152:153], v[218:219], v[146:147] op_sel_hi:[0,1,1] neg_lo:[1,0,0] neg_hi:[1,0,0]
	ds_read2_b64 v[212:215], v179 offset0:23 offset1:24
	s_waitcnt vmcnt(22) lgkmcnt(1)
	v_pk_fma_f32 v[122:123], v[152:153], v[208:209], v[122:123] op_sel_hi:[0,1,1] neg_lo:[1,0,0] neg_hi:[1,0,0]
	ds_read2_b64 v[216:219], v179 offset0:25 offset1:26
	s_waitcnt vmcnt(20)
	v_pk_fma_f32 v[144:145], v[152:153], v[210:211], v[144:145] op_sel_hi:[0,1,1] neg_lo:[1,0,0] neg_hi:[1,0,0]
	ds_read2_b64 v[208:211], v179 offset0:27 offset1:28
	s_waitcnt vmcnt(18) lgkmcnt(2)
	v_pk_fma_f32 v[120:121], v[152:153], v[212:213], v[120:121] op_sel_hi:[0,1,1] neg_lo:[1,0,0] neg_hi:[1,0,0]
	s_waitcnt vmcnt(16)
	v_pk_fma_f32 v[142:143], v[152:153], v[214:215], v[142:143] op_sel_hi:[0,1,1] neg_lo:[1,0,0] neg_hi:[1,0,0]
	s_waitcnt vmcnt(14) lgkmcnt(1)
	v_pk_fma_f32 v[118:119], v[152:153], v[216:217], v[118:119] op_sel_hi:[0,1,1] neg_lo:[1,0,0] neg_hi:[1,0,0]
	s_waitcnt vmcnt(12)
	v_pk_fma_f32 v[140:141], v[152:153], v[218:219], v[140:141] op_sel_hi:[0,1,1] neg_lo:[1,0,0] neg_hi:[1,0,0]
	;; [unrolled: 4-line block ×3, first 2 shown]
.LBB115_158:
	s_or_b64 exec, exec, s[2:3]
	v_cmp_ne_u32_e32 vcc, 29, v175
	s_waitcnt lgkmcnt(0)
	s_barrier
	s_and_saveexec_b64 s[2:3], vcc
	s_xor_b64 s[2:3], exec, s[2:3]
	s_andn2_saveexec_b64 s[2:3], s[2:3]
	s_cbranch_execz .LBB115_162
; %bb.159:
	s_waitcnt vmcnt(36)
	ds_write_b32 v177, v153
	s_waitcnt vmcnt(32)
	ds_write2_b64 v179, v[128:129], v[150:151] offset0:15 offset1:16
	s_waitcnt vmcnt(28)
	ds_write2_b64 v179, v[126:127], v[148:149] offset0:17 offset1:18
	;; [unrolled: 2-line block ×7, first 2 shown]
	ds_read_b32 v208, v177
	s_waitcnt lgkmcnt(0)
	v_cmp_neq_f32_e32 vcc, 0, v208
	s_and_saveexec_b64 s[4:5], vcc
	s_cbranch_execz .LBB115_161
; %bb.160:
	v_div_scale_f32 v209, s[10:11], v208, v208, 1.0
	v_rcp_f32_e32 v210, v209
	v_div_scale_f32 v211, vcc, 1.0, v208, 1.0
	v_fma_f32 v212, -v209, v210, 1.0
	v_fmac_f32_e32 v210, v212, v210
	v_mul_f32_e32 v212, v211, v210
	v_fma_f32 v213, -v209, v212, v211
	v_fmac_f32_e32 v212, v213, v210
	v_fma_f32 v209, -v209, v212, v211
	v_div_fmas_f32 v209, v209, v210, v212
	v_div_fixup_f32 v208, v209, v208, 1.0
	ds_write_b32 v177, v208
.LBB115_161:
	s_or_b64 exec, exec, s[4:5]
.LBB115_162:
	s_or_b64 exec, exec, s[2:3]
	s_waitcnt lgkmcnt(0)
	s_barrier
	ds_read_b32 v208, v177
	v_cmp_lt_u32_e32 vcc, 29, v175
	s_and_saveexec_b64 s[2:3], vcc
	s_cbranch_execz .LBB115_164
; %bb.163:
	ds_read2_b64 v[210:213], v179 offset0:15 offset1:16
	ds_read2_b64 v[214:217], v179 offset0:17 offset1:18
	s_waitcnt vmcnt(36) lgkmcnt(2)
	v_mul_f32_e32 v222, v208, v153
	ds_read2_b64 v[218:221], v179 offset0:19 offset1:20
	v_mov_b32_e32 v153, v222
	s_waitcnt vmcnt(34) lgkmcnt(2)
	v_pk_fma_f32 v[128:129], v[222:223], v[210:211], v[128:129] op_sel_hi:[0,1,1] neg_lo:[1,0,0] neg_hi:[1,0,0]
	s_waitcnt vmcnt(32)
	v_pk_fma_f32 v[150:151], v[222:223], v[212:213], v[150:151] op_sel_hi:[0,1,1] neg_lo:[1,0,0] neg_hi:[1,0,0]
	ds_read2_b64 v[210:213], v179 offset0:21 offset1:22
	s_waitcnt vmcnt(30) lgkmcnt(2)
	v_pk_fma_f32 v[126:127], v[222:223], v[214:215], v[126:127] op_sel_hi:[0,1,1] neg_lo:[1,0,0] neg_hi:[1,0,0]
	s_waitcnt vmcnt(28)
	v_pk_fma_f32 v[148:149], v[222:223], v[216:217], v[148:149] op_sel_hi:[0,1,1] neg_lo:[1,0,0] neg_hi:[1,0,0]
	s_waitcnt vmcnt(26) lgkmcnt(1)
	v_pk_fma_f32 v[124:125], v[222:223], v[218:219], v[124:125] op_sel_hi:[0,1,1] neg_lo:[1,0,0] neg_hi:[1,0,0]
	s_waitcnt vmcnt(24)
	v_pk_fma_f32 v[146:147], v[222:223], v[220:221], v[146:147] op_sel_hi:[0,1,1] neg_lo:[1,0,0] neg_hi:[1,0,0]
	ds_read2_b64 v[214:217], v179 offset0:23 offset1:24
	ds_read2_b64 v[218:221], v179 offset0:25 offset1:26
	s_waitcnt vmcnt(22) lgkmcnt(2)
	v_pk_fma_f32 v[122:123], v[222:223], v[210:211], v[122:123] op_sel_hi:[0,1,1] neg_lo:[1,0,0] neg_hi:[1,0,0]
	s_waitcnt vmcnt(20)
	v_pk_fma_f32 v[144:145], v[222:223], v[212:213], v[144:145] op_sel_hi:[0,1,1] neg_lo:[1,0,0] neg_hi:[1,0,0]
	ds_read2_b64 v[210:213], v179 offset0:27 offset1:28
	s_waitcnt vmcnt(18) lgkmcnt(2)
	v_pk_fma_f32 v[120:121], v[222:223], v[214:215], v[120:121] op_sel_hi:[0,1,1] neg_lo:[1,0,0] neg_hi:[1,0,0]
	s_waitcnt vmcnt(16)
	v_pk_fma_f32 v[142:143], v[222:223], v[216:217], v[142:143] op_sel_hi:[0,1,1] neg_lo:[1,0,0] neg_hi:[1,0,0]
	s_waitcnt vmcnt(14) lgkmcnt(1)
	v_pk_fma_f32 v[118:119], v[222:223], v[218:219], v[118:119] op_sel_hi:[0,1,1] neg_lo:[1,0,0] neg_hi:[1,0,0]
	s_waitcnt vmcnt(12)
	v_pk_fma_f32 v[140:141], v[222:223], v[220:221], v[140:141] op_sel_hi:[0,1,1] neg_lo:[1,0,0] neg_hi:[1,0,0]
	;; [unrolled: 4-line block ×3, first 2 shown]
.LBB115_164:
	s_or_b64 exec, exec, s[2:3]
	v_cmp_eq_u32_e32 vcc, 30, v175
	s_waitcnt lgkmcnt(0)
	s_barrier
	s_and_saveexec_b64 s[2:3], vcc
	s_cbranch_execz .LBB115_167
; %bb.165:
	s_waitcnt vmcnt(32)
	v_pk_mov_b32 v[210:211], v[128:129], v[150:151] op_sel:[1,0]
	ds_write_b32 v177, v128
	ds_write2_b32 v179, v210, v211 offset0:31 offset1:32
	s_waitcnt vmcnt(30)
	v_pk_mov_b32 v[210:211], v[150:151], v[126:127] op_sel:[1,0]
	ds_write2_b32 v179, v210, v211 offset0:33 offset1:34
	s_waitcnt vmcnt(28)
	v_pk_mov_b32 v[210:211], v[126:127], v[148:149] op_sel:[1,0]
	;; [unrolled: 3-line block ×12, first 2 shown]
	ds_write2_b32 v179, v210, v211 offset0:55 offset1:56
	ds_write_b32 v179, v165 offset:228
	ds_read_b32 v209, v177
	s_waitcnt lgkmcnt(0)
	v_cmp_neq_f32_e32 vcc, 0, v209
	s_and_b64 exec, exec, vcc
	s_cbranch_execz .LBB115_167
; %bb.166:
	v_div_scale_f32 v210, s[4:5], v209, v209, 1.0
	v_rcp_f32_e32 v211, v210
	v_div_scale_f32 v212, vcc, 1.0, v209, 1.0
	v_fma_f32 v213, -v210, v211, 1.0
	v_fmac_f32_e32 v211, v213, v211
	v_mul_f32_e32 v213, v212, v211
	v_fma_f32 v214, -v210, v213, v212
	v_fmac_f32_e32 v213, v214, v211
	v_fma_f32 v210, -v210, v213, v212
	v_div_fmas_f32 v210, v210, v211, v213
	v_div_fixup_f32 v209, v210, v209, 1.0
	ds_write_b32 v177, v209
.LBB115_167:
	s_or_b64 exec, exec, s[2:3]
	s_waitcnt lgkmcnt(0)
	s_barrier
	ds_read_b32 v209, v177
	v_cmp_lt_u32_e32 vcc, 30, v175
	s_and_saveexec_b64 s[2:3], vcc
	s_cbranch_execz .LBB115_169
; %bb.168:
	ds_read_b32 v222, v179 offset:124
	ds_read2_b64 v[210:213], v179 offset0:16 offset1:17
	s_waitcnt vmcnt(35) lgkmcnt(2)
	v_mul_f32_e32 v128, v209, v128
	ds_read2_b64 v[214:217], v179 offset0:18 offset1:19
	ds_read2_b64 v[218:221], v179 offset0:20 offset1:21
	s_waitcnt vmcnt(34) lgkmcnt(3)
	v_fma_f32 v129, -v128, v222, v129
	s_waitcnt vmcnt(32) lgkmcnt(2)
	v_pk_fma_f32 v[150:151], v[128:129], v[210:211], v[150:151] op_sel_hi:[0,1,1] neg_lo:[1,0,0] neg_hi:[1,0,0]
	s_waitcnt vmcnt(30)
	v_pk_fma_f32 v[126:127], v[128:129], v[212:213], v[126:127] op_sel_hi:[0,1,1] neg_lo:[1,0,0] neg_hi:[1,0,0]
	ds_read2_b64 v[210:213], v179 offset0:22 offset1:23
	s_waitcnt vmcnt(28) lgkmcnt(2)
	v_pk_fma_f32 v[148:149], v[128:129], v[214:215], v[148:149] op_sel_hi:[0,1,1] neg_lo:[1,0,0] neg_hi:[1,0,0]
	s_waitcnt vmcnt(26)
	v_pk_fma_f32 v[124:125], v[128:129], v[216:217], v[124:125] op_sel_hi:[0,1,1] neg_lo:[1,0,0] neg_hi:[1,0,0]
	s_waitcnt vmcnt(24) lgkmcnt(1)
	v_pk_fma_f32 v[146:147], v[128:129], v[218:219], v[146:147] op_sel_hi:[0,1,1] neg_lo:[1,0,0] neg_hi:[1,0,0]
	s_waitcnt vmcnt(22)
	v_pk_fma_f32 v[122:123], v[128:129], v[220:221], v[122:123] op_sel_hi:[0,1,1] neg_lo:[1,0,0] neg_hi:[1,0,0]
	ds_read2_b64 v[214:217], v179 offset0:24 offset1:25
	s_waitcnt vmcnt(20) lgkmcnt(1)
	v_pk_fma_f32 v[144:145], v[128:129], v[210:211], v[144:145] op_sel_hi:[0,1,1] neg_lo:[1,0,0] neg_hi:[1,0,0]
	ds_read2_b64 v[218:221], v179 offset0:26 offset1:27
	ds_read_b64 v[210:211], v179 offset:224
	s_waitcnt vmcnt(18)
	v_pk_fma_f32 v[120:121], v[128:129], v[212:213], v[120:121] op_sel_hi:[0,1,1] neg_lo:[1,0,0] neg_hi:[1,0,0]
	s_waitcnt vmcnt(16) lgkmcnt(2)
	v_pk_fma_f32 v[142:143], v[128:129], v[214:215], v[142:143] op_sel_hi:[0,1,1] neg_lo:[1,0,0] neg_hi:[1,0,0]
	s_waitcnt vmcnt(14)
	v_pk_fma_f32 v[118:119], v[128:129], v[216:217], v[118:119] op_sel_hi:[0,1,1] neg_lo:[1,0,0] neg_hi:[1,0,0]
	s_waitcnt vmcnt(12) lgkmcnt(1)
	v_pk_fma_f32 v[140:141], v[128:129], v[218:219], v[140:141] op_sel_hi:[0,1,1] neg_lo:[1,0,0] neg_hi:[1,0,0]
	;; [unrolled: 4-line block ×3, first 2 shown]
.LBB115_169:
	s_or_b64 exec, exec, s[2:3]
	v_cmp_ne_u32_e32 vcc, 31, v175
	s_waitcnt lgkmcnt(0)
	s_barrier
	s_and_saveexec_b64 s[2:3], vcc
	s_xor_b64 s[2:3], exec, s[2:3]
	s_andn2_saveexec_b64 s[2:3], s[2:3]
	s_cbranch_execz .LBB115_173
; %bb.170:
	s_waitcnt vmcnt(33)
	v_mov_b32_e32 v210, v150
	s_waitcnt vmcnt(32)
	v_mov_b32_e32 v211, v151
	s_waitcnt vmcnt(31)
	v_mov_b32_e32 v212, v126
	s_waitcnt vmcnt(30)
	v_mov_b32_e32 v213, v127
	ds_write_b32 v177, v129
	ds_write2_b64 v179, v[210:211], v[212:213] offset0:16 offset1:17
	s_waitcnt vmcnt(29)
	v_mov_b32_e32 v210, v148
	s_waitcnt vmcnt(28)
	v_mov_b32_e32 v211, v149
	s_waitcnt vmcnt(27)
	v_mov_b32_e32 v212, v124
	s_waitcnt vmcnt(26)
	v_mov_b32_e32 v213, v125
	ds_write2_b64 v179, v[210:211], v[212:213] offset0:18 offset1:19
	s_waitcnt vmcnt(25)
	v_mov_b32_e32 v210, v146
	s_waitcnt vmcnt(24)
	v_mov_b32_e32 v211, v147
	s_waitcnt vmcnt(23)
	v_mov_b32_e32 v212, v122
	s_waitcnt vmcnt(22)
	v_mov_b32_e32 v213, v123
	;; [unrolled: 9-line block ×5, first 2 shown]
	ds_write2_b64 v179, v[210:211], v[212:213] offset0:26 offset1:27
	s_waitcnt vmcnt(8)
	ds_write_b64 v179, v[164:165] offset:224
	ds_read_b32 v210, v177
	s_waitcnt lgkmcnt(0)
	v_cmp_neq_f32_e32 vcc, 0, v210
	s_and_saveexec_b64 s[4:5], vcc
	s_cbranch_execz .LBB115_172
; %bb.171:
	v_div_scale_f32 v211, s[10:11], v210, v210, 1.0
	v_rcp_f32_e32 v212, v211
	v_div_scale_f32 v213, vcc, 1.0, v210, 1.0
	v_fma_f32 v214, -v211, v212, 1.0
	v_fmac_f32_e32 v212, v214, v212
	v_mul_f32_e32 v214, v213, v212
	v_fma_f32 v215, -v211, v214, v213
	v_fmac_f32_e32 v214, v215, v212
	v_fma_f32 v211, -v211, v214, v213
	v_div_fmas_f32 v211, v211, v212, v214
	v_div_fixup_f32 v210, v211, v210, 1.0
	ds_write_b32 v177, v210
.LBB115_172:
	s_or_b64 exec, exec, s[4:5]
.LBB115_173:
	s_or_b64 exec, exec, s[2:3]
	s_waitcnt lgkmcnt(0)
	s_barrier
	ds_read_b32 v210, v177
	v_cmp_lt_u32_e32 vcc, 31, v175
	s_and_saveexec_b64 s[2:3], vcc
	s_cbranch_execz .LBB115_175
; %bb.174:
	ds_read2_b64 v[212:215], v179 offset0:16 offset1:17
	ds_read2_b64 v[216:219], v179 offset0:18 offset1:19
	s_waitcnt vmcnt(34) lgkmcnt(2)
	v_mul_f32_e32 v224, v210, v129
	ds_read2_b64 v[220:223], v179 offset0:20 offset1:21
	v_mov_b32_e32 v129, v224
	s_waitcnt vmcnt(32) lgkmcnt(2)
	v_pk_fma_f32 v[150:151], v[224:225], v[212:213], v[150:151] op_sel_hi:[0,1,1] neg_lo:[1,0,0] neg_hi:[1,0,0]
	s_waitcnt vmcnt(30)
	v_pk_fma_f32 v[126:127], v[224:225], v[214:215], v[126:127] op_sel_hi:[0,1,1] neg_lo:[1,0,0] neg_hi:[1,0,0]
	ds_read2_b64 v[212:215], v179 offset0:22 offset1:23
	s_waitcnt vmcnt(28) lgkmcnt(2)
	v_pk_fma_f32 v[148:149], v[224:225], v[216:217], v[148:149] op_sel_hi:[0,1,1] neg_lo:[1,0,0] neg_hi:[1,0,0]
	s_waitcnt vmcnt(26)
	v_pk_fma_f32 v[124:125], v[224:225], v[218:219], v[124:125] op_sel_hi:[0,1,1] neg_lo:[1,0,0] neg_hi:[1,0,0]
	s_waitcnt vmcnt(24) lgkmcnt(1)
	v_pk_fma_f32 v[146:147], v[224:225], v[220:221], v[146:147] op_sel_hi:[0,1,1] neg_lo:[1,0,0] neg_hi:[1,0,0]
	s_waitcnt vmcnt(22)
	v_pk_fma_f32 v[122:123], v[224:225], v[222:223], v[122:123] op_sel_hi:[0,1,1] neg_lo:[1,0,0] neg_hi:[1,0,0]
	ds_read2_b64 v[216:219], v179 offset0:24 offset1:25
	ds_read2_b64 v[220:223], v179 offset0:26 offset1:27
	s_waitcnt vmcnt(20) lgkmcnt(2)
	v_pk_fma_f32 v[144:145], v[224:225], v[212:213], v[144:145] op_sel_hi:[0,1,1] neg_lo:[1,0,0] neg_hi:[1,0,0]
	ds_read_b64 v[212:213], v179 offset:224
	s_waitcnt vmcnt(18)
	v_pk_fma_f32 v[120:121], v[224:225], v[214:215], v[120:121] op_sel_hi:[0,1,1] neg_lo:[1,0,0] neg_hi:[1,0,0]
	s_waitcnt vmcnt(16) lgkmcnt(2)
	v_pk_fma_f32 v[142:143], v[224:225], v[216:217], v[142:143] op_sel_hi:[0,1,1] neg_lo:[1,0,0] neg_hi:[1,0,0]
	s_waitcnt vmcnt(14)
	v_pk_fma_f32 v[118:119], v[224:225], v[218:219], v[118:119] op_sel_hi:[0,1,1] neg_lo:[1,0,0] neg_hi:[1,0,0]
	s_waitcnt vmcnt(12) lgkmcnt(1)
	v_pk_fma_f32 v[140:141], v[224:225], v[220:221], v[140:141] op_sel_hi:[0,1,1] neg_lo:[1,0,0] neg_hi:[1,0,0]
	;; [unrolled: 4-line block ×3, first 2 shown]
.LBB115_175:
	s_or_b64 exec, exec, s[2:3]
	v_cmp_eq_u32_e32 vcc, 32, v175
	s_waitcnt lgkmcnt(0)
	s_barrier
	s_and_saveexec_b64 s[2:3], vcc
	s_cbranch_execz .LBB115_178
; %bb.176:
	s_waitcnt vmcnt(30)
	v_pk_mov_b32 v[212:213], v[150:151], v[126:127] op_sel:[1,0]
	ds_write_b32 v177, v150
	ds_write2_b32 v179, v212, v213 offset0:33 offset1:34
	s_waitcnt vmcnt(28)
	v_pk_mov_b32 v[212:213], v[126:127], v[148:149] op_sel:[1,0]
	ds_write2_b32 v179, v212, v213 offset0:35 offset1:36
	s_waitcnt vmcnt(26)
	v_pk_mov_b32 v[212:213], v[148:149], v[124:125] op_sel:[1,0]
	;; [unrolled: 3-line block ×11, first 2 shown]
	ds_write2_b32 v179, v212, v213 offset0:55 offset1:56
	ds_write_b32 v179, v165 offset:228
	ds_read_b32 v211, v177
	s_waitcnt lgkmcnt(0)
	v_cmp_neq_f32_e32 vcc, 0, v211
	s_and_b64 exec, exec, vcc
	s_cbranch_execz .LBB115_178
; %bb.177:
	v_div_scale_f32 v212, s[4:5], v211, v211, 1.0
	v_rcp_f32_e32 v213, v212
	v_div_scale_f32 v214, vcc, 1.0, v211, 1.0
	v_fma_f32 v215, -v212, v213, 1.0
	v_fmac_f32_e32 v213, v215, v213
	v_mul_f32_e32 v215, v214, v213
	v_fma_f32 v216, -v212, v215, v214
	v_fmac_f32_e32 v215, v216, v213
	v_fma_f32 v212, -v212, v215, v214
	v_div_fmas_f32 v212, v212, v213, v215
	v_div_fixup_f32 v211, v212, v211, 1.0
	ds_write_b32 v177, v211
.LBB115_178:
	s_or_b64 exec, exec, s[2:3]
	s_waitcnt lgkmcnt(0)
	s_barrier
	ds_read_b32 v211, v177
	v_cmp_lt_u32_e32 vcc, 32, v175
	s_and_saveexec_b64 s[2:3], vcc
	s_cbranch_execz .LBB115_180
; %bb.179:
	ds_read_b32 v224, v179 offset:132
	ds_read2_b64 v[212:215], v179 offset0:17 offset1:18
	ds_read2_b64 v[216:219], v179 offset0:19 offset1:20
	;; [unrolled: 1-line block ×3, first 2 shown]
	s_waitcnt vmcnt(33) lgkmcnt(4)
	v_mul_f32_e32 v150, v211, v150
	s_waitcnt vmcnt(32) lgkmcnt(3)
	v_fma_f32 v151, -v150, v224, v151
	s_waitcnt vmcnt(30) lgkmcnt(2)
	v_pk_fma_f32 v[126:127], v[150:151], v[212:213], v[126:127] op_sel_hi:[0,1,1] neg_lo:[1,0,0] neg_hi:[1,0,0]
	s_waitcnt vmcnt(28)
	v_pk_fma_f32 v[148:149], v[150:151], v[214:215], v[148:149] op_sel_hi:[0,1,1] neg_lo:[1,0,0] neg_hi:[1,0,0]
	s_waitcnt vmcnt(26) lgkmcnt(1)
	v_pk_fma_f32 v[124:125], v[150:151], v[216:217], v[124:125] op_sel_hi:[0,1,1] neg_lo:[1,0,0] neg_hi:[1,0,0]
	s_waitcnt vmcnt(24)
	v_pk_fma_f32 v[146:147], v[150:151], v[218:219], v[146:147] op_sel_hi:[0,1,1] neg_lo:[1,0,0] neg_hi:[1,0,0]
	ds_read2_b64 v[212:215], v179 offset0:23 offset1:24
	ds_read2_b64 v[216:219], v179 offset0:25 offset1:26
	s_waitcnt vmcnt(22) lgkmcnt(2)
	v_pk_fma_f32 v[122:123], v[150:151], v[220:221], v[122:123] op_sel_hi:[0,1,1] neg_lo:[1,0,0] neg_hi:[1,0,0]
	s_waitcnt vmcnt(20)
	v_pk_fma_f32 v[144:145], v[150:151], v[222:223], v[144:145] op_sel_hi:[0,1,1] neg_lo:[1,0,0] neg_hi:[1,0,0]
	ds_read2_b64 v[220:223], v179 offset0:27 offset1:28
	s_waitcnt vmcnt(18) lgkmcnt(2)
	v_pk_fma_f32 v[120:121], v[150:151], v[212:213], v[120:121] op_sel_hi:[0,1,1] neg_lo:[1,0,0] neg_hi:[1,0,0]
	s_waitcnt vmcnt(16)
	v_pk_fma_f32 v[142:143], v[150:151], v[214:215], v[142:143] op_sel_hi:[0,1,1] neg_lo:[1,0,0] neg_hi:[1,0,0]
	s_waitcnt vmcnt(14) lgkmcnt(1)
	v_pk_fma_f32 v[118:119], v[150:151], v[216:217], v[118:119] op_sel_hi:[0,1,1] neg_lo:[1,0,0] neg_hi:[1,0,0]
	s_waitcnt vmcnt(12)
	v_pk_fma_f32 v[140:141], v[150:151], v[218:219], v[140:141] op_sel_hi:[0,1,1] neg_lo:[1,0,0] neg_hi:[1,0,0]
	;; [unrolled: 4-line block ×3, first 2 shown]
.LBB115_180:
	s_or_b64 exec, exec, s[2:3]
	v_cmp_ne_u32_e32 vcc, 33, v175
	s_waitcnt lgkmcnt(0)
	s_barrier
	s_and_saveexec_b64 s[2:3], vcc
	s_xor_b64 s[2:3], exec, s[2:3]
	s_andn2_saveexec_b64 s[2:3], s[2:3]
	s_cbranch_execz .LBB115_184
; %bb.181:
	s_waitcnt vmcnt(32)
	ds_write_b32 v177, v151
	s_waitcnt vmcnt(28)
	ds_write2_b64 v179, v[126:127], v[148:149] offset0:17 offset1:18
	s_waitcnt vmcnt(24)
	ds_write2_b64 v179, v[124:125], v[146:147] offset0:19 offset1:20
	;; [unrolled: 2-line block ×6, first 2 shown]
	ds_read_b32 v212, v177
	s_waitcnt lgkmcnt(0)
	v_cmp_neq_f32_e32 vcc, 0, v212
	s_and_saveexec_b64 s[4:5], vcc
	s_cbranch_execz .LBB115_183
; %bb.182:
	v_div_scale_f32 v213, s[10:11], v212, v212, 1.0
	v_rcp_f32_e32 v214, v213
	v_div_scale_f32 v215, vcc, 1.0, v212, 1.0
	v_fma_f32 v216, -v213, v214, 1.0
	v_fmac_f32_e32 v214, v216, v214
	v_mul_f32_e32 v216, v215, v214
	v_fma_f32 v217, -v213, v216, v215
	v_fmac_f32_e32 v216, v217, v214
	v_fma_f32 v213, -v213, v216, v215
	v_div_fmas_f32 v213, v213, v214, v216
	v_div_fixup_f32 v212, v213, v212, 1.0
	ds_write_b32 v177, v212
.LBB115_183:
	s_or_b64 exec, exec, s[4:5]
.LBB115_184:
	s_or_b64 exec, exec, s[2:3]
	s_waitcnt lgkmcnt(0)
	s_barrier
	ds_read_b32 v212, v177
	v_cmp_lt_u32_e32 vcc, 33, v175
	s_and_saveexec_b64 s[2:3], vcc
	s_cbranch_execz .LBB115_186
; %bb.185:
	ds_read2_b64 v[214:217], v179 offset0:17 offset1:18
	ds_read2_b64 v[218:221], v179 offset0:19 offset1:20
	ds_read2_b64 v[222:225], v179 offset0:21 offset1:22
	s_waitcnt vmcnt(32) lgkmcnt(3)
	v_mul_f32_e32 v226, v212, v151
	v_mov_b32_e32 v151, v226
	s_waitcnt vmcnt(30) lgkmcnt(2)
	v_pk_fma_f32 v[126:127], v[226:227], v[214:215], v[126:127] op_sel_hi:[0,1,1] neg_lo:[1,0,0] neg_hi:[1,0,0]
	s_waitcnt vmcnt(28)
	v_pk_fma_f32 v[148:149], v[226:227], v[216:217], v[148:149] op_sel_hi:[0,1,1] neg_lo:[1,0,0] neg_hi:[1,0,0]
	s_waitcnt vmcnt(26) lgkmcnt(1)
	v_pk_fma_f32 v[124:125], v[226:227], v[218:219], v[124:125] op_sel_hi:[0,1,1] neg_lo:[1,0,0] neg_hi:[1,0,0]
	s_waitcnt vmcnt(24)
	v_pk_fma_f32 v[146:147], v[226:227], v[220:221], v[146:147] op_sel_hi:[0,1,1] neg_lo:[1,0,0] neg_hi:[1,0,0]
	ds_read2_b64 v[214:217], v179 offset0:23 offset1:24
	s_waitcnt vmcnt(22) lgkmcnt(1)
	v_pk_fma_f32 v[122:123], v[226:227], v[222:223], v[122:123] op_sel_hi:[0,1,1] neg_lo:[1,0,0] neg_hi:[1,0,0]
	ds_read2_b64 v[218:221], v179 offset0:25 offset1:26
	s_waitcnt vmcnt(20)
	v_pk_fma_f32 v[144:145], v[226:227], v[224:225], v[144:145] op_sel_hi:[0,1,1] neg_lo:[1,0,0] neg_hi:[1,0,0]
	ds_read2_b64 v[222:225], v179 offset0:27 offset1:28
	s_waitcnt vmcnt(18) lgkmcnt(2)
	v_pk_fma_f32 v[120:121], v[226:227], v[214:215], v[120:121] op_sel_hi:[0,1,1] neg_lo:[1,0,0] neg_hi:[1,0,0]
	s_waitcnt vmcnt(16)
	v_pk_fma_f32 v[142:143], v[226:227], v[216:217], v[142:143] op_sel_hi:[0,1,1] neg_lo:[1,0,0] neg_hi:[1,0,0]
	s_waitcnt vmcnt(14) lgkmcnt(1)
	v_pk_fma_f32 v[118:119], v[226:227], v[218:219], v[118:119] op_sel_hi:[0,1,1] neg_lo:[1,0,0] neg_hi:[1,0,0]
	s_waitcnt vmcnt(12)
	v_pk_fma_f32 v[140:141], v[226:227], v[220:221], v[140:141] op_sel_hi:[0,1,1] neg_lo:[1,0,0] neg_hi:[1,0,0]
	;; [unrolled: 4-line block ×3, first 2 shown]
.LBB115_186:
	s_or_b64 exec, exec, s[2:3]
	v_cmp_eq_u32_e32 vcc, 34, v175
	s_waitcnt lgkmcnt(0)
	s_barrier
	s_and_saveexec_b64 s[2:3], vcc
	s_cbranch_execz .LBB115_189
; %bb.187:
	s_waitcnt vmcnt(28)
	v_pk_mov_b32 v[214:215], v[126:127], v[148:149] op_sel:[1,0]
	ds_write_b32 v177, v126
	ds_write2_b32 v179, v214, v215 offset0:35 offset1:36
	s_waitcnt vmcnt(26)
	v_pk_mov_b32 v[214:215], v[148:149], v[124:125] op_sel:[1,0]
	ds_write2_b32 v179, v214, v215 offset0:37 offset1:38
	s_waitcnt vmcnt(24)
	v_pk_mov_b32 v[214:215], v[124:125], v[146:147] op_sel:[1,0]
	;; [unrolled: 3-line block ×10, first 2 shown]
	ds_write2_b32 v179, v214, v215 offset0:55 offset1:56
	ds_write_b32 v179, v165 offset:228
	ds_read_b32 v213, v177
	s_waitcnt lgkmcnt(0)
	v_cmp_neq_f32_e32 vcc, 0, v213
	s_and_b64 exec, exec, vcc
	s_cbranch_execz .LBB115_189
; %bb.188:
	v_div_scale_f32 v214, s[4:5], v213, v213, 1.0
	v_rcp_f32_e32 v215, v214
	v_div_scale_f32 v216, vcc, 1.0, v213, 1.0
	v_fma_f32 v217, -v214, v215, 1.0
	v_fmac_f32_e32 v215, v217, v215
	v_mul_f32_e32 v217, v216, v215
	v_fma_f32 v218, -v214, v217, v216
	v_fmac_f32_e32 v217, v218, v215
	v_fma_f32 v214, -v214, v217, v216
	v_div_fmas_f32 v214, v214, v215, v217
	v_div_fixup_f32 v213, v214, v213, 1.0
	ds_write_b32 v177, v213
.LBB115_189:
	s_or_b64 exec, exec, s[2:3]
	s_waitcnt lgkmcnt(0)
	s_barrier
	ds_read_b32 v213, v177
	v_cmp_lt_u32_e32 vcc, 34, v175
	s_and_saveexec_b64 s[2:3], vcc
	s_cbranch_execz .LBB115_191
; %bb.190:
	ds_read_b32 v226, v179 offset:140
	ds_read2_b64 v[214:217], v179 offset0:18 offset1:19
	ds_read2_b64 v[218:221], v179 offset0:20 offset1:21
	;; [unrolled: 1-line block ×3, first 2 shown]
	s_waitcnt vmcnt(31) lgkmcnt(4)
	v_mul_f32_e32 v126, v213, v126
	s_waitcnt vmcnt(30) lgkmcnt(3)
	v_fma_f32 v127, -v126, v226, v127
	s_waitcnt vmcnt(28) lgkmcnt(2)
	v_pk_fma_f32 v[148:149], v[126:127], v[214:215], v[148:149] op_sel_hi:[0,1,1] neg_lo:[1,0,0] neg_hi:[1,0,0]
	s_waitcnt vmcnt(26)
	v_pk_fma_f32 v[124:125], v[126:127], v[216:217], v[124:125] op_sel_hi:[0,1,1] neg_lo:[1,0,0] neg_hi:[1,0,0]
	s_waitcnt vmcnt(24) lgkmcnt(1)
	v_pk_fma_f32 v[146:147], v[126:127], v[218:219], v[146:147] op_sel_hi:[0,1,1] neg_lo:[1,0,0] neg_hi:[1,0,0]
	s_waitcnt vmcnt(22)
	v_pk_fma_f32 v[122:123], v[126:127], v[220:221], v[122:123] op_sel_hi:[0,1,1] neg_lo:[1,0,0] neg_hi:[1,0,0]
	ds_read2_b64 v[214:217], v179 offset0:24 offset1:25
	ds_read2_b64 v[218:221], v179 offset0:26 offset1:27
	s_waitcnt vmcnt(20) lgkmcnt(2)
	v_pk_fma_f32 v[144:145], v[126:127], v[222:223], v[144:145] op_sel_hi:[0,1,1] neg_lo:[1,0,0] neg_hi:[1,0,0]
	ds_read_b64 v[222:223], v179 offset:224
	s_waitcnt vmcnt(18)
	v_pk_fma_f32 v[120:121], v[126:127], v[224:225], v[120:121] op_sel_hi:[0,1,1] neg_lo:[1,0,0] neg_hi:[1,0,0]
	s_waitcnt vmcnt(16) lgkmcnt(2)
	v_pk_fma_f32 v[142:143], v[126:127], v[214:215], v[142:143] op_sel_hi:[0,1,1] neg_lo:[1,0,0] neg_hi:[1,0,0]
	s_waitcnt vmcnt(14)
	v_pk_fma_f32 v[118:119], v[126:127], v[216:217], v[118:119] op_sel_hi:[0,1,1] neg_lo:[1,0,0] neg_hi:[1,0,0]
	s_waitcnt vmcnt(12) lgkmcnt(1)
	v_pk_fma_f32 v[140:141], v[126:127], v[218:219], v[140:141] op_sel_hi:[0,1,1] neg_lo:[1,0,0] neg_hi:[1,0,0]
	;; [unrolled: 4-line block ×3, first 2 shown]
.LBB115_191:
	s_or_b64 exec, exec, s[2:3]
	v_cmp_ne_u32_e32 vcc, 35, v175
	s_waitcnt lgkmcnt(0)
	s_barrier
	s_and_saveexec_b64 s[2:3], vcc
	s_xor_b64 s[2:3], exec, s[2:3]
	s_andn2_saveexec_b64 s[2:3], s[2:3]
	s_cbranch_execz .LBB115_195
; %bb.192:
	s_waitcnt vmcnt(29)
	v_mov_b32_e32 v214, v148
	s_waitcnt vmcnt(28)
	v_mov_b32_e32 v215, v149
	;; [unrolled: 2-line block ×4, first 2 shown]
	ds_write_b32 v177, v127
	ds_write2_b64 v179, v[214:215], v[216:217] offset0:18 offset1:19
	s_waitcnt vmcnt(25)
	v_mov_b32_e32 v214, v146
	s_waitcnt vmcnt(24)
	v_mov_b32_e32 v215, v147
	s_waitcnt vmcnt(23)
	v_mov_b32_e32 v216, v122
	s_waitcnt vmcnt(22)
	v_mov_b32_e32 v217, v123
	ds_write2_b64 v179, v[214:215], v[216:217] offset0:20 offset1:21
	s_waitcnt vmcnt(21)
	v_mov_b32_e32 v214, v144
	s_waitcnt vmcnt(20)
	v_mov_b32_e32 v215, v145
	s_waitcnt vmcnt(19)
	v_mov_b32_e32 v216, v120
	s_waitcnt vmcnt(18)
	v_mov_b32_e32 v217, v121
	;; [unrolled: 9-line block ×4, first 2 shown]
	ds_write2_b64 v179, v[214:215], v[216:217] offset0:26 offset1:27
	s_waitcnt vmcnt(8)
	ds_write_b64 v179, v[164:165] offset:224
	ds_read_b32 v214, v177
	s_waitcnt lgkmcnt(0)
	v_cmp_neq_f32_e32 vcc, 0, v214
	s_and_saveexec_b64 s[4:5], vcc
	s_cbranch_execz .LBB115_194
; %bb.193:
	v_div_scale_f32 v215, s[10:11], v214, v214, 1.0
	v_rcp_f32_e32 v216, v215
	v_div_scale_f32 v217, vcc, 1.0, v214, 1.0
	v_fma_f32 v218, -v215, v216, 1.0
	v_fmac_f32_e32 v216, v218, v216
	v_mul_f32_e32 v218, v217, v216
	v_fma_f32 v219, -v215, v218, v217
	v_fmac_f32_e32 v218, v219, v216
	v_fma_f32 v215, -v215, v218, v217
	v_div_fmas_f32 v215, v215, v216, v218
	v_div_fixup_f32 v214, v215, v214, 1.0
	ds_write_b32 v177, v214
.LBB115_194:
	s_or_b64 exec, exec, s[4:5]
.LBB115_195:
	s_or_b64 exec, exec, s[2:3]
	s_waitcnt lgkmcnt(0)
	s_barrier
	ds_read_b32 v214, v177
	v_cmp_lt_u32_e32 vcc, 35, v175
	s_and_saveexec_b64 s[2:3], vcc
	s_cbranch_execz .LBB115_197
; %bb.196:
	ds_read2_b64 v[216:219], v179 offset0:18 offset1:19
	ds_read2_b64 v[220:223], v179 offset0:20 offset1:21
	ds_read2_b64 v[224:227], v179 offset0:22 offset1:23
	s_waitcnt vmcnt(30) lgkmcnt(3)
	v_mul_f32_e32 v228, v214, v127
	v_mov_b32_e32 v127, v228
	s_waitcnt vmcnt(28) lgkmcnt(2)
	v_pk_fma_f32 v[148:149], v[228:229], v[216:217], v[148:149] op_sel_hi:[0,1,1] neg_lo:[1,0,0] neg_hi:[1,0,0]
	s_waitcnt vmcnt(26)
	v_pk_fma_f32 v[124:125], v[228:229], v[218:219], v[124:125] op_sel_hi:[0,1,1] neg_lo:[1,0,0] neg_hi:[1,0,0]
	s_waitcnt vmcnt(24) lgkmcnt(1)
	v_pk_fma_f32 v[146:147], v[228:229], v[220:221], v[146:147] op_sel_hi:[0,1,1] neg_lo:[1,0,0] neg_hi:[1,0,0]
	s_waitcnt vmcnt(22)
	v_pk_fma_f32 v[122:123], v[228:229], v[222:223], v[122:123] op_sel_hi:[0,1,1] neg_lo:[1,0,0] neg_hi:[1,0,0]
	ds_read2_b64 v[216:219], v179 offset0:24 offset1:25
	s_waitcnt vmcnt(20) lgkmcnt(1)
	v_pk_fma_f32 v[144:145], v[228:229], v[224:225], v[144:145] op_sel_hi:[0,1,1] neg_lo:[1,0,0] neg_hi:[1,0,0]
	ds_read2_b64 v[220:223], v179 offset0:26 offset1:27
	ds_read_b64 v[224:225], v179 offset:224
	s_waitcnt vmcnt(18)
	v_pk_fma_f32 v[120:121], v[228:229], v[226:227], v[120:121] op_sel_hi:[0,1,1] neg_lo:[1,0,0] neg_hi:[1,0,0]
	s_waitcnt vmcnt(16) lgkmcnt(2)
	v_pk_fma_f32 v[142:143], v[228:229], v[216:217], v[142:143] op_sel_hi:[0,1,1] neg_lo:[1,0,0] neg_hi:[1,0,0]
	s_waitcnt vmcnt(14)
	v_pk_fma_f32 v[118:119], v[228:229], v[218:219], v[118:119] op_sel_hi:[0,1,1] neg_lo:[1,0,0] neg_hi:[1,0,0]
	s_waitcnt vmcnt(12) lgkmcnt(1)
	v_pk_fma_f32 v[140:141], v[228:229], v[220:221], v[140:141] op_sel_hi:[0,1,1] neg_lo:[1,0,0] neg_hi:[1,0,0]
	s_waitcnt vmcnt(10)
	v_pk_fma_f32 v[116:117], v[228:229], v[222:223], v[116:117] op_sel_hi:[0,1,1] neg_lo:[1,0,0] neg_hi:[1,0,0]
	s_waitcnt vmcnt(8) lgkmcnt(0)
	v_pk_fma_f32 v[164:165], v[228:229], v[224:225], v[164:165] op_sel_hi:[0,1,1] neg_lo:[1,0,0] neg_hi:[1,0,0]
.LBB115_197:
	s_or_b64 exec, exec, s[2:3]
	v_cmp_eq_u32_e32 vcc, 36, v175
	s_waitcnt lgkmcnt(0)
	s_barrier
	s_and_saveexec_b64 s[2:3], vcc
	s_cbranch_execz .LBB115_200
; %bb.198:
	s_waitcnt vmcnt(26)
	v_pk_mov_b32 v[216:217], v[148:149], v[124:125] op_sel:[1,0]
	ds_write_b32 v177, v148
	ds_write2_b32 v179, v216, v217 offset0:37 offset1:38
	s_waitcnt vmcnt(24)
	v_pk_mov_b32 v[216:217], v[124:125], v[146:147] op_sel:[1,0]
	ds_write2_b32 v179, v216, v217 offset0:39 offset1:40
	s_waitcnt vmcnt(22)
	v_pk_mov_b32 v[216:217], v[146:147], v[122:123] op_sel:[1,0]
	;; [unrolled: 3-line block ×9, first 2 shown]
	ds_write2_b32 v179, v216, v217 offset0:55 offset1:56
	ds_write_b32 v179, v165 offset:228
	ds_read_b32 v215, v177
	s_waitcnt lgkmcnt(0)
	v_cmp_neq_f32_e32 vcc, 0, v215
	s_and_b64 exec, exec, vcc
	s_cbranch_execz .LBB115_200
; %bb.199:
	v_div_scale_f32 v216, s[4:5], v215, v215, 1.0
	v_rcp_f32_e32 v217, v216
	v_div_scale_f32 v218, vcc, 1.0, v215, 1.0
	v_fma_f32 v219, -v216, v217, 1.0
	v_fmac_f32_e32 v217, v219, v217
	v_mul_f32_e32 v219, v218, v217
	v_fma_f32 v220, -v216, v219, v218
	v_fmac_f32_e32 v219, v220, v217
	v_fma_f32 v216, -v216, v219, v218
	v_div_fmas_f32 v216, v216, v217, v219
	v_div_fixup_f32 v215, v216, v215, 1.0
	ds_write_b32 v177, v215
.LBB115_200:
	s_or_b64 exec, exec, s[2:3]
	s_waitcnt lgkmcnt(0)
	s_barrier
	ds_read_b32 v215, v177
	v_cmp_lt_u32_e32 vcc, 36, v175
	s_and_saveexec_b64 s[2:3], vcc
	s_cbranch_execz .LBB115_202
; %bb.201:
	ds_read_b32 v224, v179 offset:148
	ds_read2_b64 v[216:219], v179 offset0:19 offset1:20
	ds_read2_b64 v[220:223], v179 offset0:21 offset1:22
	s_waitcnt vmcnt(29) lgkmcnt(3)
	v_mul_f32_e32 v148, v215, v148
	s_waitcnt vmcnt(28) lgkmcnt(2)
	v_fma_f32 v149, -v148, v224, v149
	s_waitcnt vmcnt(26) lgkmcnt(1)
	v_pk_fma_f32 v[124:125], v[148:149], v[216:217], v[124:125] op_sel_hi:[0,1,1] neg_lo:[1,0,0] neg_hi:[1,0,0]
	s_waitcnt vmcnt(24)
	v_pk_fma_f32 v[146:147], v[148:149], v[218:219], v[146:147] op_sel_hi:[0,1,1] neg_lo:[1,0,0] neg_hi:[1,0,0]
	ds_read2_b64 v[216:219], v179 offset0:23 offset1:24
	s_waitcnt vmcnt(22) lgkmcnt(1)
	v_pk_fma_f32 v[122:123], v[148:149], v[220:221], v[122:123] op_sel_hi:[0,1,1] neg_lo:[1,0,0] neg_hi:[1,0,0]
	ds_read2_b64 v[224:227], v179 offset0:25 offset1:26
	s_waitcnt vmcnt(20)
	v_pk_fma_f32 v[144:145], v[148:149], v[222:223], v[144:145] op_sel_hi:[0,1,1] neg_lo:[1,0,0] neg_hi:[1,0,0]
	ds_read2_b64 v[220:223], v179 offset0:27 offset1:28
	s_waitcnt vmcnt(18) lgkmcnt(2)
	v_pk_fma_f32 v[120:121], v[148:149], v[216:217], v[120:121] op_sel_hi:[0,1,1] neg_lo:[1,0,0] neg_hi:[1,0,0]
	s_waitcnt vmcnt(16)
	v_pk_fma_f32 v[142:143], v[148:149], v[218:219], v[142:143] op_sel_hi:[0,1,1] neg_lo:[1,0,0] neg_hi:[1,0,0]
	s_waitcnt vmcnt(14) lgkmcnt(1)
	v_pk_fma_f32 v[118:119], v[148:149], v[224:225], v[118:119] op_sel_hi:[0,1,1] neg_lo:[1,0,0] neg_hi:[1,0,0]
	s_waitcnt vmcnt(12)
	v_pk_fma_f32 v[140:141], v[148:149], v[226:227], v[140:141] op_sel_hi:[0,1,1] neg_lo:[1,0,0] neg_hi:[1,0,0]
	;; [unrolled: 4-line block ×3, first 2 shown]
.LBB115_202:
	s_or_b64 exec, exec, s[2:3]
	v_cmp_ne_u32_e32 vcc, 37, v175
	s_waitcnt lgkmcnt(0)
	s_barrier
	s_and_saveexec_b64 s[2:3], vcc
	s_xor_b64 s[2:3], exec, s[2:3]
	s_andn2_saveexec_b64 s[2:3], s[2:3]
	s_cbranch_execz .LBB115_206
; %bb.203:
	s_waitcnt vmcnt(28)
	ds_write_b32 v177, v149
	s_waitcnt vmcnt(24)
	ds_write2_b64 v179, v[124:125], v[146:147] offset0:19 offset1:20
	s_waitcnt vmcnt(20)
	ds_write2_b64 v179, v[122:123], v[144:145] offset0:21 offset1:22
	;; [unrolled: 2-line block ×5, first 2 shown]
	ds_read_b32 v216, v177
	s_waitcnt lgkmcnt(0)
	v_cmp_neq_f32_e32 vcc, 0, v216
	s_and_saveexec_b64 s[4:5], vcc
	s_cbranch_execz .LBB115_205
; %bb.204:
	v_div_scale_f32 v217, s[10:11], v216, v216, 1.0
	v_rcp_f32_e32 v218, v217
	v_div_scale_f32 v219, vcc, 1.0, v216, 1.0
	v_fma_f32 v220, -v217, v218, 1.0
	v_fmac_f32_e32 v218, v220, v218
	v_mul_f32_e32 v220, v219, v218
	v_fma_f32 v221, -v217, v220, v219
	v_fmac_f32_e32 v220, v221, v218
	v_fma_f32 v217, -v217, v220, v219
	v_div_fmas_f32 v217, v217, v218, v220
	v_div_fixup_f32 v216, v217, v216, 1.0
	ds_write_b32 v177, v216
.LBB115_205:
	s_or_b64 exec, exec, s[4:5]
.LBB115_206:
	s_or_b64 exec, exec, s[2:3]
	s_waitcnt lgkmcnt(0)
	s_barrier
	ds_read_b32 v216, v177
	v_cmp_lt_u32_e32 vcc, 37, v175
	s_and_saveexec_b64 s[2:3], vcc
	s_cbranch_execz .LBB115_208
; %bb.207:
	ds_read2_b64 v[218:221], v179 offset0:19 offset1:20
	ds_read2_b64 v[222:225], v179 offset0:21 offset1:22
	s_waitcnt vmcnt(28) lgkmcnt(2)
	v_mul_f32_e32 v230, v216, v149
	ds_read2_b64 v[226:229], v179 offset0:23 offset1:24
	v_mov_b32_e32 v149, v230
	s_waitcnt vmcnt(26) lgkmcnt(2)
	v_pk_fma_f32 v[124:125], v[230:231], v[218:219], v[124:125] op_sel_hi:[0,1,1] neg_lo:[1,0,0] neg_hi:[1,0,0]
	s_waitcnt vmcnt(24)
	v_pk_fma_f32 v[146:147], v[230:231], v[220:221], v[146:147] op_sel_hi:[0,1,1] neg_lo:[1,0,0] neg_hi:[1,0,0]
	s_waitcnt vmcnt(22) lgkmcnt(1)
	v_pk_fma_f32 v[122:123], v[230:231], v[222:223], v[122:123] op_sel_hi:[0,1,1] neg_lo:[1,0,0] neg_hi:[1,0,0]
	ds_read2_b64 v[218:221], v179 offset0:25 offset1:26
	s_waitcnt vmcnt(20)
	v_pk_fma_f32 v[144:145], v[230:231], v[224:225], v[144:145] op_sel_hi:[0,1,1] neg_lo:[1,0,0] neg_hi:[1,0,0]
	ds_read2_b64 v[222:225], v179 offset0:27 offset1:28
	s_waitcnt vmcnt(18) lgkmcnt(2)
	v_pk_fma_f32 v[120:121], v[230:231], v[226:227], v[120:121] op_sel_hi:[0,1,1] neg_lo:[1,0,0] neg_hi:[1,0,0]
	s_waitcnt vmcnt(16)
	v_pk_fma_f32 v[142:143], v[230:231], v[228:229], v[142:143] op_sel_hi:[0,1,1] neg_lo:[1,0,0] neg_hi:[1,0,0]
	s_waitcnt vmcnt(14) lgkmcnt(1)
	v_pk_fma_f32 v[118:119], v[230:231], v[218:219], v[118:119] op_sel_hi:[0,1,1] neg_lo:[1,0,0] neg_hi:[1,0,0]
	s_waitcnt vmcnt(12)
	v_pk_fma_f32 v[140:141], v[230:231], v[220:221], v[140:141] op_sel_hi:[0,1,1] neg_lo:[1,0,0] neg_hi:[1,0,0]
	;; [unrolled: 4-line block ×3, first 2 shown]
.LBB115_208:
	s_or_b64 exec, exec, s[2:3]
	v_cmp_eq_u32_e32 vcc, 38, v175
	s_waitcnt lgkmcnt(0)
	s_barrier
	s_and_saveexec_b64 s[2:3], vcc
	s_cbranch_execz .LBB115_211
; %bb.209:
	s_waitcnt vmcnt(24)
	v_pk_mov_b32 v[218:219], v[124:125], v[146:147] op_sel:[1,0]
	ds_write_b32 v177, v124
	ds_write2_b32 v179, v218, v219 offset0:39 offset1:40
	s_waitcnt vmcnt(22)
	v_pk_mov_b32 v[218:219], v[146:147], v[122:123] op_sel:[1,0]
	ds_write2_b32 v179, v218, v219 offset0:41 offset1:42
	s_waitcnt vmcnt(20)
	v_pk_mov_b32 v[218:219], v[122:123], v[144:145] op_sel:[1,0]
	;; [unrolled: 3-line block ×8, first 2 shown]
	ds_write2_b32 v179, v218, v219 offset0:55 offset1:56
	ds_write_b32 v179, v165 offset:228
	ds_read_b32 v217, v177
	s_waitcnt lgkmcnt(0)
	v_cmp_neq_f32_e32 vcc, 0, v217
	s_and_b64 exec, exec, vcc
	s_cbranch_execz .LBB115_211
; %bb.210:
	v_div_scale_f32 v218, s[4:5], v217, v217, 1.0
	v_rcp_f32_e32 v219, v218
	v_div_scale_f32 v220, vcc, 1.0, v217, 1.0
	v_fma_f32 v221, -v218, v219, 1.0
	v_fmac_f32_e32 v219, v221, v219
	v_mul_f32_e32 v221, v220, v219
	v_fma_f32 v222, -v218, v221, v220
	v_fmac_f32_e32 v221, v222, v219
	v_fma_f32 v218, -v218, v221, v220
	v_div_fmas_f32 v218, v218, v219, v221
	v_div_fixup_f32 v217, v218, v217, 1.0
	ds_write_b32 v177, v217
.LBB115_211:
	s_or_b64 exec, exec, s[2:3]
	s_waitcnt lgkmcnt(0)
	s_barrier
	ds_read_b32 v217, v177
	v_cmp_lt_u32_e32 vcc, 38, v175
	s_and_saveexec_b64 s[2:3], vcc
	s_cbranch_execz .LBB115_213
; %bb.212:
	ds_read_b32 v226, v179 offset:156
	ds_read2_b64 v[218:221], v179 offset0:20 offset1:21
	ds_read2_b64 v[222:225], v179 offset0:22 offset1:23
	s_waitcnt vmcnt(27) lgkmcnt(3)
	v_mul_f32_e32 v124, v217, v124
	s_waitcnt vmcnt(26) lgkmcnt(2)
	v_fma_f32 v125, -v124, v226, v125
	s_waitcnt vmcnt(24) lgkmcnt(1)
	v_pk_fma_f32 v[146:147], v[124:125], v[218:219], v[146:147] op_sel_hi:[0,1,1] neg_lo:[1,0,0] neg_hi:[1,0,0]
	s_waitcnt vmcnt(22)
	v_pk_fma_f32 v[122:123], v[124:125], v[220:221], v[122:123] op_sel_hi:[0,1,1] neg_lo:[1,0,0] neg_hi:[1,0,0]
	ds_read2_b64 v[218:221], v179 offset0:24 offset1:25
	s_waitcnt vmcnt(20) lgkmcnt(1)
	v_pk_fma_f32 v[144:145], v[124:125], v[222:223], v[144:145] op_sel_hi:[0,1,1] neg_lo:[1,0,0] neg_hi:[1,0,0]
	ds_read2_b64 v[226:229], v179 offset0:26 offset1:27
	ds_read_b64 v[222:223], v179 offset:224
	s_waitcnt vmcnt(18)
	v_pk_fma_f32 v[120:121], v[124:125], v[224:225], v[120:121] op_sel_hi:[0,1,1] neg_lo:[1,0,0] neg_hi:[1,0,0]
	s_waitcnt vmcnt(16) lgkmcnt(2)
	v_pk_fma_f32 v[142:143], v[124:125], v[218:219], v[142:143] op_sel_hi:[0,1,1] neg_lo:[1,0,0] neg_hi:[1,0,0]
	s_waitcnt vmcnt(14)
	v_pk_fma_f32 v[118:119], v[124:125], v[220:221], v[118:119] op_sel_hi:[0,1,1] neg_lo:[1,0,0] neg_hi:[1,0,0]
	s_waitcnt vmcnt(12) lgkmcnt(1)
	v_pk_fma_f32 v[140:141], v[124:125], v[226:227], v[140:141] op_sel_hi:[0,1,1] neg_lo:[1,0,0] neg_hi:[1,0,0]
	;; [unrolled: 4-line block ×3, first 2 shown]
.LBB115_213:
	s_or_b64 exec, exec, s[2:3]
	v_cmp_ne_u32_e32 vcc, 39, v175
	s_waitcnt lgkmcnt(0)
	s_barrier
	s_and_saveexec_b64 s[2:3], vcc
	s_xor_b64 s[2:3], exec, s[2:3]
	s_andn2_saveexec_b64 s[2:3], s[2:3]
	s_cbranch_execz .LBB115_217
; %bb.214:
	s_waitcnt vmcnt(25)
	v_mov_b32_e32 v218, v146
	s_waitcnt vmcnt(24)
	v_mov_b32_e32 v219, v147
	;; [unrolled: 2-line block ×4, first 2 shown]
	ds_write_b32 v177, v125
	ds_write2_b64 v179, v[218:219], v[220:221] offset0:20 offset1:21
	s_waitcnt vmcnt(21)
	v_mov_b32_e32 v218, v144
	s_waitcnt vmcnt(20)
	v_mov_b32_e32 v219, v145
	s_waitcnt vmcnt(19)
	v_mov_b32_e32 v220, v120
	s_waitcnt vmcnt(18)
	v_mov_b32_e32 v221, v121
	ds_write2_b64 v179, v[218:219], v[220:221] offset0:22 offset1:23
	s_waitcnt vmcnt(17)
	v_mov_b32_e32 v218, v142
	s_waitcnt vmcnt(16)
	v_mov_b32_e32 v219, v143
	s_waitcnt vmcnt(15)
	v_mov_b32_e32 v220, v118
	s_waitcnt vmcnt(14)
	v_mov_b32_e32 v221, v119
	ds_write2_b64 v179, v[218:219], v[220:221] offset0:24 offset1:25
	s_waitcnt vmcnt(13)
	v_mov_b32_e32 v218, v140
	s_waitcnt vmcnt(12)
	v_mov_b32_e32 v219, v141
	s_waitcnt vmcnt(11)
	v_mov_b32_e32 v220, v116
	s_waitcnt vmcnt(10)
	v_mov_b32_e32 v221, v117
	ds_write2_b64 v179, v[218:219], v[220:221] offset0:26 offset1:27
	s_waitcnt vmcnt(8)
	ds_write_b64 v179, v[164:165] offset:224
	ds_read_b32 v218, v177
	s_waitcnt lgkmcnt(0)
	v_cmp_neq_f32_e32 vcc, 0, v218
	s_and_saveexec_b64 s[4:5], vcc
	s_cbranch_execz .LBB115_216
; %bb.215:
	v_div_scale_f32 v219, s[10:11], v218, v218, 1.0
	v_rcp_f32_e32 v220, v219
	v_div_scale_f32 v221, vcc, 1.0, v218, 1.0
	v_fma_f32 v222, -v219, v220, 1.0
	v_fmac_f32_e32 v220, v222, v220
	v_mul_f32_e32 v222, v221, v220
	v_fma_f32 v223, -v219, v222, v221
	v_fmac_f32_e32 v222, v223, v220
	v_fma_f32 v219, -v219, v222, v221
	v_div_fmas_f32 v219, v219, v220, v222
	v_div_fixup_f32 v218, v219, v218, 1.0
	ds_write_b32 v177, v218
.LBB115_216:
	s_or_b64 exec, exec, s[4:5]
.LBB115_217:
	s_or_b64 exec, exec, s[2:3]
	s_waitcnt lgkmcnt(0)
	s_barrier
	ds_read_b32 v218, v177
	v_cmp_lt_u32_e32 vcc, 39, v175
	s_and_saveexec_b64 s[2:3], vcc
	s_cbranch_execz .LBB115_219
; %bb.218:
	ds_read2_b64 v[220:223], v179 offset0:20 offset1:21
	ds_read2_b64 v[224:227], v179 offset0:22 offset1:23
	s_waitcnt vmcnt(26) lgkmcnt(2)
	v_mul_f32_e32 v232, v218, v125
	ds_read2_b64 v[228:231], v179 offset0:24 offset1:25
	v_mov_b32_e32 v125, v232
	s_waitcnt vmcnt(24) lgkmcnt(2)
	v_pk_fma_f32 v[146:147], v[232:233], v[220:221], v[146:147] op_sel_hi:[0,1,1] neg_lo:[1,0,0] neg_hi:[1,0,0]
	s_waitcnt vmcnt(22)
	v_pk_fma_f32 v[122:123], v[232:233], v[222:223], v[122:123] op_sel_hi:[0,1,1] neg_lo:[1,0,0] neg_hi:[1,0,0]
	s_waitcnt vmcnt(20) lgkmcnt(1)
	v_pk_fma_f32 v[144:145], v[232:233], v[224:225], v[144:145] op_sel_hi:[0,1,1] neg_lo:[1,0,0] neg_hi:[1,0,0]
	ds_read2_b64 v[220:223], v179 offset0:26 offset1:27
	ds_read_b64 v[224:225], v179 offset:224
	s_waitcnt vmcnt(18)
	v_pk_fma_f32 v[120:121], v[232:233], v[226:227], v[120:121] op_sel_hi:[0,1,1] neg_lo:[1,0,0] neg_hi:[1,0,0]
	s_waitcnt vmcnt(16) lgkmcnt(2)
	v_pk_fma_f32 v[142:143], v[232:233], v[228:229], v[142:143] op_sel_hi:[0,1,1] neg_lo:[1,0,0] neg_hi:[1,0,0]
	s_waitcnt vmcnt(14)
	v_pk_fma_f32 v[118:119], v[232:233], v[230:231], v[118:119] op_sel_hi:[0,1,1] neg_lo:[1,0,0] neg_hi:[1,0,0]
	s_waitcnt vmcnt(12) lgkmcnt(1)
	v_pk_fma_f32 v[140:141], v[232:233], v[220:221], v[140:141] op_sel_hi:[0,1,1] neg_lo:[1,0,0] neg_hi:[1,0,0]
	;; [unrolled: 4-line block ×3, first 2 shown]
.LBB115_219:
	s_or_b64 exec, exec, s[2:3]
	v_cmp_eq_u32_e32 vcc, 40, v175
	s_waitcnt lgkmcnt(0)
	s_barrier
	s_and_saveexec_b64 s[2:3], vcc
	s_cbranch_execz .LBB115_222
; %bb.220:
	s_waitcnt vmcnt(22)
	v_pk_mov_b32 v[220:221], v[146:147], v[122:123] op_sel:[1,0]
	ds_write_b32 v177, v146
	ds_write2_b32 v179, v220, v221 offset0:41 offset1:42
	s_waitcnt vmcnt(20)
	v_pk_mov_b32 v[220:221], v[122:123], v[144:145] op_sel:[1,0]
	ds_write2_b32 v179, v220, v221 offset0:43 offset1:44
	s_waitcnt vmcnt(18)
	v_pk_mov_b32 v[220:221], v[144:145], v[120:121] op_sel:[1,0]
	;; [unrolled: 3-line block ×7, first 2 shown]
	ds_write2_b32 v179, v220, v221 offset0:55 offset1:56
	ds_write_b32 v179, v165 offset:228
	ds_read_b32 v219, v177
	s_waitcnt lgkmcnt(0)
	v_cmp_neq_f32_e32 vcc, 0, v219
	s_and_b64 exec, exec, vcc
	s_cbranch_execz .LBB115_222
; %bb.221:
	v_div_scale_f32 v220, s[4:5], v219, v219, 1.0
	v_rcp_f32_e32 v221, v220
	v_div_scale_f32 v222, vcc, 1.0, v219, 1.0
	v_fma_f32 v223, -v220, v221, 1.0
	v_fmac_f32_e32 v221, v223, v221
	v_mul_f32_e32 v223, v222, v221
	v_fma_f32 v224, -v220, v223, v222
	v_fmac_f32_e32 v223, v224, v221
	v_fma_f32 v220, -v220, v223, v222
	v_div_fmas_f32 v220, v220, v221, v223
	v_div_fixup_f32 v219, v220, v219, 1.0
	ds_write_b32 v177, v219
.LBB115_222:
	s_or_b64 exec, exec, s[2:3]
	s_waitcnt lgkmcnt(0)
	s_barrier
	ds_read_b32 v219, v177
	v_cmp_lt_u32_e32 vcc, 40, v175
	s_and_saveexec_b64 s[2:3], vcc
	s_cbranch_execz .LBB115_224
; %bb.223:
	ds_read_b32 v232, v179 offset:164
	ds_read2_b64 v[220:223], v179 offset0:21 offset1:22
	s_waitcnt vmcnt(25) lgkmcnt(2)
	v_mul_f32_e32 v146, v219, v146
	ds_read2_b64 v[224:227], v179 offset0:23 offset1:24
	ds_read2_b64 v[228:231], v179 offset0:25 offset1:26
	s_waitcnt vmcnt(24) lgkmcnt(3)
	v_fma_f32 v147, -v146, v232, v147
	s_waitcnt vmcnt(22) lgkmcnt(2)
	v_pk_fma_f32 v[122:123], v[146:147], v[220:221], v[122:123] op_sel_hi:[0,1,1] neg_lo:[1,0,0] neg_hi:[1,0,0]
	s_waitcnt vmcnt(20)
	v_pk_fma_f32 v[144:145], v[146:147], v[222:223], v[144:145] op_sel_hi:[0,1,1] neg_lo:[1,0,0] neg_hi:[1,0,0]
	ds_read2_b64 v[220:223], v179 offset0:27 offset1:28
	s_waitcnt vmcnt(18) lgkmcnt(2)
	v_pk_fma_f32 v[120:121], v[146:147], v[224:225], v[120:121] op_sel_hi:[0,1,1] neg_lo:[1,0,0] neg_hi:[1,0,0]
	s_waitcnt vmcnt(16)
	v_pk_fma_f32 v[142:143], v[146:147], v[226:227], v[142:143] op_sel_hi:[0,1,1] neg_lo:[1,0,0] neg_hi:[1,0,0]
	s_waitcnt vmcnt(14) lgkmcnt(1)
	v_pk_fma_f32 v[118:119], v[146:147], v[228:229], v[118:119] op_sel_hi:[0,1,1] neg_lo:[1,0,0] neg_hi:[1,0,0]
	s_waitcnt vmcnt(12)
	v_pk_fma_f32 v[140:141], v[146:147], v[230:231], v[140:141] op_sel_hi:[0,1,1] neg_lo:[1,0,0] neg_hi:[1,0,0]
	;; [unrolled: 4-line block ×3, first 2 shown]
.LBB115_224:
	s_or_b64 exec, exec, s[2:3]
	v_cmp_ne_u32_e32 vcc, 41, v175
	s_waitcnt lgkmcnt(0)
	s_barrier
	s_and_saveexec_b64 s[2:3], vcc
	s_xor_b64 s[2:3], exec, s[2:3]
	s_andn2_saveexec_b64 s[2:3], s[2:3]
	s_cbranch_execz .LBB115_228
; %bb.225:
	s_waitcnt vmcnt(24)
	ds_write_b32 v177, v147
	s_waitcnt vmcnt(20)
	ds_write2_b64 v179, v[122:123], v[144:145] offset0:21 offset1:22
	s_waitcnt vmcnt(16)
	ds_write2_b64 v179, v[120:121], v[142:143] offset0:23 offset1:24
	;; [unrolled: 2-line block ×4, first 2 shown]
	ds_read_b32 v220, v177
	s_waitcnt lgkmcnt(0)
	v_cmp_neq_f32_e32 vcc, 0, v220
	s_and_saveexec_b64 s[4:5], vcc
	s_cbranch_execz .LBB115_227
; %bb.226:
	v_div_scale_f32 v221, s[10:11], v220, v220, 1.0
	v_rcp_f32_e32 v222, v221
	v_div_scale_f32 v223, vcc, 1.0, v220, 1.0
	v_fma_f32 v224, -v221, v222, 1.0
	v_fmac_f32_e32 v222, v224, v222
	v_mul_f32_e32 v224, v223, v222
	v_fma_f32 v225, -v221, v224, v223
	v_fmac_f32_e32 v224, v225, v222
	v_fma_f32 v221, -v221, v224, v223
	v_div_fmas_f32 v221, v221, v222, v224
	v_div_fixup_f32 v220, v221, v220, 1.0
	ds_write_b32 v177, v220
.LBB115_227:
	s_or_b64 exec, exec, s[4:5]
.LBB115_228:
	s_or_b64 exec, exec, s[2:3]
	s_waitcnt lgkmcnt(0)
	s_barrier
	ds_read_b32 v220, v177
	v_cmp_lt_u32_e32 vcc, 41, v175
	s_and_saveexec_b64 s[2:3], vcc
	s_cbranch_execz .LBB115_230
; %bb.229:
	ds_read2_b64 v[222:225], v179 offset0:21 offset1:22
	s_waitcnt vmcnt(24) lgkmcnt(1)
	v_mul_f32_e32 v234, v220, v147
	ds_read2_b64 v[226:229], v179 offset0:23 offset1:24
	ds_read2_b64 v[230:233], v179 offset0:25 offset1:26
	v_mov_b32_e32 v147, v234
	s_waitcnt vmcnt(22) lgkmcnt(2)
	v_pk_fma_f32 v[122:123], v[234:235], v[222:223], v[122:123] op_sel_hi:[0,1,1] neg_lo:[1,0,0] neg_hi:[1,0,0]
	s_waitcnt vmcnt(20)
	v_pk_fma_f32 v[144:145], v[234:235], v[224:225], v[144:145] op_sel_hi:[0,1,1] neg_lo:[1,0,0] neg_hi:[1,0,0]
	ds_read2_b64 v[222:225], v179 offset0:27 offset1:28
	s_waitcnt vmcnt(18) lgkmcnt(2)
	v_pk_fma_f32 v[120:121], v[234:235], v[226:227], v[120:121] op_sel_hi:[0,1,1] neg_lo:[1,0,0] neg_hi:[1,0,0]
	s_waitcnt vmcnt(16)
	v_pk_fma_f32 v[142:143], v[234:235], v[228:229], v[142:143] op_sel_hi:[0,1,1] neg_lo:[1,0,0] neg_hi:[1,0,0]
	s_waitcnt vmcnt(14) lgkmcnt(1)
	v_pk_fma_f32 v[118:119], v[234:235], v[230:231], v[118:119] op_sel_hi:[0,1,1] neg_lo:[1,0,0] neg_hi:[1,0,0]
	s_waitcnt vmcnt(12)
	v_pk_fma_f32 v[140:141], v[234:235], v[232:233], v[140:141] op_sel_hi:[0,1,1] neg_lo:[1,0,0] neg_hi:[1,0,0]
	;; [unrolled: 4-line block ×3, first 2 shown]
.LBB115_230:
	s_or_b64 exec, exec, s[2:3]
	v_cmp_eq_u32_e32 vcc, 42, v175
	s_waitcnt lgkmcnt(0)
	s_barrier
	s_and_saveexec_b64 s[2:3], vcc
	s_cbranch_execz .LBB115_233
; %bb.231:
	s_waitcnt vmcnt(20)
	v_pk_mov_b32 v[222:223], v[122:123], v[144:145] op_sel:[1,0]
	ds_write_b32 v177, v122
	ds_write2_b32 v179, v222, v223 offset0:43 offset1:44
	s_waitcnt vmcnt(18)
	v_pk_mov_b32 v[222:223], v[144:145], v[120:121] op_sel:[1,0]
	ds_write2_b32 v179, v222, v223 offset0:45 offset1:46
	s_waitcnt vmcnt(16)
	v_pk_mov_b32 v[222:223], v[120:121], v[142:143] op_sel:[1,0]
	ds_write2_b32 v179, v222, v223 offset0:47 offset1:48
	s_waitcnt vmcnt(14)
	v_pk_mov_b32 v[222:223], v[142:143], v[118:119] op_sel:[1,0]
	ds_write2_b32 v179, v222, v223 offset0:49 offset1:50
	s_waitcnt vmcnt(12)
	v_pk_mov_b32 v[222:223], v[118:119], v[140:141] op_sel:[1,0]
	ds_write2_b32 v179, v222, v223 offset0:51 offset1:52
	s_waitcnt vmcnt(10)
	v_pk_mov_b32 v[222:223], v[140:141], v[116:117] op_sel:[1,0]
	ds_write2_b32 v179, v222, v223 offset0:53 offset1:54
	s_waitcnt vmcnt(8)
	v_pk_mov_b32 v[222:223], v[116:117], v[164:165] op_sel:[1,0]
	ds_write2_b32 v179, v222, v223 offset0:55 offset1:56
	ds_write_b32 v179, v165 offset:228
	ds_read_b32 v221, v177
	s_waitcnt lgkmcnt(0)
	v_cmp_neq_f32_e32 vcc, 0, v221
	s_and_b64 exec, exec, vcc
	s_cbranch_execz .LBB115_233
; %bb.232:
	v_div_scale_f32 v222, s[4:5], v221, v221, 1.0
	v_rcp_f32_e32 v223, v222
	v_div_scale_f32 v224, vcc, 1.0, v221, 1.0
	v_fma_f32 v225, -v222, v223, 1.0
	v_fmac_f32_e32 v223, v225, v223
	v_mul_f32_e32 v225, v224, v223
	v_fma_f32 v226, -v222, v225, v224
	v_fmac_f32_e32 v225, v226, v223
	v_fma_f32 v222, -v222, v225, v224
	v_div_fmas_f32 v222, v222, v223, v225
	v_div_fixup_f32 v221, v222, v221, 1.0
	ds_write_b32 v177, v221
.LBB115_233:
	s_or_b64 exec, exec, s[2:3]
	s_waitcnt lgkmcnt(0)
	s_barrier
	ds_read_b32 v221, v177
	v_cmp_lt_u32_e32 vcc, 42, v175
	s_and_saveexec_b64 s[2:3], vcc
	s_cbranch_execz .LBB115_235
; %bb.234:
	ds_read_b32 v230, v179 offset:172
	s_waitcnt vmcnt(23) lgkmcnt(1)
	v_mul_f32_e32 v122, v221, v122
	ds_read2_b64 v[222:225], v179 offset0:22 offset1:23
	ds_read_b64 v[234:235], v179 offset:224
	ds_read2_b64 v[226:229], v179 offset0:24 offset1:25
	s_waitcnt vmcnt(22) lgkmcnt(3)
	v_fma_f32 v123, -v122, v230, v123
	ds_read2_b64 v[230:233], v179 offset0:26 offset1:27
	s_waitcnt vmcnt(20) lgkmcnt(3)
	v_pk_fma_f32 v[144:145], v[122:123], v[222:223], v[144:145] op_sel_hi:[0,1,1] neg_lo:[1,0,0] neg_hi:[1,0,0]
	s_waitcnt vmcnt(18)
	v_pk_fma_f32 v[120:121], v[122:123], v[224:225], v[120:121] op_sel_hi:[0,1,1] neg_lo:[1,0,0] neg_hi:[1,0,0]
	s_waitcnt vmcnt(16) lgkmcnt(1)
	v_pk_fma_f32 v[142:143], v[122:123], v[226:227], v[142:143] op_sel_hi:[0,1,1] neg_lo:[1,0,0] neg_hi:[1,0,0]
	s_waitcnt vmcnt(14)
	v_pk_fma_f32 v[118:119], v[122:123], v[228:229], v[118:119] op_sel_hi:[0,1,1] neg_lo:[1,0,0] neg_hi:[1,0,0]
	;; [unrolled: 4-line block ×3, first 2 shown]
	s_waitcnt vmcnt(8)
	v_pk_fma_f32 v[164:165], v[122:123], v[234:235], v[164:165] op_sel_hi:[0,1,1] neg_lo:[1,0,0] neg_hi:[1,0,0]
.LBB115_235:
	s_or_b64 exec, exec, s[2:3]
	v_cmp_ne_u32_e32 vcc, 43, v175
	s_waitcnt lgkmcnt(0)
	s_barrier
	s_and_saveexec_b64 s[2:3], vcc
	s_xor_b64 s[2:3], exec, s[2:3]
	s_andn2_saveexec_b64 s[2:3], s[2:3]
	s_cbranch_execz .LBB115_239
; %bb.236:
	s_waitcnt vmcnt(21)
	v_mov_b32_e32 v222, v144
	s_waitcnt vmcnt(20)
	v_mov_b32_e32 v223, v145
	;; [unrolled: 2-line block ×4, first 2 shown]
	ds_write_b32 v177, v123
	ds_write2_b64 v179, v[222:223], v[224:225] offset0:22 offset1:23
	s_waitcnt vmcnt(17)
	v_mov_b32_e32 v222, v142
	s_waitcnt vmcnt(16)
	v_mov_b32_e32 v223, v143
	;; [unrolled: 2-line block ×4, first 2 shown]
	ds_write2_b64 v179, v[222:223], v[224:225] offset0:24 offset1:25
	s_waitcnt vmcnt(13)
	v_mov_b32_e32 v222, v140
	s_waitcnt vmcnt(12)
	v_mov_b32_e32 v223, v141
	;; [unrolled: 2-line block ×4, first 2 shown]
	ds_write2_b64 v179, v[222:223], v[224:225] offset0:26 offset1:27
	s_waitcnt vmcnt(8)
	ds_write_b64 v179, v[164:165] offset:224
	ds_read_b32 v222, v177
	s_waitcnt lgkmcnt(0)
	v_cmp_neq_f32_e32 vcc, 0, v222
	s_and_saveexec_b64 s[4:5], vcc
	s_cbranch_execz .LBB115_238
; %bb.237:
	v_div_scale_f32 v223, s[10:11], v222, v222, 1.0
	v_rcp_f32_e32 v224, v223
	v_div_scale_f32 v225, vcc, 1.0, v222, 1.0
	v_fma_f32 v226, -v223, v224, 1.0
	v_fmac_f32_e32 v224, v226, v224
	v_mul_f32_e32 v226, v225, v224
	v_fma_f32 v227, -v223, v226, v225
	v_fmac_f32_e32 v226, v227, v224
	v_fma_f32 v223, -v223, v226, v225
	v_div_fmas_f32 v223, v223, v224, v226
	v_div_fixup_f32 v222, v223, v222, 1.0
	ds_write_b32 v177, v222
.LBB115_238:
	s_or_b64 exec, exec, s[4:5]
.LBB115_239:
	s_or_b64 exec, exec, s[2:3]
	s_waitcnt lgkmcnt(0)
	s_barrier
	ds_read_b32 v222, v177
	v_cmp_lt_u32_e32 vcc, 43, v175
	s_and_saveexec_b64 s[2:3], vcc
	s_cbranch_execz .LBB115_241
; %bb.240:
	ds_read2_b64 v[224:227], v179 offset0:22 offset1:23
	s_waitcnt vmcnt(22) lgkmcnt(1)
	v_mul_f32_e32 v236, v222, v123
	ds_read2_b64 v[228:231], v179 offset0:24 offset1:25
	ds_read2_b64 v[232:235], v179 offset0:26 offset1:27
	v_mov_b32_e32 v123, v236
	s_waitcnt vmcnt(20) lgkmcnt(2)
	v_pk_fma_f32 v[144:145], v[236:237], v[224:225], v[144:145] op_sel_hi:[0,1,1] neg_lo:[1,0,0] neg_hi:[1,0,0]
	ds_read_b64 v[224:225], v179 offset:224
	s_waitcnt vmcnt(18)
	v_pk_fma_f32 v[120:121], v[236:237], v[226:227], v[120:121] op_sel_hi:[0,1,1] neg_lo:[1,0,0] neg_hi:[1,0,0]
	s_waitcnt vmcnt(16) lgkmcnt(2)
	v_pk_fma_f32 v[142:143], v[236:237], v[228:229], v[142:143] op_sel_hi:[0,1,1] neg_lo:[1,0,0] neg_hi:[1,0,0]
	s_waitcnt vmcnt(14)
	v_pk_fma_f32 v[118:119], v[236:237], v[230:231], v[118:119] op_sel_hi:[0,1,1] neg_lo:[1,0,0] neg_hi:[1,0,0]
	s_waitcnt vmcnt(12) lgkmcnt(1)
	v_pk_fma_f32 v[140:141], v[236:237], v[232:233], v[140:141] op_sel_hi:[0,1,1] neg_lo:[1,0,0] neg_hi:[1,0,0]
	;; [unrolled: 4-line block ×3, first 2 shown]
.LBB115_241:
	s_or_b64 exec, exec, s[2:3]
	v_cmp_eq_u32_e32 vcc, 44, v175
	s_waitcnt lgkmcnt(0)
	s_barrier
	s_and_saveexec_b64 s[2:3], vcc
	s_cbranch_execz .LBB115_244
; %bb.242:
	s_waitcnt vmcnt(18)
	v_pk_mov_b32 v[224:225], v[144:145], v[120:121] op_sel:[1,0]
	ds_write_b32 v177, v144
	ds_write2_b32 v179, v224, v225 offset0:45 offset1:46
	s_waitcnt vmcnt(16)
	v_pk_mov_b32 v[224:225], v[120:121], v[142:143] op_sel:[1,0]
	ds_write2_b32 v179, v224, v225 offset0:47 offset1:48
	s_waitcnt vmcnt(14)
	v_pk_mov_b32 v[224:225], v[142:143], v[118:119] op_sel:[1,0]
	;; [unrolled: 3-line block ×5, first 2 shown]
	ds_write2_b32 v179, v224, v225 offset0:55 offset1:56
	ds_write_b32 v179, v165 offset:228
	ds_read_b32 v223, v177
	s_waitcnt lgkmcnt(0)
	v_cmp_neq_f32_e32 vcc, 0, v223
	s_and_b64 exec, exec, vcc
	s_cbranch_execz .LBB115_244
; %bb.243:
	v_div_scale_f32 v224, s[4:5], v223, v223, 1.0
	v_rcp_f32_e32 v225, v224
	v_div_scale_f32 v226, vcc, 1.0, v223, 1.0
	v_fma_f32 v227, -v224, v225, 1.0
	v_fmac_f32_e32 v225, v227, v225
	v_mul_f32_e32 v227, v226, v225
	v_fma_f32 v228, -v224, v227, v226
	v_fmac_f32_e32 v227, v228, v225
	v_fma_f32 v224, -v224, v227, v226
	v_div_fmas_f32 v224, v224, v225, v227
	v_div_fixup_f32 v223, v224, v223, 1.0
	ds_write_b32 v177, v223
.LBB115_244:
	s_or_b64 exec, exec, s[2:3]
	s_waitcnt lgkmcnt(0)
	s_barrier
	ds_read_b32 v223, v177
	v_cmp_lt_u32_e32 vcc, 44, v175
	s_and_saveexec_b64 s[2:3], vcc
	s_cbranch_execz .LBB115_246
; %bb.245:
	ds_read_b32 v236, v179 offset:180
	ds_read2_b64 v[224:227], v179 offset0:23 offset1:24
	ds_read2_b64 v[228:231], v179 offset0:25 offset1:26
	;; [unrolled: 1-line block ×3, first 2 shown]
	s_waitcnt vmcnt(21) lgkmcnt(4)
	v_mul_f32_e32 v144, v223, v144
	s_waitcnt vmcnt(20) lgkmcnt(3)
	v_fma_f32 v145, -v144, v236, v145
	s_waitcnt vmcnt(18) lgkmcnt(2)
	v_pk_fma_f32 v[120:121], v[144:145], v[224:225], v[120:121] op_sel_hi:[0,1,1] neg_lo:[1,0,0] neg_hi:[1,0,0]
	s_waitcnt vmcnt(16)
	v_pk_fma_f32 v[142:143], v[144:145], v[226:227], v[142:143] op_sel_hi:[0,1,1] neg_lo:[1,0,0] neg_hi:[1,0,0]
	s_waitcnt vmcnt(14) lgkmcnt(1)
	v_pk_fma_f32 v[118:119], v[144:145], v[228:229], v[118:119] op_sel_hi:[0,1,1] neg_lo:[1,0,0] neg_hi:[1,0,0]
	s_waitcnt vmcnt(12)
	v_pk_fma_f32 v[140:141], v[144:145], v[230:231], v[140:141] op_sel_hi:[0,1,1] neg_lo:[1,0,0] neg_hi:[1,0,0]
	;; [unrolled: 4-line block ×3, first 2 shown]
.LBB115_246:
	s_or_b64 exec, exec, s[2:3]
	v_cmp_ne_u32_e32 vcc, 45, v175
	s_waitcnt lgkmcnt(0)
	s_barrier
	s_and_saveexec_b64 s[2:3], vcc
	s_xor_b64 s[2:3], exec, s[2:3]
	s_andn2_saveexec_b64 s[2:3], s[2:3]
	s_cbranch_execz .LBB115_250
; %bb.247:
	s_waitcnt vmcnt(20)
	ds_write_b32 v177, v145
	s_waitcnt vmcnt(16)
	ds_write2_b64 v179, v[120:121], v[142:143] offset0:23 offset1:24
	s_waitcnt vmcnt(12)
	ds_write2_b64 v179, v[118:119], v[140:141] offset0:25 offset1:26
	;; [unrolled: 2-line block ×3, first 2 shown]
	ds_read_b32 v224, v177
	s_waitcnt lgkmcnt(0)
	v_cmp_neq_f32_e32 vcc, 0, v224
	s_and_saveexec_b64 s[4:5], vcc
	s_cbranch_execz .LBB115_249
; %bb.248:
	v_div_scale_f32 v225, s[10:11], v224, v224, 1.0
	v_rcp_f32_e32 v226, v225
	v_div_scale_f32 v227, vcc, 1.0, v224, 1.0
	v_fma_f32 v228, -v225, v226, 1.0
	v_fmac_f32_e32 v226, v228, v226
	v_mul_f32_e32 v228, v227, v226
	v_fma_f32 v229, -v225, v228, v227
	v_fmac_f32_e32 v228, v229, v226
	v_fma_f32 v225, -v225, v228, v227
	v_div_fmas_f32 v225, v225, v226, v228
	v_div_fixup_f32 v224, v225, v224, 1.0
	ds_write_b32 v177, v224
.LBB115_249:
	s_or_b64 exec, exec, s[4:5]
.LBB115_250:
	s_or_b64 exec, exec, s[2:3]
	s_waitcnt lgkmcnt(0)
	s_barrier
	ds_read_b32 v224, v177
	v_cmp_lt_u32_e32 vcc, 45, v175
	s_and_saveexec_b64 s[2:3], vcc
	s_cbranch_execz .LBB115_252
; %bb.251:
	ds_read2_b64 v[226:229], v179 offset0:23 offset1:24
	ds_read2_b64 v[230:233], v179 offset0:25 offset1:26
	;; [unrolled: 1-line block ×3, first 2 shown]
	s_waitcnt vmcnt(20) lgkmcnt(3)
	v_mul_f32_e32 v238, v224, v145
	v_mov_b32_e32 v145, v238
	s_waitcnt vmcnt(18) lgkmcnt(2)
	v_pk_fma_f32 v[120:121], v[238:239], v[226:227], v[120:121] op_sel_hi:[0,1,1] neg_lo:[1,0,0] neg_hi:[1,0,0]
	s_waitcnt vmcnt(16)
	v_pk_fma_f32 v[142:143], v[238:239], v[228:229], v[142:143] op_sel_hi:[0,1,1] neg_lo:[1,0,0] neg_hi:[1,0,0]
	s_waitcnt vmcnt(14) lgkmcnt(1)
	v_pk_fma_f32 v[118:119], v[238:239], v[230:231], v[118:119] op_sel_hi:[0,1,1] neg_lo:[1,0,0] neg_hi:[1,0,0]
	s_waitcnt vmcnt(12)
	v_pk_fma_f32 v[140:141], v[238:239], v[232:233], v[140:141] op_sel_hi:[0,1,1] neg_lo:[1,0,0] neg_hi:[1,0,0]
	;; [unrolled: 4-line block ×3, first 2 shown]
.LBB115_252:
	s_or_b64 exec, exec, s[2:3]
	v_cmp_eq_u32_e32 vcc, 46, v175
	s_waitcnt lgkmcnt(0)
	s_barrier
	s_and_saveexec_b64 s[2:3], vcc
	s_cbranch_execz .LBB115_255
; %bb.253:
	s_waitcnt vmcnt(16)
	v_pk_mov_b32 v[226:227], v[120:121], v[142:143] op_sel:[1,0]
	ds_write_b32 v177, v120
	ds_write2_b32 v179, v226, v227 offset0:47 offset1:48
	s_waitcnt vmcnt(14)
	v_pk_mov_b32 v[226:227], v[142:143], v[118:119] op_sel:[1,0]
	ds_write2_b32 v179, v226, v227 offset0:49 offset1:50
	s_waitcnt vmcnt(12)
	v_pk_mov_b32 v[226:227], v[118:119], v[140:141] op_sel:[1,0]
	;; [unrolled: 3-line block ×4, first 2 shown]
	ds_write2_b32 v179, v226, v227 offset0:55 offset1:56
	ds_write_b32 v179, v165 offset:228
	ds_read_b32 v225, v177
	s_waitcnt lgkmcnt(0)
	v_cmp_neq_f32_e32 vcc, 0, v225
	s_and_b64 exec, exec, vcc
	s_cbranch_execz .LBB115_255
; %bb.254:
	v_div_scale_f32 v226, s[4:5], v225, v225, 1.0
	v_rcp_f32_e32 v227, v226
	v_div_scale_f32 v228, vcc, 1.0, v225, 1.0
	v_fma_f32 v229, -v226, v227, 1.0
	v_fmac_f32_e32 v227, v229, v227
	v_mul_f32_e32 v229, v228, v227
	v_fma_f32 v230, -v226, v229, v228
	v_fmac_f32_e32 v229, v230, v227
	v_fma_f32 v226, -v226, v229, v228
	v_div_fmas_f32 v226, v226, v227, v229
	v_div_fixup_f32 v225, v226, v225, 1.0
	ds_write_b32 v177, v225
.LBB115_255:
	s_or_b64 exec, exec, s[2:3]
	s_waitcnt lgkmcnt(0)
	s_barrier
	ds_read_b32 v225, v177
	v_cmp_lt_u32_e32 vcc, 46, v175
	s_and_saveexec_b64 s[2:3], vcc
	s_cbranch_execz .LBB115_257
; %bb.256:
	ds_read_b32 v236, v179 offset:188
	ds_read2_b64 v[226:229], v179 offset0:24 offset1:25
	ds_read_b64 v[234:235], v179 offset:224
	ds_read2_b64 v[230:233], v179 offset0:26 offset1:27
	s_waitcnt vmcnt(19) lgkmcnt(4)
	v_mul_f32_e32 v120, v225, v120
	s_waitcnt vmcnt(18) lgkmcnt(3)
	v_fma_f32 v121, -v120, v236, v121
	s_waitcnt vmcnt(16) lgkmcnt(2)
	v_pk_fma_f32 v[142:143], v[120:121], v[226:227], v[142:143] op_sel_hi:[0,1,1] neg_lo:[1,0,0] neg_hi:[1,0,0]
	s_waitcnt vmcnt(14)
	v_pk_fma_f32 v[118:119], v[120:121], v[228:229], v[118:119] op_sel_hi:[0,1,1] neg_lo:[1,0,0] neg_hi:[1,0,0]
	s_waitcnt vmcnt(12) lgkmcnt(0)
	v_pk_fma_f32 v[140:141], v[120:121], v[230:231], v[140:141] op_sel_hi:[0,1,1] neg_lo:[1,0,0] neg_hi:[1,0,0]
	s_waitcnt vmcnt(10)
	v_pk_fma_f32 v[116:117], v[120:121], v[232:233], v[116:117] op_sel_hi:[0,1,1] neg_lo:[1,0,0] neg_hi:[1,0,0]
	s_waitcnt vmcnt(8)
	v_pk_fma_f32 v[164:165], v[120:121], v[234:235], v[164:165] op_sel_hi:[0,1,1] neg_lo:[1,0,0] neg_hi:[1,0,0]
.LBB115_257:
	s_or_b64 exec, exec, s[2:3]
	v_cmp_ne_u32_e32 vcc, 47, v175
	s_waitcnt lgkmcnt(0)
	s_barrier
	s_and_saveexec_b64 s[2:3], vcc
	s_xor_b64 s[2:3], exec, s[2:3]
	s_andn2_saveexec_b64 s[2:3], s[2:3]
	s_cbranch_execz .LBB115_261
; %bb.258:
	s_waitcnt vmcnt(17)
	v_mov_b32_e32 v226, v142
	s_waitcnt vmcnt(16)
	v_mov_b32_e32 v227, v143
	;; [unrolled: 2-line block ×4, first 2 shown]
	ds_write_b32 v177, v121
	ds_write2_b64 v179, v[226:227], v[228:229] offset0:24 offset1:25
	s_waitcnt vmcnt(13)
	v_mov_b32_e32 v226, v140
	s_waitcnt vmcnt(12)
	v_mov_b32_e32 v227, v141
	;; [unrolled: 2-line block ×4, first 2 shown]
	ds_write2_b64 v179, v[226:227], v[228:229] offset0:26 offset1:27
	s_waitcnt vmcnt(8)
	ds_write_b64 v179, v[164:165] offset:224
	ds_read_b32 v226, v177
	s_waitcnt lgkmcnt(0)
	v_cmp_neq_f32_e32 vcc, 0, v226
	s_and_saveexec_b64 s[4:5], vcc
	s_cbranch_execz .LBB115_260
; %bb.259:
	v_div_scale_f32 v227, s[10:11], v226, v226, 1.0
	v_rcp_f32_e32 v228, v227
	v_div_scale_f32 v229, vcc, 1.0, v226, 1.0
	v_fma_f32 v230, -v227, v228, 1.0
	v_fmac_f32_e32 v228, v230, v228
	v_mul_f32_e32 v230, v229, v228
	v_fma_f32 v231, -v227, v230, v229
	v_fmac_f32_e32 v230, v231, v228
	v_fma_f32 v227, -v227, v230, v229
	v_div_fmas_f32 v227, v227, v228, v230
	v_div_fixup_f32 v226, v227, v226, 1.0
	ds_write_b32 v177, v226
.LBB115_260:
	s_or_b64 exec, exec, s[4:5]
.LBB115_261:
	s_or_b64 exec, exec, s[2:3]
	s_waitcnt lgkmcnt(0)
	s_barrier
	ds_read_b32 v226, v177
	v_cmp_lt_u32_e32 vcc, 47, v175
	s_and_saveexec_b64 s[2:3], vcc
	s_cbranch_execz .LBB115_263
; %bb.262:
	ds_read2_b64 v[228:231], v179 offset0:24 offset1:25
	ds_read2_b64 v[232:235], v179 offset0:26 offset1:27
	ds_read_b64 v[238:239], v179 offset:224
	s_waitcnt vmcnt(18) lgkmcnt(3)
	v_mul_f32_e32 v236, v226, v121
	v_mov_b32_e32 v121, v236
	s_waitcnt vmcnt(16) lgkmcnt(2)
	v_pk_fma_f32 v[142:143], v[236:237], v[228:229], v[142:143] op_sel_hi:[0,1,1] neg_lo:[1,0,0] neg_hi:[1,0,0]
	s_waitcnt vmcnt(14)
	v_pk_fma_f32 v[118:119], v[236:237], v[230:231], v[118:119] op_sel_hi:[0,1,1] neg_lo:[1,0,0] neg_hi:[1,0,0]
	s_waitcnt vmcnt(12) lgkmcnt(1)
	v_pk_fma_f32 v[140:141], v[236:237], v[232:233], v[140:141] op_sel_hi:[0,1,1] neg_lo:[1,0,0] neg_hi:[1,0,0]
	s_waitcnt vmcnt(10)
	v_pk_fma_f32 v[116:117], v[236:237], v[234:235], v[116:117] op_sel_hi:[0,1,1] neg_lo:[1,0,0] neg_hi:[1,0,0]
	s_waitcnt vmcnt(8) lgkmcnt(0)
	v_pk_fma_f32 v[164:165], v[236:237], v[238:239], v[164:165] op_sel_hi:[0,1,1] neg_lo:[1,0,0] neg_hi:[1,0,0]
.LBB115_263:
	s_or_b64 exec, exec, s[2:3]
	v_cmp_eq_u32_e32 vcc, 48, v175
	s_waitcnt lgkmcnt(0)
	s_barrier
	s_and_saveexec_b64 s[2:3], vcc
	s_cbranch_execz .LBB115_266
; %bb.264:
	s_waitcnt vmcnt(14)
	v_pk_mov_b32 v[228:229], v[142:143], v[118:119] op_sel:[1,0]
	ds_write_b32 v177, v142
	ds_write2_b32 v179, v228, v229 offset0:49 offset1:50
	s_waitcnt vmcnt(12)
	v_pk_mov_b32 v[228:229], v[118:119], v[140:141] op_sel:[1,0]
	ds_write2_b32 v179, v228, v229 offset0:51 offset1:52
	s_waitcnt vmcnt(10)
	v_pk_mov_b32 v[228:229], v[140:141], v[116:117] op_sel:[1,0]
	;; [unrolled: 3-line block ×3, first 2 shown]
	ds_write2_b32 v179, v228, v229 offset0:55 offset1:56
	ds_write_b32 v179, v165 offset:228
	ds_read_b32 v227, v177
	s_waitcnt lgkmcnt(0)
	v_cmp_neq_f32_e32 vcc, 0, v227
	s_and_b64 exec, exec, vcc
	s_cbranch_execz .LBB115_266
; %bb.265:
	v_div_scale_f32 v228, s[4:5], v227, v227, 1.0
	v_rcp_f32_e32 v229, v228
	v_div_scale_f32 v230, vcc, 1.0, v227, 1.0
	v_fma_f32 v231, -v228, v229, 1.0
	v_fmac_f32_e32 v229, v231, v229
	v_mul_f32_e32 v231, v230, v229
	v_fma_f32 v232, -v228, v231, v230
	v_fmac_f32_e32 v231, v232, v229
	v_fma_f32 v228, -v228, v231, v230
	v_div_fmas_f32 v228, v228, v229, v231
	v_div_fixup_f32 v227, v228, v227, 1.0
	ds_write_b32 v177, v227
.LBB115_266:
	s_or_b64 exec, exec, s[2:3]
	s_waitcnt lgkmcnt(0)
	s_barrier
	ds_read_b32 v227, v177
	v_cmp_lt_u32_e32 vcc, 48, v175
	s_and_saveexec_b64 s[2:3], vcc
	s_cbranch_execz .LBB115_268
; %bb.267:
	ds_read_b32 v236, v179 offset:196
	ds_read2_b64 v[228:231], v179 offset0:25 offset1:26
	ds_read2_b64 v[232:235], v179 offset0:27 offset1:28
	s_waitcnt vmcnt(17) lgkmcnt(3)
	v_mul_f32_e32 v142, v227, v142
	s_waitcnt vmcnt(16) lgkmcnt(2)
	v_fma_f32 v143, -v142, v236, v143
	s_waitcnt vmcnt(14) lgkmcnt(1)
	v_pk_fma_f32 v[118:119], v[142:143], v[228:229], v[118:119] op_sel_hi:[0,1,1] neg_lo:[1,0,0] neg_hi:[1,0,0]
	s_waitcnt vmcnt(12)
	v_pk_fma_f32 v[140:141], v[142:143], v[230:231], v[140:141] op_sel_hi:[0,1,1] neg_lo:[1,0,0] neg_hi:[1,0,0]
	s_waitcnt vmcnt(10) lgkmcnt(0)
	v_pk_fma_f32 v[116:117], v[142:143], v[232:233], v[116:117] op_sel_hi:[0,1,1] neg_lo:[1,0,0] neg_hi:[1,0,0]
	s_waitcnt vmcnt(8)
	v_pk_fma_f32 v[164:165], v[142:143], v[234:235], v[164:165] op_sel_hi:[0,1,1] neg_lo:[1,0,0] neg_hi:[1,0,0]
.LBB115_268:
	s_or_b64 exec, exec, s[2:3]
	v_cmp_ne_u32_e32 vcc, 49, v175
	s_waitcnt lgkmcnt(0)
	s_barrier
	s_and_saveexec_b64 s[2:3], vcc
	s_xor_b64 s[2:3], exec, s[2:3]
	s_andn2_saveexec_b64 s[2:3], s[2:3]
	s_cbranch_execz .LBB115_272
; %bb.269:
	s_waitcnt vmcnt(16)
	ds_write_b32 v177, v143
	s_waitcnt vmcnt(12)
	ds_write2_b64 v179, v[118:119], v[140:141] offset0:25 offset1:26
	s_waitcnt vmcnt(8)
	ds_write2_b64 v179, v[116:117], v[164:165] offset0:27 offset1:28
	ds_read_b32 v228, v177
	s_waitcnt lgkmcnt(0)
	v_cmp_neq_f32_e32 vcc, 0, v228
	s_and_saveexec_b64 s[4:5], vcc
	s_cbranch_execz .LBB115_271
; %bb.270:
	v_div_scale_f32 v229, s[10:11], v228, v228, 1.0
	v_rcp_f32_e32 v230, v229
	v_div_scale_f32 v231, vcc, 1.0, v228, 1.0
	v_fma_f32 v232, -v229, v230, 1.0
	v_fmac_f32_e32 v230, v232, v230
	v_mul_f32_e32 v232, v231, v230
	v_fma_f32 v233, -v229, v232, v231
	v_fmac_f32_e32 v232, v233, v230
	v_fma_f32 v229, -v229, v232, v231
	v_div_fmas_f32 v229, v229, v230, v232
	v_div_fixup_f32 v228, v229, v228, 1.0
	ds_write_b32 v177, v228
.LBB115_271:
	s_or_b64 exec, exec, s[4:5]
.LBB115_272:
	s_or_b64 exec, exec, s[2:3]
	s_waitcnt lgkmcnt(0)
	s_barrier
	ds_read_b32 v228, v177
	v_cmp_lt_u32_e32 vcc, 49, v175
	s_and_saveexec_b64 s[2:3], vcc
	s_cbranch_execz .LBB115_274
; %bb.273:
	ds_read2_b64 v[230:233], v179 offset0:25 offset1:26
	ds_read2_b64 v[234:237], v179 offset0:27 offset1:28
	s_waitcnt vmcnt(16) lgkmcnt(2)
	v_mul_f32_e32 v238, v228, v143
	v_mov_b32_e32 v143, v238
	s_waitcnt vmcnt(14) lgkmcnt(1)
	v_pk_fma_f32 v[118:119], v[238:239], v[230:231], v[118:119] op_sel_hi:[0,1,1] neg_lo:[1,0,0] neg_hi:[1,0,0]
	s_waitcnt vmcnt(12)
	v_pk_fma_f32 v[140:141], v[238:239], v[232:233], v[140:141] op_sel_hi:[0,1,1] neg_lo:[1,0,0] neg_hi:[1,0,0]
	s_waitcnt vmcnt(10) lgkmcnt(0)
	v_pk_fma_f32 v[116:117], v[238:239], v[234:235], v[116:117] op_sel_hi:[0,1,1] neg_lo:[1,0,0] neg_hi:[1,0,0]
	s_waitcnt vmcnt(8)
	v_pk_fma_f32 v[164:165], v[238:239], v[236:237], v[164:165] op_sel_hi:[0,1,1] neg_lo:[1,0,0] neg_hi:[1,0,0]
.LBB115_274:
	s_or_b64 exec, exec, s[2:3]
	v_cmp_eq_u32_e32 vcc, 50, v175
	s_waitcnt lgkmcnt(0)
	s_barrier
	s_and_saveexec_b64 s[2:3], vcc
	s_cbranch_execz .LBB115_277
; %bb.275:
	s_waitcnt vmcnt(12)
	v_pk_mov_b32 v[230:231], v[118:119], v[140:141] op_sel:[1,0]
	ds_write_b32 v177, v118
	ds_write2_b32 v179, v230, v231 offset0:51 offset1:52
	s_waitcnt vmcnt(10)
	v_pk_mov_b32 v[230:231], v[140:141], v[116:117] op_sel:[1,0]
	ds_write2_b32 v179, v230, v231 offset0:53 offset1:54
	s_waitcnt vmcnt(8)
	v_pk_mov_b32 v[230:231], v[116:117], v[164:165] op_sel:[1,0]
	ds_write2_b32 v179, v230, v231 offset0:55 offset1:56
	ds_write_b32 v179, v165 offset:228
	ds_read_b32 v229, v177
	s_waitcnt lgkmcnt(0)
	v_cmp_neq_f32_e32 vcc, 0, v229
	s_and_b64 exec, exec, vcc
	s_cbranch_execz .LBB115_277
; %bb.276:
	v_div_scale_f32 v230, s[4:5], v229, v229, 1.0
	v_rcp_f32_e32 v231, v230
	v_div_scale_f32 v232, vcc, 1.0, v229, 1.0
	v_fma_f32 v233, -v230, v231, 1.0
	v_fmac_f32_e32 v231, v233, v231
	v_mul_f32_e32 v233, v232, v231
	v_fma_f32 v234, -v230, v233, v232
	v_fmac_f32_e32 v233, v234, v231
	v_fma_f32 v230, -v230, v233, v232
	v_div_fmas_f32 v230, v230, v231, v233
	v_div_fixup_f32 v229, v230, v229, 1.0
	ds_write_b32 v177, v229
.LBB115_277:
	s_or_b64 exec, exec, s[2:3]
	s_waitcnt lgkmcnt(0)
	s_barrier
	ds_read_b32 v229, v177
	v_cmp_lt_u32_e32 vcc, 50, v175
	s_and_saveexec_b64 s[2:3], vcc
	s_cbranch_execz .LBB115_279
; %bb.278:
	ds_read_b32 v236, v179 offset:204
	ds_read2_b64 v[230:233], v179 offset0:26 offset1:27
	ds_read_b64 v[234:235], v179 offset:224
	s_waitcnt vmcnt(15) lgkmcnt(3)
	v_mul_f32_e32 v118, v229, v118
	s_waitcnt vmcnt(14) lgkmcnt(2)
	v_fma_f32 v119, -v118, v236, v119
	s_waitcnt vmcnt(12) lgkmcnt(1)
	v_pk_fma_f32 v[140:141], v[118:119], v[230:231], v[140:141] op_sel_hi:[0,1,1] neg_lo:[1,0,0] neg_hi:[1,0,0]
	s_waitcnt vmcnt(10)
	v_pk_fma_f32 v[116:117], v[118:119], v[232:233], v[116:117] op_sel_hi:[0,1,1] neg_lo:[1,0,0] neg_hi:[1,0,0]
	s_waitcnt vmcnt(8) lgkmcnt(0)
	v_pk_fma_f32 v[164:165], v[118:119], v[234:235], v[164:165] op_sel_hi:[0,1,1] neg_lo:[1,0,0] neg_hi:[1,0,0]
.LBB115_279:
	s_or_b64 exec, exec, s[2:3]
	v_cmp_ne_u32_e32 vcc, 51, v175
	s_waitcnt lgkmcnt(0)
	s_barrier
	s_and_saveexec_b64 s[2:3], vcc
	s_xor_b64 s[2:3], exec, s[2:3]
	s_andn2_saveexec_b64 s[2:3], s[2:3]
	s_cbranch_execz .LBB115_283
; %bb.280:
	s_waitcnt vmcnt(13)
	v_mov_b32_e32 v230, v140
	s_waitcnt vmcnt(12)
	v_mov_b32_e32 v231, v141
	;; [unrolled: 2-line block ×4, first 2 shown]
	ds_write_b32 v177, v119
	ds_write2_b64 v179, v[230:231], v[232:233] offset0:26 offset1:27
	s_waitcnt vmcnt(8)
	ds_write_b64 v179, v[164:165] offset:224
	ds_read_b32 v230, v177
	s_waitcnt lgkmcnt(0)
	v_cmp_neq_f32_e32 vcc, 0, v230
	s_and_saveexec_b64 s[4:5], vcc
	s_cbranch_execz .LBB115_282
; %bb.281:
	v_div_scale_f32 v231, s[10:11], v230, v230, 1.0
	v_rcp_f32_e32 v232, v231
	v_div_scale_f32 v233, vcc, 1.0, v230, 1.0
	v_fma_f32 v234, -v231, v232, 1.0
	v_fmac_f32_e32 v232, v234, v232
	v_mul_f32_e32 v234, v233, v232
	v_fma_f32 v235, -v231, v234, v233
	v_fmac_f32_e32 v234, v235, v232
	v_fma_f32 v231, -v231, v234, v233
	v_div_fmas_f32 v231, v231, v232, v234
	v_div_fixup_f32 v230, v231, v230, 1.0
	ds_write_b32 v177, v230
.LBB115_282:
	s_or_b64 exec, exec, s[4:5]
.LBB115_283:
	s_or_b64 exec, exec, s[2:3]
	s_waitcnt lgkmcnt(0)
	s_barrier
	ds_read_b32 v230, v177
	v_cmp_lt_u32_e32 vcc, 51, v175
	s_and_saveexec_b64 s[2:3], vcc
	s_cbranch_execz .LBB115_285
; %bb.284:
	ds_read2_b64 v[232:235], v179 offset0:26 offset1:27
	ds_read_b64 v[236:237], v179 offset:224
	s_waitcnt vmcnt(14) lgkmcnt(2)
	v_mul_f32_e32 v238, v230, v119
	v_mov_b32_e32 v119, v238
	s_waitcnt vmcnt(12) lgkmcnt(1)
	v_pk_fma_f32 v[140:141], v[238:239], v[232:233], v[140:141] op_sel_hi:[0,1,1] neg_lo:[1,0,0] neg_hi:[1,0,0]
	s_waitcnt vmcnt(10)
	v_pk_fma_f32 v[116:117], v[238:239], v[234:235], v[116:117] op_sel_hi:[0,1,1] neg_lo:[1,0,0] neg_hi:[1,0,0]
	s_waitcnt vmcnt(8) lgkmcnt(0)
	v_pk_fma_f32 v[164:165], v[238:239], v[236:237], v[164:165] op_sel_hi:[0,1,1] neg_lo:[1,0,0] neg_hi:[1,0,0]
.LBB115_285:
	s_or_b64 exec, exec, s[2:3]
	v_cmp_eq_u32_e32 vcc, 52, v175
	s_waitcnt lgkmcnt(0)
	s_barrier
	s_and_saveexec_b64 s[2:3], vcc
	s_cbranch_execz .LBB115_288
; %bb.286:
	s_waitcnt vmcnt(10)
	v_pk_mov_b32 v[232:233], v[140:141], v[116:117] op_sel:[1,0]
	ds_write_b32 v177, v140
	ds_write2_b32 v179, v232, v233 offset0:53 offset1:54
	s_waitcnt vmcnt(8)
	v_pk_mov_b32 v[232:233], v[116:117], v[164:165] op_sel:[1,0]
	ds_write2_b32 v179, v232, v233 offset0:55 offset1:56
	ds_write_b32 v179, v165 offset:228
	ds_read_b32 v231, v177
	s_waitcnt lgkmcnt(0)
	v_cmp_neq_f32_e32 vcc, 0, v231
	s_and_b64 exec, exec, vcc
	s_cbranch_execz .LBB115_288
; %bb.287:
	v_div_scale_f32 v232, s[4:5], v231, v231, 1.0
	v_rcp_f32_e32 v233, v232
	v_div_scale_f32 v234, vcc, 1.0, v231, 1.0
	v_fma_f32 v235, -v232, v233, 1.0
	v_fmac_f32_e32 v233, v235, v233
	v_mul_f32_e32 v235, v234, v233
	v_fma_f32 v236, -v232, v235, v234
	v_fmac_f32_e32 v235, v236, v233
	v_fma_f32 v232, -v232, v235, v234
	v_div_fmas_f32 v232, v232, v233, v235
	v_div_fixup_f32 v231, v232, v231, 1.0
	ds_write_b32 v177, v231
.LBB115_288:
	s_or_b64 exec, exec, s[2:3]
	s_waitcnt lgkmcnt(0)
	s_barrier
	ds_read_b32 v231, v177
	v_cmp_lt_u32_e32 vcc, 52, v175
	s_and_saveexec_b64 s[2:3], vcc
	s_cbranch_execz .LBB115_290
; %bb.289:
	ds_read_b32 v236, v179 offset:212
	ds_read2_b64 v[232:235], v179 offset0:27 offset1:28
	s_waitcnt vmcnt(13) lgkmcnt(2)
	v_mul_f32_e32 v140, v231, v140
	s_waitcnt vmcnt(12) lgkmcnt(1)
	v_fma_f32 v141, -v140, v236, v141
	s_waitcnt vmcnt(10) lgkmcnt(0)
	v_pk_fma_f32 v[116:117], v[140:141], v[232:233], v[116:117] op_sel_hi:[0,1,1] neg_lo:[1,0,0] neg_hi:[1,0,0]
	s_waitcnt vmcnt(8)
	v_pk_fma_f32 v[164:165], v[140:141], v[234:235], v[164:165] op_sel_hi:[0,1,1] neg_lo:[1,0,0] neg_hi:[1,0,0]
.LBB115_290:
	s_or_b64 exec, exec, s[2:3]
	v_cmp_ne_u32_e32 vcc, 53, v175
	s_waitcnt lgkmcnt(0)
	s_barrier
	s_and_saveexec_b64 s[2:3], vcc
	s_xor_b64 s[2:3], exec, s[2:3]
	s_andn2_saveexec_b64 s[2:3], s[2:3]
	s_cbranch_execz .LBB115_294
; %bb.291:
	s_waitcnt vmcnt(12)
	ds_write_b32 v177, v141
	s_waitcnt vmcnt(8)
	ds_write2_b64 v179, v[116:117], v[164:165] offset0:27 offset1:28
	ds_read_b32 v232, v177
	s_waitcnt lgkmcnt(0)
	v_cmp_neq_f32_e32 vcc, 0, v232
	s_and_saveexec_b64 s[4:5], vcc
	s_cbranch_execz .LBB115_293
; %bb.292:
	v_div_scale_f32 v233, s[10:11], v232, v232, 1.0
	v_rcp_f32_e32 v234, v233
	v_div_scale_f32 v235, vcc, 1.0, v232, 1.0
	v_fma_f32 v236, -v233, v234, 1.0
	v_fmac_f32_e32 v234, v236, v234
	v_mul_f32_e32 v236, v235, v234
	v_fma_f32 v237, -v233, v236, v235
	v_fmac_f32_e32 v236, v237, v234
	v_fma_f32 v233, -v233, v236, v235
	v_div_fmas_f32 v233, v233, v234, v236
	v_div_fixup_f32 v232, v233, v232, 1.0
	ds_write_b32 v177, v232
.LBB115_293:
	s_or_b64 exec, exec, s[4:5]
.LBB115_294:
	s_or_b64 exec, exec, s[2:3]
	s_waitcnt lgkmcnt(0)
	s_barrier
	ds_read_b32 v232, v177
	v_cmp_lt_u32_e32 vcc, 53, v175
	s_and_saveexec_b64 s[2:3], vcc
	s_cbranch_execz .LBB115_296
; %bb.295:
	ds_read2_b64 v[234:237], v179 offset0:27 offset1:28
	s_waitcnt vmcnt(12) lgkmcnt(1)
	v_mul_f32_e32 v238, v232, v141
	v_mov_b32_e32 v141, v238
	s_waitcnt vmcnt(10) lgkmcnt(0)
	v_pk_fma_f32 v[116:117], v[238:239], v[234:235], v[116:117] op_sel_hi:[0,1,1] neg_lo:[1,0,0] neg_hi:[1,0,0]
	s_waitcnt vmcnt(8)
	v_pk_fma_f32 v[164:165], v[238:239], v[236:237], v[164:165] op_sel_hi:[0,1,1] neg_lo:[1,0,0] neg_hi:[1,0,0]
.LBB115_296:
	s_or_b64 exec, exec, s[2:3]
	v_cmp_eq_u32_e32 vcc, 54, v175
	s_waitcnt lgkmcnt(0)
	s_barrier
	s_and_saveexec_b64 s[2:3], vcc
	s_cbranch_execz .LBB115_299
; %bb.297:
	s_waitcnt vmcnt(8)
	v_pk_mov_b32 v[234:235], v[116:117], v[164:165] op_sel:[1,0]
	ds_write_b32 v177, v116
	ds_write2_b32 v179, v234, v235 offset0:55 offset1:56
	ds_write_b32 v179, v165 offset:228
	ds_read_b32 v233, v177
	s_waitcnt lgkmcnt(0)
	v_cmp_neq_f32_e32 vcc, 0, v233
	s_and_b64 exec, exec, vcc
	s_cbranch_execz .LBB115_299
; %bb.298:
	v_div_scale_f32 v234, s[4:5], v233, v233, 1.0
	v_rcp_f32_e32 v235, v234
	v_div_scale_f32 v236, vcc, 1.0, v233, 1.0
	v_fma_f32 v237, -v234, v235, 1.0
	v_fmac_f32_e32 v235, v237, v235
	v_mul_f32_e32 v237, v236, v235
	v_fma_f32 v238, -v234, v237, v236
	v_fmac_f32_e32 v237, v238, v235
	v_fma_f32 v234, -v234, v237, v236
	v_div_fmas_f32 v234, v234, v235, v237
	v_div_fixup_f32 v233, v234, v233, 1.0
	ds_write_b32 v177, v233
.LBB115_299:
	s_or_b64 exec, exec, s[2:3]
	s_waitcnt lgkmcnt(0)
	s_barrier
	ds_read_b32 v233, v177
	v_cmp_lt_u32_e32 vcc, 54, v175
	s_and_saveexec_b64 s[2:3], vcc
	s_cbranch_execz .LBB115_301
; %bb.300:
	ds_read_b32 v236, v179 offset:220
	ds_read_b64 v[234:235], v179 offset:224
	s_waitcnt vmcnt(11) lgkmcnt(2)
	v_mul_f32_e32 v116, v233, v116
	s_waitcnt vmcnt(10) lgkmcnt(1)
	v_fma_f32 v117, -v116, v236, v117
	s_waitcnt vmcnt(8) lgkmcnt(0)
	v_pk_fma_f32 v[164:165], v[116:117], v[234:235], v[164:165] op_sel_hi:[0,1,1] neg_lo:[1,0,0] neg_hi:[1,0,0]
.LBB115_301:
	s_or_b64 exec, exec, s[2:3]
	v_cmp_ne_u32_e32 vcc, 55, v175
	s_waitcnt lgkmcnt(0)
	s_barrier
	s_and_saveexec_b64 s[2:3], vcc
	s_xor_b64 s[2:3], exec, s[2:3]
	s_andn2_saveexec_b64 s[2:3], s[2:3]
	s_cbranch_execz .LBB115_305
; %bb.302:
	s_waitcnt vmcnt(10)
	ds_write_b32 v177, v117
	s_waitcnt vmcnt(8)
	ds_write_b64 v179, v[164:165] offset:224
	ds_read_b32 v234, v177
	s_waitcnt lgkmcnt(0)
	v_cmp_neq_f32_e32 vcc, 0, v234
	s_and_saveexec_b64 s[4:5], vcc
	s_cbranch_execz .LBB115_304
; %bb.303:
	v_div_scale_f32 v235, s[10:11], v234, v234, 1.0
	v_rcp_f32_e32 v236, v235
	v_div_scale_f32 v237, vcc, 1.0, v234, 1.0
	v_fma_f32 v238, -v235, v236, 1.0
	v_fmac_f32_e32 v236, v238, v236
	v_mul_f32_e32 v238, v237, v236
	v_fma_f32 v239, -v235, v238, v237
	v_fmac_f32_e32 v238, v239, v236
	v_fma_f32 v235, -v235, v238, v237
	v_div_fmas_f32 v235, v235, v236, v238
	v_div_fixup_f32 v234, v235, v234, 1.0
	ds_write_b32 v177, v234
.LBB115_304:
	s_or_b64 exec, exec, s[4:5]
.LBB115_305:
	s_or_b64 exec, exec, s[2:3]
	s_waitcnt lgkmcnt(0)
	s_barrier
	ds_read_b32 v234, v177
	v_cmp_lt_u32_e32 vcc, 55, v175
	s_and_saveexec_b64 s[2:3], vcc
	s_cbranch_execz .LBB115_307
; %bb.306:
	ds_read_b64 v[236:237], v179 offset:224
	s_waitcnt vmcnt(10) lgkmcnt(1)
	v_mul_f32_e32 v238, v234, v117
	v_mov_b32_e32 v117, v238
	s_waitcnt vmcnt(8) lgkmcnt(0)
	v_pk_fma_f32 v[164:165], v[238:239], v[236:237], v[164:165] op_sel_hi:[0,1,1] neg_lo:[1,0,0] neg_hi:[1,0,0]
.LBB115_307:
	s_or_b64 exec, exec, s[2:3]
	v_cmp_eq_u32_e32 vcc, 56, v175
	s_waitcnt lgkmcnt(0)
	s_barrier
	s_and_saveexec_b64 s[2:3], vcc
	s_cbranch_execz .LBB115_310
; %bb.308:
	s_waitcnt vmcnt(9)
	ds_write_b32 v177, v164
	s_waitcnt vmcnt(8)
	ds_write_b32 v179, v165 offset:228
	ds_read_b32 v235, v177
	s_waitcnt lgkmcnt(0)
	v_cmp_neq_f32_e32 vcc, 0, v235
	s_and_b64 exec, exec, vcc
	s_cbranch_execz .LBB115_310
; %bb.309:
	v_div_scale_f32 v236, s[4:5], v235, v235, 1.0
	v_rcp_f32_e32 v237, v236
	v_div_scale_f32 v238, vcc, 1.0, v235, 1.0
	v_fma_f32 v239, -v236, v237, 1.0
	v_fmac_f32_e32 v237, v239, v237
	v_mul_f32_e32 v239, v238, v237
	v_fma_f32 v240, -v236, v239, v238
	v_fmac_f32_e32 v239, v240, v237
	v_fma_f32 v236, -v236, v239, v238
	v_div_fmas_f32 v236, v236, v237, v239
	v_div_fixup_f32 v235, v236, v235, 1.0
	ds_write_b32 v177, v235
.LBB115_310:
	s_or_b64 exec, exec, s[2:3]
	s_waitcnt lgkmcnt(0)
	s_barrier
	ds_read_b32 v235, v177
	v_cmp_lt_u32_e32 vcc, 56, v175
	s_and_saveexec_b64 s[2:3], vcc
	s_cbranch_execz .LBB115_312
; %bb.311:
	ds_read_b32 v179, v179 offset:228
	s_waitcnt vmcnt(9) lgkmcnt(1)
	v_mul_f32_e32 v164, v235, v164
	s_waitcnt vmcnt(8) lgkmcnt(0)
	v_fma_f32 v165, -v164, v179, v165
.LBB115_312:
	s_or_b64 exec, exec, s[2:3]
	v_cmp_ne_u32_e32 vcc, 57, v175
	s_waitcnt lgkmcnt(0)
	s_barrier
	s_and_saveexec_b64 s[2:3], vcc
	s_xor_b64 s[2:3], exec, s[2:3]
	s_andn2_saveexec_b64 s[2:3], s[2:3]
	s_cbranch_execz .LBB115_316
; %bb.313:
	s_waitcnt vmcnt(8)
	v_cmp_neq_f32_e32 vcc, 0, v165
	ds_write_b32 v177, v165
	s_and_saveexec_b64 s[4:5], vcc
	s_cbranch_execz .LBB115_315
; %bb.314:
	v_div_scale_f32 v179, s[10:11], v165, v165, 1.0
	v_rcp_f32_e32 v236, v179
	v_div_scale_f32 v237, vcc, 1.0, v165, 1.0
	v_fma_f32 v238, -v179, v236, 1.0
	v_fmac_f32_e32 v236, v238, v236
	v_mul_f32_e32 v238, v237, v236
	v_fma_f32 v239, -v179, v238, v237
	v_fmac_f32_e32 v238, v239, v236
	v_fma_f32 v179, -v179, v238, v237
	v_div_fmas_f32 v179, v179, v236, v238
	v_div_fixup_f32 v179, v179, v165, 1.0
	ds_write_b32 v177, v179
.LBB115_315:
	s_or_b64 exec, exec, s[4:5]
.LBB115_316:
	s_or_b64 exec, exec, s[2:3]
	s_waitcnt lgkmcnt(0)
	s_barrier
	ds_read_b32 v177, v177
	s_waitcnt lgkmcnt(0)
	s_barrier
	s_and_saveexec_b64 s[2:3], s[0:1]
	s_cbranch_execz .LBB115_319
; %bb.317:
	v_cmp_eq_f32_e32 vcc, 0, v178
	v_cmp_neq_f32_e64 s[0:1], 0, v180
	v_mov_b32_e32 v179, s7
	v_cndmask_b32_e64 v178, 0, 1, vcc
	s_or_b64 vcc, s[0:1], vcc
	v_cndmask_b32_e32 v178, 2, v178, vcc
	v_cmp_eq_f32_e32 vcc, 0, v181
	v_cmp_eq_u32_e64 s[0:1], 0, v178
	s_and_b64 s[0:1], vcc, s[0:1]
	v_cmp_eq_f32_e32 vcc, 0, v182
	v_cndmask_b32_e64 v178, v178, 3, s[0:1]
	v_cmp_eq_u32_e64 s[0:1], 0, v178
	s_and_b64 s[0:1], vcc, s[0:1]
	v_cmp_eq_f32_e32 vcc, 0, v183
	v_cndmask_b32_e64 v178, v178, 4, s[0:1]
	;; [unrolled: 4-line block ×36, first 2 shown]
	v_mov_b32_e32 v178, s6
	v_lshl_add_u64 v[24:25], v[24:25], 2, v[178:179]
	global_load_dword v179, v[24:25], off
	v_cmp_eq_u32_e64 s[0:1], 0, v180
	s_and_b64 s[0:1], vcc, s[0:1]
	v_cmp_eq_f32_e32 vcc, 0, v218
	v_cndmask_b32_e64 v178, v180, 39, s[0:1]
	v_cmp_eq_u32_e64 s[0:1], 0, v178
	s_and_b64 s[0:1], vcc, s[0:1]
	v_cmp_eq_f32_e32 vcc, 0, v219
	v_cndmask_b32_e64 v178, v178, 40, s[0:1]
	;; [unrolled: 4-line block ×19, first 2 shown]
	v_cmp_eq_u32_e64 s[0:1], 0, v178
	s_and_b64 s[0:1], vcc, s[0:1]
	s_waitcnt vmcnt(0)
	v_cmp_eq_u32_e32 vcc, 0, v179
	v_cndmask_b32_e64 v178, v178, 58, s[0:1]
	v_cmp_ne_u32_e64 s[0:1], 0, v178
	s_and_b64 s[0:1], vcc, s[0:1]
	s_and_b64 exec, exec, s[0:1]
	s_cbranch_execz .LBB115_319
; %bb.318:
	v_add_u32_e32 v178, s9, v178
	global_store_dword v[24:25], v178, off
.LBB115_319:
	s_or_b64 exec, exec, s[2:3]
	s_waitcnt vmcnt(8)
	v_mul_f32_e32 v24, v177, v165
	v_cmp_lt_u32_e32 vcc, 57, v175
	s_nop 1
	v_cndmask_b32_e32 v24, v165, v24, vcc
	s_waitcnt vmcnt(1)
	global_store_dword v[0:1], v174, off
	s_waitcnt vmcnt(1)
	global_store_dword v[172:173], v176, off
	global_store_dword v[2:3], v168, off
	global_store_dword v[4:5], v169, off
	global_store_dword v[6:7], v170, off
	global_store_dword v[8:9], v171, off
	global_store_dword v[10:11], v166, off
	global_store_dword v[12:13], v167, off
	global_store_dword v[14:15], v162, off
	global_store_dword v[16:17], v163, off
	global_store_dword v[18:19], v138, off
	global_store_dword v[20:21], v139, off
	global_store_dword v[22:23], v160, off
	global_store_dword v[26:27], v161, off
	global_store_dword v[28:29], v136, off
	global_store_dword v[30:31], v137, off
	global_store_dword v[32:33], v158, off
	global_store_dword v[34:35], v159, off
	global_store_dword v[36:37], v134, off
	global_store_dword v[38:39], v135, off
	global_store_dword v[40:41], v156, off
	global_store_dword v[42:43], v157, off
	global_store_dword v[44:45], v132, off
	global_store_dword v[46:47], v133, off
	global_store_dword v[48:49], v154, off
	global_store_dword v[50:51], v155, off
	global_store_dword v[52:53], v130, off
	global_store_dword v[54:55], v131, off
	global_store_dword v[56:57], v152, off
	global_store_dword v[58:59], v153, off
	global_store_dword v[60:61], v128, off
	global_store_dword v[62:63], v129, off
	global_store_dword v[64:65], v150, off
	global_store_dword v[66:67], v151, off
	global_store_dword v[68:69], v126, off
	global_store_dword v[70:71], v127, off
	global_store_dword v[72:73], v148, off
	global_store_dword v[74:75], v149, off
	global_store_dword v[76:77], v124, off
	global_store_dword v[78:79], v125, off
	global_store_dword v[80:81], v146, off
	global_store_dword v[82:83], v147, off
	global_store_dword v[84:85], v122, off
	global_store_dword v[86:87], v123, off
	global_store_dword v[88:89], v144, off
	global_store_dword v[90:91], v145, off
	global_store_dword v[92:93], v120, off
	global_store_dword v[94:95], v121, off
	global_store_dword v[96:97], v142, off
	global_store_dword v[98:99], v143, off
	global_store_dword v[100:101], v118, off
	global_store_dword v[102:103], v119, off
	global_store_dword v[104:105], v140, off
	global_store_dword v[106:107], v141, off
	global_store_dword v[108:109], v116, off
	global_store_dword v[110:111], v117, off
	global_store_dword v[112:113], v164, off
	global_store_dword v[114:115], v24, off
.LBB115_320:
	s_endpgm
	.section	.rodata,"a",@progbits
	.p2align	6, 0x0
	.amdhsa_kernel _ZN9rocsolver6v33100L23getf2_npvt_small_kernelILi58EfiiPfEEvT1_T3_lS3_lPT2_S3_S3_
		.amdhsa_group_segment_fixed_size 0
		.amdhsa_private_segment_fixed_size 0
		.amdhsa_kernarg_size 312
		.amdhsa_user_sgpr_count 2
		.amdhsa_user_sgpr_dispatch_ptr 0
		.amdhsa_user_sgpr_queue_ptr 0
		.amdhsa_user_sgpr_kernarg_segment_ptr 1
		.amdhsa_user_sgpr_dispatch_id 0
		.amdhsa_user_sgpr_kernarg_preload_length 0
		.amdhsa_user_sgpr_kernarg_preload_offset 0
		.amdhsa_user_sgpr_private_segment_size 0
		.amdhsa_uses_dynamic_stack 0
		.amdhsa_enable_private_segment 0
		.amdhsa_system_sgpr_workgroup_id_x 1
		.amdhsa_system_sgpr_workgroup_id_y 1
		.amdhsa_system_sgpr_workgroup_id_z 0
		.amdhsa_system_sgpr_workgroup_info 0
		.amdhsa_system_vgpr_workitem_id 1
		.amdhsa_next_free_vgpr 241
		.amdhsa_next_free_sgpr 16
		.amdhsa_accum_offset 244
		.amdhsa_reserve_vcc 1
		.amdhsa_float_round_mode_32 0
		.amdhsa_float_round_mode_16_64 0
		.amdhsa_float_denorm_mode_32 3
		.amdhsa_float_denorm_mode_16_64 3
		.amdhsa_dx10_clamp 1
		.amdhsa_ieee_mode 1
		.amdhsa_fp16_overflow 0
		.amdhsa_tg_split 0
		.amdhsa_exception_fp_ieee_invalid_op 0
		.amdhsa_exception_fp_denorm_src 0
		.amdhsa_exception_fp_ieee_div_zero 0
		.amdhsa_exception_fp_ieee_overflow 0
		.amdhsa_exception_fp_ieee_underflow 0
		.amdhsa_exception_fp_ieee_inexact 0
		.amdhsa_exception_int_div_zero 0
	.end_amdhsa_kernel
	.section	.text._ZN9rocsolver6v33100L23getf2_npvt_small_kernelILi58EfiiPfEEvT1_T3_lS3_lPT2_S3_S3_,"axG",@progbits,_ZN9rocsolver6v33100L23getf2_npvt_small_kernelILi58EfiiPfEEvT1_T3_lS3_lPT2_S3_S3_,comdat
.Lfunc_end115:
	.size	_ZN9rocsolver6v33100L23getf2_npvt_small_kernelILi58EfiiPfEEvT1_T3_lS3_lPT2_S3_S3_, .Lfunc_end115-_ZN9rocsolver6v33100L23getf2_npvt_small_kernelILi58EfiiPfEEvT1_T3_lS3_lPT2_S3_S3_
                                        ; -- End function
	.set _ZN9rocsolver6v33100L23getf2_npvt_small_kernelILi58EfiiPfEEvT1_T3_lS3_lPT2_S3_S3_.num_vgpr, 241
	.set _ZN9rocsolver6v33100L23getf2_npvt_small_kernelILi58EfiiPfEEvT1_T3_lS3_lPT2_S3_S3_.num_agpr, 0
	.set _ZN9rocsolver6v33100L23getf2_npvt_small_kernelILi58EfiiPfEEvT1_T3_lS3_lPT2_S3_S3_.numbered_sgpr, 16
	.set _ZN9rocsolver6v33100L23getf2_npvt_small_kernelILi58EfiiPfEEvT1_T3_lS3_lPT2_S3_S3_.num_named_barrier, 0
	.set _ZN9rocsolver6v33100L23getf2_npvt_small_kernelILi58EfiiPfEEvT1_T3_lS3_lPT2_S3_S3_.private_seg_size, 0
	.set _ZN9rocsolver6v33100L23getf2_npvt_small_kernelILi58EfiiPfEEvT1_T3_lS3_lPT2_S3_S3_.uses_vcc, 1
	.set _ZN9rocsolver6v33100L23getf2_npvt_small_kernelILi58EfiiPfEEvT1_T3_lS3_lPT2_S3_S3_.uses_flat_scratch, 0
	.set _ZN9rocsolver6v33100L23getf2_npvt_small_kernelILi58EfiiPfEEvT1_T3_lS3_lPT2_S3_S3_.has_dyn_sized_stack, 0
	.set _ZN9rocsolver6v33100L23getf2_npvt_small_kernelILi58EfiiPfEEvT1_T3_lS3_lPT2_S3_S3_.has_recursion, 0
	.set _ZN9rocsolver6v33100L23getf2_npvt_small_kernelILi58EfiiPfEEvT1_T3_lS3_lPT2_S3_S3_.has_indirect_call, 0
	.section	.AMDGPU.csdata,"",@progbits
; Kernel info:
; codeLenInByte = 39792
; TotalNumSgprs: 22
; NumVgprs: 241
; NumAgprs: 0
; TotalNumVgprs: 241
; ScratchSize: 0
; MemoryBound: 0
; FloatMode: 240
; IeeeMode: 1
; LDSByteSize: 0 bytes/workgroup (compile time only)
; SGPRBlocks: 2
; VGPRBlocks: 30
; NumSGPRsForWavesPerEU: 22
; NumVGPRsForWavesPerEU: 241
; AccumOffset: 244
; Occupancy: 2
; WaveLimiterHint : 0
; COMPUTE_PGM_RSRC2:SCRATCH_EN: 0
; COMPUTE_PGM_RSRC2:USER_SGPR: 2
; COMPUTE_PGM_RSRC2:TRAP_HANDLER: 0
; COMPUTE_PGM_RSRC2:TGID_X_EN: 1
; COMPUTE_PGM_RSRC2:TGID_Y_EN: 1
; COMPUTE_PGM_RSRC2:TGID_Z_EN: 0
; COMPUTE_PGM_RSRC2:TIDIG_COMP_CNT: 1
; COMPUTE_PGM_RSRC3_GFX90A:ACCUM_OFFSET: 60
; COMPUTE_PGM_RSRC3_GFX90A:TG_SPLIT: 0
	.section	.text._ZN9rocsolver6v33100L18getf2_small_kernelILi59EfiiPfEEvT1_T3_lS3_lPS3_llPT2_S3_S3_S5_l,"axG",@progbits,_ZN9rocsolver6v33100L18getf2_small_kernelILi59EfiiPfEEvT1_T3_lS3_lPS3_llPT2_S3_S3_S5_l,comdat
	.globl	_ZN9rocsolver6v33100L18getf2_small_kernelILi59EfiiPfEEvT1_T3_lS3_lPS3_llPT2_S3_S3_S5_l ; -- Begin function _ZN9rocsolver6v33100L18getf2_small_kernelILi59EfiiPfEEvT1_T3_lS3_lPS3_llPT2_S3_S3_S5_l
	.p2align	8
	.type	_ZN9rocsolver6v33100L18getf2_small_kernelILi59EfiiPfEEvT1_T3_lS3_lPS3_llPT2_S3_S3_S5_l,@function
_ZN9rocsolver6v33100L18getf2_small_kernelILi59EfiiPfEEvT1_T3_lS3_lPS3_llPT2_S3_S3_S5_l: ; @_ZN9rocsolver6v33100L18getf2_small_kernelILi59EfiiPfEEvT1_T3_lS3_lPS3_llPT2_S3_S3_S5_l
; %bb.0:
	s_load_dword s2, s[0:1], 0x6c
	s_load_dwordx2 s[18:19], s[0:1], 0x48
	v_bfe_u32 v65, v0, 10, 10
	s_waitcnt lgkmcnt(0)
	s_lshr_b32 s2, s2, 16
	s_mul_i32 s3, s3, s2
	v_add_u32_e32 v2, s3, v65
	v_cmp_gt_i32_e32 vcc, s18, v2
	s_and_saveexec_b64 s[2:3], vcc
	s_cbranch_execz .LBB116_1000
; %bb.1:
	s_load_dwordx4 s[4:7], s[0:1], 0x50
	v_ashrrev_i32_e32 v3, 31, v2
	v_mov_b64_e32 v[4:5], 0
	s_waitcnt lgkmcnt(0)
	s_cmp_eq_u64 s[4:5], 0
	s_cselect_b64 s[20:21], -1, 0
	s_and_b64 vcc, exec, s[20:21]
	s_cbranch_vccnz .LBB116_3
; %bb.2:
	v_mul_lo_u32 v1, s7, v2
	v_mul_lo_u32 v6, s6, v3
	v_mad_u64_u32 v[4:5], s[2:3], s6, v2, 0
	v_add3_u32 v5, v5, v6, v1
	v_lshl_add_u64 v[4:5], v[4:5], 2, s[4:5]
.LBB116_3:
	s_load_dwordx4 s[12:15], s[0:1], 0x8
	s_load_dwordx8 s[4:11], s[0:1], 0x20
	s_load_dword s16, s[0:1], 0x18
	s_load_dword s22, s[0:1], 0x0
	v_and_b32_e32 v70, 0x3ff, v0
	s_waitcnt lgkmcnt(0)
	v_mov_b32_e32 v6, s12
	v_mul_lo_u32 v1, s5, v2
	v_mul_lo_u32 v10, s4, v3
	v_mad_u64_u32 v[8:9], s[2:3], s4, v2, 0
	v_mov_b32_e32 v7, s13
	v_add3_u32 v9, v9, v10, v1
	s_add_i32 s18, s16, s16
	v_lshl_add_u64 v[6:7], v[8:9], 2, v[6:7]
	v_add_u32_e32 v8, s18, v70
	v_lshl_add_u64 v[6:7], s[14:15], 2, v[6:7]
	v_ashrrev_i32_e32 v9, 31, v8
	v_lshl_add_u64 v[10:11], v[8:9], 2, v[6:7]
	v_add_u32_e32 v8, s16, v8
	v_ashrrev_i32_e32 v9, 31, v8
	v_lshl_add_u64 v[12:13], v[8:9], 2, v[6:7]
	v_add_u32_e32 v8, s16, v8
	;; [unrolled: 3-line block ×3, first 2 shown]
	v_ashrrev_i32_e32 v9, 31, v8
	v_lshlrev_b32_e32 v66, 2, v70
	v_mov_b32_e32 v67, 0
	v_lshl_add_u64 v[16:17], v[8:9], 2, v[6:7]
	v_add_u32_e32 v8, s16, v8
	v_lshl_add_u64 v[58:59], v[6:7], 0, v[66:67]
	s_ashr_i32 s17, s16, 31
	v_add_u32_e32 v60, s16, v8
	v_lshl_add_u64 v[0:1], s[16:17], 2, v[58:59]
	v_ashrrev_i32_e32 v9, 31, v8
	v_add_u32_e32 v68, s16, v60
	v_lshl_add_u64 v[18:19], v[8:9], 2, v[6:7]
	global_load_dword v54, v[0:1], off
	global_load_dword v55, v[10:11], off
	;; [unrolled: 1-line block ×6, first 2 shown]
	v_add_u32_e32 v0, s16, v68
	v_ashrrev_i32_e32 v1, 31, v0
	v_lshl_add_u64 v[8:9], v[0:1], 2, v[6:7]
	v_add_u32_e32 v0, s16, v0
	v_add_u32_e32 v62, s16, v0
	;; [unrolled: 1-line block ×6, first 2 shown]
	v_ashrrev_i32_e32 v1, 31, v0
	v_add_u32_e32 v56, s16, v78
	v_lshl_add_u64 v[10:11], v[0:1], 2, v[6:7]
	v_add_u32_e32 v0, s16, v56
	v_ashrrev_i32_e32 v1, 31, v0
	global_load_dword v48, v[8:9], off
	global_load_dword v49, v[10:11], off
	v_lshl_add_u64 v[8:9], v[0:1], 2, v[6:7]
	v_add_u32_e32 v0, s16, v0
	v_ashrrev_i32_e32 v1, 31, v0
	v_lshl_add_u64 v[10:11], v[0:1], 2, v[6:7]
	v_add_u32_e32 v0, s16, v0
	v_ashrrev_i32_e32 v1, 31, v0
	;; [unrolled: 3-line block ×7, first 2 shown]
	global_load_dword v46, v[8:9], off
	global_load_dword v47, v[10:11], off
	global_load_dword v42, v[12:13], off
	global_load_dword v43, v[14:15], off
	global_load_dword v36, v[16:17], off
	global_load_dword v37, v[18:19], off
	global_load_dword v28, v[20:21], off
	v_lshl_add_u64 v[8:9], v[0:1], 2, v[6:7]
	v_add_u32_e32 v0, s16, v0
	v_ashrrev_i32_e32 v1, 31, v0
	v_lshl_add_u64 v[10:11], v[0:1], 2, v[6:7]
	v_add_u32_e32 v0, s16, v0
	v_ashrrev_i32_e32 v1, 31, v0
	v_lshl_add_u64 v[12:13], v[0:1], 2, v[6:7]
	v_add_u32_e32 v0, s16, v0
	v_ashrrev_i32_e32 v1, 31, v0
	v_lshl_add_u64 v[14:15], v[0:1], 2, v[6:7]
	v_add_u32_e32 v0, s16, v0
	v_ashrrev_i32_e32 v1, 31, v0
	v_lshl_add_u64 v[16:17], v[0:1], 2, v[6:7]
	v_add_u32_e32 v0, s16, v0
	v_ashrrev_i32_e32 v1, 31, v0
	v_lshl_add_u64 v[18:19], v[0:1], 2, v[6:7]
	v_add_u32_e32 v0, s16, v0
	v_ashrrev_i32_e32 v1, 31, v0
	v_lshl_add_u64 v[20:21], v[0:1], 2, v[6:7]
	v_add_u32_e32 v0, s16, v0
	v_ashrrev_i32_e32 v1, 31, v0
	v_lshl_add_u64 v[24:25], v[0:1], 2, v[6:7]
	v_add_u32_e32 v0, s16, v0
	v_ashrrev_i32_e32 v1, 31, v0
	global_load_dword v29, v[8:9], off
	global_load_dword v44, v[10:11], off
	global_load_dword v45, v[12:13], off
	global_load_dword v38, v[14:15], off
	global_load_dword v39, v[16:17], off
	global_load_dword v30, v[18:19], off
	global_load_dword v31, v[20:21], off
	global_load_dword v22, v[24:25], off
	v_lshl_add_u64 v[8:9], v[0:1], 2, v[6:7]
	v_add_u32_e32 v0, s16, v0
	v_ashrrev_i32_e32 v1, 31, v0
	v_lshl_add_u64 v[10:11], v[0:1], 2, v[6:7]
	v_add_u32_e32 v0, s16, v0
	v_ashrrev_i32_e32 v1, 31, v0
	v_lshl_add_u64 v[12:13], v[0:1], 2, v[6:7]
	v_add_u32_e32 v0, s16, v0
	v_ashrrev_i32_e32 v1, 31, v0
	v_lshl_add_u64 v[14:15], v[0:1], 2, v[6:7]
	v_add_u32_e32 v0, s16, v0
	v_ashrrev_i32_e32 v1, 31, v0
	v_lshl_add_u64 v[18:19], v[0:1], 2, v[6:7]
	v_add_u32_e32 v0, s16, v0
	v_ashrrev_i32_e32 v1, 31, v0
	v_lshl_add_u64 v[20:21], v[0:1], 2, v[6:7]
	v_add_u32_e32 v0, s16, v0
	v_ashrrev_i32_e32 v1, 31, v0
	v_lshl_add_u64 v[26:27], v[0:1], 2, v[6:7]
	v_add_u32_e32 v0, s16, v0
	v_ashrrev_i32_e32 v1, 31, v0
	v_lshl_add_u64 v[34:35], v[0:1], 2, v[6:7]
	v_add_u32_e32 v0, s16, v0
	v_ashrrev_i32_e32 v1, 31, v0
	global_load_dword v23, v[8:9], off
	;; [unrolled: 32-line block ×3, first 2 shown]
	global_load_dword v34, v[12:13], off
	global_load_dword v35, v[14:15], off
	;; [unrolled: 1-line block ×7, first 2 shown]
	v_lshl_add_u64 v[10:11], v[0:1], 2, v[6:7]
	v_add_u32_e32 v0, s16, v0
	v_ashrrev_i32_e32 v1, 31, v0
	global_load_dword v9, v[10:11], off
	v_lshl_add_u64 v[10:11], v[0:1], 2, v[6:7]
	v_add_u32_e32 v0, s16, v0
	v_ashrrev_i32_e32 v1, 31, v0
	v_lshl_add_u64 v[14:15], v[0:1], 2, v[6:7]
	v_add_u32_e32 v0, s16, v0
	v_ashrrev_i32_e32 v1, 31, v0
	;; [unrolled: 3-line block ×4, first 2 shown]
	global_load_dword v20, v[10:11], off
	global_load_dword v21, v[14:15], off
	;; [unrolled: 1-line block ×4, first 2 shown]
	v_lshl_add_u64 v[14:15], v[0:1], 2, v[6:7]
	v_add_u32_e32 v0, s16, v0
	v_ashrrev_i32_e32 v1, 31, v0
	v_lshl_add_u64 v[80:81], v[0:1], 2, v[6:7]
	global_load_dword v10, v[14:15], off
	global_load_dword v11, v[80:81], off
	v_add_u32_e32 v14, s16, v0
	v_ashrrev_i32_e32 v15, 31, v14
	v_lshl_add_u64 v[0:1], v[14:15], 2, v[6:7]
	v_add_u32_e32 v14, s16, v14
	v_ashrrev_i32_e32 v15, 31, v14
	v_lshl_add_u64 v[80:81], v[14:15], 2, v[6:7]
	v_add_u32_e32 v14, s16, v14
	v_ashrrev_i32_e32 v15, 31, v14
	global_load_dword v0, v[0:1], off
	v_ashrrev_i32_e32 v57, 31, v56
	global_load_dword v1, v[80:81], off
	v_lshl_add_u64 v[80:81], v[14:15], 2, v[6:7]
	v_add_u32_e32 v14, s16, v14
	v_ashrrev_i32_e32 v15, 31, v14
	v_ashrrev_i32_e32 v63, 31, v62
	v_ashrrev_i32_e32 v61, 31, v60
	v_lshl_add_u64 v[82:83], v[14:15], 2, v[6:7]
	global_load_dword v14, v[80:81], off
	global_load_dword v15, v[82:83], off
	v_lshl_add_u64 v[56:57], v[56:57], 2, v[6:7]
	v_lshl_add_u64 v[80:81], v[62:63], 2, v[6:7]
	v_ashrrev_i32_e32 v73, 31, v72
	v_ashrrev_i32_e32 v75, 31, v74
	;; [unrolled: 1-line block ×3, first 2 shown]
	v_lshl_add_u64 v[60:61], v[60:61], 2, v[6:7]
	v_ashrrev_i32_e32 v79, 31, v78
	v_ashrrev_i32_e32 v69, 31, v68
	global_load_dword v57, v[56:57], off
	v_lshl_add_u64 v[72:73], v[72:73], 2, v[6:7]
	v_lshl_add_u64 v[74:75], v[74:75], 2, v[6:7]
	;; [unrolled: 1-line block ×3, first 2 shown]
	global_load_dword v62, v[60:61], off
	global_load_dword v64, v[58:59], off
	v_lshl_add_u64 v[78:79], v[78:79], 2, v[6:7]
	v_lshl_add_u64 v[68:69], v[68:69], 2, v[6:7]
	global_load_dword v60, v[80:81], off
	global_load_dword v61, v[72:73], off
	;; [unrolled: 1-line block ×5, first 2 shown]
                                        ; kill: killed $vgpr80_vgpr81
                                        ; kill: killed $vgpr72_vgpr73
                                        ; kill: killed $vgpr74_vgpr75
                                        ; kill: killed $vgpr76_vgpr77
                                        ; kill: killed $vgpr78_vgpr79
	global_load_dword v63, v[68:69], off
	s_max_i32 s2, s22, 59
	v_mul_lo_u32 v68, s2, v65
	v_lshl_add_u32 v65, v68, 2, 0
	v_add_u32_e32 v66, v65, v66
	s_load_dwordx2 s[4:5], s[0:1], 0x40
	s_cmp_lt_i32 s22, 2
	v_lshlrev_b32_e32 v68, 2, v68
	s_waitcnt vmcnt(6)
	ds_write_b32 v66, v64
	s_waitcnt lgkmcnt(0)
	s_barrier
	ds_read_b32 v66, v65
	s_cbranch_scc1 .LBB116_6
; %bb.4:
	v_add3_u32 v69, v68, 0, 4
	v_mov_b32_e32 v67, 0
	s_mov_b32 s0, 1
.LBB116_5:                              ; =>This Inner Loop Header: Depth=1
	ds_read_b32 v71, v69
	v_mov_b32_e32 v72, s0
	s_add_i32 s0, s0, 1
	v_add_u32_e32 v69, 4, v69
	s_cmp_eq_u32 s22, s0
	s_waitcnt lgkmcnt(0)
	v_cmp_lt_f32_e64 vcc, |v66|, |v71|
	s_nop 1
	v_cndmask_b32_e32 v66, v66, v71, vcc
	v_cndmask_b32_e32 v67, v67, v72, vcc
	s_cbranch_scc0 .LBB116_5
.LBB116_6:
	v_cmp_ne_u32_e32 vcc, v70, v67
                                        ; implicit-def: $vgpr69
	s_and_saveexec_b64 s[0:1], vcc
	s_xor_b64 s[0:1], exec, s[0:1]
	s_cbranch_execz .LBB116_12
; %bb.7:
	v_cmp_eq_u32_e32 vcc, 0, v70
	s_and_saveexec_b64 s[2:3], vcc
	s_cbranch_execz .LBB116_11
; %bb.8:
	v_cmp_ne_u32_e32 vcc, 0, v67
	s_xor_b64 s[12:13], s[20:21], -1
	s_and_b64 s[14:15], s[12:13], vcc
	s_and_saveexec_b64 s[12:13], s[14:15]
	s_cbranch_execz .LBB116_10
; %bb.9:
	v_ashrrev_i32_e32 v71, 31, v67
	v_mov_b32_e32 v70, v67
	v_lshl_add_u64 v[70:71], v[70:71], 2, v[4:5]
	global_load_dword v69, v[70:71], off
	global_load_dword v72, v[4:5], off
	s_waitcnt vmcnt(1)
	global_store_dword v[4:5], v69, off
	s_waitcnt vmcnt(1)
	global_store_dword v[70:71], v72, off
.LBB116_10:
	s_or_b64 exec, exec, s[12:13]
	v_mov_b32_e32 v70, v67
.LBB116_11:
	s_or_b64 exec, exec, s[2:3]
	v_mov_b32_e32 v69, v70
                                        ; implicit-def: $vgpr70
.LBB116_12:
	s_or_saveexec_b64 s[0:1], s[0:1]
	v_mov_b32_e32 v67, v69
	s_xor_b64 exec, exec, s[0:1]
	s_cbranch_execz .LBB116_14
; %bb.13:
	v_mov_b32_e32 v69, 0
	v_mov_b32_e32 v67, v70
	ds_write2_b32 v65, v54, v55 offset0:1 offset1:2
	ds_write2_b32 v65, v52, v53 offset0:3 offset1:4
	;; [unrolled: 1-line block ×3, first 2 shown]
	s_waitcnt vmcnt(0)
	ds_write2_b32 v65, v62, v63 offset0:7 offset1:8
	ds_write2_b32 v65, v48, v49 offset0:9 offset1:10
	;; [unrolled: 1-line block ×26, first 2 shown]
.LBB116_14:
	s_or_b64 exec, exec, s[0:1]
	s_waitcnt lgkmcnt(0)
	v_cmp_eq_f32_e64 s[0:1], 0, v66
	v_cmp_lt_i32_e32 vcc, 0, v69
	s_barrier
	s_and_saveexec_b64 s[2:3], vcc
	s_cbranch_execz .LBB116_16
; %bb.15:
	v_div_scale_f32 v70, s[12:13], v66, v66, 1.0
	v_rcp_f32_e32 v71, v70
	v_div_scale_f32 v72, vcc, 1.0, v66, 1.0
	v_fma_f32 v73, -v70, v71, 1.0
	v_fmac_f32_e32 v71, v73, v71
	v_mul_f32_e32 v73, v72, v71
	v_fma_f32 v74, -v70, v73, v72
	v_fmac_f32_e32 v73, v74, v71
	v_fma_f32 v70, -v70, v73, v72
	v_div_fmas_f32 v70, v70, v71, v73
	v_div_fixup_f32 v70, v70, v66, 1.0
	v_cndmask_b32_e64 v66, v70, v66, s[0:1]
	ds_read2_b32 v[70:71], v65 offset0:1 offset1:2
	ds_read2_b32 v[72:73], v65 offset0:3 offset1:4
	ds_read2_b32 v[74:75], v65 offset0:5 offset1:6
	v_mul_f32_e32 v64, v66, v64
	ds_read2_b32 v[76:77], v65 offset0:7 offset1:8
	s_waitcnt lgkmcnt(3)
	v_pk_fma_f32 v[54:55], v[64:65], v[70:71], v[54:55] op_sel_hi:[0,1,1] neg_lo:[1,0,0] neg_hi:[1,0,0]
	s_waitcnt lgkmcnt(2)
	v_pk_fma_f32 v[52:53], v[64:65], v[72:73], v[52:53] op_sel_hi:[0,1,1] neg_lo:[1,0,0] neg_hi:[1,0,0]
	;; [unrolled: 2-line block ×3, first 2 shown]
	ds_read2_b32 v[70:71], v65 offset0:9 offset1:10
	ds_read2_b32 v[72:73], v65 offset0:11 offset1:12
	;; [unrolled: 1-line block ×3, first 2 shown]
	s_waitcnt vmcnt(0) lgkmcnt(3)
	v_pk_fma_f32 v[62:63], v[64:65], v[76:77], v[62:63] op_sel_hi:[0,1,1] neg_lo:[1,0,0] neg_hi:[1,0,0]
	ds_read2_b32 v[76:77], v65 offset0:15 offset1:16
	s_waitcnt lgkmcnt(3)
	v_pk_fma_f32 v[48:49], v[64:65], v[70:71], v[48:49] op_sel_hi:[0,1,1] neg_lo:[1,0,0] neg_hi:[1,0,0]
	s_waitcnt lgkmcnt(2)
	v_pk_fma_f32 v[60:61], v[64:65], v[72:73], v[60:61] op_sel_hi:[0,1,1] neg_lo:[1,0,0] neg_hi:[1,0,0]
	s_waitcnt lgkmcnt(1)
	v_pk_fma_f32 v[58:59], v[64:65], v[74:75], v[58:59] op_sel_hi:[0,1,1] neg_lo:[1,0,0] neg_hi:[1,0,0]
	ds_read2_b32 v[70:71], v65 offset0:17 offset1:18
	ds_read2_b32 v[72:73], v65 offset0:19 offset1:20
	ds_read2_b32 v[74:75], v65 offset0:21 offset1:22
	s_waitcnt lgkmcnt(3)
	v_pk_fma_f32 v[56:57], v[64:65], v[76:77], v[56:57] op_sel_hi:[0,1,1] neg_lo:[1,0,0] neg_hi:[1,0,0]
	ds_read2_b32 v[76:77], v65 offset0:23 offset1:24
	s_waitcnt lgkmcnt(3)
	v_pk_fma_f32 v[46:47], v[64:65], v[70:71], v[46:47] op_sel_hi:[0,1,1] neg_lo:[1,0,0] neg_hi:[1,0,0]
	s_waitcnt lgkmcnt(2)
	v_pk_fma_f32 v[42:43], v[64:65], v[72:73], v[42:43] op_sel_hi:[0,1,1] neg_lo:[1,0,0] neg_hi:[1,0,0]
	s_waitcnt lgkmcnt(1)
	v_pk_fma_f32 v[36:37], v[64:65], v[74:75], v[36:37] op_sel_hi:[0,1,1] neg_lo:[1,0,0] neg_hi:[1,0,0]
	ds_read2_b32 v[70:71], v65 offset0:25 offset1:26
	ds_read2_b32 v[72:73], v65 offset0:27 offset1:28
	ds_read2_b32 v[74:75], v65 offset0:29 offset1:30
	s_waitcnt lgkmcnt(3)
	;; [unrolled: 12-line block ×3, first 2 shown]
	v_pk_fma_f32 v[22:23], v[64:65], v[76:77], v[22:23] op_sel_hi:[0,1,1] neg_lo:[1,0,0] neg_hi:[1,0,0]
	ds_read2_b32 v[76:77], v65 offset0:39 offset1:40
	s_waitcnt lgkmcnt(3)
	v_pk_fma_f32 v[40:41], v[64:65], v[70:71], v[40:41] op_sel_hi:[0,1,1] neg_lo:[1,0,0] neg_hi:[1,0,0]
	s_waitcnt lgkmcnt(2)
	v_pk_fma_f32 v[32:33], v[64:65], v[72:73], v[32:33] op_sel_hi:[0,1,1] neg_lo:[1,0,0] neg_hi:[1,0,0]
	;; [unrolled: 2-line block ×3, first 2 shown]
	ds_read2_b32 v[70:71], v65 offset0:41 offset1:42
	ds_read2_b32 v[72:73], v65 offset0:43 offset1:44
	;; [unrolled: 1-line block ×4, first 2 shown]
	s_waitcnt lgkmcnt(4)
	v_pk_fma_f32 v[16:17], v[64:65], v[76:77], v[16:17] op_sel_hi:[0,1,1] neg_lo:[1,0,0] neg_hi:[1,0,0]
	s_waitcnt lgkmcnt(3)
	v_pk_fma_f32 v[34:35], v[64:65], v[70:71], v[34:35] op_sel_hi:[0,1,1] neg_lo:[1,0,0] neg_hi:[1,0,0]
	;; [unrolled: 2-line block ×5, first 2 shown]
	ds_read2_b32 v[70:71], v65 offset0:49 offset1:50
	ds_read2_b32 v[72:73], v65 offset0:51 offset1:52
	;; [unrolled: 1-line block ×5, first 2 shown]
	s_waitcnt lgkmcnt(4)
	v_pk_fma_f32 v[20:21], v[64:65], v[70:71], v[20:21] op_sel_hi:[0,1,1] neg_lo:[1,0,0] neg_hi:[1,0,0]
	s_waitcnt lgkmcnt(3)
	v_pk_fma_f32 v[12:13], v[64:65], v[72:73], v[12:13] op_sel_hi:[0,1,1] neg_lo:[1,0,0] neg_hi:[1,0,0]
	;; [unrolled: 2-line block ×5, first 2 shown]
.LBB116_16:
	s_or_b64 exec, exec, s[2:3]
	v_lshl_add_u32 v66, v69, 2, v65
	s_barrier
	ds_write_b32 v66, v54
	s_waitcnt lgkmcnt(0)
	s_barrier
	ds_read_b32 v70, v65 offset:4
	s_mov_b32 s2, 2
	s_cmp_lt_i32 s22, 3
	v_mov_b32_e32 v66, 1
	s_cbranch_scc1 .LBB116_19
; %bb.17:
	v_add3_u32 v71, v68, 0, 8
	v_mov_b32_e32 v66, 1
.LBB116_18:                             ; =>This Inner Loop Header: Depth=1
	ds_read_b32 v72, v71
	v_mov_b32_e32 v73, s2
	s_add_i32 s2, s2, 1
	v_add_u32_e32 v71, 4, v71
	s_cmp_lg_u32 s22, s2
	s_waitcnt lgkmcnt(0)
	v_cmp_lt_f32_e64 vcc, |v70|, |v72|
	s_nop 1
	v_cndmask_b32_e32 v70, v70, v72, vcc
	v_cndmask_b32_e32 v66, v66, v73, vcc
	s_cbranch_scc1 .LBB116_18
.LBB116_19:
	v_cmp_ne_u32_e32 vcc, v69, v66
	s_and_saveexec_b64 s[2:3], vcc
	s_xor_b64 s[2:3], exec, s[2:3]
	s_cbranch_execz .LBB116_25
; %bb.20:
	v_cmp_eq_u32_e32 vcc, 1, v69
	s_and_saveexec_b64 s[12:13], vcc
	s_cbranch_execz .LBB116_24
; %bb.21:
	v_cmp_ne_u32_e32 vcc, 1, v66
	s_xor_b64 s[14:15], s[20:21], -1
	s_and_b64 s[24:25], s[14:15], vcc
	s_and_saveexec_b64 s[14:15], s[24:25]
	s_cbranch_execz .LBB116_23
; %bb.22:
	v_ashrrev_i32_e32 v67, 31, v66
	v_lshl_add_u64 v[72:73], v[66:67], 2, v[4:5]
	global_load_dword v67, v[72:73], off
	global_load_dword v69, v[4:5], off offset:4
	s_waitcnt vmcnt(1)
	global_store_dword v[4:5], v67, off offset:4
	s_waitcnt vmcnt(1)
	global_store_dword v[72:73], v69, off
.LBB116_23:
	s_or_b64 exec, exec, s[14:15]
	v_mov_b32_e32 v67, v66
	v_mov_b32_e32 v69, v66
.LBB116_24:
	s_or_b64 exec, exec, s[12:13]
.LBB116_25:
	s_andn2_saveexec_b64 s[2:3], s[2:3]
	s_cbranch_execz .LBB116_27
; %bb.26:
	v_pk_mov_b32 v[72:73], v[54:55], v[52:53] op_sel:[1,0]
	ds_write2_b32 v65, v72, v73 offset0:2 offset1:3
	v_pk_mov_b32 v[72:73], v[52:53], v[50:51] op_sel:[1,0]
	ds_write2_b32 v65, v72, v73 offset0:4 offset1:5
	s_waitcnt vmcnt(0)
	v_pk_mov_b32 v[72:73], v[50:51], v[62:63] op_sel:[1,0]
	ds_write2_b32 v65, v72, v73 offset0:6 offset1:7
	v_pk_mov_b32 v[72:73], v[62:63], v[48:49] op_sel:[1,0]
	ds_write2_b32 v65, v72, v73 offset0:8 offset1:9
	;; [unrolled: 2-line block ×25, first 2 shown]
	v_pk_mov_b32 v[72:73], v[0:1], v[14:15] op_sel:[1,0]
	v_mov_b32_e32 v69, 1
	ds_write2_b32 v65, v72, v73 offset0:56 offset1:57
	ds_write_b32 v65, v15 offset:232
.LBB116_27:
	s_or_b64 exec, exec, s[2:3]
	s_waitcnt lgkmcnt(0)
	v_cmp_neq_f32_e64 s[2:3], 0, v70
	v_cmp_lt_i32_e32 vcc, 1, v69
	s_barrier
	s_and_saveexec_b64 s[12:13], vcc
	s_cbranch_execz .LBB116_29
; %bb.28:
	v_div_scale_f32 v66, s[14:15], v70, v70, 1.0
	v_rcp_f32_e32 v71, v66
	v_div_scale_f32 v72, vcc, 1.0, v70, 1.0
	v_fma_f32 v73, -v66, v71, 1.0
	v_fmac_f32_e32 v71, v73, v71
	v_mul_f32_e32 v73, v72, v71
	v_fma_f32 v74, -v66, v73, v72
	v_fmac_f32_e32 v73, v74, v71
	v_fma_f32 v66, -v66, v73, v72
	v_div_fmas_f32 v66, v66, v71, v73
	v_div_fixup_f32 v66, v66, v70, 1.0
	v_cndmask_b32_e64 v66, v70, v66, s[2:3]
	ds_read_b32 v76, v65 offset:8
	ds_read2_b32 v[70:71], v65 offset0:3 offset1:4
	ds_read2_b32 v[72:73], v65 offset0:5 offset1:6
	v_mul_f32_e32 v54, v66, v54
	ds_read2_b32 v[74:75], v65 offset0:7 offset1:8
	s_waitcnt lgkmcnt(3)
	v_fma_f32 v55, -v54, v76, v55
	s_waitcnt lgkmcnt(2)
	v_pk_fma_f32 v[52:53], v[54:55], v[70:71], v[52:53] op_sel_hi:[0,1,1] neg_lo:[1,0,0] neg_hi:[1,0,0]
	s_waitcnt lgkmcnt(1)
	v_pk_fma_f32 v[50:51], v[54:55], v[72:73], v[50:51] op_sel_hi:[0,1,1] neg_lo:[1,0,0] neg_hi:[1,0,0]
	ds_read2_b32 v[70:71], v65 offset0:9 offset1:10
	ds_read2_b32 v[72:73], v65 offset0:11 offset1:12
	;; [unrolled: 1-line block ×3, first 2 shown]
	s_waitcnt vmcnt(0) lgkmcnt(3)
	v_pk_fma_f32 v[62:63], v[54:55], v[74:75], v[62:63] op_sel_hi:[0,1,1] neg_lo:[1,0,0] neg_hi:[1,0,0]
	ds_read2_b32 v[74:75], v65 offset0:15 offset1:16
	s_waitcnt lgkmcnt(3)
	v_pk_fma_f32 v[48:49], v[54:55], v[70:71], v[48:49] op_sel_hi:[0,1,1] neg_lo:[1,0,0] neg_hi:[1,0,0]
	s_waitcnt lgkmcnt(2)
	v_pk_fma_f32 v[60:61], v[54:55], v[72:73], v[60:61] op_sel_hi:[0,1,1] neg_lo:[1,0,0] neg_hi:[1,0,0]
	s_waitcnt lgkmcnt(1)
	v_pk_fma_f32 v[58:59], v[54:55], v[76:77], v[58:59] op_sel_hi:[0,1,1] neg_lo:[1,0,0] neg_hi:[1,0,0]
	ds_read2_b32 v[70:71], v65 offset0:17 offset1:18
	ds_read2_b32 v[72:73], v65 offset0:19 offset1:20
	ds_read2_b32 v[76:77], v65 offset0:21 offset1:22
	s_waitcnt lgkmcnt(3)
	v_pk_fma_f32 v[56:57], v[54:55], v[74:75], v[56:57] op_sel_hi:[0,1,1] neg_lo:[1,0,0] neg_hi:[1,0,0]
	ds_read2_b32 v[74:75], v65 offset0:23 offset1:24
	s_waitcnt lgkmcnt(3)
	v_pk_fma_f32 v[46:47], v[54:55], v[70:71], v[46:47] op_sel_hi:[0,1,1] neg_lo:[1,0,0] neg_hi:[1,0,0]
	s_waitcnt lgkmcnt(2)
	v_pk_fma_f32 v[42:43], v[54:55], v[72:73], v[42:43] op_sel_hi:[0,1,1] neg_lo:[1,0,0] neg_hi:[1,0,0]
	s_waitcnt lgkmcnt(1)
	v_pk_fma_f32 v[36:37], v[54:55], v[76:77], v[36:37] op_sel_hi:[0,1,1] neg_lo:[1,0,0] neg_hi:[1,0,0]
	ds_read2_b32 v[70:71], v65 offset0:25 offset1:26
	ds_read2_b32 v[72:73], v65 offset0:27 offset1:28
	ds_read2_b32 v[76:77], v65 offset0:29 offset1:30
	s_waitcnt lgkmcnt(3)
	v_pk_fma_f32 v[28:29], v[54:55], v[74:75], v[28:29] op_sel_hi:[0,1,1] neg_lo:[1,0,0] neg_hi:[1,0,0]
	ds_read2_b32 v[74:75], v65 offset0:31 offset1:32
	s_waitcnt lgkmcnt(3)
	v_pk_fma_f32 v[44:45], v[54:55], v[70:71], v[44:45] op_sel_hi:[0,1,1] neg_lo:[1,0,0] neg_hi:[1,0,0]
	s_waitcnt lgkmcnt(2)
	v_pk_fma_f32 v[38:39], v[54:55], v[72:73], v[38:39] op_sel_hi:[0,1,1] neg_lo:[1,0,0] neg_hi:[1,0,0]
	s_waitcnt lgkmcnt(1)
	v_pk_fma_f32 v[30:31], v[54:55], v[76:77], v[30:31] op_sel_hi:[0,1,1] neg_lo:[1,0,0] neg_hi:[1,0,0]
	ds_read2_b32 v[70:71], v65 offset0:33 offset1:34
	ds_read2_b32 v[72:73], v65 offset0:35 offset1:36
	ds_read2_b32 v[76:77], v65 offset0:37 offset1:38
	s_waitcnt lgkmcnt(3)
	v_pk_fma_f32 v[22:23], v[54:55], v[74:75], v[22:23] op_sel_hi:[0,1,1] neg_lo:[1,0,0] neg_hi:[1,0,0]
	ds_read2_b32 v[74:75], v65 offset0:39 offset1:40
	s_waitcnt lgkmcnt(3)
	v_pk_fma_f32 v[40:41], v[54:55], v[70:71], v[40:41] op_sel_hi:[0,1,1] neg_lo:[1,0,0] neg_hi:[1,0,0]
	s_waitcnt lgkmcnt(2)
	v_pk_fma_f32 v[32:33], v[54:55], v[72:73], v[32:33] op_sel_hi:[0,1,1] neg_lo:[1,0,0] neg_hi:[1,0,0]
	;; [unrolled: 2-line block ×3, first 2 shown]
	ds_read2_b32 v[70:71], v65 offset0:41 offset1:42
	ds_read2_b32 v[72:73], v65 offset0:43 offset1:44
	;; [unrolled: 1-line block ×4, first 2 shown]
	s_waitcnt lgkmcnt(4)
	v_pk_fma_f32 v[16:17], v[54:55], v[74:75], v[16:17] op_sel_hi:[0,1,1] neg_lo:[1,0,0] neg_hi:[1,0,0]
	s_waitcnt lgkmcnt(3)
	v_pk_fma_f32 v[34:35], v[54:55], v[70:71], v[34:35] op_sel_hi:[0,1,1] neg_lo:[1,0,0] neg_hi:[1,0,0]
	s_waitcnt lgkmcnt(2)
	v_pk_fma_f32 v[26:27], v[54:55], v[72:73], v[26:27] op_sel_hi:[0,1,1] neg_lo:[1,0,0] neg_hi:[1,0,0]
	s_waitcnt lgkmcnt(1)
	v_pk_fma_f32 v[18:19], v[54:55], v[76:77], v[18:19] op_sel_hi:[0,1,1] neg_lo:[1,0,0] neg_hi:[1,0,0]
	s_waitcnt lgkmcnt(0)
	v_pk_fma_f32 v[8:9], v[54:55], v[78:79], v[8:9] op_sel_hi:[0,1,1] neg_lo:[1,0,0] neg_hi:[1,0,0]
	ds_read2_b32 v[70:71], v65 offset0:49 offset1:50
	ds_read2_b32 v[72:73], v65 offset0:51 offset1:52
	;; [unrolled: 1-line block ×5, first 2 shown]
	s_waitcnt lgkmcnt(4)
	v_pk_fma_f32 v[20:21], v[54:55], v[70:71], v[20:21] op_sel_hi:[0,1,1] neg_lo:[1,0,0] neg_hi:[1,0,0]
	s_waitcnt lgkmcnt(3)
	v_pk_fma_f32 v[12:13], v[54:55], v[72:73], v[12:13] op_sel_hi:[0,1,1] neg_lo:[1,0,0] neg_hi:[1,0,0]
	;; [unrolled: 2-line block ×5, first 2 shown]
.LBB116_29:
	s_or_b64 exec, exec, s[12:13]
	v_lshl_add_u32 v66, v69, 2, v65
	s_barrier
	ds_write_b32 v66, v55
	s_waitcnt lgkmcnt(0)
	s_barrier
	ds_read_b32 v71, v65 offset:8
	s_cmp_lt_i32 s22, 4
	v_mov_b32_e32 v66, 2
	s_cbranch_scc1 .LBB116_32
; %bb.30:
	v_mov_b32_e32 v66, 2
	v_add3_u32 v70, v68, 0, 12
	s_mov_b32 s12, 3
.LBB116_31:                             ; =>This Inner Loop Header: Depth=1
	ds_read_b32 v72, v70
	v_mov_b32_e32 v73, s12
	s_add_i32 s12, s12, 1
	v_add_u32_e32 v70, 4, v70
	s_cmp_lg_u32 s22, s12
	s_waitcnt lgkmcnt(0)
	v_cmp_lt_f32_e64 vcc, |v71|, |v72|
	s_nop 1
	v_cndmask_b32_e32 v71, v71, v72, vcc
	v_cndmask_b32_e32 v66, v66, v73, vcc
	s_cbranch_scc1 .LBB116_31
.LBB116_32:
	v_cndmask_b32_e64 v70, 2, 1, s[0:1]
	v_cndmask_b32_e64 v72, 0, 1, s[0:1]
	;; [unrolled: 1-line block ×3, first 2 shown]
	s_waitcnt lgkmcnt(0)
	v_cmp_eq_f32_e32 vcc, 0, v71
	s_and_saveexec_b64 s[0:1], vcc
	s_xor_b64 s[0:1], exec, s[0:1]
; %bb.33:
	v_cmp_ne_u32_e32 vcc, 0, v70
	s_nop 1
	v_cndmask_b32_e32 v70, 3, v70, vcc
; %bb.34:
	s_andn2_saveexec_b64 s[0:1], s[0:1]
	s_cbranch_execz .LBB116_36
; %bb.35:
	v_div_scale_f32 v72, s[2:3], v71, v71, 1.0
	v_rcp_f32_e32 v73, v72
	v_div_scale_f32 v74, vcc, 1.0, v71, 1.0
	v_fma_f32 v75, -v72, v73, 1.0
	v_fmac_f32_e32 v73, v75, v73
	v_mul_f32_e32 v75, v74, v73
	v_fma_f32 v76, -v72, v75, v74
	v_fmac_f32_e32 v75, v76, v73
	v_fma_f32 v72, -v72, v75, v74
	v_div_fmas_f32 v72, v72, v73, v75
	v_div_fixup_f32 v71, v72, v71, 1.0
.LBB116_36:
	s_or_b64 exec, exec, s[0:1]
	v_cmp_ne_u32_e32 vcc, v69, v66
	s_and_saveexec_b64 s[0:1], vcc
	s_xor_b64 s[0:1], exec, s[0:1]
	s_cbranch_execz .LBB116_42
; %bb.37:
	v_cmp_eq_u32_e32 vcc, 2, v69
	s_and_saveexec_b64 s[2:3], vcc
	s_cbranch_execz .LBB116_41
; %bb.38:
	v_cmp_ne_u32_e32 vcc, 2, v66
	s_xor_b64 s[12:13], s[20:21], -1
	s_and_b64 s[14:15], s[12:13], vcc
	s_and_saveexec_b64 s[12:13], s[14:15]
	s_cbranch_execz .LBB116_40
; %bb.39:
	v_ashrrev_i32_e32 v67, 31, v66
	v_lshl_add_u64 v[72:73], v[66:67], 2, v[4:5]
	global_load_dword v67, v[72:73], off
	global_load_dword v69, v[4:5], off offset:8
	s_waitcnt vmcnt(1)
	global_store_dword v[4:5], v67, off offset:8
	s_waitcnt vmcnt(1)
	global_store_dword v[72:73], v69, off
.LBB116_40:
	s_or_b64 exec, exec, s[12:13]
	v_mov_b32_e32 v67, v66
	v_mov_b32_e32 v69, v66
.LBB116_41:
	s_or_b64 exec, exec, s[2:3]
.LBB116_42:
	s_andn2_saveexec_b64 s[0:1], s[0:1]
	s_cbranch_execz .LBB116_44
; %bb.43:
	v_mov_b32_e32 v69, 2
	ds_write2_b32 v65, v52, v53 offset0:3 offset1:4
	ds_write2_b32 v65, v50, v51 offset0:5 offset1:6
	s_waitcnt vmcnt(0)
	ds_write2_b32 v65, v62, v63 offset0:7 offset1:8
	ds_write2_b32 v65, v48, v49 offset0:9 offset1:10
	;; [unrolled: 1-line block ×26, first 2 shown]
.LBB116_44:
	s_or_b64 exec, exec, s[0:1]
	v_cmp_lt_i32_e32 vcc, 2, v69
	s_waitcnt lgkmcnt(0)
	s_barrier
	s_and_saveexec_b64 s[0:1], vcc
	s_cbranch_execz .LBB116_46
; %bb.45:
	ds_read2_b32 v[72:73], v65 offset0:3 offset1:4
	ds_read2_b32 v[74:75], v65 offset0:5 offset1:6
	;; [unrolled: 1-line block ×3, first 2 shown]
	v_mul_f32_e32 v66, v71, v55
	ds_read2_b32 v[78:79], v65 offset0:9 offset1:10
	s_waitcnt lgkmcnt(3)
	v_pk_fma_f32 v[52:53], v[66:67], v[72:73], v[52:53] op_sel_hi:[0,1,1] neg_lo:[1,0,0] neg_hi:[1,0,0]
	s_waitcnt lgkmcnt(2)
	v_pk_fma_f32 v[50:51], v[66:67], v[74:75], v[50:51] op_sel_hi:[0,1,1] neg_lo:[1,0,0] neg_hi:[1,0,0]
	s_waitcnt vmcnt(0) lgkmcnt(1)
	v_pk_fma_f32 v[62:63], v[66:67], v[76:77], v[62:63] op_sel_hi:[0,1,1] neg_lo:[1,0,0] neg_hi:[1,0,0]
	ds_read2_b32 v[72:73], v65 offset0:11 offset1:12
	ds_read2_b32 v[74:75], v65 offset0:13 offset1:14
	ds_read2_b32 v[76:77], v65 offset0:15 offset1:16
	s_waitcnt lgkmcnt(3)
	v_pk_fma_f32 v[48:49], v[66:67], v[78:79], v[48:49] op_sel_hi:[0,1,1] neg_lo:[1,0,0] neg_hi:[1,0,0]
	ds_read2_b32 v[78:79], v65 offset0:17 offset1:18
	s_waitcnt lgkmcnt(3)
	v_pk_fma_f32 v[60:61], v[66:67], v[72:73], v[60:61] op_sel_hi:[0,1,1] neg_lo:[1,0,0] neg_hi:[1,0,0]
	s_waitcnt lgkmcnt(2)
	v_pk_fma_f32 v[58:59], v[66:67], v[74:75], v[58:59] op_sel_hi:[0,1,1] neg_lo:[1,0,0] neg_hi:[1,0,0]
	s_waitcnt lgkmcnt(1)
	v_pk_fma_f32 v[56:57], v[66:67], v[76:77], v[56:57] op_sel_hi:[0,1,1] neg_lo:[1,0,0] neg_hi:[1,0,0]
	ds_read2_b32 v[72:73], v65 offset0:19 offset1:20
	ds_read2_b32 v[74:75], v65 offset0:21 offset1:22
	ds_read2_b32 v[76:77], v65 offset0:23 offset1:24
	s_waitcnt lgkmcnt(3)
	v_pk_fma_f32 v[46:47], v[66:67], v[78:79], v[46:47] op_sel_hi:[0,1,1] neg_lo:[1,0,0] neg_hi:[1,0,0]
	ds_read2_b32 v[78:79], v65 offset0:25 offset1:26
	s_waitcnt lgkmcnt(3)
	v_pk_fma_f32 v[42:43], v[66:67], v[72:73], v[42:43] op_sel_hi:[0,1,1] neg_lo:[1,0,0] neg_hi:[1,0,0]
	s_waitcnt lgkmcnt(2)
	v_pk_fma_f32 v[36:37], v[66:67], v[74:75], v[36:37] op_sel_hi:[0,1,1] neg_lo:[1,0,0] neg_hi:[1,0,0]
	s_waitcnt lgkmcnt(1)
	v_pk_fma_f32 v[28:29], v[66:67], v[76:77], v[28:29] op_sel_hi:[0,1,1] neg_lo:[1,0,0] neg_hi:[1,0,0]
	ds_read2_b32 v[72:73], v65 offset0:27 offset1:28
	ds_read2_b32 v[74:75], v65 offset0:29 offset1:30
	ds_read2_b32 v[76:77], v65 offset0:31 offset1:32
	s_waitcnt lgkmcnt(3)
	v_pk_fma_f32 v[44:45], v[66:67], v[78:79], v[44:45] op_sel_hi:[0,1,1] neg_lo:[1,0,0] neg_hi:[1,0,0]
	ds_read2_b32 v[78:79], v65 offset0:33 offset1:34
	s_waitcnt lgkmcnt(3)
	v_pk_fma_f32 v[38:39], v[66:67], v[72:73], v[38:39] op_sel_hi:[0,1,1] neg_lo:[1,0,0] neg_hi:[1,0,0]
	s_waitcnt lgkmcnt(2)
	v_pk_fma_f32 v[30:31], v[66:67], v[74:75], v[30:31] op_sel_hi:[0,1,1] neg_lo:[1,0,0] neg_hi:[1,0,0]
	s_waitcnt lgkmcnt(1)
	v_pk_fma_f32 v[22:23], v[66:67], v[76:77], v[22:23] op_sel_hi:[0,1,1] neg_lo:[1,0,0] neg_hi:[1,0,0]
	ds_read2_b32 v[72:73], v65 offset0:35 offset1:36
	ds_read2_b32 v[74:75], v65 offset0:37 offset1:38
	ds_read2_b32 v[76:77], v65 offset0:39 offset1:40
	s_waitcnt lgkmcnt(3)
	v_pk_fma_f32 v[40:41], v[66:67], v[78:79], v[40:41] op_sel_hi:[0,1,1] neg_lo:[1,0,0] neg_hi:[1,0,0]
	ds_read2_b32 v[78:79], v65 offset0:41 offset1:42
	s_waitcnt lgkmcnt(3)
	v_pk_fma_f32 v[32:33], v[66:67], v[72:73], v[32:33] op_sel_hi:[0,1,1] neg_lo:[1,0,0] neg_hi:[1,0,0]
	s_waitcnt lgkmcnt(2)
	v_pk_fma_f32 v[24:25], v[66:67], v[74:75], v[24:25] op_sel_hi:[0,1,1] neg_lo:[1,0,0] neg_hi:[1,0,0]
	s_waitcnt lgkmcnt(1)
	v_pk_fma_f32 v[16:17], v[66:67], v[76:77], v[16:17] op_sel_hi:[0,1,1] neg_lo:[1,0,0] neg_hi:[1,0,0]
	ds_read2_b32 v[72:73], v65 offset0:43 offset1:44
	ds_read2_b32 v[74:75], v65 offset0:45 offset1:46
	ds_read2_b32 v[76:77], v65 offset0:47 offset1:48
	s_waitcnt lgkmcnt(3)
	v_pk_fma_f32 v[34:35], v[66:67], v[78:79], v[34:35] op_sel_hi:[0,1,1] neg_lo:[1,0,0] neg_hi:[1,0,0]
	ds_read2_b32 v[78:79], v65 offset0:49 offset1:50
	s_waitcnt lgkmcnt(3)
	v_pk_fma_f32 v[26:27], v[66:67], v[72:73], v[26:27] op_sel_hi:[0,1,1] neg_lo:[1,0,0] neg_hi:[1,0,0]
	s_waitcnt lgkmcnt(2)
	v_pk_fma_f32 v[18:19], v[66:67], v[74:75], v[18:19] op_sel_hi:[0,1,1] neg_lo:[1,0,0] neg_hi:[1,0,0]
	s_waitcnt lgkmcnt(1)
	v_pk_fma_f32 v[8:9], v[66:67], v[76:77], v[8:9] op_sel_hi:[0,1,1] neg_lo:[1,0,0] neg_hi:[1,0,0]
	ds_read2_b32 v[72:73], v65 offset0:51 offset1:52
	ds_read2_b32 v[74:75], v65 offset0:53 offset1:54
	;; [unrolled: 1-line block ×4, first 2 shown]
	s_waitcnt lgkmcnt(4)
	v_pk_fma_f32 v[20:21], v[66:67], v[78:79], v[20:21] op_sel_hi:[0,1,1] neg_lo:[1,0,0] neg_hi:[1,0,0]
	s_waitcnt lgkmcnt(3)
	v_pk_fma_f32 v[12:13], v[66:67], v[72:73], v[12:13] op_sel_hi:[0,1,1] neg_lo:[1,0,0] neg_hi:[1,0,0]
	;; [unrolled: 2-line block ×5, first 2 shown]
	v_mov_b32_e32 v55, v66
.LBB116_46:
	s_or_b64 exec, exec, s[0:1]
	v_lshl_add_u32 v66, v69, 2, v65
	s_barrier
	ds_write_b32 v66, v52
	s_waitcnt lgkmcnt(0)
	s_barrier
	ds_read_b32 v71, v65 offset:12
	s_cmp_lt_i32 s22, 5
	v_mov_b32_e32 v66, 3
	s_cbranch_scc1 .LBB116_49
; %bb.47:
	v_add3_u32 v72, v68, 0, 16
	v_mov_b32_e32 v66, 3
	s_mov_b32 s0, 4
.LBB116_48:                             ; =>This Inner Loop Header: Depth=1
	ds_read_b32 v73, v72
	v_mov_b32_e32 v74, s0
	s_add_i32 s0, s0, 1
	v_add_u32_e32 v72, 4, v72
	s_cmp_lg_u32 s22, s0
	s_waitcnt lgkmcnt(0)
	v_cmp_lt_f32_e64 vcc, |v71|, |v73|
	s_nop 1
	v_cndmask_b32_e32 v71, v71, v73, vcc
	v_cndmask_b32_e32 v66, v66, v74, vcc
	s_cbranch_scc1 .LBB116_48
.LBB116_49:
	s_waitcnt lgkmcnt(0)
	v_cmp_eq_f32_e32 vcc, 0, v71
	s_and_saveexec_b64 s[0:1], vcc
	s_xor_b64 s[0:1], exec, s[0:1]
; %bb.50:
	v_cmp_ne_u32_e32 vcc, 0, v70
	s_nop 1
	v_cndmask_b32_e32 v70, 4, v70, vcc
; %bb.51:
	s_andn2_saveexec_b64 s[0:1], s[0:1]
	s_cbranch_execz .LBB116_53
; %bb.52:
	v_div_scale_f32 v72, s[2:3], v71, v71, 1.0
	v_rcp_f32_e32 v73, v72
	v_div_scale_f32 v74, vcc, 1.0, v71, 1.0
	v_fma_f32 v75, -v72, v73, 1.0
	v_fmac_f32_e32 v73, v75, v73
	v_mul_f32_e32 v75, v74, v73
	v_fma_f32 v76, -v72, v75, v74
	v_fmac_f32_e32 v75, v76, v73
	v_fma_f32 v72, -v72, v75, v74
	v_div_fmas_f32 v72, v72, v73, v75
	v_div_fixup_f32 v71, v72, v71, 1.0
.LBB116_53:
	s_or_b64 exec, exec, s[0:1]
	v_cmp_ne_u32_e32 vcc, v69, v66
	s_and_saveexec_b64 s[0:1], vcc
	s_xor_b64 s[0:1], exec, s[0:1]
	s_cbranch_execz .LBB116_59
; %bb.54:
	v_cmp_eq_u32_e32 vcc, 3, v69
	s_and_saveexec_b64 s[2:3], vcc
	s_cbranch_execz .LBB116_58
; %bb.55:
	v_cmp_ne_u32_e32 vcc, 3, v66
	s_xor_b64 s[12:13], s[20:21], -1
	s_and_b64 s[14:15], s[12:13], vcc
	s_and_saveexec_b64 s[12:13], s[14:15]
	s_cbranch_execz .LBB116_57
; %bb.56:
	v_ashrrev_i32_e32 v67, 31, v66
	v_lshl_add_u64 v[72:73], v[66:67], 2, v[4:5]
	global_load_dword v67, v[72:73], off
	global_load_dword v69, v[4:5], off offset:12
	s_waitcnt vmcnt(1)
	global_store_dword v[4:5], v67, off offset:12
	s_waitcnt vmcnt(1)
	global_store_dword v[72:73], v69, off
.LBB116_57:
	s_or_b64 exec, exec, s[12:13]
	v_mov_b32_e32 v67, v66
	v_mov_b32_e32 v69, v66
.LBB116_58:
	s_or_b64 exec, exec, s[2:3]
.LBB116_59:
	s_andn2_saveexec_b64 s[0:1], s[0:1]
	s_cbranch_execz .LBB116_61
; %bb.60:
	v_pk_mov_b32 v[72:73], v[52:53], v[50:51] op_sel:[1,0]
	ds_write2_b32 v65, v72, v73 offset0:4 offset1:5
	s_waitcnt vmcnt(0)
	v_pk_mov_b32 v[72:73], v[50:51], v[62:63] op_sel:[1,0]
	ds_write2_b32 v65, v72, v73 offset0:6 offset1:7
	v_pk_mov_b32 v[72:73], v[62:63], v[48:49] op_sel:[1,0]
	ds_write2_b32 v65, v72, v73 offset0:8 offset1:9
	;; [unrolled: 2-line block ×25, first 2 shown]
	v_pk_mov_b32 v[72:73], v[0:1], v[14:15] op_sel:[1,0]
	v_mov_b32_e32 v69, 3
	ds_write2_b32 v65, v72, v73 offset0:56 offset1:57
	ds_write_b32 v65, v15 offset:232
.LBB116_61:
	s_or_b64 exec, exec, s[0:1]
	v_cmp_lt_i32_e32 vcc, 3, v69
	s_waitcnt lgkmcnt(0)
	s_barrier
	s_and_saveexec_b64 s[0:1], vcc
	s_cbranch_execz .LBB116_63
; %bb.62:
	ds_read_b32 v66, v65 offset:16
	ds_read2_b32 v[72:73], v65 offset0:5 offset1:6
	ds_read2_b32 v[74:75], v65 offset0:7 offset1:8
	v_mul_f32_e32 v52, v71, v52
	ds_read2_b32 v[76:77], v65 offset0:9 offset1:10
	s_waitcnt lgkmcnt(3)
	v_fma_f32 v53, -v52, v66, v53
	s_waitcnt lgkmcnt(2)
	v_pk_fma_f32 v[50:51], v[52:53], v[72:73], v[50:51] op_sel_hi:[0,1,1] neg_lo:[1,0,0] neg_hi:[1,0,0]
	s_waitcnt vmcnt(0) lgkmcnt(1)
	v_pk_fma_f32 v[62:63], v[52:53], v[74:75], v[62:63] op_sel_hi:[0,1,1] neg_lo:[1,0,0] neg_hi:[1,0,0]
	ds_read2_b32 v[72:73], v65 offset0:11 offset1:12
	ds_read2_b32 v[74:75], v65 offset0:13 offset1:14
	ds_read2_b32 v[78:79], v65 offset0:15 offset1:16
	s_waitcnt lgkmcnt(3)
	v_pk_fma_f32 v[48:49], v[52:53], v[76:77], v[48:49] op_sel_hi:[0,1,1] neg_lo:[1,0,0] neg_hi:[1,0,0]
	ds_read2_b32 v[76:77], v65 offset0:17 offset1:18
	s_waitcnt lgkmcnt(3)
	v_pk_fma_f32 v[60:61], v[52:53], v[72:73], v[60:61] op_sel_hi:[0,1,1] neg_lo:[1,0,0] neg_hi:[1,0,0]
	s_waitcnt lgkmcnt(2)
	v_pk_fma_f32 v[58:59], v[52:53], v[74:75], v[58:59] op_sel_hi:[0,1,1] neg_lo:[1,0,0] neg_hi:[1,0,0]
	s_waitcnt lgkmcnt(1)
	v_pk_fma_f32 v[56:57], v[52:53], v[78:79], v[56:57] op_sel_hi:[0,1,1] neg_lo:[1,0,0] neg_hi:[1,0,0]
	ds_read2_b32 v[72:73], v65 offset0:19 offset1:20
	ds_read2_b32 v[74:75], v65 offset0:21 offset1:22
	ds_read2_b32 v[78:79], v65 offset0:23 offset1:24
	s_waitcnt lgkmcnt(3)
	v_pk_fma_f32 v[46:47], v[52:53], v[76:77], v[46:47] op_sel_hi:[0,1,1] neg_lo:[1,0,0] neg_hi:[1,0,0]
	ds_read2_b32 v[76:77], v65 offset0:25 offset1:26
	s_waitcnt lgkmcnt(3)
	v_pk_fma_f32 v[42:43], v[52:53], v[72:73], v[42:43] op_sel_hi:[0,1,1] neg_lo:[1,0,0] neg_hi:[1,0,0]
	s_waitcnt lgkmcnt(2)
	v_pk_fma_f32 v[36:37], v[52:53], v[74:75], v[36:37] op_sel_hi:[0,1,1] neg_lo:[1,0,0] neg_hi:[1,0,0]
	s_waitcnt lgkmcnt(1)
	;; [unrolled: 12-line block ×5, first 2 shown]
	v_pk_fma_f32 v[8:9], v[52:53], v[78:79], v[8:9] op_sel_hi:[0,1,1] neg_lo:[1,0,0] neg_hi:[1,0,0]
	ds_read2_b32 v[72:73], v65 offset0:51 offset1:52
	ds_read2_b32 v[74:75], v65 offset0:53 offset1:54
	;; [unrolled: 1-line block ×4, first 2 shown]
	s_waitcnt lgkmcnt(4)
	v_pk_fma_f32 v[20:21], v[52:53], v[76:77], v[20:21] op_sel_hi:[0,1,1] neg_lo:[1,0,0] neg_hi:[1,0,0]
	s_waitcnt lgkmcnt(3)
	v_pk_fma_f32 v[12:13], v[52:53], v[72:73], v[12:13] op_sel_hi:[0,1,1] neg_lo:[1,0,0] neg_hi:[1,0,0]
	;; [unrolled: 2-line block ×5, first 2 shown]
.LBB116_63:
	s_or_b64 exec, exec, s[0:1]
	v_lshl_add_u32 v66, v69, 2, v65
	s_barrier
	ds_write_b32 v66, v53
	s_waitcnt lgkmcnt(0)
	s_barrier
	ds_read_b32 v71, v65 offset:16
	s_cmp_lt_i32 s22, 6
	v_mov_b32_e32 v66, 4
	s_cbranch_scc1 .LBB116_66
; %bb.64:
	v_add3_u32 v72, v68, 0, 20
	v_mov_b32_e32 v66, 4
	s_mov_b32 s0, 5
.LBB116_65:                             ; =>This Inner Loop Header: Depth=1
	ds_read_b32 v73, v72
	v_mov_b32_e32 v74, s0
	s_add_i32 s0, s0, 1
	v_add_u32_e32 v72, 4, v72
	s_cmp_lg_u32 s22, s0
	s_waitcnt lgkmcnt(0)
	v_cmp_lt_f32_e64 vcc, |v71|, |v73|
	s_nop 1
	v_cndmask_b32_e32 v71, v71, v73, vcc
	v_cndmask_b32_e32 v66, v66, v74, vcc
	s_cbranch_scc1 .LBB116_65
.LBB116_66:
	s_waitcnt lgkmcnt(0)
	v_cmp_eq_f32_e32 vcc, 0, v71
	s_and_saveexec_b64 s[0:1], vcc
	s_xor_b64 s[0:1], exec, s[0:1]
; %bb.67:
	v_cmp_ne_u32_e32 vcc, 0, v70
	s_nop 1
	v_cndmask_b32_e32 v70, 5, v70, vcc
; %bb.68:
	s_andn2_saveexec_b64 s[0:1], s[0:1]
	s_cbranch_execz .LBB116_70
; %bb.69:
	v_div_scale_f32 v72, s[2:3], v71, v71, 1.0
	v_rcp_f32_e32 v73, v72
	v_div_scale_f32 v74, vcc, 1.0, v71, 1.0
	v_fma_f32 v75, -v72, v73, 1.0
	v_fmac_f32_e32 v73, v75, v73
	v_mul_f32_e32 v75, v74, v73
	v_fma_f32 v76, -v72, v75, v74
	v_fmac_f32_e32 v75, v76, v73
	v_fma_f32 v72, -v72, v75, v74
	v_div_fmas_f32 v72, v72, v73, v75
	v_div_fixup_f32 v71, v72, v71, 1.0
.LBB116_70:
	s_or_b64 exec, exec, s[0:1]
	v_cmp_ne_u32_e32 vcc, v69, v66
	s_and_saveexec_b64 s[0:1], vcc
	s_xor_b64 s[0:1], exec, s[0:1]
	s_cbranch_execz .LBB116_76
; %bb.71:
	v_cmp_eq_u32_e32 vcc, 4, v69
	s_and_saveexec_b64 s[2:3], vcc
	s_cbranch_execz .LBB116_75
; %bb.72:
	v_cmp_ne_u32_e32 vcc, 4, v66
	s_xor_b64 s[12:13], s[20:21], -1
	s_and_b64 s[14:15], s[12:13], vcc
	s_and_saveexec_b64 s[12:13], s[14:15]
	s_cbranch_execz .LBB116_74
; %bb.73:
	v_ashrrev_i32_e32 v67, 31, v66
	v_lshl_add_u64 v[72:73], v[66:67], 2, v[4:5]
	global_load_dword v67, v[72:73], off
	global_load_dword v69, v[4:5], off offset:16
	s_waitcnt vmcnt(1)
	global_store_dword v[4:5], v67, off offset:16
	s_waitcnt vmcnt(1)
	global_store_dword v[72:73], v69, off
.LBB116_74:
	s_or_b64 exec, exec, s[12:13]
	v_mov_b32_e32 v67, v66
	v_mov_b32_e32 v69, v66
.LBB116_75:
	s_or_b64 exec, exec, s[2:3]
.LBB116_76:
	s_andn2_saveexec_b64 s[0:1], s[0:1]
	s_cbranch_execz .LBB116_78
; %bb.77:
	v_mov_b32_e32 v69, 4
	ds_write2_b32 v65, v50, v51 offset0:5 offset1:6
	s_waitcnt vmcnt(0)
	ds_write2_b32 v65, v62, v63 offset0:7 offset1:8
	ds_write2_b32 v65, v48, v49 offset0:9 offset1:10
	;; [unrolled: 1-line block ×26, first 2 shown]
.LBB116_78:
	s_or_b64 exec, exec, s[0:1]
	v_cmp_lt_i32_e32 vcc, 4, v69
	s_waitcnt lgkmcnt(0)
	s_barrier
	s_and_saveexec_b64 s[0:1], vcc
	s_cbranch_execz .LBB116_80
; %bb.79:
	ds_read2_b32 v[72:73], v65 offset0:5 offset1:6
	ds_read2_b32 v[74:75], v65 offset0:7 offset1:8
	;; [unrolled: 1-line block ×3, first 2 shown]
	v_mul_f32_e32 v66, v71, v53
	ds_read2_b32 v[78:79], v65 offset0:11 offset1:12
	s_waitcnt lgkmcnt(3)
	v_pk_fma_f32 v[50:51], v[66:67], v[72:73], v[50:51] op_sel_hi:[0,1,1] neg_lo:[1,0,0] neg_hi:[1,0,0]
	s_waitcnt vmcnt(0) lgkmcnt(2)
	v_pk_fma_f32 v[62:63], v[66:67], v[74:75], v[62:63] op_sel_hi:[0,1,1] neg_lo:[1,0,0] neg_hi:[1,0,0]
	s_waitcnt lgkmcnt(1)
	v_pk_fma_f32 v[48:49], v[66:67], v[76:77], v[48:49] op_sel_hi:[0,1,1] neg_lo:[1,0,0] neg_hi:[1,0,0]
	ds_read2_b32 v[72:73], v65 offset0:13 offset1:14
	ds_read2_b32 v[74:75], v65 offset0:15 offset1:16
	ds_read2_b32 v[76:77], v65 offset0:17 offset1:18
	s_waitcnt lgkmcnt(3)
	v_pk_fma_f32 v[60:61], v[66:67], v[78:79], v[60:61] op_sel_hi:[0,1,1] neg_lo:[1,0,0] neg_hi:[1,0,0]
	ds_read2_b32 v[78:79], v65 offset0:19 offset1:20
	s_waitcnt lgkmcnt(3)
	v_pk_fma_f32 v[58:59], v[66:67], v[72:73], v[58:59] op_sel_hi:[0,1,1] neg_lo:[1,0,0] neg_hi:[1,0,0]
	s_waitcnt lgkmcnt(2)
	v_pk_fma_f32 v[56:57], v[66:67], v[74:75], v[56:57] op_sel_hi:[0,1,1] neg_lo:[1,0,0] neg_hi:[1,0,0]
	s_waitcnt lgkmcnt(1)
	v_pk_fma_f32 v[46:47], v[66:67], v[76:77], v[46:47] op_sel_hi:[0,1,1] neg_lo:[1,0,0] neg_hi:[1,0,0]
	ds_read2_b32 v[72:73], v65 offset0:21 offset1:22
	ds_read2_b32 v[74:75], v65 offset0:23 offset1:24
	ds_read2_b32 v[76:77], v65 offset0:25 offset1:26
	s_waitcnt lgkmcnt(3)
	v_pk_fma_f32 v[42:43], v[66:67], v[78:79], v[42:43] op_sel_hi:[0,1,1] neg_lo:[1,0,0] neg_hi:[1,0,0]
	ds_read2_b32 v[78:79], v65 offset0:27 offset1:28
	s_waitcnt lgkmcnt(3)
	v_pk_fma_f32 v[36:37], v[66:67], v[72:73], v[36:37] op_sel_hi:[0,1,1] neg_lo:[1,0,0] neg_hi:[1,0,0]
	s_waitcnt lgkmcnt(2)
	;; [unrolled: 12-line block ×4, first 2 shown]
	v_pk_fma_f32 v[16:17], v[66:67], v[74:75], v[16:17] op_sel_hi:[0,1,1] neg_lo:[1,0,0] neg_hi:[1,0,0]
	ds_read2_b32 v[72:73], v65 offset0:45 offset1:46
	ds_read2_b32 v[74:75], v65 offset0:47 offset1:48
	s_waitcnt lgkmcnt(3)
	v_pk_fma_f32 v[34:35], v[66:67], v[76:77], v[34:35] op_sel_hi:[0,1,1] neg_lo:[1,0,0] neg_hi:[1,0,0]
	s_waitcnt lgkmcnt(2)
	v_pk_fma_f32 v[26:27], v[66:67], v[78:79], v[26:27] op_sel_hi:[0,1,1] neg_lo:[1,0,0] neg_hi:[1,0,0]
	ds_read2_b32 v[76:77], v65 offset0:49 offset1:50
	ds_read2_b32 v[78:79], v65 offset0:51 offset1:52
	s_waitcnt lgkmcnt(3)
	v_pk_fma_f32 v[18:19], v[66:67], v[72:73], v[18:19] op_sel_hi:[0,1,1] neg_lo:[1,0,0] neg_hi:[1,0,0]
	s_waitcnt lgkmcnt(2)
	v_pk_fma_f32 v[8:9], v[66:67], v[74:75], v[8:9] op_sel_hi:[0,1,1] neg_lo:[1,0,0] neg_hi:[1,0,0]
	ds_read2_b32 v[72:73], v65 offset0:53 offset1:54
	ds_read2_b32 v[74:75], v65 offset0:55 offset1:56
	;; [unrolled: 1-line block ×3, first 2 shown]
	s_waitcnt lgkmcnt(4)
	v_pk_fma_f32 v[20:21], v[66:67], v[76:77], v[20:21] op_sel_hi:[0,1,1] neg_lo:[1,0,0] neg_hi:[1,0,0]
	s_waitcnt lgkmcnt(3)
	v_pk_fma_f32 v[12:13], v[66:67], v[78:79], v[12:13] op_sel_hi:[0,1,1] neg_lo:[1,0,0] neg_hi:[1,0,0]
	;; [unrolled: 2-line block ×5, first 2 shown]
	v_mov_b32_e32 v53, v66
.LBB116_80:
	s_or_b64 exec, exec, s[0:1]
	v_lshl_add_u32 v66, v69, 2, v65
	s_barrier
	ds_write_b32 v66, v50
	s_waitcnt lgkmcnt(0)
	s_barrier
	ds_read_b32 v71, v65 offset:20
	s_cmp_lt_i32 s22, 7
	v_mov_b32_e32 v66, 5
	s_cbranch_scc1 .LBB116_83
; %bb.81:
	v_add3_u32 v72, v68, 0, 24
	v_mov_b32_e32 v66, 5
	s_mov_b32 s0, 6
.LBB116_82:                             ; =>This Inner Loop Header: Depth=1
	ds_read_b32 v73, v72
	v_mov_b32_e32 v74, s0
	s_add_i32 s0, s0, 1
	v_add_u32_e32 v72, 4, v72
	s_cmp_lg_u32 s22, s0
	s_waitcnt lgkmcnt(0)
	v_cmp_lt_f32_e64 vcc, |v71|, |v73|
	s_nop 1
	v_cndmask_b32_e32 v71, v71, v73, vcc
	v_cndmask_b32_e32 v66, v66, v74, vcc
	s_cbranch_scc1 .LBB116_82
.LBB116_83:
	s_waitcnt lgkmcnt(0)
	v_cmp_eq_f32_e32 vcc, 0, v71
	s_and_saveexec_b64 s[0:1], vcc
	s_xor_b64 s[0:1], exec, s[0:1]
; %bb.84:
	v_cmp_ne_u32_e32 vcc, 0, v70
	s_nop 1
	v_cndmask_b32_e32 v70, 6, v70, vcc
; %bb.85:
	s_andn2_saveexec_b64 s[0:1], s[0:1]
	s_cbranch_execz .LBB116_87
; %bb.86:
	v_div_scale_f32 v72, s[2:3], v71, v71, 1.0
	v_rcp_f32_e32 v73, v72
	v_div_scale_f32 v74, vcc, 1.0, v71, 1.0
	v_fma_f32 v75, -v72, v73, 1.0
	v_fmac_f32_e32 v73, v75, v73
	v_mul_f32_e32 v75, v74, v73
	v_fma_f32 v76, -v72, v75, v74
	v_fmac_f32_e32 v75, v76, v73
	v_fma_f32 v72, -v72, v75, v74
	v_div_fmas_f32 v72, v72, v73, v75
	v_div_fixup_f32 v71, v72, v71, 1.0
.LBB116_87:
	s_or_b64 exec, exec, s[0:1]
	v_cmp_ne_u32_e32 vcc, v69, v66
	s_and_saveexec_b64 s[0:1], vcc
	s_xor_b64 s[0:1], exec, s[0:1]
	s_cbranch_execz .LBB116_93
; %bb.88:
	v_cmp_eq_u32_e32 vcc, 5, v69
	s_and_saveexec_b64 s[2:3], vcc
	s_cbranch_execz .LBB116_92
; %bb.89:
	v_cmp_ne_u32_e32 vcc, 5, v66
	s_xor_b64 s[12:13], s[20:21], -1
	s_and_b64 s[14:15], s[12:13], vcc
	s_and_saveexec_b64 s[12:13], s[14:15]
	s_cbranch_execz .LBB116_91
; %bb.90:
	v_ashrrev_i32_e32 v67, 31, v66
	v_lshl_add_u64 v[72:73], v[66:67], 2, v[4:5]
	global_load_dword v67, v[72:73], off
	global_load_dword v69, v[4:5], off offset:20
	s_waitcnt vmcnt(1)
	global_store_dword v[4:5], v67, off offset:20
	s_waitcnt vmcnt(1)
	global_store_dword v[72:73], v69, off
.LBB116_91:
	s_or_b64 exec, exec, s[12:13]
	v_mov_b32_e32 v67, v66
	v_mov_b32_e32 v69, v66
.LBB116_92:
	s_or_b64 exec, exec, s[2:3]
.LBB116_93:
	s_andn2_saveexec_b64 s[0:1], s[0:1]
	s_cbranch_execz .LBB116_95
; %bb.94:
	s_waitcnt vmcnt(0)
	v_pk_mov_b32 v[72:73], v[50:51], v[62:63] op_sel:[1,0]
	ds_write2_b32 v65, v72, v73 offset0:6 offset1:7
	v_pk_mov_b32 v[72:73], v[62:63], v[48:49] op_sel:[1,0]
	ds_write2_b32 v65, v72, v73 offset0:8 offset1:9
	;; [unrolled: 2-line block ×25, first 2 shown]
	v_pk_mov_b32 v[72:73], v[0:1], v[14:15] op_sel:[1,0]
	v_mov_b32_e32 v69, 5
	ds_write2_b32 v65, v72, v73 offset0:56 offset1:57
	ds_write_b32 v65, v15 offset:232
.LBB116_95:
	s_or_b64 exec, exec, s[0:1]
	v_cmp_lt_i32_e32 vcc, 5, v69
	s_waitcnt lgkmcnt(0)
	s_barrier
	s_and_saveexec_b64 s[0:1], vcc
	s_cbranch_execz .LBB116_97
; %bb.96:
	ds_read_b32 v66, v65 offset:24
	ds_read2_b32 v[72:73], v65 offset0:7 offset1:8
	ds_read2_b32 v[74:75], v65 offset0:9 offset1:10
	v_mul_f32_e32 v50, v71, v50
	ds_read2_b32 v[76:77], v65 offset0:11 offset1:12
	s_waitcnt lgkmcnt(3)
	v_fma_f32 v51, -v50, v66, v51
	s_waitcnt vmcnt(0) lgkmcnt(2)
	v_pk_fma_f32 v[62:63], v[50:51], v[72:73], v[62:63] op_sel_hi:[0,1,1] neg_lo:[1,0,0] neg_hi:[1,0,0]
	s_waitcnt lgkmcnt(1)
	v_pk_fma_f32 v[48:49], v[50:51], v[74:75], v[48:49] op_sel_hi:[0,1,1] neg_lo:[1,0,0] neg_hi:[1,0,0]
	ds_read2_b32 v[72:73], v65 offset0:13 offset1:14
	ds_read2_b32 v[74:75], v65 offset0:15 offset1:16
	ds_read2_b32 v[78:79], v65 offset0:17 offset1:18
	s_waitcnt lgkmcnt(3)
	v_pk_fma_f32 v[60:61], v[50:51], v[76:77], v[60:61] op_sel_hi:[0,1,1] neg_lo:[1,0,0] neg_hi:[1,0,0]
	ds_read2_b32 v[76:77], v65 offset0:19 offset1:20
	s_waitcnt lgkmcnt(3)
	v_pk_fma_f32 v[58:59], v[50:51], v[72:73], v[58:59] op_sel_hi:[0,1,1] neg_lo:[1,0,0] neg_hi:[1,0,0]
	s_waitcnt lgkmcnt(2)
	v_pk_fma_f32 v[56:57], v[50:51], v[74:75], v[56:57] op_sel_hi:[0,1,1] neg_lo:[1,0,0] neg_hi:[1,0,0]
	s_waitcnt lgkmcnt(1)
	v_pk_fma_f32 v[46:47], v[50:51], v[78:79], v[46:47] op_sel_hi:[0,1,1] neg_lo:[1,0,0] neg_hi:[1,0,0]
	ds_read2_b32 v[72:73], v65 offset0:21 offset1:22
	ds_read2_b32 v[74:75], v65 offset0:23 offset1:24
	ds_read2_b32 v[78:79], v65 offset0:25 offset1:26
	s_waitcnt lgkmcnt(3)
	v_pk_fma_f32 v[42:43], v[50:51], v[76:77], v[42:43] op_sel_hi:[0,1,1] neg_lo:[1,0,0] neg_hi:[1,0,0]
	ds_read2_b32 v[76:77], v65 offset0:27 offset1:28
	s_waitcnt lgkmcnt(3)
	v_pk_fma_f32 v[36:37], v[50:51], v[72:73], v[36:37] op_sel_hi:[0,1,1] neg_lo:[1,0,0] neg_hi:[1,0,0]
	s_waitcnt lgkmcnt(2)
	;; [unrolled: 12-line block ×4, first 2 shown]
	v_pk_fma_f32 v[16:17], v[50:51], v[74:75], v[16:17] op_sel_hi:[0,1,1] neg_lo:[1,0,0] neg_hi:[1,0,0]
	ds_read2_b32 v[72:73], v65 offset0:45 offset1:46
	ds_read2_b32 v[74:75], v65 offset0:47 offset1:48
	s_waitcnt lgkmcnt(3)
	v_pk_fma_f32 v[34:35], v[50:51], v[78:79], v[34:35] op_sel_hi:[0,1,1] neg_lo:[1,0,0] neg_hi:[1,0,0]
	s_waitcnt lgkmcnt(2)
	v_pk_fma_f32 v[26:27], v[50:51], v[76:77], v[26:27] op_sel_hi:[0,1,1] neg_lo:[1,0,0] neg_hi:[1,0,0]
	ds_read2_b32 v[76:77], v65 offset0:49 offset1:50
	ds_read2_b32 v[78:79], v65 offset0:51 offset1:52
	s_waitcnt lgkmcnt(3)
	v_pk_fma_f32 v[18:19], v[50:51], v[72:73], v[18:19] op_sel_hi:[0,1,1] neg_lo:[1,0,0] neg_hi:[1,0,0]
	s_waitcnt lgkmcnt(2)
	v_pk_fma_f32 v[8:9], v[50:51], v[74:75], v[8:9] op_sel_hi:[0,1,1] neg_lo:[1,0,0] neg_hi:[1,0,0]
	ds_read2_b32 v[72:73], v65 offset0:53 offset1:54
	ds_read2_b32 v[74:75], v65 offset0:55 offset1:56
	;; [unrolled: 1-line block ×3, first 2 shown]
	s_waitcnt lgkmcnt(4)
	v_pk_fma_f32 v[20:21], v[50:51], v[76:77], v[20:21] op_sel_hi:[0,1,1] neg_lo:[1,0,0] neg_hi:[1,0,0]
	s_waitcnt lgkmcnt(3)
	v_pk_fma_f32 v[12:13], v[50:51], v[78:79], v[12:13] op_sel_hi:[0,1,1] neg_lo:[1,0,0] neg_hi:[1,0,0]
	;; [unrolled: 2-line block ×5, first 2 shown]
.LBB116_97:
	s_or_b64 exec, exec, s[0:1]
	v_lshl_add_u32 v66, v69, 2, v65
	s_barrier
	ds_write_b32 v66, v51
	s_waitcnt lgkmcnt(0)
	s_barrier
	ds_read_b32 v71, v65 offset:24
	s_cmp_lt_i32 s22, 8
	v_mov_b32_e32 v66, 6
	s_cbranch_scc1 .LBB116_100
; %bb.98:
	v_add3_u32 v72, v68, 0, 28
	v_mov_b32_e32 v66, 6
	s_mov_b32 s0, 7
.LBB116_99:                             ; =>This Inner Loop Header: Depth=1
	ds_read_b32 v73, v72
	v_mov_b32_e32 v74, s0
	s_add_i32 s0, s0, 1
	v_add_u32_e32 v72, 4, v72
	s_cmp_lg_u32 s22, s0
	s_waitcnt lgkmcnt(0)
	v_cmp_lt_f32_e64 vcc, |v71|, |v73|
	s_nop 1
	v_cndmask_b32_e32 v71, v71, v73, vcc
	v_cndmask_b32_e32 v66, v66, v74, vcc
	s_cbranch_scc1 .LBB116_99
.LBB116_100:
	s_waitcnt lgkmcnt(0)
	v_cmp_eq_f32_e32 vcc, 0, v71
	s_and_saveexec_b64 s[0:1], vcc
	s_xor_b64 s[0:1], exec, s[0:1]
; %bb.101:
	v_cmp_ne_u32_e32 vcc, 0, v70
	s_nop 1
	v_cndmask_b32_e32 v70, 7, v70, vcc
; %bb.102:
	s_andn2_saveexec_b64 s[0:1], s[0:1]
	s_cbranch_execz .LBB116_104
; %bb.103:
	v_div_scale_f32 v72, s[2:3], v71, v71, 1.0
	v_rcp_f32_e32 v73, v72
	v_div_scale_f32 v74, vcc, 1.0, v71, 1.0
	v_fma_f32 v75, -v72, v73, 1.0
	v_fmac_f32_e32 v73, v75, v73
	v_mul_f32_e32 v75, v74, v73
	v_fma_f32 v76, -v72, v75, v74
	v_fmac_f32_e32 v75, v76, v73
	v_fma_f32 v72, -v72, v75, v74
	v_div_fmas_f32 v72, v72, v73, v75
	v_div_fixup_f32 v71, v72, v71, 1.0
.LBB116_104:
	s_or_b64 exec, exec, s[0:1]
	v_cmp_ne_u32_e32 vcc, v69, v66
	s_and_saveexec_b64 s[0:1], vcc
	s_xor_b64 s[0:1], exec, s[0:1]
	s_cbranch_execz .LBB116_110
; %bb.105:
	v_cmp_eq_u32_e32 vcc, 6, v69
	s_and_saveexec_b64 s[2:3], vcc
	s_cbranch_execz .LBB116_109
; %bb.106:
	v_cmp_ne_u32_e32 vcc, 6, v66
	s_xor_b64 s[12:13], s[20:21], -1
	s_and_b64 s[14:15], s[12:13], vcc
	s_and_saveexec_b64 s[12:13], s[14:15]
	s_cbranch_execz .LBB116_108
; %bb.107:
	v_ashrrev_i32_e32 v67, 31, v66
	v_lshl_add_u64 v[72:73], v[66:67], 2, v[4:5]
	global_load_dword v67, v[72:73], off
	global_load_dword v69, v[4:5], off offset:24
	s_waitcnt vmcnt(1)
	global_store_dword v[4:5], v67, off offset:24
	s_waitcnt vmcnt(1)
	global_store_dword v[72:73], v69, off
.LBB116_108:
	s_or_b64 exec, exec, s[12:13]
	v_mov_b32_e32 v67, v66
	v_mov_b32_e32 v69, v66
.LBB116_109:
	s_or_b64 exec, exec, s[2:3]
.LBB116_110:
	s_andn2_saveexec_b64 s[0:1], s[0:1]
	s_cbranch_execz .LBB116_112
; %bb.111:
	v_mov_b32_e32 v69, 6
	s_waitcnt vmcnt(0)
	ds_write2_b32 v65, v62, v63 offset0:7 offset1:8
	ds_write2_b32 v65, v48, v49 offset0:9 offset1:10
	;; [unrolled: 1-line block ×26, first 2 shown]
.LBB116_112:
	s_or_b64 exec, exec, s[0:1]
	v_cmp_lt_i32_e32 vcc, 6, v69
	s_waitcnt lgkmcnt(0)
	s_barrier
	s_and_saveexec_b64 s[0:1], vcc
	s_cbranch_execz .LBB116_114
; %bb.113:
	ds_read2_b32 v[72:73], v65 offset0:7 offset1:8
	ds_read2_b32 v[74:75], v65 offset0:9 offset1:10
	;; [unrolled: 1-line block ×4, first 2 shown]
	v_mul_f32_e32 v66, v71, v51
	s_waitcnt vmcnt(0) lgkmcnt(3)
	v_pk_fma_f32 v[62:63], v[66:67], v[72:73], v[62:63] op_sel_hi:[0,1,1] neg_lo:[1,0,0] neg_hi:[1,0,0]
	s_waitcnt lgkmcnt(2)
	v_pk_fma_f32 v[48:49], v[66:67], v[74:75], v[48:49] op_sel_hi:[0,1,1] neg_lo:[1,0,0] neg_hi:[1,0,0]
	s_waitcnt lgkmcnt(1)
	v_pk_fma_f32 v[60:61], v[66:67], v[76:77], v[60:61] op_sel_hi:[0,1,1] neg_lo:[1,0,0] neg_hi:[1,0,0]
	ds_read2_b32 v[72:73], v65 offset0:15 offset1:16
	ds_read2_b32 v[74:75], v65 offset0:17 offset1:18
	ds_read2_b32 v[76:77], v65 offset0:19 offset1:20
	s_waitcnt lgkmcnt(3)
	v_pk_fma_f32 v[58:59], v[66:67], v[78:79], v[58:59] op_sel_hi:[0,1,1] neg_lo:[1,0,0] neg_hi:[1,0,0]
	ds_read2_b32 v[78:79], v65 offset0:21 offset1:22
	s_waitcnt lgkmcnt(3)
	v_pk_fma_f32 v[56:57], v[66:67], v[72:73], v[56:57] op_sel_hi:[0,1,1] neg_lo:[1,0,0] neg_hi:[1,0,0]
	s_waitcnt lgkmcnt(2)
	v_pk_fma_f32 v[46:47], v[66:67], v[74:75], v[46:47] op_sel_hi:[0,1,1] neg_lo:[1,0,0] neg_hi:[1,0,0]
	s_waitcnt lgkmcnt(1)
	v_pk_fma_f32 v[42:43], v[66:67], v[76:77], v[42:43] op_sel_hi:[0,1,1] neg_lo:[1,0,0] neg_hi:[1,0,0]
	ds_read2_b32 v[72:73], v65 offset0:23 offset1:24
	ds_read2_b32 v[74:75], v65 offset0:25 offset1:26
	ds_read2_b32 v[76:77], v65 offset0:27 offset1:28
	s_waitcnt lgkmcnt(3)
	v_pk_fma_f32 v[36:37], v[66:67], v[78:79], v[36:37] op_sel_hi:[0,1,1] neg_lo:[1,0,0] neg_hi:[1,0,0]
	ds_read2_b32 v[78:79], v65 offset0:29 offset1:30
	s_waitcnt lgkmcnt(3)
	;; [unrolled: 12-line block ×4, first 2 shown]
	v_pk_fma_f32 v[16:17], v[66:67], v[72:73], v[16:17] op_sel_hi:[0,1,1] neg_lo:[1,0,0] neg_hi:[1,0,0]
	ds_read2_b32 v[72:73], v65 offset0:47 offset1:48
	s_waitcnt lgkmcnt(3)
	v_pk_fma_f32 v[34:35], v[66:67], v[74:75], v[34:35] op_sel_hi:[0,1,1] neg_lo:[1,0,0] neg_hi:[1,0,0]
	s_waitcnt lgkmcnt(2)
	v_pk_fma_f32 v[26:27], v[66:67], v[76:77], v[26:27] op_sel_hi:[0,1,1] neg_lo:[1,0,0] neg_hi:[1,0,0]
	;; [unrolled: 2-line block ×3, first 2 shown]
	ds_read2_b32 v[74:75], v65 offset0:49 offset1:50
	ds_read2_b32 v[76:77], v65 offset0:51 offset1:52
	;; [unrolled: 1-line block ×3, first 2 shown]
	s_waitcnt lgkmcnt(3)
	v_pk_fma_f32 v[8:9], v[66:67], v[72:73], v[8:9] op_sel_hi:[0,1,1] neg_lo:[1,0,0] neg_hi:[1,0,0]
	ds_read2_b32 v[72:73], v65 offset0:55 offset1:56
	ds_read2_b32 v[80:81], v65 offset0:57 offset1:58
	s_waitcnt lgkmcnt(4)
	v_pk_fma_f32 v[20:21], v[66:67], v[74:75], v[20:21] op_sel_hi:[0,1,1] neg_lo:[1,0,0] neg_hi:[1,0,0]
	s_waitcnt lgkmcnt(3)
	v_pk_fma_f32 v[12:13], v[66:67], v[76:77], v[12:13] op_sel_hi:[0,1,1] neg_lo:[1,0,0] neg_hi:[1,0,0]
	;; [unrolled: 2-line block ×5, first 2 shown]
	v_mov_b32_e32 v51, v66
.LBB116_114:
	s_or_b64 exec, exec, s[0:1]
	v_lshl_add_u32 v66, v69, 2, v65
	s_barrier
	ds_write_b32 v66, v62
	s_waitcnt lgkmcnt(0)
	s_barrier
	ds_read_b32 v71, v65 offset:28
	s_cmp_lt_i32 s22, 9
	v_mov_b32_e32 v66, 7
	s_cbranch_scc1 .LBB116_117
; %bb.115:
	v_add3_u32 v72, v68, 0, 32
	v_mov_b32_e32 v66, 7
	s_mov_b32 s0, 8
.LBB116_116:                            ; =>This Inner Loop Header: Depth=1
	ds_read_b32 v73, v72
	v_mov_b32_e32 v74, s0
	s_add_i32 s0, s0, 1
	v_add_u32_e32 v72, 4, v72
	s_cmp_lg_u32 s22, s0
	s_waitcnt lgkmcnt(0)
	v_cmp_lt_f32_e64 vcc, |v71|, |v73|
	s_nop 1
	v_cndmask_b32_e32 v71, v71, v73, vcc
	v_cndmask_b32_e32 v66, v66, v74, vcc
	s_cbranch_scc1 .LBB116_116
.LBB116_117:
	s_waitcnt lgkmcnt(0)
	v_cmp_eq_f32_e32 vcc, 0, v71
	s_and_saveexec_b64 s[0:1], vcc
	s_xor_b64 s[0:1], exec, s[0:1]
; %bb.118:
	v_cmp_ne_u32_e32 vcc, 0, v70
	s_nop 1
	v_cndmask_b32_e32 v70, 8, v70, vcc
; %bb.119:
	s_andn2_saveexec_b64 s[0:1], s[0:1]
	s_cbranch_execz .LBB116_121
; %bb.120:
	v_div_scale_f32 v72, s[2:3], v71, v71, 1.0
	v_rcp_f32_e32 v73, v72
	v_div_scale_f32 v74, vcc, 1.0, v71, 1.0
	v_fma_f32 v75, -v72, v73, 1.0
	v_fmac_f32_e32 v73, v75, v73
	v_mul_f32_e32 v75, v74, v73
	v_fma_f32 v76, -v72, v75, v74
	v_fmac_f32_e32 v75, v76, v73
	v_fma_f32 v72, -v72, v75, v74
	v_div_fmas_f32 v72, v72, v73, v75
	v_div_fixup_f32 v71, v72, v71, 1.0
.LBB116_121:
	s_or_b64 exec, exec, s[0:1]
	v_cmp_ne_u32_e32 vcc, v69, v66
	s_and_saveexec_b64 s[0:1], vcc
	s_xor_b64 s[0:1], exec, s[0:1]
	s_cbranch_execz .LBB116_127
; %bb.122:
	v_cmp_eq_u32_e32 vcc, 7, v69
	s_and_saveexec_b64 s[2:3], vcc
	s_cbranch_execz .LBB116_126
; %bb.123:
	v_cmp_ne_u32_e32 vcc, 7, v66
	s_xor_b64 s[12:13], s[20:21], -1
	s_and_b64 s[14:15], s[12:13], vcc
	s_and_saveexec_b64 s[12:13], s[14:15]
	s_cbranch_execz .LBB116_125
; %bb.124:
	v_ashrrev_i32_e32 v67, 31, v66
	v_lshl_add_u64 v[72:73], v[66:67], 2, v[4:5]
	global_load_dword v67, v[72:73], off
	global_load_dword v69, v[4:5], off offset:28
	s_waitcnt vmcnt(1)
	global_store_dword v[4:5], v67, off offset:28
	s_waitcnt vmcnt(1)
	global_store_dword v[72:73], v69, off
.LBB116_125:
	s_or_b64 exec, exec, s[12:13]
	v_mov_b32_e32 v67, v66
	v_mov_b32_e32 v69, v66
.LBB116_126:
	s_or_b64 exec, exec, s[2:3]
.LBB116_127:
	s_andn2_saveexec_b64 s[0:1], s[0:1]
	s_cbranch_execz .LBB116_129
; %bb.128:
	s_waitcnt vmcnt(0)
	v_pk_mov_b32 v[72:73], v[62:63], v[48:49] op_sel:[1,0]
	ds_write2_b32 v65, v72, v73 offset0:8 offset1:9
	v_pk_mov_b32 v[72:73], v[48:49], v[60:61] op_sel:[1,0]
	ds_write2_b32 v65, v72, v73 offset0:10 offset1:11
	;; [unrolled: 2-line block ×24, first 2 shown]
	v_pk_mov_b32 v[72:73], v[0:1], v[14:15] op_sel:[1,0]
	v_mov_b32_e32 v69, 7
	ds_write2_b32 v65, v72, v73 offset0:56 offset1:57
	ds_write_b32 v65, v15 offset:232
.LBB116_129:
	s_or_b64 exec, exec, s[0:1]
	v_cmp_lt_i32_e32 vcc, 7, v69
	s_waitcnt lgkmcnt(0)
	s_barrier
	s_and_saveexec_b64 s[0:1], vcc
	s_cbranch_execz .LBB116_131
; %bb.130:
	ds_read_b32 v66, v65 offset:32
	ds_read2_b32 v[72:73], v65 offset0:9 offset1:10
	ds_read2_b32 v[74:75], v65 offset0:11 offset1:12
	v_mul_f32_e32 v62, v71, v62
	ds_read2_b32 v[76:77], v65 offset0:13 offset1:14
	s_waitcnt vmcnt(0) lgkmcnt(3)
	v_fma_f32 v63, -v62, v66, v63
	s_waitcnt lgkmcnt(2)
	v_pk_fma_f32 v[48:49], v[62:63], v[72:73], v[48:49] op_sel_hi:[0,1,1] neg_lo:[1,0,0] neg_hi:[1,0,0]
	s_waitcnt lgkmcnt(1)
	v_pk_fma_f32 v[60:61], v[62:63], v[74:75], v[60:61] op_sel_hi:[0,1,1] neg_lo:[1,0,0] neg_hi:[1,0,0]
	ds_read2_b32 v[72:73], v65 offset0:15 offset1:16
	ds_read2_b32 v[74:75], v65 offset0:17 offset1:18
	ds_read2_b32 v[78:79], v65 offset0:19 offset1:20
	s_waitcnt lgkmcnt(3)
	v_pk_fma_f32 v[58:59], v[62:63], v[76:77], v[58:59] op_sel_hi:[0,1,1] neg_lo:[1,0,0] neg_hi:[1,0,0]
	ds_read2_b32 v[76:77], v65 offset0:21 offset1:22
	s_waitcnt lgkmcnt(3)
	v_pk_fma_f32 v[56:57], v[62:63], v[72:73], v[56:57] op_sel_hi:[0,1,1] neg_lo:[1,0,0] neg_hi:[1,0,0]
	s_waitcnt lgkmcnt(2)
	v_pk_fma_f32 v[46:47], v[62:63], v[74:75], v[46:47] op_sel_hi:[0,1,1] neg_lo:[1,0,0] neg_hi:[1,0,0]
	s_waitcnt lgkmcnt(1)
	v_pk_fma_f32 v[42:43], v[62:63], v[78:79], v[42:43] op_sel_hi:[0,1,1] neg_lo:[1,0,0] neg_hi:[1,0,0]
	ds_read2_b32 v[72:73], v65 offset0:23 offset1:24
	ds_read2_b32 v[74:75], v65 offset0:25 offset1:26
	ds_read2_b32 v[78:79], v65 offset0:27 offset1:28
	s_waitcnt lgkmcnt(3)
	v_pk_fma_f32 v[36:37], v[62:63], v[76:77], v[36:37] op_sel_hi:[0,1,1] neg_lo:[1,0,0] neg_hi:[1,0,0]
	ds_read2_b32 v[76:77], v65 offset0:29 offset1:30
	s_waitcnt lgkmcnt(3)
	v_pk_fma_f32 v[28:29], v[62:63], v[72:73], v[28:29] op_sel_hi:[0,1,1] neg_lo:[1,0,0] neg_hi:[1,0,0]
	s_waitcnt lgkmcnt(2)
	v_pk_fma_f32 v[44:45], v[62:63], v[74:75], v[44:45] op_sel_hi:[0,1,1] neg_lo:[1,0,0] neg_hi:[1,0,0]
	s_waitcnt lgkmcnt(1)
	v_pk_fma_f32 v[38:39], v[62:63], v[78:79], v[38:39] op_sel_hi:[0,1,1] neg_lo:[1,0,0] neg_hi:[1,0,0]
	ds_read2_b32 v[72:73], v65 offset0:31 offset1:32
	ds_read2_b32 v[74:75], v65 offset0:33 offset1:34
	ds_read2_b32 v[78:79], v65 offset0:35 offset1:36
	s_waitcnt lgkmcnt(3)
	v_pk_fma_f32 v[30:31], v[62:63], v[76:77], v[30:31] op_sel_hi:[0,1,1] neg_lo:[1,0,0] neg_hi:[1,0,0]
	ds_read2_b32 v[76:77], v65 offset0:37 offset1:38
	s_waitcnt lgkmcnt(3)
	v_pk_fma_f32 v[22:23], v[62:63], v[72:73], v[22:23] op_sel_hi:[0,1,1] neg_lo:[1,0,0] neg_hi:[1,0,0]
	s_waitcnt lgkmcnt(2)
	v_pk_fma_f32 v[40:41], v[62:63], v[74:75], v[40:41] op_sel_hi:[0,1,1] neg_lo:[1,0,0] neg_hi:[1,0,0]
	s_waitcnt lgkmcnt(1)
	v_pk_fma_f32 v[32:33], v[62:63], v[78:79], v[32:33] op_sel_hi:[0,1,1] neg_lo:[1,0,0] neg_hi:[1,0,0]
	ds_read2_b32 v[72:73], v65 offset0:39 offset1:40
	ds_read2_b32 v[74:75], v65 offset0:41 offset1:42
	ds_read2_b32 v[78:79], v65 offset0:43 offset1:44
	s_waitcnt lgkmcnt(3)
	v_pk_fma_f32 v[24:25], v[62:63], v[76:77], v[24:25] op_sel_hi:[0,1,1] neg_lo:[1,0,0] neg_hi:[1,0,0]
	ds_read2_b32 v[76:77], v65 offset0:45 offset1:46
	s_waitcnt lgkmcnt(3)
	v_pk_fma_f32 v[16:17], v[62:63], v[72:73], v[16:17] op_sel_hi:[0,1,1] neg_lo:[1,0,0] neg_hi:[1,0,0]
	ds_read2_b32 v[72:73], v65 offset0:47 offset1:48
	s_waitcnt lgkmcnt(3)
	v_pk_fma_f32 v[34:35], v[62:63], v[74:75], v[34:35] op_sel_hi:[0,1,1] neg_lo:[1,0,0] neg_hi:[1,0,0]
	s_waitcnt lgkmcnt(2)
	v_pk_fma_f32 v[26:27], v[62:63], v[78:79], v[26:27] op_sel_hi:[0,1,1] neg_lo:[1,0,0] neg_hi:[1,0,0]
	;; [unrolled: 2-line block ×3, first 2 shown]
	ds_read2_b32 v[74:75], v65 offset0:49 offset1:50
	ds_read2_b32 v[76:77], v65 offset0:51 offset1:52
	;; [unrolled: 1-line block ×3, first 2 shown]
	s_waitcnt lgkmcnt(3)
	v_pk_fma_f32 v[8:9], v[62:63], v[72:73], v[8:9] op_sel_hi:[0,1,1] neg_lo:[1,0,0] neg_hi:[1,0,0]
	ds_read2_b32 v[72:73], v65 offset0:55 offset1:56
	ds_read2_b32 v[80:81], v65 offset0:57 offset1:58
	s_waitcnt lgkmcnt(4)
	v_pk_fma_f32 v[20:21], v[62:63], v[74:75], v[20:21] op_sel_hi:[0,1,1] neg_lo:[1,0,0] neg_hi:[1,0,0]
	s_waitcnt lgkmcnt(3)
	v_pk_fma_f32 v[12:13], v[62:63], v[76:77], v[12:13] op_sel_hi:[0,1,1] neg_lo:[1,0,0] neg_hi:[1,0,0]
	;; [unrolled: 2-line block ×5, first 2 shown]
.LBB116_131:
	s_or_b64 exec, exec, s[0:1]
	v_lshl_add_u32 v66, v69, 2, v65
	s_barrier
	s_waitcnt vmcnt(0)
	ds_write_b32 v66, v63
	s_waitcnt lgkmcnt(0)
	s_barrier
	ds_read_b32 v71, v65 offset:32
	s_cmp_lt_i32 s22, 10
	v_mov_b32_e32 v66, 8
	s_cbranch_scc1 .LBB116_134
; %bb.132:
	v_add3_u32 v72, v68, 0, 36
	v_mov_b32_e32 v66, 8
	s_mov_b32 s0, 9
.LBB116_133:                            ; =>This Inner Loop Header: Depth=1
	ds_read_b32 v73, v72
	v_mov_b32_e32 v74, s0
	s_add_i32 s0, s0, 1
	v_add_u32_e32 v72, 4, v72
	s_cmp_lg_u32 s22, s0
	s_waitcnt lgkmcnt(0)
	v_cmp_lt_f32_e64 vcc, |v71|, |v73|
	s_nop 1
	v_cndmask_b32_e32 v71, v71, v73, vcc
	v_cndmask_b32_e32 v66, v66, v74, vcc
	s_cbranch_scc1 .LBB116_133
.LBB116_134:
	s_waitcnt lgkmcnt(0)
	v_cmp_eq_f32_e32 vcc, 0, v71
	s_and_saveexec_b64 s[0:1], vcc
	s_xor_b64 s[0:1], exec, s[0:1]
; %bb.135:
	v_cmp_ne_u32_e32 vcc, 0, v70
	s_nop 1
	v_cndmask_b32_e32 v70, 9, v70, vcc
; %bb.136:
	s_andn2_saveexec_b64 s[0:1], s[0:1]
	s_cbranch_execz .LBB116_138
; %bb.137:
	v_div_scale_f32 v72, s[2:3], v71, v71, 1.0
	v_rcp_f32_e32 v73, v72
	v_div_scale_f32 v74, vcc, 1.0, v71, 1.0
	v_fma_f32 v75, -v72, v73, 1.0
	v_fmac_f32_e32 v73, v75, v73
	v_mul_f32_e32 v75, v74, v73
	v_fma_f32 v76, -v72, v75, v74
	v_fmac_f32_e32 v75, v76, v73
	v_fma_f32 v72, -v72, v75, v74
	v_div_fmas_f32 v72, v72, v73, v75
	v_div_fixup_f32 v71, v72, v71, 1.0
.LBB116_138:
	s_or_b64 exec, exec, s[0:1]
	v_cmp_ne_u32_e32 vcc, v69, v66
	s_and_saveexec_b64 s[0:1], vcc
	s_xor_b64 s[0:1], exec, s[0:1]
	s_cbranch_execz .LBB116_144
; %bb.139:
	v_cmp_eq_u32_e32 vcc, 8, v69
	s_and_saveexec_b64 s[2:3], vcc
	s_cbranch_execz .LBB116_143
; %bb.140:
	v_cmp_ne_u32_e32 vcc, 8, v66
	s_xor_b64 s[12:13], s[20:21], -1
	s_and_b64 s[14:15], s[12:13], vcc
	s_and_saveexec_b64 s[12:13], s[14:15]
	s_cbranch_execz .LBB116_142
; %bb.141:
	v_ashrrev_i32_e32 v67, 31, v66
	v_lshl_add_u64 v[72:73], v[66:67], 2, v[4:5]
	global_load_dword v67, v[72:73], off
	global_load_dword v69, v[4:5], off offset:32
	s_waitcnt vmcnt(1)
	global_store_dword v[4:5], v67, off offset:32
	s_waitcnt vmcnt(1)
	global_store_dword v[72:73], v69, off
.LBB116_142:
	s_or_b64 exec, exec, s[12:13]
	v_mov_b32_e32 v67, v66
	v_mov_b32_e32 v69, v66
.LBB116_143:
	s_or_b64 exec, exec, s[2:3]
.LBB116_144:
	s_andn2_saveexec_b64 s[0:1], s[0:1]
	s_cbranch_execz .LBB116_146
; %bb.145:
	v_mov_b32_e32 v69, 8
	ds_write2_b32 v65, v48, v49 offset0:9 offset1:10
	ds_write2_b32 v65, v60, v61 offset0:11 offset1:12
	;; [unrolled: 1-line block ×25, first 2 shown]
.LBB116_146:
	s_or_b64 exec, exec, s[0:1]
	v_cmp_lt_i32_e32 vcc, 8, v69
	s_waitcnt lgkmcnt(0)
	s_barrier
	s_and_saveexec_b64 s[0:1], vcc
	s_cbranch_execz .LBB116_148
; %bb.147:
	ds_read2_b32 v[72:73], v65 offset0:9 offset1:10
	ds_read2_b32 v[74:75], v65 offset0:11 offset1:12
	;; [unrolled: 1-line block ×3, first 2 shown]
	v_mul_f32_e32 v66, v71, v63
	ds_read2_b32 v[78:79], v65 offset0:15 offset1:16
	s_waitcnt lgkmcnt(3)
	v_pk_fma_f32 v[48:49], v[66:67], v[72:73], v[48:49] op_sel_hi:[0,1,1] neg_lo:[1,0,0] neg_hi:[1,0,0]
	s_waitcnt lgkmcnt(2)
	v_pk_fma_f32 v[60:61], v[66:67], v[74:75], v[60:61] op_sel_hi:[0,1,1] neg_lo:[1,0,0] neg_hi:[1,0,0]
	s_waitcnt lgkmcnt(1)
	v_pk_fma_f32 v[58:59], v[66:67], v[76:77], v[58:59] op_sel_hi:[0,1,1] neg_lo:[1,0,0] neg_hi:[1,0,0]
	ds_read2_b32 v[72:73], v65 offset0:17 offset1:18
	ds_read2_b32 v[74:75], v65 offset0:19 offset1:20
	ds_read2_b32 v[76:77], v65 offset0:21 offset1:22
	s_waitcnt lgkmcnt(3)
	v_pk_fma_f32 v[56:57], v[66:67], v[78:79], v[56:57] op_sel_hi:[0,1,1] neg_lo:[1,0,0] neg_hi:[1,0,0]
	ds_read2_b32 v[78:79], v65 offset0:23 offset1:24
	s_waitcnt lgkmcnt(3)
	v_pk_fma_f32 v[46:47], v[66:67], v[72:73], v[46:47] op_sel_hi:[0,1,1] neg_lo:[1,0,0] neg_hi:[1,0,0]
	s_waitcnt lgkmcnt(2)
	v_pk_fma_f32 v[42:43], v[66:67], v[74:75], v[42:43] op_sel_hi:[0,1,1] neg_lo:[1,0,0] neg_hi:[1,0,0]
	s_waitcnt lgkmcnt(1)
	v_pk_fma_f32 v[36:37], v[66:67], v[76:77], v[36:37] op_sel_hi:[0,1,1] neg_lo:[1,0,0] neg_hi:[1,0,0]
	ds_read2_b32 v[72:73], v65 offset0:25 offset1:26
	ds_read2_b32 v[74:75], v65 offset0:27 offset1:28
	ds_read2_b32 v[76:77], v65 offset0:29 offset1:30
	s_waitcnt lgkmcnt(3)
	v_pk_fma_f32 v[28:29], v[66:67], v[78:79], v[28:29] op_sel_hi:[0,1,1] neg_lo:[1,0,0] neg_hi:[1,0,0]
	;; [unrolled: 12-line block ×3, first 2 shown]
	ds_read2_b32 v[78:79], v65 offset0:39 offset1:40
	s_waitcnt lgkmcnt(3)
	v_pk_fma_f32 v[40:41], v[66:67], v[72:73], v[40:41] op_sel_hi:[0,1,1] neg_lo:[1,0,0] neg_hi:[1,0,0]
	s_waitcnt lgkmcnt(2)
	v_pk_fma_f32 v[32:33], v[66:67], v[74:75], v[32:33] op_sel_hi:[0,1,1] neg_lo:[1,0,0] neg_hi:[1,0,0]
	;; [unrolled: 2-line block ×3, first 2 shown]
	ds_read2_b32 v[72:73], v65 offset0:41 offset1:42
	ds_read2_b32 v[74:75], v65 offset0:43 offset1:44
	;; [unrolled: 1-line block ×4, first 2 shown]
	s_waitcnt lgkmcnt(4)
	v_pk_fma_f32 v[16:17], v[66:67], v[78:79], v[16:17] op_sel_hi:[0,1,1] neg_lo:[1,0,0] neg_hi:[1,0,0]
	s_waitcnt lgkmcnt(3)
	v_pk_fma_f32 v[34:35], v[66:67], v[72:73], v[34:35] op_sel_hi:[0,1,1] neg_lo:[1,0,0] neg_hi:[1,0,0]
	;; [unrolled: 2-line block ×5, first 2 shown]
	ds_read2_b32 v[72:73], v65 offset0:49 offset1:50
	ds_read2_b32 v[74:75], v65 offset0:51 offset1:52
	;; [unrolled: 1-line block ×5, first 2 shown]
	s_waitcnt lgkmcnt(4)
	v_pk_fma_f32 v[20:21], v[66:67], v[72:73], v[20:21] op_sel_hi:[0,1,1] neg_lo:[1,0,0] neg_hi:[1,0,0]
	s_waitcnt lgkmcnt(3)
	v_pk_fma_f32 v[12:13], v[66:67], v[74:75], v[12:13] op_sel_hi:[0,1,1] neg_lo:[1,0,0] neg_hi:[1,0,0]
	;; [unrolled: 2-line block ×5, first 2 shown]
	v_mov_b32_e32 v63, v66
.LBB116_148:
	s_or_b64 exec, exec, s[0:1]
	v_lshl_add_u32 v66, v69, 2, v65
	s_barrier
	ds_write_b32 v66, v48
	s_waitcnt lgkmcnt(0)
	s_barrier
	ds_read_b32 v71, v65 offset:36
	s_cmp_lt_i32 s22, 11
	v_mov_b32_e32 v66, 9
	s_cbranch_scc1 .LBB116_151
; %bb.149:
	v_add3_u32 v72, v68, 0, 40
	v_mov_b32_e32 v66, 9
	s_mov_b32 s0, 10
.LBB116_150:                            ; =>This Inner Loop Header: Depth=1
	ds_read_b32 v73, v72
	v_mov_b32_e32 v74, s0
	s_add_i32 s0, s0, 1
	v_add_u32_e32 v72, 4, v72
	s_cmp_lg_u32 s22, s0
	s_waitcnt lgkmcnt(0)
	v_cmp_lt_f32_e64 vcc, |v71|, |v73|
	s_nop 1
	v_cndmask_b32_e32 v71, v71, v73, vcc
	v_cndmask_b32_e32 v66, v66, v74, vcc
	s_cbranch_scc1 .LBB116_150
.LBB116_151:
	s_waitcnt lgkmcnt(0)
	v_cmp_eq_f32_e32 vcc, 0, v71
	s_and_saveexec_b64 s[0:1], vcc
	s_xor_b64 s[0:1], exec, s[0:1]
; %bb.152:
	v_cmp_ne_u32_e32 vcc, 0, v70
	s_nop 1
	v_cndmask_b32_e32 v70, 10, v70, vcc
; %bb.153:
	s_andn2_saveexec_b64 s[0:1], s[0:1]
	s_cbranch_execz .LBB116_155
; %bb.154:
	v_div_scale_f32 v72, s[2:3], v71, v71, 1.0
	v_rcp_f32_e32 v73, v72
	v_div_scale_f32 v74, vcc, 1.0, v71, 1.0
	v_fma_f32 v75, -v72, v73, 1.0
	v_fmac_f32_e32 v73, v75, v73
	v_mul_f32_e32 v75, v74, v73
	v_fma_f32 v76, -v72, v75, v74
	v_fmac_f32_e32 v75, v76, v73
	v_fma_f32 v72, -v72, v75, v74
	v_div_fmas_f32 v72, v72, v73, v75
	v_div_fixup_f32 v71, v72, v71, 1.0
.LBB116_155:
	s_or_b64 exec, exec, s[0:1]
	v_cmp_ne_u32_e32 vcc, v69, v66
	s_and_saveexec_b64 s[0:1], vcc
	s_xor_b64 s[0:1], exec, s[0:1]
	s_cbranch_execz .LBB116_161
; %bb.156:
	v_cmp_eq_u32_e32 vcc, 9, v69
	s_and_saveexec_b64 s[2:3], vcc
	s_cbranch_execz .LBB116_160
; %bb.157:
	v_cmp_ne_u32_e32 vcc, 9, v66
	s_xor_b64 s[12:13], s[20:21], -1
	s_and_b64 s[14:15], s[12:13], vcc
	s_and_saveexec_b64 s[12:13], s[14:15]
	s_cbranch_execz .LBB116_159
; %bb.158:
	v_ashrrev_i32_e32 v67, 31, v66
	v_lshl_add_u64 v[72:73], v[66:67], 2, v[4:5]
	global_load_dword v67, v[72:73], off
	global_load_dword v69, v[4:5], off offset:36
	s_waitcnt vmcnt(1)
	global_store_dword v[4:5], v67, off offset:36
	s_waitcnt vmcnt(1)
	global_store_dword v[72:73], v69, off
.LBB116_159:
	s_or_b64 exec, exec, s[12:13]
	v_mov_b32_e32 v67, v66
	v_mov_b32_e32 v69, v66
.LBB116_160:
	s_or_b64 exec, exec, s[2:3]
.LBB116_161:
	s_andn2_saveexec_b64 s[0:1], s[0:1]
	s_cbranch_execz .LBB116_163
; %bb.162:
	v_pk_mov_b32 v[72:73], v[48:49], v[60:61] op_sel:[1,0]
	ds_write2_b32 v65, v72, v73 offset0:10 offset1:11
	v_pk_mov_b32 v[72:73], v[60:61], v[58:59] op_sel:[1,0]
	ds_write2_b32 v65, v72, v73 offset0:12 offset1:13
	;; [unrolled: 2-line block ×23, first 2 shown]
	v_pk_mov_b32 v[72:73], v[0:1], v[14:15] op_sel:[1,0]
	v_mov_b32_e32 v69, 9
	ds_write2_b32 v65, v72, v73 offset0:56 offset1:57
	ds_write_b32 v65, v15 offset:232
.LBB116_163:
	s_or_b64 exec, exec, s[0:1]
	v_cmp_lt_i32_e32 vcc, 9, v69
	s_waitcnt lgkmcnt(0)
	s_barrier
	s_and_saveexec_b64 s[0:1], vcc
	s_cbranch_execz .LBB116_165
; %bb.164:
	ds_read_b32 v66, v65 offset:40
	ds_read2_b32 v[72:73], v65 offset0:11 offset1:12
	ds_read2_b32 v[74:75], v65 offset0:13 offset1:14
	v_mul_f32_e32 v48, v71, v48
	ds_read2_b32 v[76:77], v65 offset0:15 offset1:16
	s_waitcnt lgkmcnt(3)
	v_fma_f32 v49, -v48, v66, v49
	s_waitcnt lgkmcnt(2)
	v_pk_fma_f32 v[60:61], v[48:49], v[72:73], v[60:61] op_sel_hi:[0,1,1] neg_lo:[1,0,0] neg_hi:[1,0,0]
	s_waitcnt lgkmcnt(1)
	v_pk_fma_f32 v[58:59], v[48:49], v[74:75], v[58:59] op_sel_hi:[0,1,1] neg_lo:[1,0,0] neg_hi:[1,0,0]
	ds_read2_b32 v[72:73], v65 offset0:17 offset1:18
	ds_read2_b32 v[74:75], v65 offset0:19 offset1:20
	ds_read2_b32 v[78:79], v65 offset0:21 offset1:22
	s_waitcnt lgkmcnt(3)
	v_pk_fma_f32 v[56:57], v[48:49], v[76:77], v[56:57] op_sel_hi:[0,1,1] neg_lo:[1,0,0] neg_hi:[1,0,0]
	ds_read2_b32 v[76:77], v65 offset0:23 offset1:24
	s_waitcnt lgkmcnt(3)
	v_pk_fma_f32 v[46:47], v[48:49], v[72:73], v[46:47] op_sel_hi:[0,1,1] neg_lo:[1,0,0] neg_hi:[1,0,0]
	s_waitcnt lgkmcnt(2)
	v_pk_fma_f32 v[42:43], v[48:49], v[74:75], v[42:43] op_sel_hi:[0,1,1] neg_lo:[1,0,0] neg_hi:[1,0,0]
	s_waitcnt lgkmcnt(1)
	v_pk_fma_f32 v[36:37], v[48:49], v[78:79], v[36:37] op_sel_hi:[0,1,1] neg_lo:[1,0,0] neg_hi:[1,0,0]
	ds_read2_b32 v[72:73], v65 offset0:25 offset1:26
	ds_read2_b32 v[74:75], v65 offset0:27 offset1:28
	ds_read2_b32 v[78:79], v65 offset0:29 offset1:30
	s_waitcnt lgkmcnt(3)
	v_pk_fma_f32 v[28:29], v[48:49], v[76:77], v[28:29] op_sel_hi:[0,1,1] neg_lo:[1,0,0] neg_hi:[1,0,0]
	ds_read2_b32 v[76:77], v65 offset0:31 offset1:32
	s_waitcnt lgkmcnt(3)
	v_pk_fma_f32 v[44:45], v[48:49], v[72:73], v[44:45] op_sel_hi:[0,1,1] neg_lo:[1,0,0] neg_hi:[1,0,0]
	;; [unrolled: 12-line block ×3, first 2 shown]
	s_waitcnt lgkmcnt(2)
	v_pk_fma_f32 v[32:33], v[48:49], v[74:75], v[32:33] op_sel_hi:[0,1,1] neg_lo:[1,0,0] neg_hi:[1,0,0]
	s_waitcnt lgkmcnt(1)
	v_pk_fma_f32 v[24:25], v[48:49], v[78:79], v[24:25] op_sel_hi:[0,1,1] neg_lo:[1,0,0] neg_hi:[1,0,0]
	ds_read2_b32 v[72:73], v65 offset0:41 offset1:42
	ds_read2_b32 v[74:75], v65 offset0:43 offset1:44
	ds_read2_b32 v[78:79], v65 offset0:45 offset1:46
	ds_read2_b32 v[80:81], v65 offset0:47 offset1:48
	s_waitcnt lgkmcnt(4)
	v_pk_fma_f32 v[16:17], v[48:49], v[76:77], v[16:17] op_sel_hi:[0,1,1] neg_lo:[1,0,0] neg_hi:[1,0,0]
	s_waitcnt lgkmcnt(3)
	v_pk_fma_f32 v[34:35], v[48:49], v[72:73], v[34:35] op_sel_hi:[0,1,1] neg_lo:[1,0,0] neg_hi:[1,0,0]
	;; [unrolled: 2-line block ×5, first 2 shown]
	ds_read2_b32 v[72:73], v65 offset0:49 offset1:50
	ds_read2_b32 v[74:75], v65 offset0:51 offset1:52
	;; [unrolled: 1-line block ×5, first 2 shown]
	s_waitcnt lgkmcnt(4)
	v_pk_fma_f32 v[20:21], v[48:49], v[72:73], v[20:21] op_sel_hi:[0,1,1] neg_lo:[1,0,0] neg_hi:[1,0,0]
	s_waitcnt lgkmcnt(3)
	v_pk_fma_f32 v[12:13], v[48:49], v[74:75], v[12:13] op_sel_hi:[0,1,1] neg_lo:[1,0,0] neg_hi:[1,0,0]
	;; [unrolled: 2-line block ×5, first 2 shown]
.LBB116_165:
	s_or_b64 exec, exec, s[0:1]
	v_lshl_add_u32 v66, v69, 2, v65
	s_barrier
	ds_write_b32 v66, v49
	s_waitcnt lgkmcnt(0)
	s_barrier
	ds_read_b32 v71, v65 offset:40
	s_cmp_lt_i32 s22, 12
	v_mov_b32_e32 v66, 10
	s_cbranch_scc1 .LBB116_168
; %bb.166:
	v_add3_u32 v72, v68, 0, 44
	v_mov_b32_e32 v66, 10
	s_mov_b32 s0, 11
.LBB116_167:                            ; =>This Inner Loop Header: Depth=1
	ds_read_b32 v73, v72
	v_mov_b32_e32 v74, s0
	s_add_i32 s0, s0, 1
	v_add_u32_e32 v72, 4, v72
	s_cmp_lg_u32 s22, s0
	s_waitcnt lgkmcnt(0)
	v_cmp_lt_f32_e64 vcc, |v71|, |v73|
	s_nop 1
	v_cndmask_b32_e32 v71, v71, v73, vcc
	v_cndmask_b32_e32 v66, v66, v74, vcc
	s_cbranch_scc1 .LBB116_167
.LBB116_168:
	s_waitcnt lgkmcnt(0)
	v_cmp_eq_f32_e32 vcc, 0, v71
	s_and_saveexec_b64 s[0:1], vcc
	s_xor_b64 s[0:1], exec, s[0:1]
; %bb.169:
	v_cmp_ne_u32_e32 vcc, 0, v70
	s_nop 1
	v_cndmask_b32_e32 v70, 11, v70, vcc
; %bb.170:
	s_andn2_saveexec_b64 s[0:1], s[0:1]
	s_cbranch_execz .LBB116_172
; %bb.171:
	v_div_scale_f32 v72, s[2:3], v71, v71, 1.0
	v_rcp_f32_e32 v73, v72
	v_div_scale_f32 v74, vcc, 1.0, v71, 1.0
	v_fma_f32 v75, -v72, v73, 1.0
	v_fmac_f32_e32 v73, v75, v73
	v_mul_f32_e32 v75, v74, v73
	v_fma_f32 v76, -v72, v75, v74
	v_fmac_f32_e32 v75, v76, v73
	v_fma_f32 v72, -v72, v75, v74
	v_div_fmas_f32 v72, v72, v73, v75
	v_div_fixup_f32 v71, v72, v71, 1.0
.LBB116_172:
	s_or_b64 exec, exec, s[0:1]
	v_cmp_ne_u32_e32 vcc, v69, v66
	s_and_saveexec_b64 s[0:1], vcc
	s_xor_b64 s[0:1], exec, s[0:1]
	s_cbranch_execz .LBB116_178
; %bb.173:
	v_cmp_eq_u32_e32 vcc, 10, v69
	s_and_saveexec_b64 s[2:3], vcc
	s_cbranch_execz .LBB116_177
; %bb.174:
	v_cmp_ne_u32_e32 vcc, 10, v66
	s_xor_b64 s[12:13], s[20:21], -1
	s_and_b64 s[14:15], s[12:13], vcc
	s_and_saveexec_b64 s[12:13], s[14:15]
	s_cbranch_execz .LBB116_176
; %bb.175:
	v_ashrrev_i32_e32 v67, 31, v66
	v_lshl_add_u64 v[72:73], v[66:67], 2, v[4:5]
	global_load_dword v67, v[72:73], off
	global_load_dword v69, v[4:5], off offset:40
	s_waitcnt vmcnt(1)
	global_store_dword v[4:5], v67, off offset:40
	s_waitcnt vmcnt(1)
	global_store_dword v[72:73], v69, off
.LBB116_176:
	s_or_b64 exec, exec, s[12:13]
	v_mov_b32_e32 v67, v66
	v_mov_b32_e32 v69, v66
.LBB116_177:
	s_or_b64 exec, exec, s[2:3]
.LBB116_178:
	s_andn2_saveexec_b64 s[0:1], s[0:1]
	s_cbranch_execz .LBB116_180
; %bb.179:
	v_mov_b32_e32 v69, 10
	ds_write2_b32 v65, v60, v61 offset0:11 offset1:12
	ds_write2_b32 v65, v58, v59 offset0:13 offset1:14
	;; [unrolled: 1-line block ×24, first 2 shown]
.LBB116_180:
	s_or_b64 exec, exec, s[0:1]
	v_cmp_lt_i32_e32 vcc, 10, v69
	s_waitcnt lgkmcnt(0)
	s_barrier
	s_and_saveexec_b64 s[0:1], vcc
	s_cbranch_execz .LBB116_182
; %bb.181:
	ds_read2_b32 v[72:73], v65 offset0:11 offset1:12
	ds_read2_b32 v[74:75], v65 offset0:13 offset1:14
	;; [unrolled: 1-line block ×3, first 2 shown]
	v_mul_f32_e32 v66, v71, v49
	ds_read2_b32 v[78:79], v65 offset0:17 offset1:18
	s_waitcnt lgkmcnt(3)
	v_pk_fma_f32 v[60:61], v[66:67], v[72:73], v[60:61] op_sel_hi:[0,1,1] neg_lo:[1,0,0] neg_hi:[1,0,0]
	s_waitcnt lgkmcnt(2)
	v_pk_fma_f32 v[58:59], v[66:67], v[74:75], v[58:59] op_sel_hi:[0,1,1] neg_lo:[1,0,0] neg_hi:[1,0,0]
	s_waitcnt lgkmcnt(1)
	v_pk_fma_f32 v[56:57], v[66:67], v[76:77], v[56:57] op_sel_hi:[0,1,1] neg_lo:[1,0,0] neg_hi:[1,0,0]
	ds_read2_b32 v[72:73], v65 offset0:19 offset1:20
	ds_read2_b32 v[74:75], v65 offset0:21 offset1:22
	ds_read2_b32 v[76:77], v65 offset0:23 offset1:24
	s_waitcnt lgkmcnt(3)
	v_pk_fma_f32 v[46:47], v[66:67], v[78:79], v[46:47] op_sel_hi:[0,1,1] neg_lo:[1,0,0] neg_hi:[1,0,0]
	ds_read2_b32 v[78:79], v65 offset0:25 offset1:26
	s_waitcnt lgkmcnt(3)
	v_pk_fma_f32 v[42:43], v[66:67], v[72:73], v[42:43] op_sel_hi:[0,1,1] neg_lo:[1,0,0] neg_hi:[1,0,0]
	s_waitcnt lgkmcnt(2)
	v_pk_fma_f32 v[36:37], v[66:67], v[74:75], v[36:37] op_sel_hi:[0,1,1] neg_lo:[1,0,0] neg_hi:[1,0,0]
	s_waitcnt lgkmcnt(1)
	v_pk_fma_f32 v[28:29], v[66:67], v[76:77], v[28:29] op_sel_hi:[0,1,1] neg_lo:[1,0,0] neg_hi:[1,0,0]
	ds_read2_b32 v[72:73], v65 offset0:27 offset1:28
	ds_read2_b32 v[74:75], v65 offset0:29 offset1:30
	ds_read2_b32 v[76:77], v65 offset0:31 offset1:32
	s_waitcnt lgkmcnt(3)
	v_pk_fma_f32 v[44:45], v[66:67], v[78:79], v[44:45] op_sel_hi:[0,1,1] neg_lo:[1,0,0] neg_hi:[1,0,0]
	;; [unrolled: 12-line block ×4, first 2 shown]
	ds_read2_b32 v[78:79], v65 offset0:49 offset1:50
	s_waitcnt lgkmcnt(3)
	v_pk_fma_f32 v[26:27], v[66:67], v[72:73], v[26:27] op_sel_hi:[0,1,1] neg_lo:[1,0,0] neg_hi:[1,0,0]
	s_waitcnt lgkmcnt(2)
	v_pk_fma_f32 v[18:19], v[66:67], v[74:75], v[18:19] op_sel_hi:[0,1,1] neg_lo:[1,0,0] neg_hi:[1,0,0]
	;; [unrolled: 2-line block ×3, first 2 shown]
	ds_read2_b32 v[72:73], v65 offset0:51 offset1:52
	ds_read2_b32 v[74:75], v65 offset0:53 offset1:54
	;; [unrolled: 1-line block ×4, first 2 shown]
	s_waitcnt lgkmcnt(4)
	v_pk_fma_f32 v[20:21], v[66:67], v[78:79], v[20:21] op_sel_hi:[0,1,1] neg_lo:[1,0,0] neg_hi:[1,0,0]
	s_waitcnt lgkmcnt(3)
	v_pk_fma_f32 v[12:13], v[66:67], v[72:73], v[12:13] op_sel_hi:[0,1,1] neg_lo:[1,0,0] neg_hi:[1,0,0]
	;; [unrolled: 2-line block ×5, first 2 shown]
	v_mov_b32_e32 v49, v66
.LBB116_182:
	s_or_b64 exec, exec, s[0:1]
	v_lshl_add_u32 v66, v69, 2, v65
	s_barrier
	ds_write_b32 v66, v60
	s_waitcnt lgkmcnt(0)
	s_barrier
	ds_read_b32 v71, v65 offset:44
	s_cmp_lt_i32 s22, 13
	v_mov_b32_e32 v66, 11
	s_cbranch_scc1 .LBB116_185
; %bb.183:
	v_add3_u32 v72, v68, 0, 48
	v_mov_b32_e32 v66, 11
	s_mov_b32 s0, 12
.LBB116_184:                            ; =>This Inner Loop Header: Depth=1
	ds_read_b32 v73, v72
	v_mov_b32_e32 v74, s0
	s_add_i32 s0, s0, 1
	v_add_u32_e32 v72, 4, v72
	s_cmp_lg_u32 s22, s0
	s_waitcnt lgkmcnt(0)
	v_cmp_lt_f32_e64 vcc, |v71|, |v73|
	s_nop 1
	v_cndmask_b32_e32 v71, v71, v73, vcc
	v_cndmask_b32_e32 v66, v66, v74, vcc
	s_cbranch_scc1 .LBB116_184
.LBB116_185:
	s_waitcnt lgkmcnt(0)
	v_cmp_eq_f32_e32 vcc, 0, v71
	s_and_saveexec_b64 s[0:1], vcc
	s_xor_b64 s[0:1], exec, s[0:1]
; %bb.186:
	v_cmp_ne_u32_e32 vcc, 0, v70
	s_nop 1
	v_cndmask_b32_e32 v70, 12, v70, vcc
; %bb.187:
	s_andn2_saveexec_b64 s[0:1], s[0:1]
	s_cbranch_execz .LBB116_189
; %bb.188:
	v_div_scale_f32 v72, s[2:3], v71, v71, 1.0
	v_rcp_f32_e32 v73, v72
	v_div_scale_f32 v74, vcc, 1.0, v71, 1.0
	v_fma_f32 v75, -v72, v73, 1.0
	v_fmac_f32_e32 v73, v75, v73
	v_mul_f32_e32 v75, v74, v73
	v_fma_f32 v76, -v72, v75, v74
	v_fmac_f32_e32 v75, v76, v73
	v_fma_f32 v72, -v72, v75, v74
	v_div_fmas_f32 v72, v72, v73, v75
	v_div_fixup_f32 v71, v72, v71, 1.0
.LBB116_189:
	s_or_b64 exec, exec, s[0:1]
	v_cmp_ne_u32_e32 vcc, v69, v66
	s_and_saveexec_b64 s[0:1], vcc
	s_xor_b64 s[0:1], exec, s[0:1]
	s_cbranch_execz .LBB116_195
; %bb.190:
	v_cmp_eq_u32_e32 vcc, 11, v69
	s_and_saveexec_b64 s[2:3], vcc
	s_cbranch_execz .LBB116_194
; %bb.191:
	v_cmp_ne_u32_e32 vcc, 11, v66
	s_xor_b64 s[12:13], s[20:21], -1
	s_and_b64 s[14:15], s[12:13], vcc
	s_and_saveexec_b64 s[12:13], s[14:15]
	s_cbranch_execz .LBB116_193
; %bb.192:
	v_ashrrev_i32_e32 v67, 31, v66
	v_lshl_add_u64 v[72:73], v[66:67], 2, v[4:5]
	global_load_dword v67, v[72:73], off
	global_load_dword v69, v[4:5], off offset:44
	s_waitcnt vmcnt(1)
	global_store_dword v[4:5], v67, off offset:44
	s_waitcnt vmcnt(1)
	global_store_dword v[72:73], v69, off
.LBB116_193:
	s_or_b64 exec, exec, s[12:13]
	v_mov_b32_e32 v67, v66
	v_mov_b32_e32 v69, v66
.LBB116_194:
	s_or_b64 exec, exec, s[2:3]
.LBB116_195:
	s_andn2_saveexec_b64 s[0:1], s[0:1]
	s_cbranch_execz .LBB116_197
; %bb.196:
	v_pk_mov_b32 v[72:73], v[60:61], v[58:59] op_sel:[1,0]
	ds_write2_b32 v65, v72, v73 offset0:12 offset1:13
	v_pk_mov_b32 v[72:73], v[58:59], v[56:57] op_sel:[1,0]
	ds_write2_b32 v65, v72, v73 offset0:14 offset1:15
	;; [unrolled: 2-line block ×22, first 2 shown]
	v_pk_mov_b32 v[72:73], v[0:1], v[14:15] op_sel:[1,0]
	v_mov_b32_e32 v69, 11
	ds_write2_b32 v65, v72, v73 offset0:56 offset1:57
	ds_write_b32 v65, v15 offset:232
.LBB116_197:
	s_or_b64 exec, exec, s[0:1]
	v_cmp_lt_i32_e32 vcc, 11, v69
	s_waitcnt lgkmcnt(0)
	s_barrier
	s_and_saveexec_b64 s[0:1], vcc
	s_cbranch_execz .LBB116_199
; %bb.198:
	ds_read_b32 v66, v65 offset:48
	ds_read2_b32 v[72:73], v65 offset0:13 offset1:14
	ds_read2_b32 v[74:75], v65 offset0:15 offset1:16
	v_mul_f32_e32 v60, v71, v60
	ds_read2_b32 v[76:77], v65 offset0:17 offset1:18
	s_waitcnt lgkmcnt(3)
	v_fma_f32 v61, -v60, v66, v61
	s_waitcnt lgkmcnt(2)
	v_pk_fma_f32 v[58:59], v[60:61], v[72:73], v[58:59] op_sel_hi:[0,1,1] neg_lo:[1,0,0] neg_hi:[1,0,0]
	s_waitcnt lgkmcnt(1)
	v_pk_fma_f32 v[56:57], v[60:61], v[74:75], v[56:57] op_sel_hi:[0,1,1] neg_lo:[1,0,0] neg_hi:[1,0,0]
	ds_read2_b32 v[72:73], v65 offset0:19 offset1:20
	ds_read2_b32 v[74:75], v65 offset0:21 offset1:22
	ds_read2_b32 v[78:79], v65 offset0:23 offset1:24
	s_waitcnt lgkmcnt(3)
	v_pk_fma_f32 v[46:47], v[60:61], v[76:77], v[46:47] op_sel_hi:[0,1,1] neg_lo:[1,0,0] neg_hi:[1,0,0]
	ds_read2_b32 v[76:77], v65 offset0:25 offset1:26
	s_waitcnt lgkmcnt(3)
	v_pk_fma_f32 v[42:43], v[60:61], v[72:73], v[42:43] op_sel_hi:[0,1,1] neg_lo:[1,0,0] neg_hi:[1,0,0]
	s_waitcnt lgkmcnt(2)
	v_pk_fma_f32 v[36:37], v[60:61], v[74:75], v[36:37] op_sel_hi:[0,1,1] neg_lo:[1,0,0] neg_hi:[1,0,0]
	s_waitcnt lgkmcnt(1)
	v_pk_fma_f32 v[28:29], v[60:61], v[78:79], v[28:29] op_sel_hi:[0,1,1] neg_lo:[1,0,0] neg_hi:[1,0,0]
	ds_read2_b32 v[72:73], v65 offset0:27 offset1:28
	ds_read2_b32 v[74:75], v65 offset0:29 offset1:30
	ds_read2_b32 v[78:79], v65 offset0:31 offset1:32
	s_waitcnt lgkmcnt(3)
	v_pk_fma_f32 v[44:45], v[60:61], v[76:77], v[44:45] op_sel_hi:[0,1,1] neg_lo:[1,0,0] neg_hi:[1,0,0]
	ds_read2_b32 v[76:77], v65 offset0:33 offset1:34
	s_waitcnt lgkmcnt(3)
	v_pk_fma_f32 v[38:39], v[60:61], v[72:73], v[38:39] op_sel_hi:[0,1,1] neg_lo:[1,0,0] neg_hi:[1,0,0]
	;; [unrolled: 12-line block ×4, first 2 shown]
	s_waitcnt lgkmcnt(2)
	v_pk_fma_f32 v[18:19], v[60:61], v[74:75], v[18:19] op_sel_hi:[0,1,1] neg_lo:[1,0,0] neg_hi:[1,0,0]
	s_waitcnt lgkmcnt(1)
	v_pk_fma_f32 v[8:9], v[60:61], v[78:79], v[8:9] op_sel_hi:[0,1,1] neg_lo:[1,0,0] neg_hi:[1,0,0]
	ds_read2_b32 v[72:73], v65 offset0:51 offset1:52
	ds_read2_b32 v[74:75], v65 offset0:53 offset1:54
	ds_read2_b32 v[78:79], v65 offset0:55 offset1:56
	ds_read2_b32 v[80:81], v65 offset0:57 offset1:58
	s_waitcnt lgkmcnt(4)
	v_pk_fma_f32 v[20:21], v[60:61], v[76:77], v[20:21] op_sel_hi:[0,1,1] neg_lo:[1,0,0] neg_hi:[1,0,0]
	s_waitcnt lgkmcnt(3)
	v_pk_fma_f32 v[12:13], v[60:61], v[72:73], v[12:13] op_sel_hi:[0,1,1] neg_lo:[1,0,0] neg_hi:[1,0,0]
	;; [unrolled: 2-line block ×5, first 2 shown]
.LBB116_199:
	s_or_b64 exec, exec, s[0:1]
	v_lshl_add_u32 v66, v69, 2, v65
	s_barrier
	ds_write_b32 v66, v61
	s_waitcnt lgkmcnt(0)
	s_barrier
	ds_read_b32 v71, v65 offset:48
	s_cmp_lt_i32 s22, 14
	v_mov_b32_e32 v66, 12
	s_cbranch_scc1 .LBB116_202
; %bb.200:
	v_add3_u32 v72, v68, 0, 52
	v_mov_b32_e32 v66, 12
	s_mov_b32 s0, 13
.LBB116_201:                            ; =>This Inner Loop Header: Depth=1
	ds_read_b32 v73, v72
	v_mov_b32_e32 v74, s0
	s_add_i32 s0, s0, 1
	v_add_u32_e32 v72, 4, v72
	s_cmp_lg_u32 s22, s0
	s_waitcnt lgkmcnt(0)
	v_cmp_lt_f32_e64 vcc, |v71|, |v73|
	s_nop 1
	v_cndmask_b32_e32 v71, v71, v73, vcc
	v_cndmask_b32_e32 v66, v66, v74, vcc
	s_cbranch_scc1 .LBB116_201
.LBB116_202:
	s_waitcnt lgkmcnt(0)
	v_cmp_eq_f32_e32 vcc, 0, v71
	s_and_saveexec_b64 s[0:1], vcc
	s_xor_b64 s[0:1], exec, s[0:1]
; %bb.203:
	v_cmp_ne_u32_e32 vcc, 0, v70
	s_nop 1
	v_cndmask_b32_e32 v70, 13, v70, vcc
; %bb.204:
	s_andn2_saveexec_b64 s[0:1], s[0:1]
	s_cbranch_execz .LBB116_206
; %bb.205:
	v_div_scale_f32 v72, s[2:3], v71, v71, 1.0
	v_rcp_f32_e32 v73, v72
	v_div_scale_f32 v74, vcc, 1.0, v71, 1.0
	v_fma_f32 v75, -v72, v73, 1.0
	v_fmac_f32_e32 v73, v75, v73
	v_mul_f32_e32 v75, v74, v73
	v_fma_f32 v76, -v72, v75, v74
	v_fmac_f32_e32 v75, v76, v73
	v_fma_f32 v72, -v72, v75, v74
	v_div_fmas_f32 v72, v72, v73, v75
	v_div_fixup_f32 v71, v72, v71, 1.0
.LBB116_206:
	s_or_b64 exec, exec, s[0:1]
	v_cmp_ne_u32_e32 vcc, v69, v66
	s_and_saveexec_b64 s[0:1], vcc
	s_xor_b64 s[0:1], exec, s[0:1]
	s_cbranch_execz .LBB116_212
; %bb.207:
	v_cmp_eq_u32_e32 vcc, 12, v69
	s_and_saveexec_b64 s[2:3], vcc
	s_cbranch_execz .LBB116_211
; %bb.208:
	v_cmp_ne_u32_e32 vcc, 12, v66
	s_xor_b64 s[12:13], s[20:21], -1
	s_and_b64 s[14:15], s[12:13], vcc
	s_and_saveexec_b64 s[12:13], s[14:15]
	s_cbranch_execz .LBB116_210
; %bb.209:
	v_ashrrev_i32_e32 v67, 31, v66
	v_lshl_add_u64 v[72:73], v[66:67], 2, v[4:5]
	global_load_dword v67, v[72:73], off
	global_load_dword v69, v[4:5], off offset:48
	s_waitcnt vmcnt(1)
	global_store_dword v[4:5], v67, off offset:48
	s_waitcnt vmcnt(1)
	global_store_dword v[72:73], v69, off
.LBB116_210:
	s_or_b64 exec, exec, s[12:13]
	v_mov_b32_e32 v67, v66
	v_mov_b32_e32 v69, v66
.LBB116_211:
	s_or_b64 exec, exec, s[2:3]
.LBB116_212:
	s_andn2_saveexec_b64 s[0:1], s[0:1]
	s_cbranch_execz .LBB116_214
; %bb.213:
	v_mov_b32_e32 v69, 12
	ds_write2_b32 v65, v58, v59 offset0:13 offset1:14
	ds_write2_b32 v65, v56, v57 offset0:15 offset1:16
	;; [unrolled: 1-line block ×23, first 2 shown]
.LBB116_214:
	s_or_b64 exec, exec, s[0:1]
	v_cmp_lt_i32_e32 vcc, 12, v69
	s_waitcnt lgkmcnt(0)
	s_barrier
	s_and_saveexec_b64 s[0:1], vcc
	s_cbranch_execz .LBB116_216
; %bb.215:
	ds_read2_b32 v[72:73], v65 offset0:13 offset1:14
	ds_read2_b32 v[74:75], v65 offset0:15 offset1:16
	;; [unrolled: 1-line block ×3, first 2 shown]
	v_mul_f32_e32 v66, v71, v61
	ds_read2_b32 v[78:79], v65 offset0:19 offset1:20
	s_waitcnt lgkmcnt(3)
	v_pk_fma_f32 v[58:59], v[66:67], v[72:73], v[58:59] op_sel_hi:[0,1,1] neg_lo:[1,0,0] neg_hi:[1,0,0]
	s_waitcnt lgkmcnt(2)
	v_pk_fma_f32 v[56:57], v[66:67], v[74:75], v[56:57] op_sel_hi:[0,1,1] neg_lo:[1,0,0] neg_hi:[1,0,0]
	s_waitcnt lgkmcnt(1)
	v_pk_fma_f32 v[46:47], v[66:67], v[76:77], v[46:47] op_sel_hi:[0,1,1] neg_lo:[1,0,0] neg_hi:[1,0,0]
	ds_read2_b32 v[72:73], v65 offset0:21 offset1:22
	ds_read2_b32 v[74:75], v65 offset0:23 offset1:24
	ds_read2_b32 v[76:77], v65 offset0:25 offset1:26
	s_waitcnt lgkmcnt(3)
	v_pk_fma_f32 v[42:43], v[66:67], v[78:79], v[42:43] op_sel_hi:[0,1,1] neg_lo:[1,0,0] neg_hi:[1,0,0]
	ds_read2_b32 v[78:79], v65 offset0:27 offset1:28
	s_waitcnt lgkmcnt(3)
	v_pk_fma_f32 v[36:37], v[66:67], v[72:73], v[36:37] op_sel_hi:[0,1,1] neg_lo:[1,0,0] neg_hi:[1,0,0]
	s_waitcnt lgkmcnt(2)
	v_pk_fma_f32 v[28:29], v[66:67], v[74:75], v[28:29] op_sel_hi:[0,1,1] neg_lo:[1,0,0] neg_hi:[1,0,0]
	s_waitcnt lgkmcnt(1)
	v_pk_fma_f32 v[44:45], v[66:67], v[76:77], v[44:45] op_sel_hi:[0,1,1] neg_lo:[1,0,0] neg_hi:[1,0,0]
	ds_read2_b32 v[72:73], v65 offset0:29 offset1:30
	ds_read2_b32 v[74:75], v65 offset0:31 offset1:32
	ds_read2_b32 v[76:77], v65 offset0:33 offset1:34
	s_waitcnt lgkmcnt(3)
	v_pk_fma_f32 v[38:39], v[66:67], v[78:79], v[38:39] op_sel_hi:[0,1,1] neg_lo:[1,0,0] neg_hi:[1,0,0]
	;; [unrolled: 12-line block ×3, first 2 shown]
	ds_read2_b32 v[78:79], v65 offset0:43 offset1:44
	s_waitcnt lgkmcnt(3)
	v_pk_fma_f32 v[24:25], v[66:67], v[72:73], v[24:25] op_sel_hi:[0,1,1] neg_lo:[1,0,0] neg_hi:[1,0,0]
	s_waitcnt lgkmcnt(2)
	v_pk_fma_f32 v[16:17], v[66:67], v[74:75], v[16:17] op_sel_hi:[0,1,1] neg_lo:[1,0,0] neg_hi:[1,0,0]
	ds_read2_b32 v[72:73], v65 offset0:45 offset1:46
	ds_read2_b32 v[74:75], v65 offset0:47 offset1:48
	s_waitcnt lgkmcnt(3)
	v_pk_fma_f32 v[34:35], v[66:67], v[76:77], v[34:35] op_sel_hi:[0,1,1] neg_lo:[1,0,0] neg_hi:[1,0,0]
	s_waitcnt lgkmcnt(2)
	v_pk_fma_f32 v[26:27], v[66:67], v[78:79], v[26:27] op_sel_hi:[0,1,1] neg_lo:[1,0,0] neg_hi:[1,0,0]
	ds_read2_b32 v[76:77], v65 offset0:49 offset1:50
	;; [unrolled: 6-line block ×3, first 2 shown]
	ds_read2_b32 v[74:75], v65 offset0:55 offset1:56
	ds_read2_b32 v[80:81], v65 offset0:57 offset1:58
	s_waitcnt lgkmcnt(4)
	v_pk_fma_f32 v[20:21], v[66:67], v[76:77], v[20:21] op_sel_hi:[0,1,1] neg_lo:[1,0,0] neg_hi:[1,0,0]
	s_waitcnt lgkmcnt(3)
	v_pk_fma_f32 v[12:13], v[66:67], v[78:79], v[12:13] op_sel_hi:[0,1,1] neg_lo:[1,0,0] neg_hi:[1,0,0]
	s_waitcnt lgkmcnt(2)
	v_pk_fma_f32 v[10:11], v[66:67], v[72:73], v[10:11] op_sel_hi:[0,1,1] neg_lo:[1,0,0] neg_hi:[1,0,0]
	s_waitcnt lgkmcnt(1)
	v_pk_fma_f32 v[0:1], v[66:67], v[74:75], v[0:1] op_sel_hi:[0,1,1] neg_lo:[1,0,0] neg_hi:[1,0,0]
	s_waitcnt lgkmcnt(0)
	v_pk_fma_f32 v[14:15], v[66:67], v[80:81], v[14:15] op_sel_hi:[0,1,1] neg_lo:[1,0,0] neg_hi:[1,0,0]
	v_mov_b32_e32 v61, v66
.LBB116_216:
	s_or_b64 exec, exec, s[0:1]
	v_lshl_add_u32 v66, v69, 2, v65
	s_barrier
	ds_write_b32 v66, v58
	s_waitcnt lgkmcnt(0)
	s_barrier
	ds_read_b32 v71, v65 offset:52
	s_cmp_lt_i32 s22, 15
	v_mov_b32_e32 v66, 13
	s_cbranch_scc1 .LBB116_219
; %bb.217:
	v_add3_u32 v72, v68, 0, 56
	v_mov_b32_e32 v66, 13
	s_mov_b32 s0, 14
.LBB116_218:                            ; =>This Inner Loop Header: Depth=1
	ds_read_b32 v73, v72
	v_mov_b32_e32 v74, s0
	s_add_i32 s0, s0, 1
	v_add_u32_e32 v72, 4, v72
	s_cmp_lg_u32 s22, s0
	s_waitcnt lgkmcnt(0)
	v_cmp_lt_f32_e64 vcc, |v71|, |v73|
	s_nop 1
	v_cndmask_b32_e32 v71, v71, v73, vcc
	v_cndmask_b32_e32 v66, v66, v74, vcc
	s_cbranch_scc1 .LBB116_218
.LBB116_219:
	s_waitcnt lgkmcnt(0)
	v_cmp_eq_f32_e32 vcc, 0, v71
	s_and_saveexec_b64 s[0:1], vcc
	s_xor_b64 s[0:1], exec, s[0:1]
; %bb.220:
	v_cmp_ne_u32_e32 vcc, 0, v70
	s_nop 1
	v_cndmask_b32_e32 v70, 14, v70, vcc
; %bb.221:
	s_andn2_saveexec_b64 s[0:1], s[0:1]
	s_cbranch_execz .LBB116_223
; %bb.222:
	v_div_scale_f32 v72, s[2:3], v71, v71, 1.0
	v_rcp_f32_e32 v73, v72
	v_div_scale_f32 v74, vcc, 1.0, v71, 1.0
	v_fma_f32 v75, -v72, v73, 1.0
	v_fmac_f32_e32 v73, v75, v73
	v_mul_f32_e32 v75, v74, v73
	v_fma_f32 v76, -v72, v75, v74
	v_fmac_f32_e32 v75, v76, v73
	v_fma_f32 v72, -v72, v75, v74
	v_div_fmas_f32 v72, v72, v73, v75
	v_div_fixup_f32 v71, v72, v71, 1.0
.LBB116_223:
	s_or_b64 exec, exec, s[0:1]
	v_cmp_ne_u32_e32 vcc, v69, v66
	s_and_saveexec_b64 s[0:1], vcc
	s_xor_b64 s[0:1], exec, s[0:1]
	s_cbranch_execz .LBB116_229
; %bb.224:
	v_cmp_eq_u32_e32 vcc, 13, v69
	s_and_saveexec_b64 s[2:3], vcc
	s_cbranch_execz .LBB116_228
; %bb.225:
	v_cmp_ne_u32_e32 vcc, 13, v66
	s_xor_b64 s[12:13], s[20:21], -1
	s_and_b64 s[14:15], s[12:13], vcc
	s_and_saveexec_b64 s[12:13], s[14:15]
	s_cbranch_execz .LBB116_227
; %bb.226:
	v_ashrrev_i32_e32 v67, 31, v66
	v_lshl_add_u64 v[72:73], v[66:67], 2, v[4:5]
	global_load_dword v67, v[72:73], off
	global_load_dword v69, v[4:5], off offset:52
	s_waitcnt vmcnt(1)
	global_store_dword v[4:5], v67, off offset:52
	s_waitcnt vmcnt(1)
	global_store_dword v[72:73], v69, off
.LBB116_227:
	s_or_b64 exec, exec, s[12:13]
	v_mov_b32_e32 v67, v66
	v_mov_b32_e32 v69, v66
.LBB116_228:
	s_or_b64 exec, exec, s[2:3]
.LBB116_229:
	s_andn2_saveexec_b64 s[0:1], s[0:1]
	s_cbranch_execz .LBB116_231
; %bb.230:
	v_pk_mov_b32 v[72:73], v[58:59], v[56:57] op_sel:[1,0]
	ds_write2_b32 v65, v72, v73 offset0:14 offset1:15
	v_pk_mov_b32 v[72:73], v[56:57], v[46:47] op_sel:[1,0]
	ds_write2_b32 v65, v72, v73 offset0:16 offset1:17
	;; [unrolled: 2-line block ×21, first 2 shown]
	v_pk_mov_b32 v[72:73], v[0:1], v[14:15] op_sel:[1,0]
	v_mov_b32_e32 v69, 13
	ds_write2_b32 v65, v72, v73 offset0:56 offset1:57
	ds_write_b32 v65, v15 offset:232
.LBB116_231:
	s_or_b64 exec, exec, s[0:1]
	v_cmp_lt_i32_e32 vcc, 13, v69
	s_waitcnt lgkmcnt(0)
	s_barrier
	s_and_saveexec_b64 s[0:1], vcc
	s_cbranch_execz .LBB116_233
; %bb.232:
	ds_read_b32 v66, v65 offset:56
	ds_read2_b32 v[72:73], v65 offset0:15 offset1:16
	ds_read2_b32 v[74:75], v65 offset0:17 offset1:18
	v_mul_f32_e32 v58, v71, v58
	ds_read2_b32 v[76:77], v65 offset0:19 offset1:20
	s_waitcnt lgkmcnt(3)
	v_fma_f32 v59, -v58, v66, v59
	s_waitcnt lgkmcnt(2)
	v_pk_fma_f32 v[56:57], v[58:59], v[72:73], v[56:57] op_sel_hi:[0,1,1] neg_lo:[1,0,0] neg_hi:[1,0,0]
	s_waitcnt lgkmcnt(1)
	v_pk_fma_f32 v[46:47], v[58:59], v[74:75], v[46:47] op_sel_hi:[0,1,1] neg_lo:[1,0,0] neg_hi:[1,0,0]
	ds_read2_b32 v[72:73], v65 offset0:21 offset1:22
	ds_read2_b32 v[74:75], v65 offset0:23 offset1:24
	ds_read2_b32 v[78:79], v65 offset0:25 offset1:26
	s_waitcnt lgkmcnt(3)
	v_pk_fma_f32 v[42:43], v[58:59], v[76:77], v[42:43] op_sel_hi:[0,1,1] neg_lo:[1,0,0] neg_hi:[1,0,0]
	ds_read2_b32 v[76:77], v65 offset0:27 offset1:28
	s_waitcnt lgkmcnt(3)
	v_pk_fma_f32 v[36:37], v[58:59], v[72:73], v[36:37] op_sel_hi:[0,1,1] neg_lo:[1,0,0] neg_hi:[1,0,0]
	s_waitcnt lgkmcnt(2)
	v_pk_fma_f32 v[28:29], v[58:59], v[74:75], v[28:29] op_sel_hi:[0,1,1] neg_lo:[1,0,0] neg_hi:[1,0,0]
	s_waitcnt lgkmcnt(1)
	v_pk_fma_f32 v[44:45], v[58:59], v[78:79], v[44:45] op_sel_hi:[0,1,1] neg_lo:[1,0,0] neg_hi:[1,0,0]
	ds_read2_b32 v[72:73], v65 offset0:29 offset1:30
	ds_read2_b32 v[74:75], v65 offset0:31 offset1:32
	ds_read2_b32 v[78:79], v65 offset0:33 offset1:34
	s_waitcnt lgkmcnt(3)
	v_pk_fma_f32 v[38:39], v[58:59], v[76:77], v[38:39] op_sel_hi:[0,1,1] neg_lo:[1,0,0] neg_hi:[1,0,0]
	ds_read2_b32 v[76:77], v65 offset0:35 offset1:36
	s_waitcnt lgkmcnt(3)
	v_pk_fma_f32 v[30:31], v[58:59], v[72:73], v[30:31] op_sel_hi:[0,1,1] neg_lo:[1,0,0] neg_hi:[1,0,0]
	s_waitcnt lgkmcnt(2)
	v_pk_fma_f32 v[22:23], v[58:59], v[74:75], v[22:23] op_sel_hi:[0,1,1] neg_lo:[1,0,0] neg_hi:[1,0,0]
	s_waitcnt lgkmcnt(1)
	v_pk_fma_f32 v[40:41], v[58:59], v[78:79], v[40:41] op_sel_hi:[0,1,1] neg_lo:[1,0,0] neg_hi:[1,0,0]
	ds_read2_b32 v[72:73], v65 offset0:37 offset1:38
	ds_read2_b32 v[74:75], v65 offset0:39 offset1:40
	ds_read2_b32 v[78:79], v65 offset0:41 offset1:42
	s_waitcnt lgkmcnt(3)
	v_pk_fma_f32 v[32:33], v[58:59], v[76:77], v[32:33] op_sel_hi:[0,1,1] neg_lo:[1,0,0] neg_hi:[1,0,0]
	ds_read2_b32 v[76:77], v65 offset0:43 offset1:44
	s_waitcnt lgkmcnt(3)
	v_pk_fma_f32 v[24:25], v[58:59], v[72:73], v[24:25] op_sel_hi:[0,1,1] neg_lo:[1,0,0] neg_hi:[1,0,0]
	s_waitcnt lgkmcnt(2)
	v_pk_fma_f32 v[16:17], v[58:59], v[74:75], v[16:17] op_sel_hi:[0,1,1] neg_lo:[1,0,0] neg_hi:[1,0,0]
	ds_read2_b32 v[72:73], v65 offset0:45 offset1:46
	ds_read2_b32 v[74:75], v65 offset0:47 offset1:48
	s_waitcnt lgkmcnt(3)
	v_pk_fma_f32 v[34:35], v[58:59], v[78:79], v[34:35] op_sel_hi:[0,1,1] neg_lo:[1,0,0] neg_hi:[1,0,0]
	s_waitcnt lgkmcnt(2)
	v_pk_fma_f32 v[26:27], v[58:59], v[76:77], v[26:27] op_sel_hi:[0,1,1] neg_lo:[1,0,0] neg_hi:[1,0,0]
	ds_read2_b32 v[76:77], v65 offset0:49 offset1:50
	ds_read2_b32 v[78:79], v65 offset0:51 offset1:52
	s_waitcnt lgkmcnt(3)
	v_pk_fma_f32 v[18:19], v[58:59], v[72:73], v[18:19] op_sel_hi:[0,1,1] neg_lo:[1,0,0] neg_hi:[1,0,0]
	s_waitcnt lgkmcnt(2)
	v_pk_fma_f32 v[8:9], v[58:59], v[74:75], v[8:9] op_sel_hi:[0,1,1] neg_lo:[1,0,0] neg_hi:[1,0,0]
	ds_read2_b32 v[72:73], v65 offset0:53 offset1:54
	ds_read2_b32 v[74:75], v65 offset0:55 offset1:56
	;; [unrolled: 1-line block ×3, first 2 shown]
	s_waitcnt lgkmcnt(4)
	v_pk_fma_f32 v[20:21], v[58:59], v[76:77], v[20:21] op_sel_hi:[0,1,1] neg_lo:[1,0,0] neg_hi:[1,0,0]
	s_waitcnt lgkmcnt(3)
	v_pk_fma_f32 v[12:13], v[58:59], v[78:79], v[12:13] op_sel_hi:[0,1,1] neg_lo:[1,0,0] neg_hi:[1,0,0]
	;; [unrolled: 2-line block ×5, first 2 shown]
.LBB116_233:
	s_or_b64 exec, exec, s[0:1]
	v_lshl_add_u32 v66, v69, 2, v65
	s_barrier
	ds_write_b32 v66, v59
	s_waitcnt lgkmcnt(0)
	s_barrier
	ds_read_b32 v71, v65 offset:56
	s_cmp_lt_i32 s22, 16
	v_mov_b32_e32 v66, 14
	s_cbranch_scc1 .LBB116_236
; %bb.234:
	v_add3_u32 v72, v68, 0, 60
	v_mov_b32_e32 v66, 14
	s_mov_b32 s0, 15
.LBB116_235:                            ; =>This Inner Loop Header: Depth=1
	ds_read_b32 v73, v72
	v_mov_b32_e32 v74, s0
	s_add_i32 s0, s0, 1
	v_add_u32_e32 v72, 4, v72
	s_cmp_lg_u32 s22, s0
	s_waitcnt lgkmcnt(0)
	v_cmp_lt_f32_e64 vcc, |v71|, |v73|
	s_nop 1
	v_cndmask_b32_e32 v71, v71, v73, vcc
	v_cndmask_b32_e32 v66, v66, v74, vcc
	s_cbranch_scc1 .LBB116_235
.LBB116_236:
	s_waitcnt lgkmcnt(0)
	v_cmp_eq_f32_e32 vcc, 0, v71
	s_and_saveexec_b64 s[0:1], vcc
	s_xor_b64 s[0:1], exec, s[0:1]
; %bb.237:
	v_cmp_ne_u32_e32 vcc, 0, v70
	s_nop 1
	v_cndmask_b32_e32 v70, 15, v70, vcc
; %bb.238:
	s_andn2_saveexec_b64 s[0:1], s[0:1]
	s_cbranch_execz .LBB116_240
; %bb.239:
	v_div_scale_f32 v72, s[2:3], v71, v71, 1.0
	v_rcp_f32_e32 v73, v72
	v_div_scale_f32 v74, vcc, 1.0, v71, 1.0
	v_fma_f32 v75, -v72, v73, 1.0
	v_fmac_f32_e32 v73, v75, v73
	v_mul_f32_e32 v75, v74, v73
	v_fma_f32 v76, -v72, v75, v74
	v_fmac_f32_e32 v75, v76, v73
	v_fma_f32 v72, -v72, v75, v74
	v_div_fmas_f32 v72, v72, v73, v75
	v_div_fixup_f32 v71, v72, v71, 1.0
.LBB116_240:
	s_or_b64 exec, exec, s[0:1]
	v_cmp_ne_u32_e32 vcc, v69, v66
	s_and_saveexec_b64 s[0:1], vcc
	s_xor_b64 s[0:1], exec, s[0:1]
	s_cbranch_execz .LBB116_246
; %bb.241:
	v_cmp_eq_u32_e32 vcc, 14, v69
	s_and_saveexec_b64 s[2:3], vcc
	s_cbranch_execz .LBB116_245
; %bb.242:
	v_cmp_ne_u32_e32 vcc, 14, v66
	s_xor_b64 s[12:13], s[20:21], -1
	s_and_b64 s[14:15], s[12:13], vcc
	s_and_saveexec_b64 s[12:13], s[14:15]
	s_cbranch_execz .LBB116_244
; %bb.243:
	v_ashrrev_i32_e32 v67, 31, v66
	v_lshl_add_u64 v[72:73], v[66:67], 2, v[4:5]
	global_load_dword v67, v[72:73], off
	global_load_dword v69, v[4:5], off offset:56
	s_waitcnt vmcnt(1)
	global_store_dword v[4:5], v67, off offset:56
	s_waitcnt vmcnt(1)
	global_store_dword v[72:73], v69, off
.LBB116_244:
	s_or_b64 exec, exec, s[12:13]
	v_mov_b32_e32 v67, v66
	v_mov_b32_e32 v69, v66
.LBB116_245:
	s_or_b64 exec, exec, s[2:3]
.LBB116_246:
	s_andn2_saveexec_b64 s[0:1], s[0:1]
	s_cbranch_execz .LBB116_248
; %bb.247:
	v_mov_b32_e32 v69, 14
	ds_write2_b32 v65, v56, v57 offset0:15 offset1:16
	ds_write2_b32 v65, v46, v47 offset0:17 offset1:18
	;; [unrolled: 1-line block ×22, first 2 shown]
.LBB116_248:
	s_or_b64 exec, exec, s[0:1]
	v_cmp_lt_i32_e32 vcc, 14, v69
	s_waitcnt lgkmcnt(0)
	s_barrier
	s_and_saveexec_b64 s[0:1], vcc
	s_cbranch_execz .LBB116_250
; %bb.249:
	ds_read2_b32 v[72:73], v65 offset0:15 offset1:16
	ds_read2_b32 v[74:75], v65 offset0:17 offset1:18
	;; [unrolled: 1-line block ×4, first 2 shown]
	v_mul_f32_e32 v66, v71, v59
	s_waitcnt lgkmcnt(3)
	v_pk_fma_f32 v[56:57], v[66:67], v[72:73], v[56:57] op_sel_hi:[0,1,1] neg_lo:[1,0,0] neg_hi:[1,0,0]
	s_waitcnt lgkmcnt(2)
	v_pk_fma_f32 v[46:47], v[66:67], v[74:75], v[46:47] op_sel_hi:[0,1,1] neg_lo:[1,0,0] neg_hi:[1,0,0]
	s_waitcnt lgkmcnt(1)
	v_pk_fma_f32 v[42:43], v[66:67], v[76:77], v[42:43] op_sel_hi:[0,1,1] neg_lo:[1,0,0] neg_hi:[1,0,0]
	ds_read2_b32 v[72:73], v65 offset0:23 offset1:24
	ds_read2_b32 v[74:75], v65 offset0:25 offset1:26
	ds_read2_b32 v[76:77], v65 offset0:27 offset1:28
	s_waitcnt lgkmcnt(3)
	v_pk_fma_f32 v[36:37], v[66:67], v[78:79], v[36:37] op_sel_hi:[0,1,1] neg_lo:[1,0,0] neg_hi:[1,0,0]
	ds_read2_b32 v[78:79], v65 offset0:29 offset1:30
	s_waitcnt lgkmcnt(3)
	v_pk_fma_f32 v[28:29], v[66:67], v[72:73], v[28:29] op_sel_hi:[0,1,1] neg_lo:[1,0,0] neg_hi:[1,0,0]
	s_waitcnt lgkmcnt(2)
	v_pk_fma_f32 v[44:45], v[66:67], v[74:75], v[44:45] op_sel_hi:[0,1,1] neg_lo:[1,0,0] neg_hi:[1,0,0]
	s_waitcnt lgkmcnt(1)
	v_pk_fma_f32 v[38:39], v[66:67], v[76:77], v[38:39] op_sel_hi:[0,1,1] neg_lo:[1,0,0] neg_hi:[1,0,0]
	ds_read2_b32 v[72:73], v65 offset0:31 offset1:32
	ds_read2_b32 v[74:75], v65 offset0:33 offset1:34
	ds_read2_b32 v[76:77], v65 offset0:35 offset1:36
	s_waitcnt lgkmcnt(3)
	v_pk_fma_f32 v[30:31], v[66:67], v[78:79], v[30:31] op_sel_hi:[0,1,1] neg_lo:[1,0,0] neg_hi:[1,0,0]
	ds_read2_b32 v[78:79], v65 offset0:37 offset1:38
	;; [unrolled: 12-line block ×3, first 2 shown]
	s_waitcnt lgkmcnt(3)
	v_pk_fma_f32 v[16:17], v[66:67], v[72:73], v[16:17] op_sel_hi:[0,1,1] neg_lo:[1,0,0] neg_hi:[1,0,0]
	ds_read2_b32 v[72:73], v65 offset0:47 offset1:48
	s_waitcnt lgkmcnt(3)
	v_pk_fma_f32 v[34:35], v[66:67], v[74:75], v[34:35] op_sel_hi:[0,1,1] neg_lo:[1,0,0] neg_hi:[1,0,0]
	s_waitcnt lgkmcnt(2)
	v_pk_fma_f32 v[26:27], v[66:67], v[76:77], v[26:27] op_sel_hi:[0,1,1] neg_lo:[1,0,0] neg_hi:[1,0,0]
	;; [unrolled: 2-line block ×3, first 2 shown]
	ds_read2_b32 v[74:75], v65 offset0:49 offset1:50
	ds_read2_b32 v[76:77], v65 offset0:51 offset1:52
	;; [unrolled: 1-line block ×3, first 2 shown]
	s_waitcnt lgkmcnt(3)
	v_pk_fma_f32 v[8:9], v[66:67], v[72:73], v[8:9] op_sel_hi:[0,1,1] neg_lo:[1,0,0] neg_hi:[1,0,0]
	ds_read2_b32 v[72:73], v65 offset0:55 offset1:56
	ds_read2_b32 v[80:81], v65 offset0:57 offset1:58
	s_waitcnt lgkmcnt(4)
	v_pk_fma_f32 v[20:21], v[66:67], v[74:75], v[20:21] op_sel_hi:[0,1,1] neg_lo:[1,0,0] neg_hi:[1,0,0]
	s_waitcnt lgkmcnt(3)
	v_pk_fma_f32 v[12:13], v[66:67], v[76:77], v[12:13] op_sel_hi:[0,1,1] neg_lo:[1,0,0] neg_hi:[1,0,0]
	s_waitcnt lgkmcnt(2)
	v_pk_fma_f32 v[10:11], v[66:67], v[78:79], v[10:11] op_sel_hi:[0,1,1] neg_lo:[1,0,0] neg_hi:[1,0,0]
	s_waitcnt lgkmcnt(1)
	v_pk_fma_f32 v[0:1], v[66:67], v[72:73], v[0:1] op_sel_hi:[0,1,1] neg_lo:[1,0,0] neg_hi:[1,0,0]
	s_waitcnt lgkmcnt(0)
	v_pk_fma_f32 v[14:15], v[66:67], v[80:81], v[14:15] op_sel_hi:[0,1,1] neg_lo:[1,0,0] neg_hi:[1,0,0]
	v_mov_b32_e32 v59, v66
.LBB116_250:
	s_or_b64 exec, exec, s[0:1]
	v_lshl_add_u32 v66, v69, 2, v65
	s_barrier
	ds_write_b32 v66, v56
	s_waitcnt lgkmcnt(0)
	s_barrier
	ds_read_b32 v71, v65 offset:60
	s_cmp_lt_i32 s22, 17
	v_mov_b32_e32 v66, 15
	s_cbranch_scc1 .LBB116_253
; %bb.251:
	v_add3_u32 v68, v68, 0, 64
	v_mov_b32_e32 v66, 15
	s_mov_b32 s0, 16
.LBB116_252:                            ; =>This Inner Loop Header: Depth=1
	ds_read_b32 v72, v68
	v_mov_b32_e32 v73, s0
	s_add_i32 s0, s0, 1
	v_add_u32_e32 v68, 4, v68
	s_cmp_lg_u32 s22, s0
	s_waitcnt lgkmcnt(0)
	v_cmp_lt_f32_e64 vcc, |v71|, |v72|
	s_nop 1
	v_cndmask_b32_e32 v71, v71, v72, vcc
	v_cndmask_b32_e32 v66, v66, v73, vcc
	s_cbranch_scc1 .LBB116_252
.LBB116_253:
	s_waitcnt lgkmcnt(0)
	v_cmp_eq_f32_e32 vcc, 0, v71
	s_and_saveexec_b64 s[0:1], vcc
	s_xor_b64 s[0:1], exec, s[0:1]
; %bb.254:
	v_cmp_ne_u32_e32 vcc, 0, v70
	s_nop 1
	v_cndmask_b32_e32 v70, 16, v70, vcc
; %bb.255:
	s_andn2_saveexec_b64 s[0:1], s[0:1]
	s_cbranch_execz .LBB116_257
; %bb.256:
	v_div_scale_f32 v68, s[2:3], v71, v71, 1.0
	v_rcp_f32_e32 v72, v68
	v_div_scale_f32 v73, vcc, 1.0, v71, 1.0
	v_fma_f32 v74, -v68, v72, 1.0
	v_fmac_f32_e32 v72, v74, v72
	v_mul_f32_e32 v74, v73, v72
	v_fma_f32 v75, -v68, v74, v73
	v_fmac_f32_e32 v74, v75, v72
	v_fma_f32 v68, -v68, v74, v73
	v_div_fmas_f32 v68, v68, v72, v74
	v_div_fixup_f32 v71, v68, v71, 1.0
.LBB116_257:
	s_or_b64 exec, exec, s[0:1]
	v_cmp_ne_u32_e32 vcc, v69, v66
	s_and_saveexec_b64 s[0:1], vcc
	s_xor_b64 s[0:1], exec, s[0:1]
	s_cbranch_execz .LBB116_263
; %bb.258:
	v_cmp_eq_u32_e32 vcc, 15, v69
	s_and_saveexec_b64 s[2:3], vcc
	s_cbranch_execz .LBB116_262
; %bb.259:
	v_cmp_ne_u32_e32 vcc, 15, v66
	s_xor_b64 s[12:13], s[20:21], -1
	s_and_b64 s[14:15], s[12:13], vcc
	s_and_saveexec_b64 s[12:13], s[14:15]
	s_cbranch_execz .LBB116_261
; %bb.260:
	v_ashrrev_i32_e32 v67, 31, v66
	v_lshl_add_u64 v[68:69], v[66:67], 2, v[4:5]
	global_load_dword v67, v[68:69], off
	global_load_dword v72, v[4:5], off offset:60
	s_waitcnt vmcnt(1)
	global_store_dword v[4:5], v67, off offset:60
	s_waitcnt vmcnt(1)
	global_store_dword v[68:69], v72, off
.LBB116_261:
	s_or_b64 exec, exec, s[12:13]
	v_mov_b32_e32 v67, v66
	v_mov_b32_e32 v69, v66
.LBB116_262:
	s_or_b64 exec, exec, s[2:3]
.LBB116_263:
	s_andn2_saveexec_b64 s[0:1], s[0:1]
	s_cbranch_execz .LBB116_265
; %bb.264:
	v_pk_mov_b32 v[68:69], v[56:57], v[46:47] op_sel:[1,0]
	ds_write2_b32 v65, v68, v69 offset0:16 offset1:17
	v_pk_mov_b32 v[68:69], v[46:47], v[42:43] op_sel:[1,0]
	ds_write2_b32 v65, v68, v69 offset0:18 offset1:19
	;; [unrolled: 2-line block ×21, first 2 shown]
	ds_write_b32 v65, v15 offset:232
	v_mov_b32_e32 v69, 15
.LBB116_265:
	s_or_b64 exec, exec, s[0:1]
	v_cmp_lt_i32_e32 vcc, 15, v69
	s_waitcnt lgkmcnt(0)
	s_barrier
	s_and_saveexec_b64 s[0:1], vcc
	s_cbranch_execz .LBB116_267
; %bb.266:
	ds_read_b32 v66, v65 offset:64
	ds_read2_b32 v[72:73], v65 offset0:17 offset1:18
	ds_read2_b32 v[74:75], v65 offset0:19 offset1:20
	v_mul_f32_e32 v56, v71, v56
	ds_read2_b32 v[76:77], v65 offset0:21 offset1:22
	s_waitcnt lgkmcnt(3)
	v_fma_f32 v57, -v56, v66, v57
	s_waitcnt lgkmcnt(2)
	v_pk_fma_f32 v[46:47], v[56:57], v[72:73], v[46:47] op_sel_hi:[0,1,1] neg_lo:[1,0,0] neg_hi:[1,0,0]
	s_waitcnt lgkmcnt(1)
	v_pk_fma_f32 v[42:43], v[56:57], v[74:75], v[42:43] op_sel_hi:[0,1,1] neg_lo:[1,0,0] neg_hi:[1,0,0]
	ds_read2_b32 v[72:73], v65 offset0:23 offset1:24
	ds_read2_b32 v[74:75], v65 offset0:25 offset1:26
	ds_read2_b32 v[78:79], v65 offset0:27 offset1:28
	s_waitcnt lgkmcnt(3)
	v_pk_fma_f32 v[36:37], v[56:57], v[76:77], v[36:37] op_sel_hi:[0,1,1] neg_lo:[1,0,0] neg_hi:[1,0,0]
	ds_read2_b32 v[76:77], v65 offset0:29 offset1:30
	s_waitcnt lgkmcnt(3)
	v_pk_fma_f32 v[28:29], v[56:57], v[72:73], v[28:29] op_sel_hi:[0,1,1] neg_lo:[1,0,0] neg_hi:[1,0,0]
	s_waitcnt lgkmcnt(2)
	v_pk_fma_f32 v[44:45], v[56:57], v[74:75], v[44:45] op_sel_hi:[0,1,1] neg_lo:[1,0,0] neg_hi:[1,0,0]
	s_waitcnt lgkmcnt(1)
	v_pk_fma_f32 v[38:39], v[56:57], v[78:79], v[38:39] op_sel_hi:[0,1,1] neg_lo:[1,0,0] neg_hi:[1,0,0]
	ds_read2_b32 v[72:73], v65 offset0:31 offset1:32
	ds_read2_b32 v[74:75], v65 offset0:33 offset1:34
	ds_read2_b32 v[78:79], v65 offset0:35 offset1:36
	s_waitcnt lgkmcnt(3)
	v_pk_fma_f32 v[30:31], v[56:57], v[76:77], v[30:31] op_sel_hi:[0,1,1] neg_lo:[1,0,0] neg_hi:[1,0,0]
	ds_read2_b32 v[76:77], v65 offset0:37 offset1:38
	s_waitcnt lgkmcnt(3)
	v_pk_fma_f32 v[22:23], v[56:57], v[72:73], v[22:23] op_sel_hi:[0,1,1] neg_lo:[1,0,0] neg_hi:[1,0,0]
	;; [unrolled: 12-line block ×3, first 2 shown]
	ds_read2_b32 v[72:73], v65 offset0:47 offset1:48
	s_waitcnt lgkmcnt(3)
	v_pk_fma_f32 v[34:35], v[56:57], v[74:75], v[34:35] op_sel_hi:[0,1,1] neg_lo:[1,0,0] neg_hi:[1,0,0]
	s_waitcnt lgkmcnt(2)
	v_pk_fma_f32 v[26:27], v[56:57], v[78:79], v[26:27] op_sel_hi:[0,1,1] neg_lo:[1,0,0] neg_hi:[1,0,0]
	;; [unrolled: 2-line block ×3, first 2 shown]
	ds_read2_b32 v[74:75], v65 offset0:49 offset1:50
	ds_read2_b32 v[76:77], v65 offset0:51 offset1:52
	;; [unrolled: 1-line block ×3, first 2 shown]
	s_waitcnt lgkmcnt(3)
	v_pk_fma_f32 v[8:9], v[56:57], v[72:73], v[8:9] op_sel_hi:[0,1,1] neg_lo:[1,0,0] neg_hi:[1,0,0]
	ds_read2_b32 v[72:73], v65 offset0:55 offset1:56
	ds_read2_b32 v[80:81], v65 offset0:57 offset1:58
	s_waitcnt lgkmcnt(4)
	v_pk_fma_f32 v[20:21], v[56:57], v[74:75], v[20:21] op_sel_hi:[0,1,1] neg_lo:[1,0,0] neg_hi:[1,0,0]
	s_waitcnt lgkmcnt(3)
	v_pk_fma_f32 v[12:13], v[56:57], v[76:77], v[12:13] op_sel_hi:[0,1,1] neg_lo:[1,0,0] neg_hi:[1,0,0]
	;; [unrolled: 2-line block ×5, first 2 shown]
.LBB116_267:
	s_or_b64 exec, exec, s[0:1]
	v_lshl_add_u32 v66, v69, 2, v65
	s_barrier
	ds_write_b32 v66, v57
	s_waitcnt lgkmcnt(0)
	s_barrier
	ds_read_b32 v68, v65 offset:64
	s_cmp_lt_i32 s22, 18
	v_mov_b32_e32 v66, 16
	s_cbranch_scc1 .LBB116_270
; %bb.268:
	v_add_u32_e32 v71, 0x44, v65
	v_mov_b32_e32 v66, 16
	s_mov_b32 s0, 17
.LBB116_269:                            ; =>This Inner Loop Header: Depth=1
	ds_read_b32 v72, v71
	v_mov_b32_e32 v73, s0
	s_add_i32 s0, s0, 1
	v_add_u32_e32 v71, 4, v71
	s_cmp_lg_u32 s22, s0
	s_waitcnt lgkmcnt(0)
	v_cmp_lt_f32_e64 vcc, |v68|, |v72|
	s_nop 1
	v_cndmask_b32_e32 v68, v68, v72, vcc
	v_cndmask_b32_e32 v66, v66, v73, vcc
	s_cbranch_scc1 .LBB116_269
.LBB116_270:
	s_waitcnt lgkmcnt(0)
	v_cmp_eq_f32_e32 vcc, 0, v68
	s_and_saveexec_b64 s[0:1], vcc
	s_xor_b64 s[0:1], exec, s[0:1]
; %bb.271:
	v_cmp_ne_u32_e32 vcc, 0, v70
	s_nop 1
	v_cndmask_b32_e32 v70, 17, v70, vcc
; %bb.272:
	s_andn2_saveexec_b64 s[0:1], s[0:1]
	s_cbranch_execz .LBB116_274
; %bb.273:
	v_div_scale_f32 v71, s[2:3], v68, v68, 1.0
	v_rcp_f32_e32 v72, v71
	v_div_scale_f32 v73, vcc, 1.0, v68, 1.0
	v_fma_f32 v74, -v71, v72, 1.0
	v_fmac_f32_e32 v72, v74, v72
	v_mul_f32_e32 v74, v73, v72
	v_fma_f32 v75, -v71, v74, v73
	v_fmac_f32_e32 v74, v75, v72
	v_fma_f32 v71, -v71, v74, v73
	v_div_fmas_f32 v71, v71, v72, v74
	v_div_fixup_f32 v68, v71, v68, 1.0
.LBB116_274:
	s_or_b64 exec, exec, s[0:1]
	v_cmp_ne_u32_e32 vcc, v69, v66
	s_and_saveexec_b64 s[0:1], vcc
	s_xor_b64 s[0:1], exec, s[0:1]
	s_cbranch_execz .LBB116_280
; %bb.275:
	v_cmp_eq_u32_e32 vcc, 16, v69
	s_and_saveexec_b64 s[2:3], vcc
	s_cbranch_execz .LBB116_279
; %bb.276:
	v_cmp_ne_u32_e32 vcc, 16, v66
	s_xor_b64 s[12:13], s[20:21], -1
	s_and_b64 s[14:15], s[12:13], vcc
	s_and_saveexec_b64 s[12:13], s[14:15]
	s_cbranch_execz .LBB116_278
; %bb.277:
	v_ashrrev_i32_e32 v67, 31, v66
	v_lshl_add_u64 v[72:73], v[66:67], 2, v[4:5]
	global_load_dword v67, v[72:73], off
	global_load_dword v69, v[4:5], off offset:64
	s_waitcnt vmcnt(1)
	global_store_dword v[4:5], v67, off offset:64
	s_waitcnt vmcnt(1)
	global_store_dword v[72:73], v69, off
.LBB116_278:
	s_or_b64 exec, exec, s[12:13]
	v_mov_b32_e32 v67, v66
	v_mov_b32_e32 v69, v66
.LBB116_279:
	s_or_b64 exec, exec, s[2:3]
.LBB116_280:
	s_andn2_saveexec_b64 s[0:1], s[0:1]
	s_cbranch_execz .LBB116_282
; %bb.281:
	v_mov_b32_e32 v69, 16
	ds_write2_b32 v65, v46, v47 offset0:17 offset1:18
	ds_write2_b32 v65, v42, v43 offset0:19 offset1:20
	;; [unrolled: 1-line block ×21, first 2 shown]
.LBB116_282:
	s_or_b64 exec, exec, s[0:1]
	v_cmp_lt_i32_e32 vcc, 16, v69
	s_waitcnt lgkmcnt(0)
	s_barrier
	s_and_saveexec_b64 s[0:1], vcc
	s_cbranch_execz .LBB116_284
; %bb.283:
	ds_read2_b32 v[72:73], v65 offset0:17 offset1:18
	ds_read2_b32 v[74:75], v65 offset0:19 offset1:20
	;; [unrolled: 1-line block ×3, first 2 shown]
	v_mul_f32_e32 v66, v68, v57
	ds_read2_b32 v[78:79], v65 offset0:23 offset1:24
	s_waitcnt lgkmcnt(3)
	v_pk_fma_f32 v[46:47], v[66:67], v[72:73], v[46:47] op_sel_hi:[0,1,1] neg_lo:[1,0,0] neg_hi:[1,0,0]
	s_waitcnt lgkmcnt(2)
	v_pk_fma_f32 v[42:43], v[66:67], v[74:75], v[42:43] op_sel_hi:[0,1,1] neg_lo:[1,0,0] neg_hi:[1,0,0]
	;; [unrolled: 2-line block ×3, first 2 shown]
	ds_read2_b32 v[72:73], v65 offset0:25 offset1:26
	ds_read2_b32 v[74:75], v65 offset0:27 offset1:28
	;; [unrolled: 1-line block ×3, first 2 shown]
	s_waitcnt lgkmcnt(3)
	v_pk_fma_f32 v[28:29], v[66:67], v[78:79], v[28:29] op_sel_hi:[0,1,1] neg_lo:[1,0,0] neg_hi:[1,0,0]
	ds_read2_b32 v[78:79], v65 offset0:31 offset1:32
	s_waitcnt lgkmcnt(3)
	v_pk_fma_f32 v[44:45], v[66:67], v[72:73], v[44:45] op_sel_hi:[0,1,1] neg_lo:[1,0,0] neg_hi:[1,0,0]
	s_waitcnt lgkmcnt(2)
	v_pk_fma_f32 v[38:39], v[66:67], v[74:75], v[38:39] op_sel_hi:[0,1,1] neg_lo:[1,0,0] neg_hi:[1,0,0]
	;; [unrolled: 2-line block ×3, first 2 shown]
	ds_read2_b32 v[72:73], v65 offset0:33 offset1:34
	ds_read2_b32 v[74:75], v65 offset0:35 offset1:36
	;; [unrolled: 1-line block ×3, first 2 shown]
	s_waitcnt lgkmcnt(3)
	v_pk_fma_f32 v[22:23], v[66:67], v[78:79], v[22:23] op_sel_hi:[0,1,1] neg_lo:[1,0,0] neg_hi:[1,0,0]
	ds_read2_b32 v[78:79], v65 offset0:39 offset1:40
	s_waitcnt lgkmcnt(3)
	v_pk_fma_f32 v[40:41], v[66:67], v[72:73], v[40:41] op_sel_hi:[0,1,1] neg_lo:[1,0,0] neg_hi:[1,0,0]
	s_waitcnt lgkmcnt(2)
	v_pk_fma_f32 v[32:33], v[66:67], v[74:75], v[32:33] op_sel_hi:[0,1,1] neg_lo:[1,0,0] neg_hi:[1,0,0]
	;; [unrolled: 2-line block ×3, first 2 shown]
	ds_read2_b32 v[72:73], v65 offset0:41 offset1:42
	ds_read2_b32 v[74:75], v65 offset0:43 offset1:44
	;; [unrolled: 1-line block ×4, first 2 shown]
	s_waitcnt lgkmcnt(4)
	v_pk_fma_f32 v[16:17], v[66:67], v[78:79], v[16:17] op_sel_hi:[0,1,1] neg_lo:[1,0,0] neg_hi:[1,0,0]
	s_waitcnt lgkmcnt(3)
	v_pk_fma_f32 v[34:35], v[66:67], v[72:73], v[34:35] op_sel_hi:[0,1,1] neg_lo:[1,0,0] neg_hi:[1,0,0]
	;; [unrolled: 2-line block ×5, first 2 shown]
	ds_read2_b32 v[72:73], v65 offset0:49 offset1:50
	ds_read2_b32 v[74:75], v65 offset0:51 offset1:52
	;; [unrolled: 1-line block ×5, first 2 shown]
	s_waitcnt lgkmcnt(4)
	v_pk_fma_f32 v[20:21], v[66:67], v[72:73], v[20:21] op_sel_hi:[0,1,1] neg_lo:[1,0,0] neg_hi:[1,0,0]
	s_waitcnt lgkmcnt(3)
	v_pk_fma_f32 v[12:13], v[66:67], v[74:75], v[12:13] op_sel_hi:[0,1,1] neg_lo:[1,0,0] neg_hi:[1,0,0]
	;; [unrolled: 2-line block ×5, first 2 shown]
	v_mov_b32_e32 v57, v66
.LBB116_284:
	s_or_b64 exec, exec, s[0:1]
	v_lshl_add_u32 v66, v69, 2, v65
	s_barrier
	ds_write_b32 v66, v46
	s_waitcnt lgkmcnt(0)
	s_barrier
	ds_read_b32 v68, v65 offset:68
	s_cmp_lt_i32 s22, 19
	v_mov_b32_e32 v66, 17
	s_cbranch_scc1 .LBB116_287
; %bb.285:
	v_add_u32_e32 v71, 0x48, v65
	v_mov_b32_e32 v66, 17
	s_mov_b32 s0, 18
.LBB116_286:                            ; =>This Inner Loop Header: Depth=1
	ds_read_b32 v72, v71
	v_mov_b32_e32 v73, s0
	s_add_i32 s0, s0, 1
	v_add_u32_e32 v71, 4, v71
	s_cmp_lg_u32 s22, s0
	s_waitcnt lgkmcnt(0)
	v_cmp_lt_f32_e64 vcc, |v68|, |v72|
	s_nop 1
	v_cndmask_b32_e32 v68, v68, v72, vcc
	v_cndmask_b32_e32 v66, v66, v73, vcc
	s_cbranch_scc1 .LBB116_286
.LBB116_287:
	s_waitcnt lgkmcnt(0)
	v_cmp_eq_f32_e32 vcc, 0, v68
	s_and_saveexec_b64 s[0:1], vcc
	s_xor_b64 s[0:1], exec, s[0:1]
; %bb.288:
	v_cmp_ne_u32_e32 vcc, 0, v70
	s_nop 1
	v_cndmask_b32_e32 v70, 18, v70, vcc
; %bb.289:
	s_andn2_saveexec_b64 s[0:1], s[0:1]
	s_cbranch_execz .LBB116_291
; %bb.290:
	v_div_scale_f32 v71, s[2:3], v68, v68, 1.0
	v_rcp_f32_e32 v72, v71
	v_div_scale_f32 v73, vcc, 1.0, v68, 1.0
	v_fma_f32 v74, -v71, v72, 1.0
	v_fmac_f32_e32 v72, v74, v72
	v_mul_f32_e32 v74, v73, v72
	v_fma_f32 v75, -v71, v74, v73
	v_fmac_f32_e32 v74, v75, v72
	v_fma_f32 v71, -v71, v74, v73
	v_div_fmas_f32 v71, v71, v72, v74
	v_div_fixup_f32 v68, v71, v68, 1.0
.LBB116_291:
	s_or_b64 exec, exec, s[0:1]
	v_cmp_ne_u32_e32 vcc, v69, v66
	s_and_saveexec_b64 s[0:1], vcc
	s_xor_b64 s[0:1], exec, s[0:1]
	s_cbranch_execz .LBB116_297
; %bb.292:
	v_cmp_eq_u32_e32 vcc, 17, v69
	s_and_saveexec_b64 s[2:3], vcc
	s_cbranch_execz .LBB116_296
; %bb.293:
	v_cmp_ne_u32_e32 vcc, 17, v66
	s_xor_b64 s[12:13], s[20:21], -1
	s_and_b64 s[14:15], s[12:13], vcc
	s_and_saveexec_b64 s[12:13], s[14:15]
	s_cbranch_execz .LBB116_295
; %bb.294:
	v_ashrrev_i32_e32 v67, 31, v66
	v_lshl_add_u64 v[72:73], v[66:67], 2, v[4:5]
	global_load_dword v67, v[72:73], off
	global_load_dword v69, v[4:5], off offset:68
	s_waitcnt vmcnt(1)
	global_store_dword v[4:5], v67, off offset:68
	s_waitcnt vmcnt(1)
	global_store_dword v[72:73], v69, off
.LBB116_295:
	s_or_b64 exec, exec, s[12:13]
	v_mov_b32_e32 v67, v66
	v_mov_b32_e32 v69, v66
.LBB116_296:
	s_or_b64 exec, exec, s[2:3]
.LBB116_297:
	s_andn2_saveexec_b64 s[0:1], s[0:1]
	s_cbranch_execz .LBB116_299
; %bb.298:
	v_pk_mov_b32 v[72:73], v[46:47], v[42:43] op_sel:[1,0]
	ds_write2_b32 v65, v72, v73 offset0:18 offset1:19
	v_pk_mov_b32 v[72:73], v[42:43], v[36:37] op_sel:[1,0]
	ds_write2_b32 v65, v72, v73 offset0:20 offset1:21
	v_pk_mov_b32 v[72:73], v[36:37], v[28:29] op_sel:[1,0]
	ds_write2_b32 v65, v72, v73 offset0:22 offset1:23
	v_pk_mov_b32 v[72:73], v[28:29], v[44:45] op_sel:[1,0]
	ds_write2_b32 v65, v72, v73 offset0:24 offset1:25
	v_pk_mov_b32 v[72:73], v[44:45], v[38:39] op_sel:[1,0]
	ds_write2_b32 v65, v72, v73 offset0:26 offset1:27
	v_pk_mov_b32 v[72:73], v[38:39], v[30:31] op_sel:[1,0]
	ds_write2_b32 v65, v72, v73 offset0:28 offset1:29
	v_pk_mov_b32 v[72:73], v[30:31], v[22:23] op_sel:[1,0]
	ds_write2_b32 v65, v72, v73 offset0:30 offset1:31
	v_pk_mov_b32 v[72:73], v[22:23], v[40:41] op_sel:[1,0]
	ds_write2_b32 v65, v72, v73 offset0:32 offset1:33
	v_pk_mov_b32 v[72:73], v[40:41], v[32:33] op_sel:[1,0]
	ds_write2_b32 v65, v72, v73 offset0:34 offset1:35
	v_pk_mov_b32 v[72:73], v[32:33], v[24:25] op_sel:[1,0]
	ds_write2_b32 v65, v72, v73 offset0:36 offset1:37
	v_pk_mov_b32 v[72:73], v[24:25], v[16:17] op_sel:[1,0]
	ds_write2_b32 v65, v72, v73 offset0:38 offset1:39
	v_pk_mov_b32 v[72:73], v[16:17], v[34:35] op_sel:[1,0]
	ds_write2_b32 v65, v72, v73 offset0:40 offset1:41
	v_pk_mov_b32 v[72:73], v[34:35], v[26:27] op_sel:[1,0]
	ds_write2_b32 v65, v72, v73 offset0:42 offset1:43
	v_pk_mov_b32 v[72:73], v[26:27], v[18:19] op_sel:[1,0]
	ds_write2_b32 v65, v72, v73 offset0:44 offset1:45
	v_pk_mov_b32 v[72:73], v[18:19], v[8:9] op_sel:[1,0]
	ds_write2_b32 v65, v72, v73 offset0:46 offset1:47
	v_pk_mov_b32 v[72:73], v[8:9], v[20:21] op_sel:[1,0]
	ds_write2_b32 v65, v72, v73 offset0:48 offset1:49
	v_pk_mov_b32 v[72:73], v[20:21], v[12:13] op_sel:[1,0]
	ds_write2_b32 v65, v72, v73 offset0:50 offset1:51
	v_pk_mov_b32 v[72:73], v[12:13], v[10:11] op_sel:[1,0]
	ds_write2_b32 v65, v72, v73 offset0:52 offset1:53
	v_pk_mov_b32 v[72:73], v[10:11], v[0:1] op_sel:[1,0]
	ds_write2_b32 v65, v72, v73 offset0:54 offset1:55
	v_pk_mov_b32 v[72:73], v[0:1], v[14:15] op_sel:[1,0]
	v_mov_b32_e32 v69, 17
	ds_write2_b32 v65, v72, v73 offset0:56 offset1:57
	ds_write_b32 v65, v15 offset:232
.LBB116_299:
	s_or_b64 exec, exec, s[0:1]
	v_cmp_lt_i32_e32 vcc, 17, v69
	s_waitcnt lgkmcnt(0)
	s_barrier
	s_and_saveexec_b64 s[0:1], vcc
	s_cbranch_execz .LBB116_301
; %bb.300:
	ds_read_b32 v66, v65 offset:72
	ds_read2_b32 v[72:73], v65 offset0:19 offset1:20
	ds_read2_b32 v[74:75], v65 offset0:21 offset1:22
	v_mul_f32_e32 v46, v68, v46
	ds_read2_b32 v[76:77], v65 offset0:23 offset1:24
	s_waitcnt lgkmcnt(3)
	v_fma_f32 v47, -v46, v66, v47
	s_waitcnt lgkmcnt(2)
	v_pk_fma_f32 v[42:43], v[46:47], v[72:73], v[42:43] op_sel_hi:[0,1,1] neg_lo:[1,0,0] neg_hi:[1,0,0]
	s_waitcnt lgkmcnt(1)
	v_pk_fma_f32 v[36:37], v[46:47], v[74:75], v[36:37] op_sel_hi:[0,1,1] neg_lo:[1,0,0] neg_hi:[1,0,0]
	ds_read2_b32 v[72:73], v65 offset0:25 offset1:26
	ds_read2_b32 v[74:75], v65 offset0:27 offset1:28
	;; [unrolled: 1-line block ×3, first 2 shown]
	s_waitcnt lgkmcnt(3)
	v_pk_fma_f32 v[28:29], v[46:47], v[76:77], v[28:29] op_sel_hi:[0,1,1] neg_lo:[1,0,0] neg_hi:[1,0,0]
	ds_read2_b32 v[76:77], v65 offset0:31 offset1:32
	s_waitcnt lgkmcnt(3)
	v_pk_fma_f32 v[44:45], v[46:47], v[72:73], v[44:45] op_sel_hi:[0,1,1] neg_lo:[1,0,0] neg_hi:[1,0,0]
	s_waitcnt lgkmcnt(2)
	v_pk_fma_f32 v[38:39], v[46:47], v[74:75], v[38:39] op_sel_hi:[0,1,1] neg_lo:[1,0,0] neg_hi:[1,0,0]
	;; [unrolled: 2-line block ×3, first 2 shown]
	ds_read2_b32 v[72:73], v65 offset0:33 offset1:34
	ds_read2_b32 v[74:75], v65 offset0:35 offset1:36
	;; [unrolled: 1-line block ×3, first 2 shown]
	s_waitcnt lgkmcnt(3)
	v_pk_fma_f32 v[22:23], v[46:47], v[76:77], v[22:23] op_sel_hi:[0,1,1] neg_lo:[1,0,0] neg_hi:[1,0,0]
	ds_read2_b32 v[76:77], v65 offset0:39 offset1:40
	s_waitcnt lgkmcnt(3)
	v_pk_fma_f32 v[40:41], v[46:47], v[72:73], v[40:41] op_sel_hi:[0,1,1] neg_lo:[1,0,0] neg_hi:[1,0,0]
	s_waitcnt lgkmcnt(2)
	v_pk_fma_f32 v[32:33], v[46:47], v[74:75], v[32:33] op_sel_hi:[0,1,1] neg_lo:[1,0,0] neg_hi:[1,0,0]
	;; [unrolled: 2-line block ×3, first 2 shown]
	ds_read2_b32 v[72:73], v65 offset0:41 offset1:42
	ds_read2_b32 v[74:75], v65 offset0:43 offset1:44
	;; [unrolled: 1-line block ×4, first 2 shown]
	s_waitcnt lgkmcnt(4)
	v_pk_fma_f32 v[16:17], v[46:47], v[76:77], v[16:17] op_sel_hi:[0,1,1] neg_lo:[1,0,0] neg_hi:[1,0,0]
	s_waitcnt lgkmcnt(3)
	v_pk_fma_f32 v[34:35], v[46:47], v[72:73], v[34:35] op_sel_hi:[0,1,1] neg_lo:[1,0,0] neg_hi:[1,0,0]
	;; [unrolled: 2-line block ×5, first 2 shown]
	ds_read2_b32 v[72:73], v65 offset0:49 offset1:50
	ds_read2_b32 v[74:75], v65 offset0:51 offset1:52
	;; [unrolled: 1-line block ×5, first 2 shown]
	s_waitcnt lgkmcnt(4)
	v_pk_fma_f32 v[20:21], v[46:47], v[72:73], v[20:21] op_sel_hi:[0,1,1] neg_lo:[1,0,0] neg_hi:[1,0,0]
	s_waitcnt lgkmcnt(3)
	v_pk_fma_f32 v[12:13], v[46:47], v[74:75], v[12:13] op_sel_hi:[0,1,1] neg_lo:[1,0,0] neg_hi:[1,0,0]
	;; [unrolled: 2-line block ×5, first 2 shown]
.LBB116_301:
	s_or_b64 exec, exec, s[0:1]
	v_lshl_add_u32 v66, v69, 2, v65
	s_barrier
	ds_write_b32 v66, v47
	s_waitcnt lgkmcnt(0)
	s_barrier
	ds_read_b32 v68, v65 offset:72
	s_cmp_lt_i32 s22, 20
	v_mov_b32_e32 v66, 18
	s_cbranch_scc1 .LBB116_304
; %bb.302:
	v_add_u32_e32 v71, 0x4c, v65
	v_mov_b32_e32 v66, 18
	s_mov_b32 s0, 19
.LBB116_303:                            ; =>This Inner Loop Header: Depth=1
	ds_read_b32 v72, v71
	v_mov_b32_e32 v73, s0
	s_add_i32 s0, s0, 1
	v_add_u32_e32 v71, 4, v71
	s_cmp_lg_u32 s22, s0
	s_waitcnt lgkmcnt(0)
	v_cmp_lt_f32_e64 vcc, |v68|, |v72|
	s_nop 1
	v_cndmask_b32_e32 v68, v68, v72, vcc
	v_cndmask_b32_e32 v66, v66, v73, vcc
	s_cbranch_scc1 .LBB116_303
.LBB116_304:
	s_waitcnt lgkmcnt(0)
	v_cmp_eq_f32_e32 vcc, 0, v68
	s_and_saveexec_b64 s[0:1], vcc
	s_xor_b64 s[0:1], exec, s[0:1]
; %bb.305:
	v_cmp_ne_u32_e32 vcc, 0, v70
	s_nop 1
	v_cndmask_b32_e32 v70, 19, v70, vcc
; %bb.306:
	s_andn2_saveexec_b64 s[0:1], s[0:1]
	s_cbranch_execz .LBB116_308
; %bb.307:
	v_div_scale_f32 v71, s[2:3], v68, v68, 1.0
	v_rcp_f32_e32 v72, v71
	v_div_scale_f32 v73, vcc, 1.0, v68, 1.0
	v_fma_f32 v74, -v71, v72, 1.0
	v_fmac_f32_e32 v72, v74, v72
	v_mul_f32_e32 v74, v73, v72
	v_fma_f32 v75, -v71, v74, v73
	v_fmac_f32_e32 v74, v75, v72
	v_fma_f32 v71, -v71, v74, v73
	v_div_fmas_f32 v71, v71, v72, v74
	v_div_fixup_f32 v68, v71, v68, 1.0
.LBB116_308:
	s_or_b64 exec, exec, s[0:1]
	v_cmp_ne_u32_e32 vcc, v69, v66
	s_and_saveexec_b64 s[0:1], vcc
	s_xor_b64 s[0:1], exec, s[0:1]
	s_cbranch_execz .LBB116_314
; %bb.309:
	v_cmp_eq_u32_e32 vcc, 18, v69
	s_and_saveexec_b64 s[2:3], vcc
	s_cbranch_execz .LBB116_313
; %bb.310:
	v_cmp_ne_u32_e32 vcc, 18, v66
	s_xor_b64 s[12:13], s[20:21], -1
	s_and_b64 s[14:15], s[12:13], vcc
	s_and_saveexec_b64 s[12:13], s[14:15]
	s_cbranch_execz .LBB116_312
; %bb.311:
	v_ashrrev_i32_e32 v67, 31, v66
	v_lshl_add_u64 v[72:73], v[66:67], 2, v[4:5]
	global_load_dword v67, v[72:73], off
	global_load_dword v69, v[4:5], off offset:72
	s_waitcnt vmcnt(1)
	global_store_dword v[4:5], v67, off offset:72
	s_waitcnt vmcnt(1)
	global_store_dword v[72:73], v69, off
.LBB116_312:
	s_or_b64 exec, exec, s[12:13]
	v_mov_b32_e32 v67, v66
	v_mov_b32_e32 v69, v66
.LBB116_313:
	s_or_b64 exec, exec, s[2:3]
.LBB116_314:
	s_andn2_saveexec_b64 s[0:1], s[0:1]
	s_cbranch_execz .LBB116_316
; %bb.315:
	v_mov_b32_e32 v69, 18
	ds_write2_b32 v65, v42, v43 offset0:19 offset1:20
	ds_write2_b32 v65, v36, v37 offset0:21 offset1:22
	;; [unrolled: 1-line block ×20, first 2 shown]
.LBB116_316:
	s_or_b64 exec, exec, s[0:1]
	v_cmp_lt_i32_e32 vcc, 18, v69
	s_waitcnt lgkmcnt(0)
	s_barrier
	s_and_saveexec_b64 s[0:1], vcc
	s_cbranch_execz .LBB116_318
; %bb.317:
	ds_read2_b32 v[72:73], v65 offset0:19 offset1:20
	ds_read2_b32 v[74:75], v65 offset0:21 offset1:22
	;; [unrolled: 1-line block ×3, first 2 shown]
	v_mul_f32_e32 v66, v68, v47
	ds_read2_b32 v[78:79], v65 offset0:25 offset1:26
	s_waitcnt lgkmcnt(3)
	v_pk_fma_f32 v[42:43], v[66:67], v[72:73], v[42:43] op_sel_hi:[0,1,1] neg_lo:[1,0,0] neg_hi:[1,0,0]
	s_waitcnt lgkmcnt(2)
	v_pk_fma_f32 v[36:37], v[66:67], v[74:75], v[36:37] op_sel_hi:[0,1,1] neg_lo:[1,0,0] neg_hi:[1,0,0]
	s_waitcnt lgkmcnt(1)
	v_pk_fma_f32 v[28:29], v[66:67], v[76:77], v[28:29] op_sel_hi:[0,1,1] neg_lo:[1,0,0] neg_hi:[1,0,0]
	ds_read2_b32 v[72:73], v65 offset0:27 offset1:28
	ds_read2_b32 v[74:75], v65 offset0:29 offset1:30
	ds_read2_b32 v[76:77], v65 offset0:31 offset1:32
	s_waitcnt lgkmcnt(3)
	v_pk_fma_f32 v[44:45], v[66:67], v[78:79], v[44:45] op_sel_hi:[0,1,1] neg_lo:[1,0,0] neg_hi:[1,0,0]
	ds_read2_b32 v[78:79], v65 offset0:33 offset1:34
	s_waitcnt lgkmcnt(3)
	v_pk_fma_f32 v[38:39], v[66:67], v[72:73], v[38:39] op_sel_hi:[0,1,1] neg_lo:[1,0,0] neg_hi:[1,0,0]
	s_waitcnt lgkmcnt(2)
	v_pk_fma_f32 v[30:31], v[66:67], v[74:75], v[30:31] op_sel_hi:[0,1,1] neg_lo:[1,0,0] neg_hi:[1,0,0]
	s_waitcnt lgkmcnt(1)
	v_pk_fma_f32 v[22:23], v[66:67], v[76:77], v[22:23] op_sel_hi:[0,1,1] neg_lo:[1,0,0] neg_hi:[1,0,0]
	ds_read2_b32 v[72:73], v65 offset0:35 offset1:36
	ds_read2_b32 v[74:75], v65 offset0:37 offset1:38
	ds_read2_b32 v[76:77], v65 offset0:39 offset1:40
	s_waitcnt lgkmcnt(3)
	v_pk_fma_f32 v[40:41], v[66:67], v[78:79], v[40:41] op_sel_hi:[0,1,1] neg_lo:[1,0,0] neg_hi:[1,0,0]
	;; [unrolled: 12-line block ×3, first 2 shown]
	ds_read2_b32 v[78:79], v65 offset0:49 offset1:50
	s_waitcnt lgkmcnt(3)
	v_pk_fma_f32 v[26:27], v[66:67], v[72:73], v[26:27] op_sel_hi:[0,1,1] neg_lo:[1,0,0] neg_hi:[1,0,0]
	s_waitcnt lgkmcnt(2)
	v_pk_fma_f32 v[18:19], v[66:67], v[74:75], v[18:19] op_sel_hi:[0,1,1] neg_lo:[1,0,0] neg_hi:[1,0,0]
	;; [unrolled: 2-line block ×3, first 2 shown]
	ds_read2_b32 v[72:73], v65 offset0:51 offset1:52
	ds_read2_b32 v[74:75], v65 offset0:53 offset1:54
	;; [unrolled: 1-line block ×4, first 2 shown]
	s_waitcnt lgkmcnt(4)
	v_pk_fma_f32 v[20:21], v[66:67], v[78:79], v[20:21] op_sel_hi:[0,1,1] neg_lo:[1,0,0] neg_hi:[1,0,0]
	s_waitcnt lgkmcnt(3)
	v_pk_fma_f32 v[12:13], v[66:67], v[72:73], v[12:13] op_sel_hi:[0,1,1] neg_lo:[1,0,0] neg_hi:[1,0,0]
	;; [unrolled: 2-line block ×5, first 2 shown]
	v_mov_b32_e32 v47, v66
.LBB116_318:
	s_or_b64 exec, exec, s[0:1]
	v_lshl_add_u32 v66, v69, 2, v65
	s_barrier
	ds_write_b32 v66, v42
	s_waitcnt lgkmcnt(0)
	s_barrier
	ds_read_b32 v68, v65 offset:76
	s_cmp_lt_i32 s22, 21
	v_mov_b32_e32 v66, 19
	s_cbranch_scc1 .LBB116_321
; %bb.319:
	v_add_u32_e32 v71, 0x50, v65
	v_mov_b32_e32 v66, 19
	s_mov_b32 s0, 20
.LBB116_320:                            ; =>This Inner Loop Header: Depth=1
	ds_read_b32 v72, v71
	v_mov_b32_e32 v73, s0
	s_add_i32 s0, s0, 1
	v_add_u32_e32 v71, 4, v71
	s_cmp_lg_u32 s22, s0
	s_waitcnt lgkmcnt(0)
	v_cmp_lt_f32_e64 vcc, |v68|, |v72|
	s_nop 1
	v_cndmask_b32_e32 v68, v68, v72, vcc
	v_cndmask_b32_e32 v66, v66, v73, vcc
	s_cbranch_scc1 .LBB116_320
.LBB116_321:
	s_waitcnt lgkmcnt(0)
	v_cmp_eq_f32_e32 vcc, 0, v68
	s_and_saveexec_b64 s[0:1], vcc
	s_xor_b64 s[0:1], exec, s[0:1]
; %bb.322:
	v_cmp_ne_u32_e32 vcc, 0, v70
	s_nop 1
	v_cndmask_b32_e32 v70, 20, v70, vcc
; %bb.323:
	s_andn2_saveexec_b64 s[0:1], s[0:1]
	s_cbranch_execz .LBB116_325
; %bb.324:
	v_div_scale_f32 v71, s[2:3], v68, v68, 1.0
	v_rcp_f32_e32 v72, v71
	v_div_scale_f32 v73, vcc, 1.0, v68, 1.0
	v_fma_f32 v74, -v71, v72, 1.0
	v_fmac_f32_e32 v72, v74, v72
	v_mul_f32_e32 v74, v73, v72
	v_fma_f32 v75, -v71, v74, v73
	v_fmac_f32_e32 v74, v75, v72
	v_fma_f32 v71, -v71, v74, v73
	v_div_fmas_f32 v71, v71, v72, v74
	v_div_fixup_f32 v68, v71, v68, 1.0
.LBB116_325:
	s_or_b64 exec, exec, s[0:1]
	v_cmp_ne_u32_e32 vcc, v69, v66
	s_and_saveexec_b64 s[0:1], vcc
	s_xor_b64 s[0:1], exec, s[0:1]
	s_cbranch_execz .LBB116_331
; %bb.326:
	v_cmp_eq_u32_e32 vcc, 19, v69
	s_and_saveexec_b64 s[2:3], vcc
	s_cbranch_execz .LBB116_330
; %bb.327:
	v_cmp_ne_u32_e32 vcc, 19, v66
	s_xor_b64 s[12:13], s[20:21], -1
	s_and_b64 s[14:15], s[12:13], vcc
	s_and_saveexec_b64 s[12:13], s[14:15]
	s_cbranch_execz .LBB116_329
; %bb.328:
	v_ashrrev_i32_e32 v67, 31, v66
	v_lshl_add_u64 v[72:73], v[66:67], 2, v[4:5]
	global_load_dword v67, v[72:73], off
	global_load_dword v69, v[4:5], off offset:76
	s_waitcnt vmcnt(1)
	global_store_dword v[4:5], v67, off offset:76
	s_waitcnt vmcnt(1)
	global_store_dword v[72:73], v69, off
.LBB116_329:
	s_or_b64 exec, exec, s[12:13]
	v_mov_b32_e32 v67, v66
	v_mov_b32_e32 v69, v66
.LBB116_330:
	s_or_b64 exec, exec, s[2:3]
.LBB116_331:
	s_andn2_saveexec_b64 s[0:1], s[0:1]
	s_cbranch_execz .LBB116_333
; %bb.332:
	v_pk_mov_b32 v[72:73], v[42:43], v[36:37] op_sel:[1,0]
	ds_write2_b32 v65, v72, v73 offset0:20 offset1:21
	v_pk_mov_b32 v[72:73], v[36:37], v[28:29] op_sel:[1,0]
	ds_write2_b32 v65, v72, v73 offset0:22 offset1:23
	;; [unrolled: 2-line block ×18, first 2 shown]
	v_pk_mov_b32 v[72:73], v[0:1], v[14:15] op_sel:[1,0]
	v_mov_b32_e32 v69, 19
	ds_write2_b32 v65, v72, v73 offset0:56 offset1:57
	ds_write_b32 v65, v15 offset:232
.LBB116_333:
	s_or_b64 exec, exec, s[0:1]
	v_cmp_lt_i32_e32 vcc, 19, v69
	s_waitcnt lgkmcnt(0)
	s_barrier
	s_and_saveexec_b64 s[0:1], vcc
	s_cbranch_execz .LBB116_335
; %bb.334:
	ds_read_b32 v66, v65 offset:80
	ds_read2_b32 v[72:73], v65 offset0:21 offset1:22
	ds_read2_b32 v[74:75], v65 offset0:23 offset1:24
	v_mul_f32_e32 v42, v68, v42
	ds_read2_b32 v[76:77], v65 offset0:25 offset1:26
	s_waitcnt lgkmcnt(3)
	v_fma_f32 v43, -v42, v66, v43
	s_waitcnt lgkmcnt(2)
	v_pk_fma_f32 v[36:37], v[42:43], v[72:73], v[36:37] op_sel_hi:[0,1,1] neg_lo:[1,0,0] neg_hi:[1,0,0]
	s_waitcnt lgkmcnt(1)
	v_pk_fma_f32 v[28:29], v[42:43], v[74:75], v[28:29] op_sel_hi:[0,1,1] neg_lo:[1,0,0] neg_hi:[1,0,0]
	ds_read2_b32 v[72:73], v65 offset0:27 offset1:28
	ds_read2_b32 v[74:75], v65 offset0:29 offset1:30
	ds_read2_b32 v[78:79], v65 offset0:31 offset1:32
	s_waitcnt lgkmcnt(3)
	v_pk_fma_f32 v[44:45], v[42:43], v[76:77], v[44:45] op_sel_hi:[0,1,1] neg_lo:[1,0,0] neg_hi:[1,0,0]
	ds_read2_b32 v[76:77], v65 offset0:33 offset1:34
	s_waitcnt lgkmcnt(3)
	v_pk_fma_f32 v[38:39], v[42:43], v[72:73], v[38:39] op_sel_hi:[0,1,1] neg_lo:[1,0,0] neg_hi:[1,0,0]
	s_waitcnt lgkmcnt(2)
	v_pk_fma_f32 v[30:31], v[42:43], v[74:75], v[30:31] op_sel_hi:[0,1,1] neg_lo:[1,0,0] neg_hi:[1,0,0]
	s_waitcnt lgkmcnt(1)
	v_pk_fma_f32 v[22:23], v[42:43], v[78:79], v[22:23] op_sel_hi:[0,1,1] neg_lo:[1,0,0] neg_hi:[1,0,0]
	ds_read2_b32 v[72:73], v65 offset0:35 offset1:36
	ds_read2_b32 v[74:75], v65 offset0:37 offset1:38
	ds_read2_b32 v[78:79], v65 offset0:39 offset1:40
	s_waitcnt lgkmcnt(3)
	v_pk_fma_f32 v[40:41], v[42:43], v[76:77], v[40:41] op_sel_hi:[0,1,1] neg_lo:[1,0,0] neg_hi:[1,0,0]
	ds_read2_b32 v[76:77], v65 offset0:41 offset1:42
	s_waitcnt lgkmcnt(3)
	v_pk_fma_f32 v[32:33], v[42:43], v[72:73], v[32:33] op_sel_hi:[0,1,1] neg_lo:[1,0,0] neg_hi:[1,0,0]
	;; [unrolled: 12-line block ×3, first 2 shown]
	s_waitcnt lgkmcnt(2)
	v_pk_fma_f32 v[18:19], v[42:43], v[74:75], v[18:19] op_sel_hi:[0,1,1] neg_lo:[1,0,0] neg_hi:[1,0,0]
	s_waitcnt lgkmcnt(1)
	v_pk_fma_f32 v[8:9], v[42:43], v[78:79], v[8:9] op_sel_hi:[0,1,1] neg_lo:[1,0,0] neg_hi:[1,0,0]
	ds_read2_b32 v[72:73], v65 offset0:51 offset1:52
	ds_read2_b32 v[74:75], v65 offset0:53 offset1:54
	ds_read2_b32 v[78:79], v65 offset0:55 offset1:56
	ds_read2_b32 v[80:81], v65 offset0:57 offset1:58
	s_waitcnt lgkmcnt(4)
	v_pk_fma_f32 v[20:21], v[42:43], v[76:77], v[20:21] op_sel_hi:[0,1,1] neg_lo:[1,0,0] neg_hi:[1,0,0]
	s_waitcnt lgkmcnt(3)
	v_pk_fma_f32 v[12:13], v[42:43], v[72:73], v[12:13] op_sel_hi:[0,1,1] neg_lo:[1,0,0] neg_hi:[1,0,0]
	;; [unrolled: 2-line block ×5, first 2 shown]
.LBB116_335:
	s_or_b64 exec, exec, s[0:1]
	v_lshl_add_u32 v66, v69, 2, v65
	s_barrier
	ds_write_b32 v66, v43
	s_waitcnt lgkmcnt(0)
	s_barrier
	ds_read_b32 v68, v65 offset:80
	s_cmp_lt_i32 s22, 22
	v_mov_b32_e32 v66, 20
	s_cbranch_scc1 .LBB116_338
; %bb.336:
	v_add_u32_e32 v71, 0x54, v65
	v_mov_b32_e32 v66, 20
	s_mov_b32 s0, 21
.LBB116_337:                            ; =>This Inner Loop Header: Depth=1
	ds_read_b32 v72, v71
	v_mov_b32_e32 v73, s0
	s_add_i32 s0, s0, 1
	v_add_u32_e32 v71, 4, v71
	s_cmp_lg_u32 s22, s0
	s_waitcnt lgkmcnt(0)
	v_cmp_lt_f32_e64 vcc, |v68|, |v72|
	s_nop 1
	v_cndmask_b32_e32 v68, v68, v72, vcc
	v_cndmask_b32_e32 v66, v66, v73, vcc
	s_cbranch_scc1 .LBB116_337
.LBB116_338:
	s_waitcnt lgkmcnt(0)
	v_cmp_eq_f32_e32 vcc, 0, v68
	s_and_saveexec_b64 s[0:1], vcc
	s_xor_b64 s[0:1], exec, s[0:1]
; %bb.339:
	v_cmp_ne_u32_e32 vcc, 0, v70
	s_nop 1
	v_cndmask_b32_e32 v70, 21, v70, vcc
; %bb.340:
	s_andn2_saveexec_b64 s[0:1], s[0:1]
	s_cbranch_execz .LBB116_342
; %bb.341:
	v_div_scale_f32 v71, s[2:3], v68, v68, 1.0
	v_rcp_f32_e32 v72, v71
	v_div_scale_f32 v73, vcc, 1.0, v68, 1.0
	v_fma_f32 v74, -v71, v72, 1.0
	v_fmac_f32_e32 v72, v74, v72
	v_mul_f32_e32 v74, v73, v72
	v_fma_f32 v75, -v71, v74, v73
	v_fmac_f32_e32 v74, v75, v72
	v_fma_f32 v71, -v71, v74, v73
	v_div_fmas_f32 v71, v71, v72, v74
	v_div_fixup_f32 v68, v71, v68, 1.0
.LBB116_342:
	s_or_b64 exec, exec, s[0:1]
	v_cmp_ne_u32_e32 vcc, v69, v66
	s_and_saveexec_b64 s[0:1], vcc
	s_xor_b64 s[0:1], exec, s[0:1]
	s_cbranch_execz .LBB116_348
; %bb.343:
	v_cmp_eq_u32_e32 vcc, 20, v69
	s_and_saveexec_b64 s[2:3], vcc
	s_cbranch_execz .LBB116_347
; %bb.344:
	v_cmp_ne_u32_e32 vcc, 20, v66
	s_xor_b64 s[12:13], s[20:21], -1
	s_and_b64 s[14:15], s[12:13], vcc
	s_and_saveexec_b64 s[12:13], s[14:15]
	s_cbranch_execz .LBB116_346
; %bb.345:
	v_ashrrev_i32_e32 v67, 31, v66
	v_lshl_add_u64 v[72:73], v[66:67], 2, v[4:5]
	global_load_dword v67, v[72:73], off
	global_load_dword v69, v[4:5], off offset:80
	s_waitcnt vmcnt(1)
	global_store_dword v[4:5], v67, off offset:80
	s_waitcnt vmcnt(1)
	global_store_dword v[72:73], v69, off
.LBB116_346:
	s_or_b64 exec, exec, s[12:13]
	v_mov_b32_e32 v67, v66
	v_mov_b32_e32 v69, v66
.LBB116_347:
	s_or_b64 exec, exec, s[2:3]
.LBB116_348:
	s_andn2_saveexec_b64 s[0:1], s[0:1]
	s_cbranch_execz .LBB116_350
; %bb.349:
	v_mov_b32_e32 v69, 20
	ds_write2_b32 v65, v36, v37 offset0:21 offset1:22
	ds_write2_b32 v65, v28, v29 offset0:23 offset1:24
	;; [unrolled: 1-line block ×19, first 2 shown]
.LBB116_350:
	s_or_b64 exec, exec, s[0:1]
	v_cmp_lt_i32_e32 vcc, 20, v69
	s_waitcnt lgkmcnt(0)
	s_barrier
	s_and_saveexec_b64 s[0:1], vcc
	s_cbranch_execz .LBB116_352
; %bb.351:
	ds_read2_b32 v[72:73], v65 offset0:21 offset1:22
	ds_read2_b32 v[74:75], v65 offset0:23 offset1:24
	;; [unrolled: 1-line block ×3, first 2 shown]
	v_mul_f32_e32 v66, v68, v43
	ds_read2_b32 v[78:79], v65 offset0:27 offset1:28
	s_waitcnt lgkmcnt(3)
	v_pk_fma_f32 v[36:37], v[66:67], v[72:73], v[36:37] op_sel_hi:[0,1,1] neg_lo:[1,0,0] neg_hi:[1,0,0]
	s_waitcnt lgkmcnt(2)
	v_pk_fma_f32 v[28:29], v[66:67], v[74:75], v[28:29] op_sel_hi:[0,1,1] neg_lo:[1,0,0] neg_hi:[1,0,0]
	;; [unrolled: 2-line block ×3, first 2 shown]
	ds_read2_b32 v[72:73], v65 offset0:29 offset1:30
	ds_read2_b32 v[74:75], v65 offset0:31 offset1:32
	;; [unrolled: 1-line block ×3, first 2 shown]
	s_waitcnt lgkmcnt(3)
	v_pk_fma_f32 v[38:39], v[66:67], v[78:79], v[38:39] op_sel_hi:[0,1,1] neg_lo:[1,0,0] neg_hi:[1,0,0]
	ds_read2_b32 v[78:79], v65 offset0:35 offset1:36
	s_waitcnt lgkmcnt(3)
	v_pk_fma_f32 v[30:31], v[66:67], v[72:73], v[30:31] op_sel_hi:[0,1,1] neg_lo:[1,0,0] neg_hi:[1,0,0]
	s_waitcnt lgkmcnt(2)
	v_pk_fma_f32 v[22:23], v[66:67], v[74:75], v[22:23] op_sel_hi:[0,1,1] neg_lo:[1,0,0] neg_hi:[1,0,0]
	;; [unrolled: 2-line block ×3, first 2 shown]
	ds_read2_b32 v[72:73], v65 offset0:37 offset1:38
	ds_read2_b32 v[74:75], v65 offset0:39 offset1:40
	ds_read2_b32 v[76:77], v65 offset0:41 offset1:42
	s_waitcnt lgkmcnt(3)
	v_pk_fma_f32 v[32:33], v[66:67], v[78:79], v[32:33] op_sel_hi:[0,1,1] neg_lo:[1,0,0] neg_hi:[1,0,0]
	ds_read2_b32 v[78:79], v65 offset0:43 offset1:44
	s_waitcnt lgkmcnt(3)
	v_pk_fma_f32 v[24:25], v[66:67], v[72:73], v[24:25] op_sel_hi:[0,1,1] neg_lo:[1,0,0] neg_hi:[1,0,0]
	s_waitcnt lgkmcnt(2)
	v_pk_fma_f32 v[16:17], v[66:67], v[74:75], v[16:17] op_sel_hi:[0,1,1] neg_lo:[1,0,0] neg_hi:[1,0,0]
	ds_read2_b32 v[72:73], v65 offset0:45 offset1:46
	ds_read2_b32 v[74:75], v65 offset0:47 offset1:48
	s_waitcnt lgkmcnt(3)
	v_pk_fma_f32 v[34:35], v[66:67], v[76:77], v[34:35] op_sel_hi:[0,1,1] neg_lo:[1,0,0] neg_hi:[1,0,0]
	s_waitcnt lgkmcnt(2)
	v_pk_fma_f32 v[26:27], v[66:67], v[78:79], v[26:27] op_sel_hi:[0,1,1] neg_lo:[1,0,0] neg_hi:[1,0,0]
	ds_read2_b32 v[76:77], v65 offset0:49 offset1:50
	;; [unrolled: 6-line block ×3, first 2 shown]
	ds_read2_b32 v[74:75], v65 offset0:55 offset1:56
	ds_read2_b32 v[80:81], v65 offset0:57 offset1:58
	s_waitcnt lgkmcnt(4)
	v_pk_fma_f32 v[20:21], v[66:67], v[76:77], v[20:21] op_sel_hi:[0,1,1] neg_lo:[1,0,0] neg_hi:[1,0,0]
	s_waitcnt lgkmcnt(3)
	v_pk_fma_f32 v[12:13], v[66:67], v[78:79], v[12:13] op_sel_hi:[0,1,1] neg_lo:[1,0,0] neg_hi:[1,0,0]
	;; [unrolled: 2-line block ×5, first 2 shown]
	v_mov_b32_e32 v43, v66
.LBB116_352:
	s_or_b64 exec, exec, s[0:1]
	v_lshl_add_u32 v66, v69, 2, v65
	s_barrier
	ds_write_b32 v66, v36
	s_waitcnt lgkmcnt(0)
	s_barrier
	ds_read_b32 v68, v65 offset:84
	s_cmp_lt_i32 s22, 23
	v_mov_b32_e32 v66, 21
	s_cbranch_scc1 .LBB116_355
; %bb.353:
	v_add_u32_e32 v71, 0x58, v65
	v_mov_b32_e32 v66, 21
	s_mov_b32 s0, 22
.LBB116_354:                            ; =>This Inner Loop Header: Depth=1
	ds_read_b32 v72, v71
	v_mov_b32_e32 v73, s0
	s_add_i32 s0, s0, 1
	v_add_u32_e32 v71, 4, v71
	s_cmp_lg_u32 s22, s0
	s_waitcnt lgkmcnt(0)
	v_cmp_lt_f32_e64 vcc, |v68|, |v72|
	s_nop 1
	v_cndmask_b32_e32 v68, v68, v72, vcc
	v_cndmask_b32_e32 v66, v66, v73, vcc
	s_cbranch_scc1 .LBB116_354
.LBB116_355:
	s_waitcnt lgkmcnt(0)
	v_cmp_eq_f32_e32 vcc, 0, v68
	s_and_saveexec_b64 s[0:1], vcc
	s_xor_b64 s[0:1], exec, s[0:1]
; %bb.356:
	v_cmp_ne_u32_e32 vcc, 0, v70
	s_nop 1
	v_cndmask_b32_e32 v70, 22, v70, vcc
; %bb.357:
	s_andn2_saveexec_b64 s[0:1], s[0:1]
	s_cbranch_execz .LBB116_359
; %bb.358:
	v_div_scale_f32 v71, s[2:3], v68, v68, 1.0
	v_rcp_f32_e32 v72, v71
	v_div_scale_f32 v73, vcc, 1.0, v68, 1.0
	v_fma_f32 v74, -v71, v72, 1.0
	v_fmac_f32_e32 v72, v74, v72
	v_mul_f32_e32 v74, v73, v72
	v_fma_f32 v75, -v71, v74, v73
	v_fmac_f32_e32 v74, v75, v72
	v_fma_f32 v71, -v71, v74, v73
	v_div_fmas_f32 v71, v71, v72, v74
	v_div_fixup_f32 v68, v71, v68, 1.0
.LBB116_359:
	s_or_b64 exec, exec, s[0:1]
	v_cmp_ne_u32_e32 vcc, v69, v66
	s_and_saveexec_b64 s[0:1], vcc
	s_xor_b64 s[0:1], exec, s[0:1]
	s_cbranch_execz .LBB116_365
; %bb.360:
	v_cmp_eq_u32_e32 vcc, 21, v69
	s_and_saveexec_b64 s[2:3], vcc
	s_cbranch_execz .LBB116_364
; %bb.361:
	v_cmp_ne_u32_e32 vcc, 21, v66
	s_xor_b64 s[12:13], s[20:21], -1
	s_and_b64 s[14:15], s[12:13], vcc
	s_and_saveexec_b64 s[12:13], s[14:15]
	s_cbranch_execz .LBB116_363
; %bb.362:
	v_ashrrev_i32_e32 v67, 31, v66
	v_lshl_add_u64 v[72:73], v[66:67], 2, v[4:5]
	global_load_dword v67, v[72:73], off
	global_load_dword v69, v[4:5], off offset:84
	s_waitcnt vmcnt(1)
	global_store_dword v[4:5], v67, off offset:84
	s_waitcnt vmcnt(1)
	global_store_dword v[72:73], v69, off
.LBB116_363:
	s_or_b64 exec, exec, s[12:13]
	v_mov_b32_e32 v67, v66
	v_mov_b32_e32 v69, v66
.LBB116_364:
	s_or_b64 exec, exec, s[2:3]
.LBB116_365:
	s_andn2_saveexec_b64 s[0:1], s[0:1]
	s_cbranch_execz .LBB116_367
; %bb.366:
	v_pk_mov_b32 v[72:73], v[36:37], v[28:29] op_sel:[1,0]
	ds_write2_b32 v65, v72, v73 offset0:22 offset1:23
	v_pk_mov_b32 v[72:73], v[28:29], v[44:45] op_sel:[1,0]
	ds_write2_b32 v65, v72, v73 offset0:24 offset1:25
	;; [unrolled: 2-line block ×17, first 2 shown]
	v_pk_mov_b32 v[72:73], v[0:1], v[14:15] op_sel:[1,0]
	v_mov_b32_e32 v69, 21
	ds_write2_b32 v65, v72, v73 offset0:56 offset1:57
	ds_write_b32 v65, v15 offset:232
.LBB116_367:
	s_or_b64 exec, exec, s[0:1]
	v_cmp_lt_i32_e32 vcc, 21, v69
	s_waitcnt lgkmcnt(0)
	s_barrier
	s_and_saveexec_b64 s[0:1], vcc
	s_cbranch_execz .LBB116_369
; %bb.368:
	ds_read_b32 v66, v65 offset:88
	ds_read2_b32 v[72:73], v65 offset0:23 offset1:24
	ds_read2_b32 v[74:75], v65 offset0:25 offset1:26
	v_mul_f32_e32 v36, v68, v36
	ds_read2_b32 v[76:77], v65 offset0:27 offset1:28
	s_waitcnt lgkmcnt(3)
	v_fma_f32 v37, -v36, v66, v37
	s_waitcnt lgkmcnt(2)
	v_pk_fma_f32 v[28:29], v[36:37], v[72:73], v[28:29] op_sel_hi:[0,1,1] neg_lo:[1,0,0] neg_hi:[1,0,0]
	s_waitcnt lgkmcnt(1)
	v_pk_fma_f32 v[44:45], v[36:37], v[74:75], v[44:45] op_sel_hi:[0,1,1] neg_lo:[1,0,0] neg_hi:[1,0,0]
	ds_read2_b32 v[72:73], v65 offset0:29 offset1:30
	ds_read2_b32 v[74:75], v65 offset0:31 offset1:32
	;; [unrolled: 1-line block ×3, first 2 shown]
	s_waitcnt lgkmcnt(3)
	v_pk_fma_f32 v[38:39], v[36:37], v[76:77], v[38:39] op_sel_hi:[0,1,1] neg_lo:[1,0,0] neg_hi:[1,0,0]
	ds_read2_b32 v[76:77], v65 offset0:35 offset1:36
	s_waitcnt lgkmcnt(3)
	v_pk_fma_f32 v[30:31], v[36:37], v[72:73], v[30:31] op_sel_hi:[0,1,1] neg_lo:[1,0,0] neg_hi:[1,0,0]
	s_waitcnt lgkmcnt(2)
	v_pk_fma_f32 v[22:23], v[36:37], v[74:75], v[22:23] op_sel_hi:[0,1,1] neg_lo:[1,0,0] neg_hi:[1,0,0]
	;; [unrolled: 2-line block ×3, first 2 shown]
	ds_read2_b32 v[72:73], v65 offset0:37 offset1:38
	ds_read2_b32 v[74:75], v65 offset0:39 offset1:40
	;; [unrolled: 1-line block ×3, first 2 shown]
	s_waitcnt lgkmcnt(3)
	v_pk_fma_f32 v[32:33], v[36:37], v[76:77], v[32:33] op_sel_hi:[0,1,1] neg_lo:[1,0,0] neg_hi:[1,0,0]
	ds_read2_b32 v[76:77], v65 offset0:43 offset1:44
	s_waitcnt lgkmcnt(3)
	v_pk_fma_f32 v[24:25], v[36:37], v[72:73], v[24:25] op_sel_hi:[0,1,1] neg_lo:[1,0,0] neg_hi:[1,0,0]
	s_waitcnt lgkmcnt(2)
	v_pk_fma_f32 v[16:17], v[36:37], v[74:75], v[16:17] op_sel_hi:[0,1,1] neg_lo:[1,0,0] neg_hi:[1,0,0]
	ds_read2_b32 v[72:73], v65 offset0:45 offset1:46
	ds_read2_b32 v[74:75], v65 offset0:47 offset1:48
	s_waitcnt lgkmcnt(3)
	v_pk_fma_f32 v[34:35], v[36:37], v[78:79], v[34:35] op_sel_hi:[0,1,1] neg_lo:[1,0,0] neg_hi:[1,0,0]
	s_waitcnt lgkmcnt(2)
	v_pk_fma_f32 v[26:27], v[36:37], v[76:77], v[26:27] op_sel_hi:[0,1,1] neg_lo:[1,0,0] neg_hi:[1,0,0]
	ds_read2_b32 v[76:77], v65 offset0:49 offset1:50
	;; [unrolled: 6-line block ×3, first 2 shown]
	ds_read2_b32 v[74:75], v65 offset0:55 offset1:56
	ds_read2_b32 v[80:81], v65 offset0:57 offset1:58
	s_waitcnt lgkmcnt(4)
	v_pk_fma_f32 v[20:21], v[36:37], v[76:77], v[20:21] op_sel_hi:[0,1,1] neg_lo:[1,0,0] neg_hi:[1,0,0]
	s_waitcnt lgkmcnt(3)
	v_pk_fma_f32 v[12:13], v[36:37], v[78:79], v[12:13] op_sel_hi:[0,1,1] neg_lo:[1,0,0] neg_hi:[1,0,0]
	;; [unrolled: 2-line block ×5, first 2 shown]
.LBB116_369:
	s_or_b64 exec, exec, s[0:1]
	v_lshl_add_u32 v66, v69, 2, v65
	s_barrier
	ds_write_b32 v66, v37
	s_waitcnt lgkmcnt(0)
	s_barrier
	ds_read_b32 v68, v65 offset:88
	s_cmp_lt_i32 s22, 24
	v_mov_b32_e32 v66, 22
	s_cbranch_scc1 .LBB116_372
; %bb.370:
	v_add_u32_e32 v71, 0x5c, v65
	v_mov_b32_e32 v66, 22
	s_mov_b32 s0, 23
.LBB116_371:                            ; =>This Inner Loop Header: Depth=1
	ds_read_b32 v72, v71
	v_mov_b32_e32 v73, s0
	s_add_i32 s0, s0, 1
	v_add_u32_e32 v71, 4, v71
	s_cmp_lg_u32 s22, s0
	s_waitcnt lgkmcnt(0)
	v_cmp_lt_f32_e64 vcc, |v68|, |v72|
	s_nop 1
	v_cndmask_b32_e32 v68, v68, v72, vcc
	v_cndmask_b32_e32 v66, v66, v73, vcc
	s_cbranch_scc1 .LBB116_371
.LBB116_372:
	s_waitcnt lgkmcnt(0)
	v_cmp_eq_f32_e32 vcc, 0, v68
	s_and_saveexec_b64 s[0:1], vcc
	s_xor_b64 s[0:1], exec, s[0:1]
; %bb.373:
	v_cmp_ne_u32_e32 vcc, 0, v70
	s_nop 1
	v_cndmask_b32_e32 v70, 23, v70, vcc
; %bb.374:
	s_andn2_saveexec_b64 s[0:1], s[0:1]
	s_cbranch_execz .LBB116_376
; %bb.375:
	v_div_scale_f32 v71, s[2:3], v68, v68, 1.0
	v_rcp_f32_e32 v72, v71
	v_div_scale_f32 v73, vcc, 1.0, v68, 1.0
	v_fma_f32 v74, -v71, v72, 1.0
	v_fmac_f32_e32 v72, v74, v72
	v_mul_f32_e32 v74, v73, v72
	v_fma_f32 v75, -v71, v74, v73
	v_fmac_f32_e32 v74, v75, v72
	v_fma_f32 v71, -v71, v74, v73
	v_div_fmas_f32 v71, v71, v72, v74
	v_div_fixup_f32 v68, v71, v68, 1.0
.LBB116_376:
	s_or_b64 exec, exec, s[0:1]
	v_cmp_ne_u32_e32 vcc, v69, v66
	s_and_saveexec_b64 s[0:1], vcc
	s_xor_b64 s[0:1], exec, s[0:1]
	s_cbranch_execz .LBB116_382
; %bb.377:
	v_cmp_eq_u32_e32 vcc, 22, v69
	s_and_saveexec_b64 s[2:3], vcc
	s_cbranch_execz .LBB116_381
; %bb.378:
	v_cmp_ne_u32_e32 vcc, 22, v66
	s_xor_b64 s[12:13], s[20:21], -1
	s_and_b64 s[14:15], s[12:13], vcc
	s_and_saveexec_b64 s[12:13], s[14:15]
	s_cbranch_execz .LBB116_380
; %bb.379:
	v_ashrrev_i32_e32 v67, 31, v66
	v_lshl_add_u64 v[72:73], v[66:67], 2, v[4:5]
	global_load_dword v67, v[72:73], off
	global_load_dword v69, v[4:5], off offset:88
	s_waitcnt vmcnt(1)
	global_store_dword v[4:5], v67, off offset:88
	s_waitcnt vmcnt(1)
	global_store_dword v[72:73], v69, off
.LBB116_380:
	s_or_b64 exec, exec, s[12:13]
	v_mov_b32_e32 v67, v66
	v_mov_b32_e32 v69, v66
.LBB116_381:
	s_or_b64 exec, exec, s[2:3]
.LBB116_382:
	s_andn2_saveexec_b64 s[0:1], s[0:1]
	s_cbranch_execz .LBB116_384
; %bb.383:
	v_mov_b32_e32 v69, 22
	ds_write2_b32 v65, v28, v29 offset0:23 offset1:24
	ds_write2_b32 v65, v44, v45 offset0:25 offset1:26
	;; [unrolled: 1-line block ×18, first 2 shown]
.LBB116_384:
	s_or_b64 exec, exec, s[0:1]
	v_cmp_lt_i32_e32 vcc, 22, v69
	s_waitcnt lgkmcnt(0)
	s_barrier
	s_and_saveexec_b64 s[0:1], vcc
	s_cbranch_execz .LBB116_386
; %bb.385:
	ds_read2_b32 v[72:73], v65 offset0:23 offset1:24
	ds_read2_b32 v[74:75], v65 offset0:25 offset1:26
	;; [unrolled: 1-line block ×4, first 2 shown]
	v_mul_f32_e32 v66, v68, v37
	s_waitcnt lgkmcnt(3)
	v_pk_fma_f32 v[28:29], v[66:67], v[72:73], v[28:29] op_sel_hi:[0,1,1] neg_lo:[1,0,0] neg_hi:[1,0,0]
	s_waitcnt lgkmcnt(2)
	v_pk_fma_f32 v[44:45], v[66:67], v[74:75], v[44:45] op_sel_hi:[0,1,1] neg_lo:[1,0,0] neg_hi:[1,0,0]
	;; [unrolled: 2-line block ×3, first 2 shown]
	ds_read2_b32 v[72:73], v65 offset0:31 offset1:32
	ds_read2_b32 v[74:75], v65 offset0:33 offset1:34
	;; [unrolled: 1-line block ×3, first 2 shown]
	s_waitcnt lgkmcnt(3)
	v_pk_fma_f32 v[30:31], v[66:67], v[78:79], v[30:31] op_sel_hi:[0,1,1] neg_lo:[1,0,0] neg_hi:[1,0,0]
	ds_read2_b32 v[78:79], v65 offset0:37 offset1:38
	s_waitcnt lgkmcnt(3)
	v_pk_fma_f32 v[22:23], v[66:67], v[72:73], v[22:23] op_sel_hi:[0,1,1] neg_lo:[1,0,0] neg_hi:[1,0,0]
	s_waitcnt lgkmcnt(2)
	v_pk_fma_f32 v[40:41], v[66:67], v[74:75], v[40:41] op_sel_hi:[0,1,1] neg_lo:[1,0,0] neg_hi:[1,0,0]
	;; [unrolled: 2-line block ×3, first 2 shown]
	ds_read2_b32 v[72:73], v65 offset0:39 offset1:40
	ds_read2_b32 v[74:75], v65 offset0:41 offset1:42
	;; [unrolled: 1-line block ×3, first 2 shown]
	s_waitcnt lgkmcnt(3)
	v_pk_fma_f32 v[24:25], v[66:67], v[78:79], v[24:25] op_sel_hi:[0,1,1] neg_lo:[1,0,0] neg_hi:[1,0,0]
	ds_read2_b32 v[78:79], v65 offset0:45 offset1:46
	s_waitcnt lgkmcnt(3)
	v_pk_fma_f32 v[16:17], v[66:67], v[72:73], v[16:17] op_sel_hi:[0,1,1] neg_lo:[1,0,0] neg_hi:[1,0,0]
	ds_read2_b32 v[72:73], v65 offset0:47 offset1:48
	s_waitcnt lgkmcnt(3)
	v_pk_fma_f32 v[34:35], v[66:67], v[74:75], v[34:35] op_sel_hi:[0,1,1] neg_lo:[1,0,0] neg_hi:[1,0,0]
	s_waitcnt lgkmcnt(2)
	v_pk_fma_f32 v[26:27], v[66:67], v[76:77], v[26:27] op_sel_hi:[0,1,1] neg_lo:[1,0,0] neg_hi:[1,0,0]
	;; [unrolled: 2-line block ×3, first 2 shown]
	ds_read2_b32 v[74:75], v65 offset0:49 offset1:50
	ds_read2_b32 v[76:77], v65 offset0:51 offset1:52
	;; [unrolled: 1-line block ×3, first 2 shown]
	s_waitcnt lgkmcnt(3)
	v_pk_fma_f32 v[8:9], v[66:67], v[72:73], v[8:9] op_sel_hi:[0,1,1] neg_lo:[1,0,0] neg_hi:[1,0,0]
	ds_read2_b32 v[72:73], v65 offset0:55 offset1:56
	ds_read2_b32 v[80:81], v65 offset0:57 offset1:58
	s_waitcnt lgkmcnt(4)
	v_pk_fma_f32 v[20:21], v[66:67], v[74:75], v[20:21] op_sel_hi:[0,1,1] neg_lo:[1,0,0] neg_hi:[1,0,0]
	s_waitcnt lgkmcnt(3)
	v_pk_fma_f32 v[12:13], v[66:67], v[76:77], v[12:13] op_sel_hi:[0,1,1] neg_lo:[1,0,0] neg_hi:[1,0,0]
	;; [unrolled: 2-line block ×5, first 2 shown]
	v_mov_b32_e32 v37, v66
.LBB116_386:
	s_or_b64 exec, exec, s[0:1]
	v_lshl_add_u32 v66, v69, 2, v65
	s_barrier
	ds_write_b32 v66, v28
	s_waitcnt lgkmcnt(0)
	s_barrier
	ds_read_b32 v68, v65 offset:92
	s_cmp_lt_i32 s22, 25
	v_mov_b32_e32 v66, 23
	s_cbranch_scc1 .LBB116_389
; %bb.387:
	v_add_u32_e32 v71, 0x60, v65
	v_mov_b32_e32 v66, 23
	s_mov_b32 s0, 24
.LBB116_388:                            ; =>This Inner Loop Header: Depth=1
	ds_read_b32 v72, v71
	v_mov_b32_e32 v73, s0
	s_add_i32 s0, s0, 1
	v_add_u32_e32 v71, 4, v71
	s_cmp_lg_u32 s22, s0
	s_waitcnt lgkmcnt(0)
	v_cmp_lt_f32_e64 vcc, |v68|, |v72|
	s_nop 1
	v_cndmask_b32_e32 v68, v68, v72, vcc
	v_cndmask_b32_e32 v66, v66, v73, vcc
	s_cbranch_scc1 .LBB116_388
.LBB116_389:
	s_waitcnt lgkmcnt(0)
	v_cmp_eq_f32_e32 vcc, 0, v68
	s_and_saveexec_b64 s[0:1], vcc
	s_xor_b64 s[0:1], exec, s[0:1]
; %bb.390:
	v_cmp_ne_u32_e32 vcc, 0, v70
	s_nop 1
	v_cndmask_b32_e32 v70, 24, v70, vcc
; %bb.391:
	s_andn2_saveexec_b64 s[0:1], s[0:1]
	s_cbranch_execz .LBB116_393
; %bb.392:
	v_div_scale_f32 v71, s[2:3], v68, v68, 1.0
	v_rcp_f32_e32 v72, v71
	v_div_scale_f32 v73, vcc, 1.0, v68, 1.0
	v_fma_f32 v74, -v71, v72, 1.0
	v_fmac_f32_e32 v72, v74, v72
	v_mul_f32_e32 v74, v73, v72
	v_fma_f32 v75, -v71, v74, v73
	v_fmac_f32_e32 v74, v75, v72
	v_fma_f32 v71, -v71, v74, v73
	v_div_fmas_f32 v71, v71, v72, v74
	v_div_fixup_f32 v68, v71, v68, 1.0
.LBB116_393:
	s_or_b64 exec, exec, s[0:1]
	v_cmp_ne_u32_e32 vcc, v69, v66
	s_and_saveexec_b64 s[0:1], vcc
	s_xor_b64 s[0:1], exec, s[0:1]
	s_cbranch_execz .LBB116_399
; %bb.394:
	v_cmp_eq_u32_e32 vcc, 23, v69
	s_and_saveexec_b64 s[2:3], vcc
	s_cbranch_execz .LBB116_398
; %bb.395:
	v_cmp_ne_u32_e32 vcc, 23, v66
	s_xor_b64 s[12:13], s[20:21], -1
	s_and_b64 s[14:15], s[12:13], vcc
	s_and_saveexec_b64 s[12:13], s[14:15]
	s_cbranch_execz .LBB116_397
; %bb.396:
	v_ashrrev_i32_e32 v67, 31, v66
	v_lshl_add_u64 v[72:73], v[66:67], 2, v[4:5]
	global_load_dword v67, v[72:73], off
	global_load_dword v69, v[4:5], off offset:92
	s_waitcnt vmcnt(1)
	global_store_dword v[4:5], v67, off offset:92
	s_waitcnt vmcnt(1)
	global_store_dword v[72:73], v69, off
.LBB116_397:
	s_or_b64 exec, exec, s[12:13]
	v_mov_b32_e32 v67, v66
	v_mov_b32_e32 v69, v66
.LBB116_398:
	s_or_b64 exec, exec, s[2:3]
.LBB116_399:
	s_andn2_saveexec_b64 s[0:1], s[0:1]
	s_cbranch_execz .LBB116_401
; %bb.400:
	v_pk_mov_b32 v[72:73], v[28:29], v[44:45] op_sel:[1,0]
	ds_write2_b32 v65, v72, v73 offset0:24 offset1:25
	v_pk_mov_b32 v[72:73], v[44:45], v[38:39] op_sel:[1,0]
	ds_write2_b32 v65, v72, v73 offset0:26 offset1:27
	;; [unrolled: 2-line block ×16, first 2 shown]
	v_pk_mov_b32 v[72:73], v[0:1], v[14:15] op_sel:[1,0]
	v_mov_b32_e32 v69, 23
	ds_write2_b32 v65, v72, v73 offset0:56 offset1:57
	ds_write_b32 v65, v15 offset:232
.LBB116_401:
	s_or_b64 exec, exec, s[0:1]
	v_cmp_lt_i32_e32 vcc, 23, v69
	s_waitcnt lgkmcnt(0)
	s_barrier
	s_and_saveexec_b64 s[0:1], vcc
	s_cbranch_execz .LBB116_403
; %bb.402:
	ds_read_b32 v66, v65 offset:96
	ds_read2_b32 v[72:73], v65 offset0:25 offset1:26
	ds_read2_b32 v[74:75], v65 offset0:27 offset1:28
	v_mul_f32_e32 v28, v68, v28
	ds_read2_b32 v[76:77], v65 offset0:29 offset1:30
	s_waitcnt lgkmcnt(3)
	v_fma_f32 v29, -v28, v66, v29
	s_waitcnt lgkmcnt(2)
	v_pk_fma_f32 v[44:45], v[28:29], v[72:73], v[44:45] op_sel_hi:[0,1,1] neg_lo:[1,0,0] neg_hi:[1,0,0]
	s_waitcnt lgkmcnt(1)
	v_pk_fma_f32 v[38:39], v[28:29], v[74:75], v[38:39] op_sel_hi:[0,1,1] neg_lo:[1,0,0] neg_hi:[1,0,0]
	ds_read2_b32 v[72:73], v65 offset0:31 offset1:32
	ds_read2_b32 v[74:75], v65 offset0:33 offset1:34
	;; [unrolled: 1-line block ×3, first 2 shown]
	s_waitcnt lgkmcnt(3)
	v_pk_fma_f32 v[30:31], v[28:29], v[76:77], v[30:31] op_sel_hi:[0,1,1] neg_lo:[1,0,0] neg_hi:[1,0,0]
	ds_read2_b32 v[76:77], v65 offset0:37 offset1:38
	s_waitcnt lgkmcnt(3)
	v_pk_fma_f32 v[22:23], v[28:29], v[72:73], v[22:23] op_sel_hi:[0,1,1] neg_lo:[1,0,0] neg_hi:[1,0,0]
	s_waitcnt lgkmcnt(2)
	v_pk_fma_f32 v[40:41], v[28:29], v[74:75], v[40:41] op_sel_hi:[0,1,1] neg_lo:[1,0,0] neg_hi:[1,0,0]
	;; [unrolled: 2-line block ×3, first 2 shown]
	ds_read2_b32 v[72:73], v65 offset0:39 offset1:40
	ds_read2_b32 v[74:75], v65 offset0:41 offset1:42
	;; [unrolled: 1-line block ×3, first 2 shown]
	s_waitcnt lgkmcnt(3)
	v_pk_fma_f32 v[24:25], v[28:29], v[76:77], v[24:25] op_sel_hi:[0,1,1] neg_lo:[1,0,0] neg_hi:[1,0,0]
	ds_read2_b32 v[76:77], v65 offset0:45 offset1:46
	s_waitcnt lgkmcnt(3)
	v_pk_fma_f32 v[16:17], v[28:29], v[72:73], v[16:17] op_sel_hi:[0,1,1] neg_lo:[1,0,0] neg_hi:[1,0,0]
	ds_read2_b32 v[72:73], v65 offset0:47 offset1:48
	s_waitcnt lgkmcnt(3)
	v_pk_fma_f32 v[34:35], v[28:29], v[74:75], v[34:35] op_sel_hi:[0,1,1] neg_lo:[1,0,0] neg_hi:[1,0,0]
	s_waitcnt lgkmcnt(2)
	v_pk_fma_f32 v[26:27], v[28:29], v[78:79], v[26:27] op_sel_hi:[0,1,1] neg_lo:[1,0,0] neg_hi:[1,0,0]
	s_waitcnt lgkmcnt(1)
	v_pk_fma_f32 v[18:19], v[28:29], v[76:77], v[18:19] op_sel_hi:[0,1,1] neg_lo:[1,0,0] neg_hi:[1,0,0]
	ds_read2_b32 v[74:75], v65 offset0:49 offset1:50
	ds_read2_b32 v[76:77], v65 offset0:51 offset1:52
	;; [unrolled: 1-line block ×3, first 2 shown]
	s_waitcnt lgkmcnt(3)
	v_pk_fma_f32 v[8:9], v[28:29], v[72:73], v[8:9] op_sel_hi:[0,1,1] neg_lo:[1,0,0] neg_hi:[1,0,0]
	ds_read2_b32 v[72:73], v65 offset0:55 offset1:56
	ds_read2_b32 v[80:81], v65 offset0:57 offset1:58
	s_waitcnt lgkmcnt(4)
	v_pk_fma_f32 v[20:21], v[28:29], v[74:75], v[20:21] op_sel_hi:[0,1,1] neg_lo:[1,0,0] neg_hi:[1,0,0]
	s_waitcnt lgkmcnt(3)
	v_pk_fma_f32 v[12:13], v[28:29], v[76:77], v[12:13] op_sel_hi:[0,1,1] neg_lo:[1,0,0] neg_hi:[1,0,0]
	s_waitcnt lgkmcnt(2)
	v_pk_fma_f32 v[10:11], v[28:29], v[78:79], v[10:11] op_sel_hi:[0,1,1] neg_lo:[1,0,0] neg_hi:[1,0,0]
	s_waitcnt lgkmcnt(1)
	v_pk_fma_f32 v[0:1], v[28:29], v[72:73], v[0:1] op_sel_hi:[0,1,1] neg_lo:[1,0,0] neg_hi:[1,0,0]
	s_waitcnt lgkmcnt(0)
	v_pk_fma_f32 v[14:15], v[28:29], v[80:81], v[14:15] op_sel_hi:[0,1,1] neg_lo:[1,0,0] neg_hi:[1,0,0]
.LBB116_403:
	s_or_b64 exec, exec, s[0:1]
	v_lshl_add_u32 v66, v69, 2, v65
	s_barrier
	ds_write_b32 v66, v29
	s_waitcnt lgkmcnt(0)
	s_barrier
	ds_read_b32 v68, v65 offset:96
	s_cmp_lt_i32 s22, 26
	v_mov_b32_e32 v66, 24
	s_cbranch_scc1 .LBB116_406
; %bb.404:
	v_add_u32_e32 v71, 0x64, v65
	v_mov_b32_e32 v66, 24
	s_mov_b32 s0, 25
.LBB116_405:                            ; =>This Inner Loop Header: Depth=1
	ds_read_b32 v72, v71
	v_mov_b32_e32 v73, s0
	s_add_i32 s0, s0, 1
	v_add_u32_e32 v71, 4, v71
	s_cmp_lg_u32 s22, s0
	s_waitcnt lgkmcnt(0)
	v_cmp_lt_f32_e64 vcc, |v68|, |v72|
	s_nop 1
	v_cndmask_b32_e32 v68, v68, v72, vcc
	v_cndmask_b32_e32 v66, v66, v73, vcc
	s_cbranch_scc1 .LBB116_405
.LBB116_406:
	s_waitcnt lgkmcnt(0)
	v_cmp_eq_f32_e32 vcc, 0, v68
	s_and_saveexec_b64 s[0:1], vcc
	s_xor_b64 s[0:1], exec, s[0:1]
; %bb.407:
	v_cmp_ne_u32_e32 vcc, 0, v70
	s_nop 1
	v_cndmask_b32_e32 v70, 25, v70, vcc
; %bb.408:
	s_andn2_saveexec_b64 s[0:1], s[0:1]
	s_cbranch_execz .LBB116_410
; %bb.409:
	v_div_scale_f32 v71, s[2:3], v68, v68, 1.0
	v_rcp_f32_e32 v72, v71
	v_div_scale_f32 v73, vcc, 1.0, v68, 1.0
	v_fma_f32 v74, -v71, v72, 1.0
	v_fmac_f32_e32 v72, v74, v72
	v_mul_f32_e32 v74, v73, v72
	v_fma_f32 v75, -v71, v74, v73
	v_fmac_f32_e32 v74, v75, v72
	v_fma_f32 v71, -v71, v74, v73
	v_div_fmas_f32 v71, v71, v72, v74
	v_div_fixup_f32 v68, v71, v68, 1.0
.LBB116_410:
	s_or_b64 exec, exec, s[0:1]
	v_cmp_ne_u32_e32 vcc, v69, v66
	s_and_saveexec_b64 s[0:1], vcc
	s_xor_b64 s[0:1], exec, s[0:1]
	s_cbranch_execz .LBB116_416
; %bb.411:
	v_cmp_eq_u32_e32 vcc, 24, v69
	s_and_saveexec_b64 s[2:3], vcc
	s_cbranch_execz .LBB116_415
; %bb.412:
	v_cmp_ne_u32_e32 vcc, 24, v66
	s_xor_b64 s[12:13], s[20:21], -1
	s_and_b64 s[14:15], s[12:13], vcc
	s_and_saveexec_b64 s[12:13], s[14:15]
	s_cbranch_execz .LBB116_414
; %bb.413:
	v_ashrrev_i32_e32 v67, 31, v66
	v_lshl_add_u64 v[72:73], v[66:67], 2, v[4:5]
	global_load_dword v67, v[72:73], off
	global_load_dword v69, v[4:5], off offset:96
	s_waitcnt vmcnt(1)
	global_store_dword v[4:5], v67, off offset:96
	s_waitcnt vmcnt(1)
	global_store_dword v[72:73], v69, off
.LBB116_414:
	s_or_b64 exec, exec, s[12:13]
	v_mov_b32_e32 v67, v66
	v_mov_b32_e32 v69, v66
.LBB116_415:
	s_or_b64 exec, exec, s[2:3]
.LBB116_416:
	s_andn2_saveexec_b64 s[0:1], s[0:1]
	s_cbranch_execz .LBB116_418
; %bb.417:
	v_mov_b32_e32 v69, 24
	ds_write2_b32 v65, v44, v45 offset0:25 offset1:26
	ds_write2_b32 v65, v38, v39 offset0:27 offset1:28
	;; [unrolled: 1-line block ×17, first 2 shown]
.LBB116_418:
	s_or_b64 exec, exec, s[0:1]
	v_cmp_lt_i32_e32 vcc, 24, v69
	s_waitcnt lgkmcnt(0)
	s_barrier
	s_and_saveexec_b64 s[0:1], vcc
	s_cbranch_execz .LBB116_420
; %bb.419:
	ds_read2_b32 v[72:73], v65 offset0:25 offset1:26
	ds_read2_b32 v[74:75], v65 offset0:27 offset1:28
	;; [unrolled: 1-line block ×3, first 2 shown]
	v_mul_f32_e32 v66, v68, v29
	ds_read2_b32 v[78:79], v65 offset0:31 offset1:32
	s_waitcnt lgkmcnt(3)
	v_pk_fma_f32 v[44:45], v[66:67], v[72:73], v[44:45] op_sel_hi:[0,1,1] neg_lo:[1,0,0] neg_hi:[1,0,0]
	s_waitcnt lgkmcnt(2)
	v_pk_fma_f32 v[38:39], v[66:67], v[74:75], v[38:39] op_sel_hi:[0,1,1] neg_lo:[1,0,0] neg_hi:[1,0,0]
	;; [unrolled: 2-line block ×3, first 2 shown]
	ds_read2_b32 v[72:73], v65 offset0:33 offset1:34
	ds_read2_b32 v[74:75], v65 offset0:35 offset1:36
	;; [unrolled: 1-line block ×3, first 2 shown]
	s_waitcnt lgkmcnt(3)
	v_pk_fma_f32 v[22:23], v[66:67], v[78:79], v[22:23] op_sel_hi:[0,1,1] neg_lo:[1,0,0] neg_hi:[1,0,0]
	ds_read2_b32 v[78:79], v65 offset0:39 offset1:40
	s_waitcnt lgkmcnt(3)
	v_pk_fma_f32 v[40:41], v[66:67], v[72:73], v[40:41] op_sel_hi:[0,1,1] neg_lo:[1,0,0] neg_hi:[1,0,0]
	s_waitcnt lgkmcnt(2)
	v_pk_fma_f32 v[32:33], v[66:67], v[74:75], v[32:33] op_sel_hi:[0,1,1] neg_lo:[1,0,0] neg_hi:[1,0,0]
	;; [unrolled: 2-line block ×3, first 2 shown]
	ds_read2_b32 v[72:73], v65 offset0:41 offset1:42
	ds_read2_b32 v[74:75], v65 offset0:43 offset1:44
	;; [unrolled: 1-line block ×4, first 2 shown]
	s_waitcnt lgkmcnt(4)
	v_pk_fma_f32 v[16:17], v[66:67], v[78:79], v[16:17] op_sel_hi:[0,1,1] neg_lo:[1,0,0] neg_hi:[1,0,0]
	s_waitcnt lgkmcnt(3)
	v_pk_fma_f32 v[34:35], v[66:67], v[72:73], v[34:35] op_sel_hi:[0,1,1] neg_lo:[1,0,0] neg_hi:[1,0,0]
	;; [unrolled: 2-line block ×5, first 2 shown]
	ds_read2_b32 v[72:73], v65 offset0:49 offset1:50
	ds_read2_b32 v[74:75], v65 offset0:51 offset1:52
	;; [unrolled: 1-line block ×5, first 2 shown]
	s_waitcnt lgkmcnt(4)
	v_pk_fma_f32 v[20:21], v[66:67], v[72:73], v[20:21] op_sel_hi:[0,1,1] neg_lo:[1,0,0] neg_hi:[1,0,0]
	s_waitcnt lgkmcnt(3)
	v_pk_fma_f32 v[12:13], v[66:67], v[74:75], v[12:13] op_sel_hi:[0,1,1] neg_lo:[1,0,0] neg_hi:[1,0,0]
	;; [unrolled: 2-line block ×5, first 2 shown]
	v_mov_b32_e32 v29, v66
.LBB116_420:
	s_or_b64 exec, exec, s[0:1]
	v_lshl_add_u32 v66, v69, 2, v65
	s_barrier
	ds_write_b32 v66, v44
	s_waitcnt lgkmcnt(0)
	s_barrier
	ds_read_b32 v68, v65 offset:100
	s_cmp_lt_i32 s22, 27
	v_mov_b32_e32 v66, 25
	s_cbranch_scc1 .LBB116_423
; %bb.421:
	v_add_u32_e32 v71, 0x68, v65
	v_mov_b32_e32 v66, 25
	s_mov_b32 s0, 26
.LBB116_422:                            ; =>This Inner Loop Header: Depth=1
	ds_read_b32 v72, v71
	v_mov_b32_e32 v73, s0
	s_add_i32 s0, s0, 1
	v_add_u32_e32 v71, 4, v71
	s_cmp_lg_u32 s22, s0
	s_waitcnt lgkmcnt(0)
	v_cmp_lt_f32_e64 vcc, |v68|, |v72|
	s_nop 1
	v_cndmask_b32_e32 v68, v68, v72, vcc
	v_cndmask_b32_e32 v66, v66, v73, vcc
	s_cbranch_scc1 .LBB116_422
.LBB116_423:
	s_waitcnt lgkmcnt(0)
	v_cmp_eq_f32_e32 vcc, 0, v68
	s_and_saveexec_b64 s[0:1], vcc
	s_xor_b64 s[0:1], exec, s[0:1]
; %bb.424:
	v_cmp_ne_u32_e32 vcc, 0, v70
	s_nop 1
	v_cndmask_b32_e32 v70, 26, v70, vcc
; %bb.425:
	s_andn2_saveexec_b64 s[0:1], s[0:1]
	s_cbranch_execz .LBB116_427
; %bb.426:
	v_div_scale_f32 v71, s[2:3], v68, v68, 1.0
	v_rcp_f32_e32 v72, v71
	v_div_scale_f32 v73, vcc, 1.0, v68, 1.0
	v_fma_f32 v74, -v71, v72, 1.0
	v_fmac_f32_e32 v72, v74, v72
	v_mul_f32_e32 v74, v73, v72
	v_fma_f32 v75, -v71, v74, v73
	v_fmac_f32_e32 v74, v75, v72
	v_fma_f32 v71, -v71, v74, v73
	v_div_fmas_f32 v71, v71, v72, v74
	v_div_fixup_f32 v68, v71, v68, 1.0
.LBB116_427:
	s_or_b64 exec, exec, s[0:1]
	v_cmp_ne_u32_e32 vcc, v69, v66
	s_and_saveexec_b64 s[0:1], vcc
	s_xor_b64 s[0:1], exec, s[0:1]
	s_cbranch_execz .LBB116_433
; %bb.428:
	v_cmp_eq_u32_e32 vcc, 25, v69
	s_and_saveexec_b64 s[2:3], vcc
	s_cbranch_execz .LBB116_432
; %bb.429:
	v_cmp_ne_u32_e32 vcc, 25, v66
	s_xor_b64 s[12:13], s[20:21], -1
	s_and_b64 s[14:15], s[12:13], vcc
	s_and_saveexec_b64 s[12:13], s[14:15]
	s_cbranch_execz .LBB116_431
; %bb.430:
	v_ashrrev_i32_e32 v67, 31, v66
	v_lshl_add_u64 v[72:73], v[66:67], 2, v[4:5]
	global_load_dword v67, v[72:73], off
	global_load_dword v69, v[4:5], off offset:100
	s_waitcnt vmcnt(1)
	global_store_dword v[4:5], v67, off offset:100
	s_waitcnt vmcnt(1)
	global_store_dword v[72:73], v69, off
.LBB116_431:
	s_or_b64 exec, exec, s[12:13]
	v_mov_b32_e32 v67, v66
	v_mov_b32_e32 v69, v66
.LBB116_432:
	s_or_b64 exec, exec, s[2:3]
.LBB116_433:
	s_andn2_saveexec_b64 s[0:1], s[0:1]
	s_cbranch_execz .LBB116_435
; %bb.434:
	v_pk_mov_b32 v[72:73], v[44:45], v[38:39] op_sel:[1,0]
	ds_write2_b32 v65, v72, v73 offset0:26 offset1:27
	v_pk_mov_b32 v[72:73], v[38:39], v[30:31] op_sel:[1,0]
	ds_write2_b32 v65, v72, v73 offset0:28 offset1:29
	;; [unrolled: 2-line block ×15, first 2 shown]
	v_pk_mov_b32 v[72:73], v[0:1], v[14:15] op_sel:[1,0]
	v_mov_b32_e32 v69, 25
	ds_write2_b32 v65, v72, v73 offset0:56 offset1:57
	ds_write_b32 v65, v15 offset:232
.LBB116_435:
	s_or_b64 exec, exec, s[0:1]
	v_cmp_lt_i32_e32 vcc, 25, v69
	s_waitcnt lgkmcnt(0)
	s_barrier
	s_and_saveexec_b64 s[0:1], vcc
	s_cbranch_execz .LBB116_437
; %bb.436:
	ds_read_b32 v66, v65 offset:104
	ds_read2_b32 v[72:73], v65 offset0:27 offset1:28
	ds_read2_b32 v[74:75], v65 offset0:29 offset1:30
	v_mul_f32_e32 v44, v68, v44
	ds_read2_b32 v[76:77], v65 offset0:31 offset1:32
	s_waitcnt lgkmcnt(3)
	v_fma_f32 v45, -v44, v66, v45
	s_waitcnt lgkmcnt(2)
	v_pk_fma_f32 v[38:39], v[44:45], v[72:73], v[38:39] op_sel_hi:[0,1,1] neg_lo:[1,0,0] neg_hi:[1,0,0]
	s_waitcnt lgkmcnt(1)
	v_pk_fma_f32 v[30:31], v[44:45], v[74:75], v[30:31] op_sel_hi:[0,1,1] neg_lo:[1,0,0] neg_hi:[1,0,0]
	ds_read2_b32 v[72:73], v65 offset0:33 offset1:34
	ds_read2_b32 v[74:75], v65 offset0:35 offset1:36
	;; [unrolled: 1-line block ×3, first 2 shown]
	s_waitcnt lgkmcnt(3)
	v_pk_fma_f32 v[22:23], v[44:45], v[76:77], v[22:23] op_sel_hi:[0,1,1] neg_lo:[1,0,0] neg_hi:[1,0,0]
	ds_read2_b32 v[76:77], v65 offset0:39 offset1:40
	s_waitcnt lgkmcnt(3)
	v_pk_fma_f32 v[40:41], v[44:45], v[72:73], v[40:41] op_sel_hi:[0,1,1] neg_lo:[1,0,0] neg_hi:[1,0,0]
	s_waitcnt lgkmcnt(2)
	v_pk_fma_f32 v[32:33], v[44:45], v[74:75], v[32:33] op_sel_hi:[0,1,1] neg_lo:[1,0,0] neg_hi:[1,0,0]
	;; [unrolled: 2-line block ×3, first 2 shown]
	ds_read2_b32 v[72:73], v65 offset0:41 offset1:42
	ds_read2_b32 v[74:75], v65 offset0:43 offset1:44
	;; [unrolled: 1-line block ×4, first 2 shown]
	s_waitcnt lgkmcnt(4)
	v_pk_fma_f32 v[16:17], v[44:45], v[76:77], v[16:17] op_sel_hi:[0,1,1] neg_lo:[1,0,0] neg_hi:[1,0,0]
	s_waitcnt lgkmcnt(3)
	v_pk_fma_f32 v[34:35], v[44:45], v[72:73], v[34:35] op_sel_hi:[0,1,1] neg_lo:[1,0,0] neg_hi:[1,0,0]
	;; [unrolled: 2-line block ×5, first 2 shown]
	ds_read2_b32 v[72:73], v65 offset0:49 offset1:50
	ds_read2_b32 v[74:75], v65 offset0:51 offset1:52
	;; [unrolled: 1-line block ×5, first 2 shown]
	s_waitcnt lgkmcnt(4)
	v_pk_fma_f32 v[20:21], v[44:45], v[72:73], v[20:21] op_sel_hi:[0,1,1] neg_lo:[1,0,0] neg_hi:[1,0,0]
	s_waitcnt lgkmcnt(3)
	v_pk_fma_f32 v[12:13], v[44:45], v[74:75], v[12:13] op_sel_hi:[0,1,1] neg_lo:[1,0,0] neg_hi:[1,0,0]
	;; [unrolled: 2-line block ×5, first 2 shown]
.LBB116_437:
	s_or_b64 exec, exec, s[0:1]
	v_lshl_add_u32 v66, v69, 2, v65
	s_barrier
	ds_write_b32 v66, v45
	s_waitcnt lgkmcnt(0)
	s_barrier
	ds_read_b32 v68, v65 offset:104
	s_cmp_lt_i32 s22, 28
	v_mov_b32_e32 v66, 26
	s_cbranch_scc1 .LBB116_440
; %bb.438:
	v_add_u32_e32 v71, 0x6c, v65
	v_mov_b32_e32 v66, 26
	s_mov_b32 s0, 27
.LBB116_439:                            ; =>This Inner Loop Header: Depth=1
	ds_read_b32 v72, v71
	v_mov_b32_e32 v73, s0
	s_add_i32 s0, s0, 1
	v_add_u32_e32 v71, 4, v71
	s_cmp_lg_u32 s22, s0
	s_waitcnt lgkmcnt(0)
	v_cmp_lt_f32_e64 vcc, |v68|, |v72|
	s_nop 1
	v_cndmask_b32_e32 v68, v68, v72, vcc
	v_cndmask_b32_e32 v66, v66, v73, vcc
	s_cbranch_scc1 .LBB116_439
.LBB116_440:
	s_waitcnt lgkmcnt(0)
	v_cmp_eq_f32_e32 vcc, 0, v68
	s_and_saveexec_b64 s[0:1], vcc
	s_xor_b64 s[0:1], exec, s[0:1]
; %bb.441:
	v_cmp_ne_u32_e32 vcc, 0, v70
	s_nop 1
	v_cndmask_b32_e32 v70, 27, v70, vcc
; %bb.442:
	s_andn2_saveexec_b64 s[0:1], s[0:1]
	s_cbranch_execz .LBB116_444
; %bb.443:
	v_div_scale_f32 v71, s[2:3], v68, v68, 1.0
	v_rcp_f32_e32 v72, v71
	v_div_scale_f32 v73, vcc, 1.0, v68, 1.0
	v_fma_f32 v74, -v71, v72, 1.0
	v_fmac_f32_e32 v72, v74, v72
	v_mul_f32_e32 v74, v73, v72
	v_fma_f32 v75, -v71, v74, v73
	v_fmac_f32_e32 v74, v75, v72
	v_fma_f32 v71, -v71, v74, v73
	v_div_fmas_f32 v71, v71, v72, v74
	v_div_fixup_f32 v68, v71, v68, 1.0
.LBB116_444:
	s_or_b64 exec, exec, s[0:1]
	v_cmp_ne_u32_e32 vcc, v69, v66
	s_and_saveexec_b64 s[0:1], vcc
	s_xor_b64 s[0:1], exec, s[0:1]
	s_cbranch_execz .LBB116_450
; %bb.445:
	v_cmp_eq_u32_e32 vcc, 26, v69
	s_and_saveexec_b64 s[2:3], vcc
	s_cbranch_execz .LBB116_449
; %bb.446:
	v_cmp_ne_u32_e32 vcc, 26, v66
	s_xor_b64 s[12:13], s[20:21], -1
	s_and_b64 s[14:15], s[12:13], vcc
	s_and_saveexec_b64 s[12:13], s[14:15]
	s_cbranch_execz .LBB116_448
; %bb.447:
	v_ashrrev_i32_e32 v67, 31, v66
	v_lshl_add_u64 v[72:73], v[66:67], 2, v[4:5]
	global_load_dword v67, v[72:73], off
	global_load_dword v69, v[4:5], off offset:104
	s_waitcnt vmcnt(1)
	global_store_dword v[4:5], v67, off offset:104
	s_waitcnt vmcnt(1)
	global_store_dword v[72:73], v69, off
.LBB116_448:
	s_or_b64 exec, exec, s[12:13]
	v_mov_b32_e32 v67, v66
	v_mov_b32_e32 v69, v66
.LBB116_449:
	s_or_b64 exec, exec, s[2:3]
.LBB116_450:
	s_andn2_saveexec_b64 s[0:1], s[0:1]
	s_cbranch_execz .LBB116_452
; %bb.451:
	v_mov_b32_e32 v69, 26
	ds_write2_b32 v65, v38, v39 offset0:27 offset1:28
	ds_write2_b32 v65, v30, v31 offset0:29 offset1:30
	;; [unrolled: 1-line block ×16, first 2 shown]
.LBB116_452:
	s_or_b64 exec, exec, s[0:1]
	v_cmp_lt_i32_e32 vcc, 26, v69
	s_waitcnt lgkmcnt(0)
	s_barrier
	s_and_saveexec_b64 s[0:1], vcc
	s_cbranch_execz .LBB116_454
; %bb.453:
	ds_read2_b32 v[72:73], v65 offset0:27 offset1:28
	ds_read2_b32 v[74:75], v65 offset0:29 offset1:30
	;; [unrolled: 1-line block ×3, first 2 shown]
	v_mul_f32_e32 v66, v68, v45
	ds_read2_b32 v[78:79], v65 offset0:33 offset1:34
	s_waitcnt lgkmcnt(3)
	v_pk_fma_f32 v[38:39], v[66:67], v[72:73], v[38:39] op_sel_hi:[0,1,1] neg_lo:[1,0,0] neg_hi:[1,0,0]
	s_waitcnt lgkmcnt(2)
	v_pk_fma_f32 v[30:31], v[66:67], v[74:75], v[30:31] op_sel_hi:[0,1,1] neg_lo:[1,0,0] neg_hi:[1,0,0]
	;; [unrolled: 2-line block ×3, first 2 shown]
	ds_read2_b32 v[72:73], v65 offset0:35 offset1:36
	ds_read2_b32 v[74:75], v65 offset0:37 offset1:38
	;; [unrolled: 1-line block ×3, first 2 shown]
	s_waitcnt lgkmcnt(3)
	v_pk_fma_f32 v[40:41], v[66:67], v[78:79], v[40:41] op_sel_hi:[0,1,1] neg_lo:[1,0,0] neg_hi:[1,0,0]
	ds_read2_b32 v[78:79], v65 offset0:41 offset1:42
	s_waitcnt lgkmcnt(3)
	v_pk_fma_f32 v[32:33], v[66:67], v[72:73], v[32:33] op_sel_hi:[0,1,1] neg_lo:[1,0,0] neg_hi:[1,0,0]
	s_waitcnt lgkmcnt(2)
	v_pk_fma_f32 v[24:25], v[66:67], v[74:75], v[24:25] op_sel_hi:[0,1,1] neg_lo:[1,0,0] neg_hi:[1,0,0]
	s_waitcnt lgkmcnt(1)
	v_pk_fma_f32 v[16:17], v[66:67], v[76:77], v[16:17] op_sel_hi:[0,1,1] neg_lo:[1,0,0] neg_hi:[1,0,0]
	ds_read2_b32 v[72:73], v65 offset0:43 offset1:44
	ds_read2_b32 v[74:75], v65 offset0:45 offset1:46
	;; [unrolled: 1-line block ×3, first 2 shown]
	s_waitcnt lgkmcnt(3)
	v_pk_fma_f32 v[34:35], v[66:67], v[78:79], v[34:35] op_sel_hi:[0,1,1] neg_lo:[1,0,0] neg_hi:[1,0,0]
	ds_read2_b32 v[78:79], v65 offset0:49 offset1:50
	s_waitcnt lgkmcnt(3)
	v_pk_fma_f32 v[26:27], v[66:67], v[72:73], v[26:27] op_sel_hi:[0,1,1] neg_lo:[1,0,0] neg_hi:[1,0,0]
	s_waitcnt lgkmcnt(2)
	v_pk_fma_f32 v[18:19], v[66:67], v[74:75], v[18:19] op_sel_hi:[0,1,1] neg_lo:[1,0,0] neg_hi:[1,0,0]
	;; [unrolled: 2-line block ×3, first 2 shown]
	ds_read2_b32 v[72:73], v65 offset0:51 offset1:52
	ds_read2_b32 v[74:75], v65 offset0:53 offset1:54
	;; [unrolled: 1-line block ×4, first 2 shown]
	s_waitcnt lgkmcnt(4)
	v_pk_fma_f32 v[20:21], v[66:67], v[78:79], v[20:21] op_sel_hi:[0,1,1] neg_lo:[1,0,0] neg_hi:[1,0,0]
	s_waitcnt lgkmcnt(3)
	v_pk_fma_f32 v[12:13], v[66:67], v[72:73], v[12:13] op_sel_hi:[0,1,1] neg_lo:[1,0,0] neg_hi:[1,0,0]
	;; [unrolled: 2-line block ×5, first 2 shown]
	v_mov_b32_e32 v45, v66
.LBB116_454:
	s_or_b64 exec, exec, s[0:1]
	v_lshl_add_u32 v66, v69, 2, v65
	s_barrier
	ds_write_b32 v66, v38
	s_waitcnt lgkmcnt(0)
	s_barrier
	ds_read_b32 v68, v65 offset:108
	s_cmp_lt_i32 s22, 29
	v_mov_b32_e32 v66, 27
	s_cbranch_scc1 .LBB116_457
; %bb.455:
	v_add_u32_e32 v71, 0x70, v65
	v_mov_b32_e32 v66, 27
	s_mov_b32 s0, 28
.LBB116_456:                            ; =>This Inner Loop Header: Depth=1
	ds_read_b32 v72, v71
	v_mov_b32_e32 v73, s0
	s_add_i32 s0, s0, 1
	v_add_u32_e32 v71, 4, v71
	s_cmp_lg_u32 s22, s0
	s_waitcnt lgkmcnt(0)
	v_cmp_lt_f32_e64 vcc, |v68|, |v72|
	s_nop 1
	v_cndmask_b32_e32 v68, v68, v72, vcc
	v_cndmask_b32_e32 v66, v66, v73, vcc
	s_cbranch_scc1 .LBB116_456
.LBB116_457:
	s_waitcnt lgkmcnt(0)
	v_cmp_eq_f32_e32 vcc, 0, v68
	s_and_saveexec_b64 s[0:1], vcc
	s_xor_b64 s[0:1], exec, s[0:1]
; %bb.458:
	v_cmp_ne_u32_e32 vcc, 0, v70
	s_nop 1
	v_cndmask_b32_e32 v70, 28, v70, vcc
; %bb.459:
	s_andn2_saveexec_b64 s[0:1], s[0:1]
	s_cbranch_execz .LBB116_461
; %bb.460:
	v_div_scale_f32 v71, s[2:3], v68, v68, 1.0
	v_rcp_f32_e32 v72, v71
	v_div_scale_f32 v73, vcc, 1.0, v68, 1.0
	v_fma_f32 v74, -v71, v72, 1.0
	v_fmac_f32_e32 v72, v74, v72
	v_mul_f32_e32 v74, v73, v72
	v_fma_f32 v75, -v71, v74, v73
	v_fmac_f32_e32 v74, v75, v72
	v_fma_f32 v71, -v71, v74, v73
	v_div_fmas_f32 v71, v71, v72, v74
	v_div_fixup_f32 v68, v71, v68, 1.0
.LBB116_461:
	s_or_b64 exec, exec, s[0:1]
	v_cmp_ne_u32_e32 vcc, v69, v66
	s_and_saveexec_b64 s[0:1], vcc
	s_xor_b64 s[0:1], exec, s[0:1]
	s_cbranch_execz .LBB116_467
; %bb.462:
	v_cmp_eq_u32_e32 vcc, 27, v69
	s_and_saveexec_b64 s[2:3], vcc
	s_cbranch_execz .LBB116_466
; %bb.463:
	v_cmp_ne_u32_e32 vcc, 27, v66
	s_xor_b64 s[12:13], s[20:21], -1
	s_and_b64 s[14:15], s[12:13], vcc
	s_and_saveexec_b64 s[12:13], s[14:15]
	s_cbranch_execz .LBB116_465
; %bb.464:
	v_ashrrev_i32_e32 v67, 31, v66
	v_lshl_add_u64 v[72:73], v[66:67], 2, v[4:5]
	global_load_dword v67, v[72:73], off
	global_load_dword v69, v[4:5], off offset:108
	s_waitcnt vmcnt(1)
	global_store_dword v[4:5], v67, off offset:108
	s_waitcnt vmcnt(1)
	global_store_dword v[72:73], v69, off
.LBB116_465:
	s_or_b64 exec, exec, s[12:13]
	v_mov_b32_e32 v67, v66
	v_mov_b32_e32 v69, v66
.LBB116_466:
	s_or_b64 exec, exec, s[2:3]
.LBB116_467:
	s_andn2_saveexec_b64 s[0:1], s[0:1]
	s_cbranch_execz .LBB116_469
; %bb.468:
	v_pk_mov_b32 v[72:73], v[38:39], v[30:31] op_sel:[1,0]
	ds_write2_b32 v65, v72, v73 offset0:28 offset1:29
	v_pk_mov_b32 v[72:73], v[30:31], v[22:23] op_sel:[1,0]
	ds_write2_b32 v65, v72, v73 offset0:30 offset1:31
	;; [unrolled: 2-line block ×14, first 2 shown]
	v_pk_mov_b32 v[72:73], v[0:1], v[14:15] op_sel:[1,0]
	v_mov_b32_e32 v69, 27
	ds_write2_b32 v65, v72, v73 offset0:56 offset1:57
	ds_write_b32 v65, v15 offset:232
.LBB116_469:
	s_or_b64 exec, exec, s[0:1]
	v_cmp_lt_i32_e32 vcc, 27, v69
	s_waitcnt lgkmcnt(0)
	s_barrier
	s_and_saveexec_b64 s[0:1], vcc
	s_cbranch_execz .LBB116_471
; %bb.470:
	ds_read_b32 v66, v65 offset:112
	ds_read2_b32 v[72:73], v65 offset0:29 offset1:30
	ds_read2_b32 v[74:75], v65 offset0:31 offset1:32
	v_mul_f32_e32 v38, v68, v38
	ds_read2_b32 v[76:77], v65 offset0:33 offset1:34
	s_waitcnt lgkmcnt(3)
	v_fma_f32 v39, -v38, v66, v39
	s_waitcnt lgkmcnt(2)
	v_pk_fma_f32 v[30:31], v[38:39], v[72:73], v[30:31] op_sel_hi:[0,1,1] neg_lo:[1,0,0] neg_hi:[1,0,0]
	s_waitcnt lgkmcnt(1)
	v_pk_fma_f32 v[22:23], v[38:39], v[74:75], v[22:23] op_sel_hi:[0,1,1] neg_lo:[1,0,0] neg_hi:[1,0,0]
	ds_read2_b32 v[72:73], v65 offset0:35 offset1:36
	ds_read2_b32 v[74:75], v65 offset0:37 offset1:38
	;; [unrolled: 1-line block ×3, first 2 shown]
	s_waitcnt lgkmcnt(3)
	v_pk_fma_f32 v[40:41], v[38:39], v[76:77], v[40:41] op_sel_hi:[0,1,1] neg_lo:[1,0,0] neg_hi:[1,0,0]
	ds_read2_b32 v[76:77], v65 offset0:41 offset1:42
	s_waitcnt lgkmcnt(3)
	v_pk_fma_f32 v[32:33], v[38:39], v[72:73], v[32:33] op_sel_hi:[0,1,1] neg_lo:[1,0,0] neg_hi:[1,0,0]
	s_waitcnt lgkmcnt(2)
	v_pk_fma_f32 v[24:25], v[38:39], v[74:75], v[24:25] op_sel_hi:[0,1,1] neg_lo:[1,0,0] neg_hi:[1,0,0]
	;; [unrolled: 2-line block ×3, first 2 shown]
	ds_read2_b32 v[72:73], v65 offset0:43 offset1:44
	ds_read2_b32 v[74:75], v65 offset0:45 offset1:46
	;; [unrolled: 1-line block ×3, first 2 shown]
	s_waitcnt lgkmcnt(3)
	v_pk_fma_f32 v[34:35], v[38:39], v[76:77], v[34:35] op_sel_hi:[0,1,1] neg_lo:[1,0,0] neg_hi:[1,0,0]
	ds_read2_b32 v[76:77], v65 offset0:49 offset1:50
	s_waitcnt lgkmcnt(3)
	v_pk_fma_f32 v[26:27], v[38:39], v[72:73], v[26:27] op_sel_hi:[0,1,1] neg_lo:[1,0,0] neg_hi:[1,0,0]
	s_waitcnt lgkmcnt(2)
	v_pk_fma_f32 v[18:19], v[38:39], v[74:75], v[18:19] op_sel_hi:[0,1,1] neg_lo:[1,0,0] neg_hi:[1,0,0]
	s_waitcnt lgkmcnt(1)
	v_pk_fma_f32 v[8:9], v[38:39], v[78:79], v[8:9] op_sel_hi:[0,1,1] neg_lo:[1,0,0] neg_hi:[1,0,0]
	ds_read2_b32 v[72:73], v65 offset0:51 offset1:52
	ds_read2_b32 v[74:75], v65 offset0:53 offset1:54
	;; [unrolled: 1-line block ×4, first 2 shown]
	s_waitcnt lgkmcnt(4)
	v_pk_fma_f32 v[20:21], v[38:39], v[76:77], v[20:21] op_sel_hi:[0,1,1] neg_lo:[1,0,0] neg_hi:[1,0,0]
	s_waitcnt lgkmcnt(3)
	v_pk_fma_f32 v[12:13], v[38:39], v[72:73], v[12:13] op_sel_hi:[0,1,1] neg_lo:[1,0,0] neg_hi:[1,0,0]
	;; [unrolled: 2-line block ×5, first 2 shown]
.LBB116_471:
	s_or_b64 exec, exec, s[0:1]
	v_lshl_add_u32 v66, v69, 2, v65
	s_barrier
	ds_write_b32 v66, v39
	s_waitcnt lgkmcnt(0)
	s_barrier
	ds_read_b32 v68, v65 offset:112
	s_cmp_lt_i32 s22, 30
	v_mov_b32_e32 v66, 28
	s_cbranch_scc1 .LBB116_474
; %bb.472:
	v_add_u32_e32 v71, 0x74, v65
	v_mov_b32_e32 v66, 28
	s_mov_b32 s0, 29
.LBB116_473:                            ; =>This Inner Loop Header: Depth=1
	ds_read_b32 v72, v71
	v_mov_b32_e32 v73, s0
	s_add_i32 s0, s0, 1
	v_add_u32_e32 v71, 4, v71
	s_cmp_lg_u32 s22, s0
	s_waitcnt lgkmcnt(0)
	v_cmp_lt_f32_e64 vcc, |v68|, |v72|
	s_nop 1
	v_cndmask_b32_e32 v68, v68, v72, vcc
	v_cndmask_b32_e32 v66, v66, v73, vcc
	s_cbranch_scc1 .LBB116_473
.LBB116_474:
	s_waitcnt lgkmcnt(0)
	v_cmp_eq_f32_e32 vcc, 0, v68
	s_and_saveexec_b64 s[0:1], vcc
	s_xor_b64 s[0:1], exec, s[0:1]
; %bb.475:
	v_cmp_ne_u32_e32 vcc, 0, v70
	s_nop 1
	v_cndmask_b32_e32 v70, 29, v70, vcc
; %bb.476:
	s_andn2_saveexec_b64 s[0:1], s[0:1]
	s_cbranch_execz .LBB116_478
; %bb.477:
	v_div_scale_f32 v71, s[2:3], v68, v68, 1.0
	v_rcp_f32_e32 v72, v71
	v_div_scale_f32 v73, vcc, 1.0, v68, 1.0
	v_fma_f32 v74, -v71, v72, 1.0
	v_fmac_f32_e32 v72, v74, v72
	v_mul_f32_e32 v74, v73, v72
	v_fma_f32 v75, -v71, v74, v73
	v_fmac_f32_e32 v74, v75, v72
	v_fma_f32 v71, -v71, v74, v73
	v_div_fmas_f32 v71, v71, v72, v74
	v_div_fixup_f32 v68, v71, v68, 1.0
.LBB116_478:
	s_or_b64 exec, exec, s[0:1]
	v_cmp_ne_u32_e32 vcc, v69, v66
	s_and_saveexec_b64 s[0:1], vcc
	s_xor_b64 s[0:1], exec, s[0:1]
	s_cbranch_execz .LBB116_484
; %bb.479:
	v_cmp_eq_u32_e32 vcc, 28, v69
	s_and_saveexec_b64 s[2:3], vcc
	s_cbranch_execz .LBB116_483
; %bb.480:
	v_cmp_ne_u32_e32 vcc, 28, v66
	s_xor_b64 s[12:13], s[20:21], -1
	s_and_b64 s[14:15], s[12:13], vcc
	s_and_saveexec_b64 s[12:13], s[14:15]
	s_cbranch_execz .LBB116_482
; %bb.481:
	v_ashrrev_i32_e32 v67, 31, v66
	v_lshl_add_u64 v[72:73], v[66:67], 2, v[4:5]
	global_load_dword v67, v[72:73], off
	global_load_dword v69, v[4:5], off offset:112
	s_waitcnt vmcnt(1)
	global_store_dword v[4:5], v67, off offset:112
	s_waitcnt vmcnt(1)
	global_store_dword v[72:73], v69, off
.LBB116_482:
	s_or_b64 exec, exec, s[12:13]
	v_mov_b32_e32 v67, v66
	v_mov_b32_e32 v69, v66
.LBB116_483:
	s_or_b64 exec, exec, s[2:3]
.LBB116_484:
	s_andn2_saveexec_b64 s[0:1], s[0:1]
	s_cbranch_execz .LBB116_486
; %bb.485:
	v_mov_b32_e32 v69, 28
	ds_write2_b32 v65, v30, v31 offset0:29 offset1:30
	ds_write2_b32 v65, v22, v23 offset0:31 offset1:32
	;; [unrolled: 1-line block ×15, first 2 shown]
.LBB116_486:
	s_or_b64 exec, exec, s[0:1]
	v_cmp_lt_i32_e32 vcc, 28, v69
	s_waitcnt lgkmcnt(0)
	s_barrier
	s_and_saveexec_b64 s[0:1], vcc
	s_cbranch_execz .LBB116_488
; %bb.487:
	ds_read2_b32 v[72:73], v65 offset0:29 offset1:30
	ds_read2_b32 v[74:75], v65 offset0:31 offset1:32
	;; [unrolled: 1-line block ×3, first 2 shown]
	v_mul_f32_e32 v66, v68, v39
	ds_read2_b32 v[78:79], v65 offset0:35 offset1:36
	s_waitcnt lgkmcnt(3)
	v_pk_fma_f32 v[30:31], v[66:67], v[72:73], v[30:31] op_sel_hi:[0,1,1] neg_lo:[1,0,0] neg_hi:[1,0,0]
	s_waitcnt lgkmcnt(2)
	v_pk_fma_f32 v[22:23], v[66:67], v[74:75], v[22:23] op_sel_hi:[0,1,1] neg_lo:[1,0,0] neg_hi:[1,0,0]
	;; [unrolled: 2-line block ×3, first 2 shown]
	ds_read2_b32 v[72:73], v65 offset0:37 offset1:38
	ds_read2_b32 v[74:75], v65 offset0:39 offset1:40
	;; [unrolled: 1-line block ×3, first 2 shown]
	s_waitcnt lgkmcnt(3)
	v_pk_fma_f32 v[32:33], v[66:67], v[78:79], v[32:33] op_sel_hi:[0,1,1] neg_lo:[1,0,0] neg_hi:[1,0,0]
	ds_read2_b32 v[78:79], v65 offset0:43 offset1:44
	s_waitcnt lgkmcnt(3)
	v_pk_fma_f32 v[24:25], v[66:67], v[72:73], v[24:25] op_sel_hi:[0,1,1] neg_lo:[1,0,0] neg_hi:[1,0,0]
	s_waitcnt lgkmcnt(2)
	v_pk_fma_f32 v[16:17], v[66:67], v[74:75], v[16:17] op_sel_hi:[0,1,1] neg_lo:[1,0,0] neg_hi:[1,0,0]
	ds_read2_b32 v[72:73], v65 offset0:45 offset1:46
	ds_read2_b32 v[74:75], v65 offset0:47 offset1:48
	s_waitcnt lgkmcnt(3)
	v_pk_fma_f32 v[34:35], v[66:67], v[76:77], v[34:35] op_sel_hi:[0,1,1] neg_lo:[1,0,0] neg_hi:[1,0,0]
	s_waitcnt lgkmcnt(2)
	v_pk_fma_f32 v[26:27], v[66:67], v[78:79], v[26:27] op_sel_hi:[0,1,1] neg_lo:[1,0,0] neg_hi:[1,0,0]
	ds_read2_b32 v[76:77], v65 offset0:49 offset1:50
	;; [unrolled: 6-line block ×3, first 2 shown]
	ds_read2_b32 v[74:75], v65 offset0:55 offset1:56
	ds_read2_b32 v[80:81], v65 offset0:57 offset1:58
	s_waitcnt lgkmcnt(4)
	v_pk_fma_f32 v[20:21], v[66:67], v[76:77], v[20:21] op_sel_hi:[0,1,1] neg_lo:[1,0,0] neg_hi:[1,0,0]
	s_waitcnt lgkmcnt(3)
	v_pk_fma_f32 v[12:13], v[66:67], v[78:79], v[12:13] op_sel_hi:[0,1,1] neg_lo:[1,0,0] neg_hi:[1,0,0]
	;; [unrolled: 2-line block ×5, first 2 shown]
	v_mov_b32_e32 v39, v66
.LBB116_488:
	s_or_b64 exec, exec, s[0:1]
	v_lshl_add_u32 v66, v69, 2, v65
	s_barrier
	ds_write_b32 v66, v30
	s_waitcnt lgkmcnt(0)
	s_barrier
	ds_read_b32 v68, v65 offset:116
	s_cmp_lt_i32 s22, 31
	v_mov_b32_e32 v66, 29
	s_cbranch_scc1 .LBB116_491
; %bb.489:
	v_add_u32_e32 v71, 0x78, v65
	v_mov_b32_e32 v66, 29
	s_mov_b32 s0, 30
.LBB116_490:                            ; =>This Inner Loop Header: Depth=1
	ds_read_b32 v72, v71
	v_mov_b32_e32 v73, s0
	s_add_i32 s0, s0, 1
	v_add_u32_e32 v71, 4, v71
	s_cmp_lg_u32 s22, s0
	s_waitcnt lgkmcnt(0)
	v_cmp_lt_f32_e64 vcc, |v68|, |v72|
	s_nop 1
	v_cndmask_b32_e32 v68, v68, v72, vcc
	v_cndmask_b32_e32 v66, v66, v73, vcc
	s_cbranch_scc1 .LBB116_490
.LBB116_491:
	s_waitcnt lgkmcnt(0)
	v_cmp_eq_f32_e32 vcc, 0, v68
	s_and_saveexec_b64 s[0:1], vcc
	s_xor_b64 s[0:1], exec, s[0:1]
; %bb.492:
	v_cmp_ne_u32_e32 vcc, 0, v70
	s_nop 1
	v_cndmask_b32_e32 v70, 30, v70, vcc
; %bb.493:
	s_andn2_saveexec_b64 s[0:1], s[0:1]
	s_cbranch_execz .LBB116_495
; %bb.494:
	v_div_scale_f32 v71, s[2:3], v68, v68, 1.0
	v_rcp_f32_e32 v72, v71
	v_div_scale_f32 v73, vcc, 1.0, v68, 1.0
	v_fma_f32 v74, -v71, v72, 1.0
	v_fmac_f32_e32 v72, v74, v72
	v_mul_f32_e32 v74, v73, v72
	v_fma_f32 v75, -v71, v74, v73
	v_fmac_f32_e32 v74, v75, v72
	v_fma_f32 v71, -v71, v74, v73
	v_div_fmas_f32 v71, v71, v72, v74
	v_div_fixup_f32 v68, v71, v68, 1.0
.LBB116_495:
	s_or_b64 exec, exec, s[0:1]
	v_cmp_ne_u32_e32 vcc, v69, v66
	s_and_saveexec_b64 s[0:1], vcc
	s_xor_b64 s[0:1], exec, s[0:1]
	s_cbranch_execz .LBB116_501
; %bb.496:
	v_cmp_eq_u32_e32 vcc, 29, v69
	s_and_saveexec_b64 s[2:3], vcc
	s_cbranch_execz .LBB116_500
; %bb.497:
	v_cmp_ne_u32_e32 vcc, 29, v66
	s_xor_b64 s[12:13], s[20:21], -1
	s_and_b64 s[14:15], s[12:13], vcc
	s_and_saveexec_b64 s[12:13], s[14:15]
	s_cbranch_execz .LBB116_499
; %bb.498:
	v_ashrrev_i32_e32 v67, 31, v66
	v_lshl_add_u64 v[72:73], v[66:67], 2, v[4:5]
	global_load_dword v67, v[72:73], off
	global_load_dword v69, v[4:5], off offset:116
	s_waitcnt vmcnt(1)
	global_store_dword v[4:5], v67, off offset:116
	s_waitcnt vmcnt(1)
	global_store_dword v[72:73], v69, off
.LBB116_499:
	s_or_b64 exec, exec, s[12:13]
	v_mov_b32_e32 v67, v66
	v_mov_b32_e32 v69, v66
.LBB116_500:
	s_or_b64 exec, exec, s[2:3]
.LBB116_501:
	s_andn2_saveexec_b64 s[0:1], s[0:1]
	s_cbranch_execz .LBB116_503
; %bb.502:
	v_pk_mov_b32 v[72:73], v[30:31], v[22:23] op_sel:[1,0]
	ds_write2_b32 v65, v72, v73 offset0:30 offset1:31
	v_pk_mov_b32 v[72:73], v[22:23], v[40:41] op_sel:[1,0]
	ds_write2_b32 v65, v72, v73 offset0:32 offset1:33
	;; [unrolled: 2-line block ×13, first 2 shown]
	v_pk_mov_b32 v[72:73], v[0:1], v[14:15] op_sel:[1,0]
	v_mov_b32_e32 v69, 29
	ds_write2_b32 v65, v72, v73 offset0:56 offset1:57
	ds_write_b32 v65, v15 offset:232
.LBB116_503:
	s_or_b64 exec, exec, s[0:1]
	v_cmp_lt_i32_e32 vcc, 29, v69
	s_waitcnt lgkmcnt(0)
	s_barrier
	s_and_saveexec_b64 s[0:1], vcc
	s_cbranch_execz .LBB116_505
; %bb.504:
	ds_read_b32 v66, v65 offset:120
	ds_read2_b32 v[72:73], v65 offset0:31 offset1:32
	ds_read2_b32 v[74:75], v65 offset0:33 offset1:34
	v_mul_f32_e32 v30, v68, v30
	ds_read2_b32 v[76:77], v65 offset0:35 offset1:36
	s_waitcnt lgkmcnt(3)
	v_fma_f32 v31, -v30, v66, v31
	s_waitcnt lgkmcnt(2)
	v_pk_fma_f32 v[22:23], v[30:31], v[72:73], v[22:23] op_sel_hi:[0,1,1] neg_lo:[1,0,0] neg_hi:[1,0,0]
	s_waitcnt lgkmcnt(1)
	v_pk_fma_f32 v[40:41], v[30:31], v[74:75], v[40:41] op_sel_hi:[0,1,1] neg_lo:[1,0,0] neg_hi:[1,0,0]
	ds_read2_b32 v[72:73], v65 offset0:37 offset1:38
	ds_read2_b32 v[74:75], v65 offset0:39 offset1:40
	;; [unrolled: 1-line block ×3, first 2 shown]
	s_waitcnt lgkmcnt(3)
	v_pk_fma_f32 v[32:33], v[30:31], v[76:77], v[32:33] op_sel_hi:[0,1,1] neg_lo:[1,0,0] neg_hi:[1,0,0]
	ds_read2_b32 v[76:77], v65 offset0:43 offset1:44
	s_waitcnt lgkmcnt(3)
	v_pk_fma_f32 v[24:25], v[30:31], v[72:73], v[24:25] op_sel_hi:[0,1,1] neg_lo:[1,0,0] neg_hi:[1,0,0]
	s_waitcnt lgkmcnt(2)
	v_pk_fma_f32 v[16:17], v[30:31], v[74:75], v[16:17] op_sel_hi:[0,1,1] neg_lo:[1,0,0] neg_hi:[1,0,0]
	ds_read2_b32 v[72:73], v65 offset0:45 offset1:46
	ds_read2_b32 v[74:75], v65 offset0:47 offset1:48
	s_waitcnt lgkmcnt(3)
	v_pk_fma_f32 v[34:35], v[30:31], v[78:79], v[34:35] op_sel_hi:[0,1,1] neg_lo:[1,0,0] neg_hi:[1,0,0]
	s_waitcnt lgkmcnt(2)
	v_pk_fma_f32 v[26:27], v[30:31], v[76:77], v[26:27] op_sel_hi:[0,1,1] neg_lo:[1,0,0] neg_hi:[1,0,0]
	ds_read2_b32 v[76:77], v65 offset0:49 offset1:50
	;; [unrolled: 6-line block ×3, first 2 shown]
	ds_read2_b32 v[74:75], v65 offset0:55 offset1:56
	ds_read2_b32 v[80:81], v65 offset0:57 offset1:58
	s_waitcnt lgkmcnt(4)
	v_pk_fma_f32 v[20:21], v[30:31], v[76:77], v[20:21] op_sel_hi:[0,1,1] neg_lo:[1,0,0] neg_hi:[1,0,0]
	s_waitcnt lgkmcnt(3)
	v_pk_fma_f32 v[12:13], v[30:31], v[78:79], v[12:13] op_sel_hi:[0,1,1] neg_lo:[1,0,0] neg_hi:[1,0,0]
	s_waitcnt lgkmcnt(2)
	v_pk_fma_f32 v[10:11], v[30:31], v[72:73], v[10:11] op_sel_hi:[0,1,1] neg_lo:[1,0,0] neg_hi:[1,0,0]
	s_waitcnt lgkmcnt(1)
	v_pk_fma_f32 v[0:1], v[30:31], v[74:75], v[0:1] op_sel_hi:[0,1,1] neg_lo:[1,0,0] neg_hi:[1,0,0]
	s_waitcnt lgkmcnt(0)
	v_pk_fma_f32 v[14:15], v[30:31], v[80:81], v[14:15] op_sel_hi:[0,1,1] neg_lo:[1,0,0] neg_hi:[1,0,0]
.LBB116_505:
	s_or_b64 exec, exec, s[0:1]
	v_lshl_add_u32 v66, v69, 2, v65
	s_barrier
	ds_write_b32 v66, v31
	s_waitcnt lgkmcnt(0)
	s_barrier
	ds_read_b32 v68, v65 offset:120
	s_cmp_lt_i32 s22, 32
	v_mov_b32_e32 v66, 30
	s_cbranch_scc1 .LBB116_508
; %bb.506:
	v_add_u32_e32 v71, 0x7c, v65
	v_mov_b32_e32 v66, 30
	s_mov_b32 s0, 31
.LBB116_507:                            ; =>This Inner Loop Header: Depth=1
	ds_read_b32 v72, v71
	v_mov_b32_e32 v73, s0
	s_add_i32 s0, s0, 1
	v_add_u32_e32 v71, 4, v71
	s_cmp_lg_u32 s22, s0
	s_waitcnt lgkmcnt(0)
	v_cmp_lt_f32_e64 vcc, |v68|, |v72|
	s_nop 1
	v_cndmask_b32_e32 v68, v68, v72, vcc
	v_cndmask_b32_e32 v66, v66, v73, vcc
	s_cbranch_scc1 .LBB116_507
.LBB116_508:
	s_waitcnt lgkmcnt(0)
	v_cmp_eq_f32_e32 vcc, 0, v68
	s_and_saveexec_b64 s[0:1], vcc
	s_xor_b64 s[0:1], exec, s[0:1]
; %bb.509:
	v_cmp_ne_u32_e32 vcc, 0, v70
	s_nop 1
	v_cndmask_b32_e32 v70, 31, v70, vcc
; %bb.510:
	s_andn2_saveexec_b64 s[0:1], s[0:1]
	s_cbranch_execz .LBB116_512
; %bb.511:
	v_div_scale_f32 v71, s[2:3], v68, v68, 1.0
	v_rcp_f32_e32 v72, v71
	v_div_scale_f32 v73, vcc, 1.0, v68, 1.0
	v_fma_f32 v74, -v71, v72, 1.0
	v_fmac_f32_e32 v72, v74, v72
	v_mul_f32_e32 v74, v73, v72
	v_fma_f32 v75, -v71, v74, v73
	v_fmac_f32_e32 v74, v75, v72
	v_fma_f32 v71, -v71, v74, v73
	v_div_fmas_f32 v71, v71, v72, v74
	v_div_fixup_f32 v68, v71, v68, 1.0
.LBB116_512:
	s_or_b64 exec, exec, s[0:1]
	v_cmp_ne_u32_e32 vcc, v69, v66
	s_and_saveexec_b64 s[0:1], vcc
	s_xor_b64 s[0:1], exec, s[0:1]
	s_cbranch_execz .LBB116_518
; %bb.513:
	v_cmp_eq_u32_e32 vcc, 30, v69
	s_and_saveexec_b64 s[2:3], vcc
	s_cbranch_execz .LBB116_517
; %bb.514:
	v_cmp_ne_u32_e32 vcc, 30, v66
	s_xor_b64 s[12:13], s[20:21], -1
	s_and_b64 s[14:15], s[12:13], vcc
	s_and_saveexec_b64 s[12:13], s[14:15]
	s_cbranch_execz .LBB116_516
; %bb.515:
	v_ashrrev_i32_e32 v67, 31, v66
	v_lshl_add_u64 v[72:73], v[66:67], 2, v[4:5]
	global_load_dword v67, v[72:73], off
	global_load_dword v69, v[4:5], off offset:120
	s_waitcnt vmcnt(1)
	global_store_dword v[4:5], v67, off offset:120
	s_waitcnt vmcnt(1)
	global_store_dword v[72:73], v69, off
.LBB116_516:
	s_or_b64 exec, exec, s[12:13]
	v_mov_b32_e32 v67, v66
	v_mov_b32_e32 v69, v66
.LBB116_517:
	s_or_b64 exec, exec, s[2:3]
.LBB116_518:
	s_andn2_saveexec_b64 s[0:1], s[0:1]
	s_cbranch_execz .LBB116_520
; %bb.519:
	v_mov_b32_e32 v69, 30
	ds_write2_b32 v65, v22, v23 offset0:31 offset1:32
	ds_write2_b32 v65, v40, v41 offset0:33 offset1:34
	;; [unrolled: 1-line block ×14, first 2 shown]
.LBB116_520:
	s_or_b64 exec, exec, s[0:1]
	v_cmp_lt_i32_e32 vcc, 30, v69
	s_waitcnt lgkmcnt(0)
	s_barrier
	s_and_saveexec_b64 s[0:1], vcc
	s_cbranch_execz .LBB116_522
; %bb.521:
	ds_read2_b32 v[72:73], v65 offset0:31 offset1:32
	ds_read2_b32 v[74:75], v65 offset0:33 offset1:34
	;; [unrolled: 1-line block ×4, first 2 shown]
	v_mul_f32_e32 v66, v68, v31
	s_waitcnt lgkmcnt(3)
	v_pk_fma_f32 v[22:23], v[66:67], v[72:73], v[22:23] op_sel_hi:[0,1,1] neg_lo:[1,0,0] neg_hi:[1,0,0]
	s_waitcnt lgkmcnt(2)
	v_pk_fma_f32 v[40:41], v[66:67], v[74:75], v[40:41] op_sel_hi:[0,1,1] neg_lo:[1,0,0] neg_hi:[1,0,0]
	;; [unrolled: 2-line block ×3, first 2 shown]
	ds_read2_b32 v[72:73], v65 offset0:39 offset1:40
	ds_read2_b32 v[74:75], v65 offset0:41 offset1:42
	;; [unrolled: 1-line block ×3, first 2 shown]
	s_waitcnt lgkmcnt(3)
	v_pk_fma_f32 v[24:25], v[66:67], v[78:79], v[24:25] op_sel_hi:[0,1,1] neg_lo:[1,0,0] neg_hi:[1,0,0]
	ds_read2_b32 v[78:79], v65 offset0:45 offset1:46
	s_waitcnt lgkmcnt(3)
	v_pk_fma_f32 v[16:17], v[66:67], v[72:73], v[16:17] op_sel_hi:[0,1,1] neg_lo:[1,0,0] neg_hi:[1,0,0]
	ds_read2_b32 v[72:73], v65 offset0:47 offset1:48
	s_waitcnt lgkmcnt(3)
	v_pk_fma_f32 v[34:35], v[66:67], v[74:75], v[34:35] op_sel_hi:[0,1,1] neg_lo:[1,0,0] neg_hi:[1,0,0]
	s_waitcnt lgkmcnt(2)
	v_pk_fma_f32 v[26:27], v[66:67], v[76:77], v[26:27] op_sel_hi:[0,1,1] neg_lo:[1,0,0] neg_hi:[1,0,0]
	;; [unrolled: 2-line block ×3, first 2 shown]
	ds_read2_b32 v[74:75], v65 offset0:49 offset1:50
	ds_read2_b32 v[76:77], v65 offset0:51 offset1:52
	;; [unrolled: 1-line block ×3, first 2 shown]
	s_waitcnt lgkmcnt(3)
	v_pk_fma_f32 v[8:9], v[66:67], v[72:73], v[8:9] op_sel_hi:[0,1,1] neg_lo:[1,0,0] neg_hi:[1,0,0]
	ds_read2_b32 v[72:73], v65 offset0:55 offset1:56
	ds_read2_b32 v[80:81], v65 offset0:57 offset1:58
	s_waitcnt lgkmcnt(4)
	v_pk_fma_f32 v[20:21], v[66:67], v[74:75], v[20:21] op_sel_hi:[0,1,1] neg_lo:[1,0,0] neg_hi:[1,0,0]
	s_waitcnt lgkmcnt(3)
	v_pk_fma_f32 v[12:13], v[66:67], v[76:77], v[12:13] op_sel_hi:[0,1,1] neg_lo:[1,0,0] neg_hi:[1,0,0]
	;; [unrolled: 2-line block ×5, first 2 shown]
	v_mov_b32_e32 v31, v66
.LBB116_522:
	s_or_b64 exec, exec, s[0:1]
	v_lshl_add_u32 v66, v69, 2, v65
	s_barrier
	ds_write_b32 v66, v22
	s_waitcnt lgkmcnt(0)
	s_barrier
	ds_read_b32 v68, v65 offset:124
	s_cmp_lt_i32 s22, 33
	v_mov_b32_e32 v66, 31
	s_cbranch_scc1 .LBB116_525
; %bb.523:
	v_add_u32_e32 v71, 0x80, v65
	v_mov_b32_e32 v66, 31
	s_mov_b32 s0, 32
.LBB116_524:                            ; =>This Inner Loop Header: Depth=1
	ds_read_b32 v72, v71
	v_mov_b32_e32 v73, s0
	s_add_i32 s0, s0, 1
	v_add_u32_e32 v71, 4, v71
	s_cmp_lg_u32 s22, s0
	s_waitcnt lgkmcnt(0)
	v_cmp_lt_f32_e64 vcc, |v68|, |v72|
	s_nop 1
	v_cndmask_b32_e32 v68, v68, v72, vcc
	v_cndmask_b32_e32 v66, v66, v73, vcc
	s_cbranch_scc1 .LBB116_524
.LBB116_525:
	s_waitcnt lgkmcnt(0)
	v_cmp_eq_f32_e32 vcc, 0, v68
	s_and_saveexec_b64 s[0:1], vcc
	s_xor_b64 s[0:1], exec, s[0:1]
; %bb.526:
	v_cmp_ne_u32_e32 vcc, 0, v70
	s_nop 1
	v_cndmask_b32_e32 v70, 32, v70, vcc
; %bb.527:
	s_andn2_saveexec_b64 s[0:1], s[0:1]
	s_cbranch_execz .LBB116_529
; %bb.528:
	v_div_scale_f32 v71, s[2:3], v68, v68, 1.0
	v_rcp_f32_e32 v72, v71
	v_div_scale_f32 v73, vcc, 1.0, v68, 1.0
	v_fma_f32 v74, -v71, v72, 1.0
	v_fmac_f32_e32 v72, v74, v72
	v_mul_f32_e32 v74, v73, v72
	v_fma_f32 v75, -v71, v74, v73
	v_fmac_f32_e32 v74, v75, v72
	v_fma_f32 v71, -v71, v74, v73
	v_div_fmas_f32 v71, v71, v72, v74
	v_div_fixup_f32 v68, v71, v68, 1.0
.LBB116_529:
	s_or_b64 exec, exec, s[0:1]
	v_cmp_ne_u32_e32 vcc, v69, v66
	s_and_saveexec_b64 s[0:1], vcc
	s_xor_b64 s[0:1], exec, s[0:1]
	s_cbranch_execz .LBB116_535
; %bb.530:
	v_cmp_eq_u32_e32 vcc, 31, v69
	s_and_saveexec_b64 s[2:3], vcc
	s_cbranch_execz .LBB116_534
; %bb.531:
	v_cmp_ne_u32_e32 vcc, 31, v66
	s_xor_b64 s[12:13], s[20:21], -1
	s_and_b64 s[14:15], s[12:13], vcc
	s_and_saveexec_b64 s[12:13], s[14:15]
	s_cbranch_execz .LBB116_533
; %bb.532:
	v_ashrrev_i32_e32 v67, 31, v66
	v_lshl_add_u64 v[72:73], v[66:67], 2, v[4:5]
	global_load_dword v67, v[72:73], off
	global_load_dword v69, v[4:5], off offset:124
	s_waitcnt vmcnt(1)
	global_store_dword v[4:5], v67, off offset:124
	s_waitcnt vmcnt(1)
	global_store_dword v[72:73], v69, off
.LBB116_533:
	s_or_b64 exec, exec, s[12:13]
	v_mov_b32_e32 v67, v66
	v_mov_b32_e32 v69, v66
.LBB116_534:
	s_or_b64 exec, exec, s[2:3]
.LBB116_535:
	s_andn2_saveexec_b64 s[0:1], s[0:1]
	s_cbranch_execz .LBB116_537
; %bb.536:
	v_pk_mov_b32 v[72:73], v[22:23], v[40:41] op_sel:[1,0]
	ds_write2_b32 v65, v72, v73 offset0:32 offset1:33
	v_pk_mov_b32 v[72:73], v[40:41], v[32:33] op_sel:[1,0]
	ds_write2_b32 v65, v72, v73 offset0:34 offset1:35
	;; [unrolled: 2-line block ×12, first 2 shown]
	v_pk_mov_b32 v[72:73], v[0:1], v[14:15] op_sel:[1,0]
	v_mov_b32_e32 v69, 31
	ds_write2_b32 v65, v72, v73 offset0:56 offset1:57
	ds_write_b32 v65, v15 offset:232
.LBB116_537:
	s_or_b64 exec, exec, s[0:1]
	v_cmp_lt_i32_e32 vcc, 31, v69
	s_waitcnt lgkmcnt(0)
	s_barrier
	s_and_saveexec_b64 s[0:1], vcc
	s_cbranch_execz .LBB116_539
; %bb.538:
	ds_read_b32 v66, v65 offset:128
	ds_read2_b32 v[72:73], v65 offset0:33 offset1:34
	ds_read2_b32 v[74:75], v65 offset0:35 offset1:36
	v_mul_f32_e32 v22, v68, v22
	ds_read2_b32 v[76:77], v65 offset0:37 offset1:38
	s_waitcnt lgkmcnt(3)
	v_fma_f32 v23, -v22, v66, v23
	s_waitcnt lgkmcnt(2)
	v_pk_fma_f32 v[40:41], v[22:23], v[72:73], v[40:41] op_sel_hi:[0,1,1] neg_lo:[1,0,0] neg_hi:[1,0,0]
	s_waitcnt lgkmcnt(1)
	v_pk_fma_f32 v[32:33], v[22:23], v[74:75], v[32:33] op_sel_hi:[0,1,1] neg_lo:[1,0,0] neg_hi:[1,0,0]
	ds_read2_b32 v[72:73], v65 offset0:39 offset1:40
	ds_read2_b32 v[74:75], v65 offset0:41 offset1:42
	;; [unrolled: 1-line block ×3, first 2 shown]
	s_waitcnt lgkmcnt(3)
	v_pk_fma_f32 v[24:25], v[22:23], v[76:77], v[24:25] op_sel_hi:[0,1,1] neg_lo:[1,0,0] neg_hi:[1,0,0]
	ds_read2_b32 v[76:77], v65 offset0:45 offset1:46
	s_waitcnt lgkmcnt(3)
	v_pk_fma_f32 v[16:17], v[22:23], v[72:73], v[16:17] op_sel_hi:[0,1,1] neg_lo:[1,0,0] neg_hi:[1,0,0]
	ds_read2_b32 v[72:73], v65 offset0:47 offset1:48
	s_waitcnt lgkmcnt(3)
	v_pk_fma_f32 v[34:35], v[22:23], v[74:75], v[34:35] op_sel_hi:[0,1,1] neg_lo:[1,0,0] neg_hi:[1,0,0]
	s_waitcnt lgkmcnt(2)
	v_pk_fma_f32 v[26:27], v[22:23], v[78:79], v[26:27] op_sel_hi:[0,1,1] neg_lo:[1,0,0] neg_hi:[1,0,0]
	;; [unrolled: 2-line block ×3, first 2 shown]
	ds_read2_b32 v[74:75], v65 offset0:49 offset1:50
	ds_read2_b32 v[76:77], v65 offset0:51 offset1:52
	;; [unrolled: 1-line block ×3, first 2 shown]
	s_waitcnt lgkmcnt(3)
	v_pk_fma_f32 v[8:9], v[22:23], v[72:73], v[8:9] op_sel_hi:[0,1,1] neg_lo:[1,0,0] neg_hi:[1,0,0]
	ds_read2_b32 v[72:73], v65 offset0:55 offset1:56
	ds_read2_b32 v[80:81], v65 offset0:57 offset1:58
	s_waitcnt lgkmcnt(4)
	v_pk_fma_f32 v[20:21], v[22:23], v[74:75], v[20:21] op_sel_hi:[0,1,1] neg_lo:[1,0,0] neg_hi:[1,0,0]
	s_waitcnt lgkmcnt(3)
	v_pk_fma_f32 v[12:13], v[22:23], v[76:77], v[12:13] op_sel_hi:[0,1,1] neg_lo:[1,0,0] neg_hi:[1,0,0]
	;; [unrolled: 2-line block ×5, first 2 shown]
.LBB116_539:
	s_or_b64 exec, exec, s[0:1]
	v_lshl_add_u32 v66, v69, 2, v65
	s_barrier
	ds_write_b32 v66, v23
	s_waitcnt lgkmcnt(0)
	s_barrier
	ds_read_b32 v68, v65 offset:128
	s_cmp_lt_i32 s22, 34
	v_mov_b32_e32 v66, 32
	s_cbranch_scc1 .LBB116_542
; %bb.540:
	v_add_u32_e32 v71, 0x84, v65
	v_mov_b32_e32 v66, 32
	s_mov_b32 s0, 33
.LBB116_541:                            ; =>This Inner Loop Header: Depth=1
	ds_read_b32 v72, v71
	v_mov_b32_e32 v73, s0
	s_add_i32 s0, s0, 1
	v_add_u32_e32 v71, 4, v71
	s_cmp_lg_u32 s22, s0
	s_waitcnt lgkmcnt(0)
	v_cmp_lt_f32_e64 vcc, |v68|, |v72|
	s_nop 1
	v_cndmask_b32_e32 v68, v68, v72, vcc
	v_cndmask_b32_e32 v66, v66, v73, vcc
	s_cbranch_scc1 .LBB116_541
.LBB116_542:
	s_waitcnt lgkmcnt(0)
	v_cmp_eq_f32_e32 vcc, 0, v68
	s_and_saveexec_b64 s[0:1], vcc
	s_xor_b64 s[0:1], exec, s[0:1]
; %bb.543:
	v_cmp_ne_u32_e32 vcc, 0, v70
	s_nop 1
	v_cndmask_b32_e32 v70, 33, v70, vcc
; %bb.544:
	s_andn2_saveexec_b64 s[0:1], s[0:1]
	s_cbranch_execz .LBB116_546
; %bb.545:
	v_div_scale_f32 v71, s[2:3], v68, v68, 1.0
	v_rcp_f32_e32 v72, v71
	v_div_scale_f32 v73, vcc, 1.0, v68, 1.0
	v_fma_f32 v74, -v71, v72, 1.0
	v_fmac_f32_e32 v72, v74, v72
	v_mul_f32_e32 v74, v73, v72
	v_fma_f32 v75, -v71, v74, v73
	v_fmac_f32_e32 v74, v75, v72
	v_fma_f32 v71, -v71, v74, v73
	v_div_fmas_f32 v71, v71, v72, v74
	v_div_fixup_f32 v68, v71, v68, 1.0
.LBB116_546:
	s_or_b64 exec, exec, s[0:1]
	v_cmp_ne_u32_e32 vcc, v69, v66
	s_and_saveexec_b64 s[0:1], vcc
	s_xor_b64 s[0:1], exec, s[0:1]
	s_cbranch_execz .LBB116_552
; %bb.547:
	v_cmp_eq_u32_e32 vcc, 32, v69
	s_and_saveexec_b64 s[2:3], vcc
	s_cbranch_execz .LBB116_551
; %bb.548:
	v_cmp_ne_u32_e32 vcc, 32, v66
	s_xor_b64 s[12:13], s[20:21], -1
	s_and_b64 s[14:15], s[12:13], vcc
	s_and_saveexec_b64 s[12:13], s[14:15]
	s_cbranch_execz .LBB116_550
; %bb.549:
	v_ashrrev_i32_e32 v67, 31, v66
	v_lshl_add_u64 v[72:73], v[66:67], 2, v[4:5]
	global_load_dword v67, v[72:73], off
	global_load_dword v69, v[4:5], off offset:128
	s_waitcnt vmcnt(1)
	global_store_dword v[4:5], v67, off offset:128
	s_waitcnt vmcnt(1)
	global_store_dword v[72:73], v69, off
.LBB116_550:
	s_or_b64 exec, exec, s[12:13]
	v_mov_b32_e32 v67, v66
	v_mov_b32_e32 v69, v66
.LBB116_551:
	s_or_b64 exec, exec, s[2:3]
.LBB116_552:
	s_andn2_saveexec_b64 s[0:1], s[0:1]
	s_cbranch_execz .LBB116_554
; %bb.553:
	v_mov_b32_e32 v69, 32
	ds_write2_b32 v65, v40, v41 offset0:33 offset1:34
	ds_write2_b32 v65, v32, v33 offset0:35 offset1:36
	;; [unrolled: 1-line block ×13, first 2 shown]
.LBB116_554:
	s_or_b64 exec, exec, s[0:1]
	v_cmp_lt_i32_e32 vcc, 32, v69
	s_waitcnt lgkmcnt(0)
	s_barrier
	s_and_saveexec_b64 s[0:1], vcc
	s_cbranch_execz .LBB116_556
; %bb.555:
	ds_read2_b32 v[72:73], v65 offset0:33 offset1:34
	ds_read2_b32 v[74:75], v65 offset0:35 offset1:36
	;; [unrolled: 1-line block ×3, first 2 shown]
	v_mul_f32_e32 v66, v68, v23
	ds_read2_b32 v[78:79], v65 offset0:39 offset1:40
	s_waitcnt lgkmcnt(3)
	v_pk_fma_f32 v[40:41], v[66:67], v[72:73], v[40:41] op_sel_hi:[0,1,1] neg_lo:[1,0,0] neg_hi:[1,0,0]
	s_waitcnt lgkmcnt(2)
	v_pk_fma_f32 v[32:33], v[66:67], v[74:75], v[32:33] op_sel_hi:[0,1,1] neg_lo:[1,0,0] neg_hi:[1,0,0]
	;; [unrolled: 2-line block ×3, first 2 shown]
	ds_read2_b32 v[72:73], v65 offset0:41 offset1:42
	ds_read2_b32 v[74:75], v65 offset0:43 offset1:44
	;; [unrolled: 1-line block ×4, first 2 shown]
	s_waitcnt lgkmcnt(4)
	v_pk_fma_f32 v[16:17], v[66:67], v[78:79], v[16:17] op_sel_hi:[0,1,1] neg_lo:[1,0,0] neg_hi:[1,0,0]
	s_waitcnt lgkmcnt(3)
	v_pk_fma_f32 v[34:35], v[66:67], v[72:73], v[34:35] op_sel_hi:[0,1,1] neg_lo:[1,0,0] neg_hi:[1,0,0]
	;; [unrolled: 2-line block ×5, first 2 shown]
	ds_read2_b32 v[72:73], v65 offset0:49 offset1:50
	ds_read2_b32 v[74:75], v65 offset0:51 offset1:52
	;; [unrolled: 1-line block ×5, first 2 shown]
	s_waitcnt lgkmcnt(4)
	v_pk_fma_f32 v[20:21], v[66:67], v[72:73], v[20:21] op_sel_hi:[0,1,1] neg_lo:[1,0,0] neg_hi:[1,0,0]
	s_waitcnt lgkmcnt(3)
	v_pk_fma_f32 v[12:13], v[66:67], v[74:75], v[12:13] op_sel_hi:[0,1,1] neg_lo:[1,0,0] neg_hi:[1,0,0]
	;; [unrolled: 2-line block ×5, first 2 shown]
	v_mov_b32_e32 v23, v66
.LBB116_556:
	s_or_b64 exec, exec, s[0:1]
	v_lshl_add_u32 v66, v69, 2, v65
	s_barrier
	ds_write_b32 v66, v40
	s_waitcnt lgkmcnt(0)
	s_barrier
	ds_read_b32 v68, v65 offset:132
	s_cmp_lt_i32 s22, 35
	v_mov_b32_e32 v66, 33
	s_cbranch_scc1 .LBB116_559
; %bb.557:
	v_add_u32_e32 v71, 0x88, v65
	v_mov_b32_e32 v66, 33
	s_mov_b32 s0, 34
.LBB116_558:                            ; =>This Inner Loop Header: Depth=1
	ds_read_b32 v72, v71
	v_mov_b32_e32 v73, s0
	s_add_i32 s0, s0, 1
	v_add_u32_e32 v71, 4, v71
	s_cmp_lg_u32 s22, s0
	s_waitcnt lgkmcnt(0)
	v_cmp_lt_f32_e64 vcc, |v68|, |v72|
	s_nop 1
	v_cndmask_b32_e32 v68, v68, v72, vcc
	v_cndmask_b32_e32 v66, v66, v73, vcc
	s_cbranch_scc1 .LBB116_558
.LBB116_559:
	s_waitcnt lgkmcnt(0)
	v_cmp_eq_f32_e32 vcc, 0, v68
	s_and_saveexec_b64 s[0:1], vcc
	s_xor_b64 s[0:1], exec, s[0:1]
; %bb.560:
	v_cmp_ne_u32_e32 vcc, 0, v70
	s_nop 1
	v_cndmask_b32_e32 v70, 34, v70, vcc
; %bb.561:
	s_andn2_saveexec_b64 s[0:1], s[0:1]
	s_cbranch_execz .LBB116_563
; %bb.562:
	v_div_scale_f32 v71, s[2:3], v68, v68, 1.0
	v_rcp_f32_e32 v72, v71
	v_div_scale_f32 v73, vcc, 1.0, v68, 1.0
	v_fma_f32 v74, -v71, v72, 1.0
	v_fmac_f32_e32 v72, v74, v72
	v_mul_f32_e32 v74, v73, v72
	v_fma_f32 v75, -v71, v74, v73
	v_fmac_f32_e32 v74, v75, v72
	v_fma_f32 v71, -v71, v74, v73
	v_div_fmas_f32 v71, v71, v72, v74
	v_div_fixup_f32 v68, v71, v68, 1.0
.LBB116_563:
	s_or_b64 exec, exec, s[0:1]
	v_cmp_ne_u32_e32 vcc, v69, v66
	s_and_saveexec_b64 s[0:1], vcc
	s_xor_b64 s[0:1], exec, s[0:1]
	s_cbranch_execz .LBB116_569
; %bb.564:
	v_cmp_eq_u32_e32 vcc, 33, v69
	s_and_saveexec_b64 s[2:3], vcc
	s_cbranch_execz .LBB116_568
; %bb.565:
	v_cmp_ne_u32_e32 vcc, 33, v66
	s_xor_b64 s[12:13], s[20:21], -1
	s_and_b64 s[14:15], s[12:13], vcc
	s_and_saveexec_b64 s[12:13], s[14:15]
	s_cbranch_execz .LBB116_567
; %bb.566:
	v_ashrrev_i32_e32 v67, 31, v66
	v_lshl_add_u64 v[72:73], v[66:67], 2, v[4:5]
	global_load_dword v67, v[72:73], off
	global_load_dword v69, v[4:5], off offset:132
	s_waitcnt vmcnt(1)
	global_store_dword v[4:5], v67, off offset:132
	s_waitcnt vmcnt(1)
	global_store_dword v[72:73], v69, off
.LBB116_567:
	s_or_b64 exec, exec, s[12:13]
	v_mov_b32_e32 v67, v66
	v_mov_b32_e32 v69, v66
.LBB116_568:
	s_or_b64 exec, exec, s[2:3]
.LBB116_569:
	s_andn2_saveexec_b64 s[0:1], s[0:1]
	s_cbranch_execz .LBB116_571
; %bb.570:
	v_pk_mov_b32 v[72:73], v[40:41], v[32:33] op_sel:[1,0]
	ds_write2_b32 v65, v72, v73 offset0:34 offset1:35
	v_pk_mov_b32 v[72:73], v[32:33], v[24:25] op_sel:[1,0]
	ds_write2_b32 v65, v72, v73 offset0:36 offset1:37
	;; [unrolled: 2-line block ×11, first 2 shown]
	v_pk_mov_b32 v[72:73], v[0:1], v[14:15] op_sel:[1,0]
	v_mov_b32_e32 v69, 33
	ds_write2_b32 v65, v72, v73 offset0:56 offset1:57
	ds_write_b32 v65, v15 offset:232
.LBB116_571:
	s_or_b64 exec, exec, s[0:1]
	v_cmp_lt_i32_e32 vcc, 33, v69
	s_waitcnt lgkmcnt(0)
	s_barrier
	s_and_saveexec_b64 s[0:1], vcc
	s_cbranch_execz .LBB116_573
; %bb.572:
	ds_read_b32 v66, v65 offset:136
	ds_read2_b32 v[72:73], v65 offset0:35 offset1:36
	ds_read2_b32 v[74:75], v65 offset0:37 offset1:38
	v_mul_f32_e32 v40, v68, v40
	ds_read2_b32 v[76:77], v65 offset0:39 offset1:40
	s_waitcnt lgkmcnt(3)
	v_fma_f32 v41, -v40, v66, v41
	s_waitcnt lgkmcnt(2)
	v_pk_fma_f32 v[32:33], v[40:41], v[72:73], v[32:33] op_sel_hi:[0,1,1] neg_lo:[1,0,0] neg_hi:[1,0,0]
	s_waitcnt lgkmcnt(1)
	v_pk_fma_f32 v[24:25], v[40:41], v[74:75], v[24:25] op_sel_hi:[0,1,1] neg_lo:[1,0,0] neg_hi:[1,0,0]
	ds_read2_b32 v[72:73], v65 offset0:41 offset1:42
	ds_read2_b32 v[74:75], v65 offset0:43 offset1:44
	;; [unrolled: 1-line block ×4, first 2 shown]
	s_waitcnt lgkmcnt(4)
	v_pk_fma_f32 v[16:17], v[40:41], v[76:77], v[16:17] op_sel_hi:[0,1,1] neg_lo:[1,0,0] neg_hi:[1,0,0]
	s_waitcnt lgkmcnt(3)
	v_pk_fma_f32 v[34:35], v[40:41], v[72:73], v[34:35] op_sel_hi:[0,1,1] neg_lo:[1,0,0] neg_hi:[1,0,0]
	;; [unrolled: 2-line block ×5, first 2 shown]
	ds_read2_b32 v[72:73], v65 offset0:49 offset1:50
	ds_read2_b32 v[74:75], v65 offset0:51 offset1:52
	;; [unrolled: 1-line block ×5, first 2 shown]
	s_waitcnt lgkmcnt(4)
	v_pk_fma_f32 v[20:21], v[40:41], v[72:73], v[20:21] op_sel_hi:[0,1,1] neg_lo:[1,0,0] neg_hi:[1,0,0]
	s_waitcnt lgkmcnt(3)
	v_pk_fma_f32 v[12:13], v[40:41], v[74:75], v[12:13] op_sel_hi:[0,1,1] neg_lo:[1,0,0] neg_hi:[1,0,0]
	;; [unrolled: 2-line block ×5, first 2 shown]
.LBB116_573:
	s_or_b64 exec, exec, s[0:1]
	v_lshl_add_u32 v66, v69, 2, v65
	s_barrier
	ds_write_b32 v66, v41
	s_waitcnt lgkmcnt(0)
	s_barrier
	ds_read_b32 v68, v65 offset:136
	s_cmp_lt_i32 s22, 36
	v_mov_b32_e32 v66, 34
	s_cbranch_scc1 .LBB116_576
; %bb.574:
	v_add_u32_e32 v71, 0x8c, v65
	v_mov_b32_e32 v66, 34
	s_mov_b32 s0, 35
.LBB116_575:                            ; =>This Inner Loop Header: Depth=1
	ds_read_b32 v72, v71
	v_mov_b32_e32 v73, s0
	s_add_i32 s0, s0, 1
	v_add_u32_e32 v71, 4, v71
	s_cmp_lg_u32 s22, s0
	s_waitcnt lgkmcnt(0)
	v_cmp_lt_f32_e64 vcc, |v68|, |v72|
	s_nop 1
	v_cndmask_b32_e32 v68, v68, v72, vcc
	v_cndmask_b32_e32 v66, v66, v73, vcc
	s_cbranch_scc1 .LBB116_575
.LBB116_576:
	s_waitcnt lgkmcnt(0)
	v_cmp_eq_f32_e32 vcc, 0, v68
	s_and_saveexec_b64 s[0:1], vcc
	s_xor_b64 s[0:1], exec, s[0:1]
; %bb.577:
	v_cmp_ne_u32_e32 vcc, 0, v70
	s_nop 1
	v_cndmask_b32_e32 v70, 35, v70, vcc
; %bb.578:
	s_andn2_saveexec_b64 s[0:1], s[0:1]
	s_cbranch_execz .LBB116_580
; %bb.579:
	v_div_scale_f32 v71, s[2:3], v68, v68, 1.0
	v_rcp_f32_e32 v72, v71
	v_div_scale_f32 v73, vcc, 1.0, v68, 1.0
	v_fma_f32 v74, -v71, v72, 1.0
	v_fmac_f32_e32 v72, v74, v72
	v_mul_f32_e32 v74, v73, v72
	v_fma_f32 v75, -v71, v74, v73
	v_fmac_f32_e32 v74, v75, v72
	v_fma_f32 v71, -v71, v74, v73
	v_div_fmas_f32 v71, v71, v72, v74
	v_div_fixup_f32 v68, v71, v68, 1.0
.LBB116_580:
	s_or_b64 exec, exec, s[0:1]
	v_cmp_ne_u32_e32 vcc, v69, v66
	s_and_saveexec_b64 s[0:1], vcc
	s_xor_b64 s[0:1], exec, s[0:1]
	s_cbranch_execz .LBB116_586
; %bb.581:
	v_cmp_eq_u32_e32 vcc, 34, v69
	s_and_saveexec_b64 s[2:3], vcc
	s_cbranch_execz .LBB116_585
; %bb.582:
	v_cmp_ne_u32_e32 vcc, 34, v66
	s_xor_b64 s[12:13], s[20:21], -1
	s_and_b64 s[14:15], s[12:13], vcc
	s_and_saveexec_b64 s[12:13], s[14:15]
	s_cbranch_execz .LBB116_584
; %bb.583:
	v_ashrrev_i32_e32 v67, 31, v66
	v_lshl_add_u64 v[72:73], v[66:67], 2, v[4:5]
	global_load_dword v67, v[72:73], off
	global_load_dword v69, v[4:5], off offset:136
	s_waitcnt vmcnt(1)
	global_store_dword v[4:5], v67, off offset:136
	s_waitcnt vmcnt(1)
	global_store_dword v[72:73], v69, off
.LBB116_584:
	s_or_b64 exec, exec, s[12:13]
	v_mov_b32_e32 v67, v66
	v_mov_b32_e32 v69, v66
.LBB116_585:
	s_or_b64 exec, exec, s[2:3]
.LBB116_586:
	s_andn2_saveexec_b64 s[0:1], s[0:1]
	s_cbranch_execz .LBB116_588
; %bb.587:
	v_mov_b32_e32 v69, 34
	ds_write2_b32 v65, v32, v33 offset0:35 offset1:36
	ds_write2_b32 v65, v24, v25 offset0:37 offset1:38
	;; [unrolled: 1-line block ×12, first 2 shown]
.LBB116_588:
	s_or_b64 exec, exec, s[0:1]
	v_cmp_lt_i32_e32 vcc, 34, v69
	s_waitcnt lgkmcnt(0)
	s_barrier
	s_and_saveexec_b64 s[0:1], vcc
	s_cbranch_execz .LBB116_590
; %bb.589:
	ds_read2_b32 v[72:73], v65 offset0:35 offset1:36
	ds_read2_b32 v[74:75], v65 offset0:37 offset1:38
	;; [unrolled: 1-line block ×3, first 2 shown]
	v_mul_f32_e32 v66, v68, v41
	ds_read2_b32 v[78:79], v65 offset0:41 offset1:42
	s_waitcnt lgkmcnt(3)
	v_pk_fma_f32 v[32:33], v[66:67], v[72:73], v[32:33] op_sel_hi:[0,1,1] neg_lo:[1,0,0] neg_hi:[1,0,0]
	s_waitcnt lgkmcnt(2)
	v_pk_fma_f32 v[24:25], v[66:67], v[74:75], v[24:25] op_sel_hi:[0,1,1] neg_lo:[1,0,0] neg_hi:[1,0,0]
	;; [unrolled: 2-line block ×3, first 2 shown]
	ds_read2_b32 v[72:73], v65 offset0:43 offset1:44
	ds_read2_b32 v[74:75], v65 offset0:45 offset1:46
	;; [unrolled: 1-line block ×3, first 2 shown]
	s_waitcnt lgkmcnt(3)
	v_pk_fma_f32 v[34:35], v[66:67], v[78:79], v[34:35] op_sel_hi:[0,1,1] neg_lo:[1,0,0] neg_hi:[1,0,0]
	ds_read2_b32 v[78:79], v65 offset0:49 offset1:50
	s_waitcnt lgkmcnt(3)
	v_pk_fma_f32 v[26:27], v[66:67], v[72:73], v[26:27] op_sel_hi:[0,1,1] neg_lo:[1,0,0] neg_hi:[1,0,0]
	s_waitcnt lgkmcnt(2)
	v_pk_fma_f32 v[18:19], v[66:67], v[74:75], v[18:19] op_sel_hi:[0,1,1] neg_lo:[1,0,0] neg_hi:[1,0,0]
	;; [unrolled: 2-line block ×3, first 2 shown]
	ds_read2_b32 v[72:73], v65 offset0:51 offset1:52
	ds_read2_b32 v[74:75], v65 offset0:53 offset1:54
	;; [unrolled: 1-line block ×4, first 2 shown]
	s_waitcnt lgkmcnt(4)
	v_pk_fma_f32 v[20:21], v[66:67], v[78:79], v[20:21] op_sel_hi:[0,1,1] neg_lo:[1,0,0] neg_hi:[1,0,0]
	s_waitcnt lgkmcnt(3)
	v_pk_fma_f32 v[12:13], v[66:67], v[72:73], v[12:13] op_sel_hi:[0,1,1] neg_lo:[1,0,0] neg_hi:[1,0,0]
	;; [unrolled: 2-line block ×5, first 2 shown]
	v_mov_b32_e32 v41, v66
.LBB116_590:
	s_or_b64 exec, exec, s[0:1]
	v_lshl_add_u32 v66, v69, 2, v65
	s_barrier
	ds_write_b32 v66, v32
	s_waitcnt lgkmcnt(0)
	s_barrier
	ds_read_b32 v68, v65 offset:140
	s_cmp_lt_i32 s22, 37
	v_mov_b32_e32 v66, 35
	s_cbranch_scc1 .LBB116_593
; %bb.591:
	v_add_u32_e32 v71, 0x90, v65
	v_mov_b32_e32 v66, 35
	s_mov_b32 s0, 36
.LBB116_592:                            ; =>This Inner Loop Header: Depth=1
	ds_read_b32 v72, v71
	v_mov_b32_e32 v73, s0
	s_add_i32 s0, s0, 1
	v_add_u32_e32 v71, 4, v71
	s_cmp_lg_u32 s22, s0
	s_waitcnt lgkmcnt(0)
	v_cmp_lt_f32_e64 vcc, |v68|, |v72|
	s_nop 1
	v_cndmask_b32_e32 v68, v68, v72, vcc
	v_cndmask_b32_e32 v66, v66, v73, vcc
	s_cbranch_scc1 .LBB116_592
.LBB116_593:
	s_waitcnt lgkmcnt(0)
	v_cmp_eq_f32_e32 vcc, 0, v68
	s_and_saveexec_b64 s[0:1], vcc
	s_xor_b64 s[0:1], exec, s[0:1]
; %bb.594:
	v_cmp_ne_u32_e32 vcc, 0, v70
	s_nop 1
	v_cndmask_b32_e32 v70, 36, v70, vcc
; %bb.595:
	s_andn2_saveexec_b64 s[0:1], s[0:1]
	s_cbranch_execz .LBB116_597
; %bb.596:
	v_div_scale_f32 v71, s[2:3], v68, v68, 1.0
	v_rcp_f32_e32 v72, v71
	v_div_scale_f32 v73, vcc, 1.0, v68, 1.0
	v_fma_f32 v74, -v71, v72, 1.0
	v_fmac_f32_e32 v72, v74, v72
	v_mul_f32_e32 v74, v73, v72
	v_fma_f32 v75, -v71, v74, v73
	v_fmac_f32_e32 v74, v75, v72
	v_fma_f32 v71, -v71, v74, v73
	v_div_fmas_f32 v71, v71, v72, v74
	v_div_fixup_f32 v68, v71, v68, 1.0
.LBB116_597:
	s_or_b64 exec, exec, s[0:1]
	v_cmp_ne_u32_e32 vcc, v69, v66
	s_and_saveexec_b64 s[0:1], vcc
	s_xor_b64 s[0:1], exec, s[0:1]
	s_cbranch_execz .LBB116_603
; %bb.598:
	v_cmp_eq_u32_e32 vcc, 35, v69
	s_and_saveexec_b64 s[2:3], vcc
	s_cbranch_execz .LBB116_602
; %bb.599:
	v_cmp_ne_u32_e32 vcc, 35, v66
	s_xor_b64 s[12:13], s[20:21], -1
	s_and_b64 s[14:15], s[12:13], vcc
	s_and_saveexec_b64 s[12:13], s[14:15]
	s_cbranch_execz .LBB116_601
; %bb.600:
	v_ashrrev_i32_e32 v67, 31, v66
	v_lshl_add_u64 v[72:73], v[66:67], 2, v[4:5]
	global_load_dword v67, v[72:73], off
	global_load_dword v69, v[4:5], off offset:140
	s_waitcnt vmcnt(1)
	global_store_dword v[4:5], v67, off offset:140
	s_waitcnt vmcnt(1)
	global_store_dword v[72:73], v69, off
.LBB116_601:
	s_or_b64 exec, exec, s[12:13]
	v_mov_b32_e32 v67, v66
	v_mov_b32_e32 v69, v66
.LBB116_602:
	s_or_b64 exec, exec, s[2:3]
.LBB116_603:
	s_andn2_saveexec_b64 s[0:1], s[0:1]
	s_cbranch_execz .LBB116_605
; %bb.604:
	v_pk_mov_b32 v[72:73], v[32:33], v[24:25] op_sel:[1,0]
	ds_write2_b32 v65, v72, v73 offset0:36 offset1:37
	v_pk_mov_b32 v[72:73], v[24:25], v[16:17] op_sel:[1,0]
	ds_write2_b32 v65, v72, v73 offset0:38 offset1:39
	;; [unrolled: 2-line block ×10, first 2 shown]
	v_pk_mov_b32 v[72:73], v[0:1], v[14:15] op_sel:[1,0]
	v_mov_b32_e32 v69, 35
	ds_write2_b32 v65, v72, v73 offset0:56 offset1:57
	ds_write_b32 v65, v15 offset:232
.LBB116_605:
	s_or_b64 exec, exec, s[0:1]
	v_cmp_lt_i32_e32 vcc, 35, v69
	s_waitcnt lgkmcnt(0)
	s_barrier
	s_and_saveexec_b64 s[0:1], vcc
	s_cbranch_execz .LBB116_607
; %bb.606:
	ds_read_b32 v66, v65 offset:144
	ds_read2_b32 v[72:73], v65 offset0:37 offset1:38
	ds_read2_b32 v[74:75], v65 offset0:39 offset1:40
	v_mul_f32_e32 v32, v68, v32
	ds_read2_b32 v[76:77], v65 offset0:41 offset1:42
	s_waitcnt lgkmcnt(3)
	v_fma_f32 v33, -v32, v66, v33
	s_waitcnt lgkmcnt(2)
	v_pk_fma_f32 v[24:25], v[32:33], v[72:73], v[24:25] op_sel_hi:[0,1,1] neg_lo:[1,0,0] neg_hi:[1,0,0]
	s_waitcnt lgkmcnt(1)
	v_pk_fma_f32 v[16:17], v[32:33], v[74:75], v[16:17] op_sel_hi:[0,1,1] neg_lo:[1,0,0] neg_hi:[1,0,0]
	ds_read2_b32 v[72:73], v65 offset0:43 offset1:44
	ds_read2_b32 v[74:75], v65 offset0:45 offset1:46
	;; [unrolled: 1-line block ×3, first 2 shown]
	s_waitcnt lgkmcnt(3)
	v_pk_fma_f32 v[34:35], v[32:33], v[76:77], v[34:35] op_sel_hi:[0,1,1] neg_lo:[1,0,0] neg_hi:[1,0,0]
	ds_read2_b32 v[76:77], v65 offset0:49 offset1:50
	s_waitcnt lgkmcnt(3)
	v_pk_fma_f32 v[26:27], v[32:33], v[72:73], v[26:27] op_sel_hi:[0,1,1] neg_lo:[1,0,0] neg_hi:[1,0,0]
	s_waitcnt lgkmcnt(2)
	v_pk_fma_f32 v[18:19], v[32:33], v[74:75], v[18:19] op_sel_hi:[0,1,1] neg_lo:[1,0,0] neg_hi:[1,0,0]
	s_waitcnt lgkmcnt(1)
	v_pk_fma_f32 v[8:9], v[32:33], v[78:79], v[8:9] op_sel_hi:[0,1,1] neg_lo:[1,0,0] neg_hi:[1,0,0]
	ds_read2_b32 v[72:73], v65 offset0:51 offset1:52
	ds_read2_b32 v[74:75], v65 offset0:53 offset1:54
	;; [unrolled: 1-line block ×4, first 2 shown]
	s_waitcnt lgkmcnt(4)
	v_pk_fma_f32 v[20:21], v[32:33], v[76:77], v[20:21] op_sel_hi:[0,1,1] neg_lo:[1,0,0] neg_hi:[1,0,0]
	s_waitcnt lgkmcnt(3)
	v_pk_fma_f32 v[12:13], v[32:33], v[72:73], v[12:13] op_sel_hi:[0,1,1] neg_lo:[1,0,0] neg_hi:[1,0,0]
	;; [unrolled: 2-line block ×5, first 2 shown]
.LBB116_607:
	s_or_b64 exec, exec, s[0:1]
	v_lshl_add_u32 v66, v69, 2, v65
	s_barrier
	ds_write_b32 v66, v33
	s_waitcnt lgkmcnt(0)
	s_barrier
	ds_read_b32 v68, v65 offset:144
	s_cmp_lt_i32 s22, 38
	v_mov_b32_e32 v66, 36
	s_cbranch_scc1 .LBB116_610
; %bb.608:
	v_add_u32_e32 v71, 0x94, v65
	v_mov_b32_e32 v66, 36
	s_mov_b32 s0, 37
.LBB116_609:                            ; =>This Inner Loop Header: Depth=1
	ds_read_b32 v72, v71
	v_mov_b32_e32 v73, s0
	s_add_i32 s0, s0, 1
	v_add_u32_e32 v71, 4, v71
	s_cmp_lg_u32 s22, s0
	s_waitcnt lgkmcnt(0)
	v_cmp_lt_f32_e64 vcc, |v68|, |v72|
	s_nop 1
	v_cndmask_b32_e32 v68, v68, v72, vcc
	v_cndmask_b32_e32 v66, v66, v73, vcc
	s_cbranch_scc1 .LBB116_609
.LBB116_610:
	s_waitcnt lgkmcnt(0)
	v_cmp_eq_f32_e32 vcc, 0, v68
	s_and_saveexec_b64 s[0:1], vcc
	s_xor_b64 s[0:1], exec, s[0:1]
; %bb.611:
	v_cmp_ne_u32_e32 vcc, 0, v70
	s_nop 1
	v_cndmask_b32_e32 v70, 37, v70, vcc
; %bb.612:
	s_andn2_saveexec_b64 s[0:1], s[0:1]
	s_cbranch_execz .LBB116_614
; %bb.613:
	v_div_scale_f32 v71, s[2:3], v68, v68, 1.0
	v_rcp_f32_e32 v72, v71
	v_div_scale_f32 v73, vcc, 1.0, v68, 1.0
	v_fma_f32 v74, -v71, v72, 1.0
	v_fmac_f32_e32 v72, v74, v72
	v_mul_f32_e32 v74, v73, v72
	v_fma_f32 v75, -v71, v74, v73
	v_fmac_f32_e32 v74, v75, v72
	v_fma_f32 v71, -v71, v74, v73
	v_div_fmas_f32 v71, v71, v72, v74
	v_div_fixup_f32 v68, v71, v68, 1.0
.LBB116_614:
	s_or_b64 exec, exec, s[0:1]
	v_cmp_ne_u32_e32 vcc, v69, v66
	s_and_saveexec_b64 s[0:1], vcc
	s_xor_b64 s[0:1], exec, s[0:1]
	s_cbranch_execz .LBB116_620
; %bb.615:
	v_cmp_eq_u32_e32 vcc, 36, v69
	s_and_saveexec_b64 s[2:3], vcc
	s_cbranch_execz .LBB116_619
; %bb.616:
	v_cmp_ne_u32_e32 vcc, 36, v66
	s_xor_b64 s[12:13], s[20:21], -1
	s_and_b64 s[14:15], s[12:13], vcc
	s_and_saveexec_b64 s[12:13], s[14:15]
	s_cbranch_execz .LBB116_618
; %bb.617:
	v_ashrrev_i32_e32 v67, 31, v66
	v_lshl_add_u64 v[72:73], v[66:67], 2, v[4:5]
	global_load_dword v67, v[72:73], off
	global_load_dword v69, v[4:5], off offset:144
	s_waitcnt vmcnt(1)
	global_store_dword v[4:5], v67, off offset:144
	s_waitcnt vmcnt(1)
	global_store_dword v[72:73], v69, off
.LBB116_618:
	s_or_b64 exec, exec, s[12:13]
	v_mov_b32_e32 v67, v66
	v_mov_b32_e32 v69, v66
.LBB116_619:
	s_or_b64 exec, exec, s[2:3]
.LBB116_620:
	s_andn2_saveexec_b64 s[0:1], s[0:1]
	s_cbranch_execz .LBB116_622
; %bb.621:
	v_mov_b32_e32 v69, 36
	ds_write2_b32 v65, v24, v25 offset0:37 offset1:38
	ds_write2_b32 v65, v16, v17 offset0:39 offset1:40
	;; [unrolled: 1-line block ×11, first 2 shown]
.LBB116_622:
	s_or_b64 exec, exec, s[0:1]
	v_cmp_lt_i32_e32 vcc, 36, v69
	s_waitcnt lgkmcnt(0)
	s_barrier
	s_and_saveexec_b64 s[0:1], vcc
	s_cbranch_execz .LBB116_624
; %bb.623:
	ds_read2_b32 v[72:73], v65 offset0:37 offset1:38
	ds_read2_b32 v[74:75], v65 offset0:39 offset1:40
	;; [unrolled: 1-line block ×3, first 2 shown]
	v_mul_f32_e32 v66, v68, v33
	ds_read2_b32 v[78:79], v65 offset0:43 offset1:44
	s_waitcnt lgkmcnt(3)
	v_pk_fma_f32 v[24:25], v[66:67], v[72:73], v[24:25] op_sel_hi:[0,1,1] neg_lo:[1,0,0] neg_hi:[1,0,0]
	s_waitcnt lgkmcnt(2)
	v_pk_fma_f32 v[16:17], v[66:67], v[74:75], v[16:17] op_sel_hi:[0,1,1] neg_lo:[1,0,0] neg_hi:[1,0,0]
	ds_read2_b32 v[72:73], v65 offset0:45 offset1:46
	ds_read2_b32 v[74:75], v65 offset0:47 offset1:48
	s_waitcnt lgkmcnt(3)
	v_pk_fma_f32 v[34:35], v[66:67], v[76:77], v[34:35] op_sel_hi:[0,1,1] neg_lo:[1,0,0] neg_hi:[1,0,0]
	s_waitcnt lgkmcnt(2)
	v_pk_fma_f32 v[26:27], v[66:67], v[78:79], v[26:27] op_sel_hi:[0,1,1] neg_lo:[1,0,0] neg_hi:[1,0,0]
	ds_read2_b32 v[76:77], v65 offset0:49 offset1:50
	;; [unrolled: 6-line block ×3, first 2 shown]
	ds_read2_b32 v[74:75], v65 offset0:55 offset1:56
	ds_read2_b32 v[80:81], v65 offset0:57 offset1:58
	s_waitcnt lgkmcnt(4)
	v_pk_fma_f32 v[20:21], v[66:67], v[76:77], v[20:21] op_sel_hi:[0,1,1] neg_lo:[1,0,0] neg_hi:[1,0,0]
	s_waitcnt lgkmcnt(3)
	v_pk_fma_f32 v[12:13], v[66:67], v[78:79], v[12:13] op_sel_hi:[0,1,1] neg_lo:[1,0,0] neg_hi:[1,0,0]
	;; [unrolled: 2-line block ×5, first 2 shown]
	v_mov_b32_e32 v33, v66
.LBB116_624:
	s_or_b64 exec, exec, s[0:1]
	v_lshl_add_u32 v66, v69, 2, v65
	s_barrier
	ds_write_b32 v66, v24
	s_waitcnt lgkmcnt(0)
	s_barrier
	ds_read_b32 v68, v65 offset:148
	s_cmp_lt_i32 s22, 39
	v_mov_b32_e32 v66, 37
	s_cbranch_scc1 .LBB116_627
; %bb.625:
	v_add_u32_e32 v71, 0x98, v65
	v_mov_b32_e32 v66, 37
	s_mov_b32 s0, 38
.LBB116_626:                            ; =>This Inner Loop Header: Depth=1
	ds_read_b32 v72, v71
	v_mov_b32_e32 v73, s0
	s_add_i32 s0, s0, 1
	v_add_u32_e32 v71, 4, v71
	s_cmp_lg_u32 s22, s0
	s_waitcnt lgkmcnt(0)
	v_cmp_lt_f32_e64 vcc, |v68|, |v72|
	s_nop 1
	v_cndmask_b32_e32 v68, v68, v72, vcc
	v_cndmask_b32_e32 v66, v66, v73, vcc
	s_cbranch_scc1 .LBB116_626
.LBB116_627:
	s_waitcnt lgkmcnt(0)
	v_cmp_eq_f32_e32 vcc, 0, v68
	s_and_saveexec_b64 s[0:1], vcc
	s_xor_b64 s[0:1], exec, s[0:1]
; %bb.628:
	v_cmp_ne_u32_e32 vcc, 0, v70
	s_nop 1
	v_cndmask_b32_e32 v70, 38, v70, vcc
; %bb.629:
	s_andn2_saveexec_b64 s[0:1], s[0:1]
	s_cbranch_execz .LBB116_631
; %bb.630:
	v_div_scale_f32 v71, s[2:3], v68, v68, 1.0
	v_rcp_f32_e32 v72, v71
	v_div_scale_f32 v73, vcc, 1.0, v68, 1.0
	v_fma_f32 v74, -v71, v72, 1.0
	v_fmac_f32_e32 v72, v74, v72
	v_mul_f32_e32 v74, v73, v72
	v_fma_f32 v75, -v71, v74, v73
	v_fmac_f32_e32 v74, v75, v72
	v_fma_f32 v71, -v71, v74, v73
	v_div_fmas_f32 v71, v71, v72, v74
	v_div_fixup_f32 v68, v71, v68, 1.0
.LBB116_631:
	s_or_b64 exec, exec, s[0:1]
	v_cmp_ne_u32_e32 vcc, v69, v66
	s_and_saveexec_b64 s[0:1], vcc
	s_xor_b64 s[0:1], exec, s[0:1]
	s_cbranch_execz .LBB116_637
; %bb.632:
	v_cmp_eq_u32_e32 vcc, 37, v69
	s_and_saveexec_b64 s[2:3], vcc
	s_cbranch_execz .LBB116_636
; %bb.633:
	v_cmp_ne_u32_e32 vcc, 37, v66
	s_xor_b64 s[12:13], s[20:21], -1
	s_and_b64 s[14:15], s[12:13], vcc
	s_and_saveexec_b64 s[12:13], s[14:15]
	s_cbranch_execz .LBB116_635
; %bb.634:
	v_ashrrev_i32_e32 v67, 31, v66
	v_lshl_add_u64 v[72:73], v[66:67], 2, v[4:5]
	global_load_dword v67, v[72:73], off
	global_load_dword v69, v[4:5], off offset:148
	s_waitcnt vmcnt(1)
	global_store_dword v[4:5], v67, off offset:148
	s_waitcnt vmcnt(1)
	global_store_dword v[72:73], v69, off
.LBB116_635:
	s_or_b64 exec, exec, s[12:13]
	v_mov_b32_e32 v67, v66
	v_mov_b32_e32 v69, v66
.LBB116_636:
	s_or_b64 exec, exec, s[2:3]
.LBB116_637:
	s_andn2_saveexec_b64 s[0:1], s[0:1]
	s_cbranch_execz .LBB116_639
; %bb.638:
	v_pk_mov_b32 v[72:73], v[24:25], v[16:17] op_sel:[1,0]
	ds_write2_b32 v65, v72, v73 offset0:38 offset1:39
	v_pk_mov_b32 v[72:73], v[16:17], v[34:35] op_sel:[1,0]
	ds_write2_b32 v65, v72, v73 offset0:40 offset1:41
	;; [unrolled: 2-line block ×9, first 2 shown]
	v_pk_mov_b32 v[72:73], v[0:1], v[14:15] op_sel:[1,0]
	v_mov_b32_e32 v69, 37
	ds_write2_b32 v65, v72, v73 offset0:56 offset1:57
	ds_write_b32 v65, v15 offset:232
.LBB116_639:
	s_or_b64 exec, exec, s[0:1]
	v_cmp_lt_i32_e32 vcc, 37, v69
	s_waitcnt lgkmcnt(0)
	s_barrier
	s_and_saveexec_b64 s[0:1], vcc
	s_cbranch_execz .LBB116_641
; %bb.640:
	ds_read_b32 v66, v65 offset:152
	ds_read2_b32 v[72:73], v65 offset0:39 offset1:40
	ds_read2_b32 v[74:75], v65 offset0:41 offset1:42
	v_mul_f32_e32 v24, v68, v24
	ds_read2_b32 v[76:77], v65 offset0:43 offset1:44
	s_waitcnt lgkmcnt(3)
	v_fma_f32 v25, -v24, v66, v25
	s_waitcnt lgkmcnt(2)
	v_pk_fma_f32 v[16:17], v[24:25], v[72:73], v[16:17] op_sel_hi:[0,1,1] neg_lo:[1,0,0] neg_hi:[1,0,0]
	s_waitcnt lgkmcnt(1)
	v_pk_fma_f32 v[34:35], v[24:25], v[74:75], v[34:35] op_sel_hi:[0,1,1] neg_lo:[1,0,0] neg_hi:[1,0,0]
	ds_read2_b32 v[72:73], v65 offset0:45 offset1:46
	ds_read2_b32 v[74:75], v65 offset0:47 offset1:48
	s_waitcnt lgkmcnt(2)
	v_pk_fma_f32 v[26:27], v[24:25], v[76:77], v[26:27] op_sel_hi:[0,1,1] neg_lo:[1,0,0] neg_hi:[1,0,0]
	ds_read2_b32 v[76:77], v65 offset0:49 offset1:50
	ds_read2_b32 v[78:79], v65 offset0:51 offset1:52
	s_waitcnt lgkmcnt(3)
	v_pk_fma_f32 v[18:19], v[24:25], v[72:73], v[18:19] op_sel_hi:[0,1,1] neg_lo:[1,0,0] neg_hi:[1,0,0]
	s_waitcnt lgkmcnt(2)
	v_pk_fma_f32 v[8:9], v[24:25], v[74:75], v[8:9] op_sel_hi:[0,1,1] neg_lo:[1,0,0] neg_hi:[1,0,0]
	ds_read2_b32 v[72:73], v65 offset0:53 offset1:54
	ds_read2_b32 v[74:75], v65 offset0:55 offset1:56
	;; [unrolled: 1-line block ×3, first 2 shown]
	s_waitcnt lgkmcnt(4)
	v_pk_fma_f32 v[20:21], v[24:25], v[76:77], v[20:21] op_sel_hi:[0,1,1] neg_lo:[1,0,0] neg_hi:[1,0,0]
	s_waitcnt lgkmcnt(3)
	v_pk_fma_f32 v[12:13], v[24:25], v[78:79], v[12:13] op_sel_hi:[0,1,1] neg_lo:[1,0,0] neg_hi:[1,0,0]
	;; [unrolled: 2-line block ×5, first 2 shown]
.LBB116_641:
	s_or_b64 exec, exec, s[0:1]
	v_lshl_add_u32 v66, v69, 2, v65
	s_barrier
	ds_write_b32 v66, v25
	s_waitcnt lgkmcnt(0)
	s_barrier
	ds_read_b32 v68, v65 offset:152
	s_cmp_lt_i32 s22, 40
	v_mov_b32_e32 v66, 38
	s_cbranch_scc1 .LBB116_644
; %bb.642:
	v_add_u32_e32 v71, 0x9c, v65
	v_mov_b32_e32 v66, 38
	s_mov_b32 s0, 39
.LBB116_643:                            ; =>This Inner Loop Header: Depth=1
	ds_read_b32 v72, v71
	v_mov_b32_e32 v73, s0
	s_add_i32 s0, s0, 1
	v_add_u32_e32 v71, 4, v71
	s_cmp_lg_u32 s22, s0
	s_waitcnt lgkmcnt(0)
	v_cmp_lt_f32_e64 vcc, |v68|, |v72|
	s_nop 1
	v_cndmask_b32_e32 v68, v68, v72, vcc
	v_cndmask_b32_e32 v66, v66, v73, vcc
	s_cbranch_scc1 .LBB116_643
.LBB116_644:
	s_waitcnt lgkmcnt(0)
	v_cmp_eq_f32_e32 vcc, 0, v68
	s_and_saveexec_b64 s[0:1], vcc
	s_xor_b64 s[0:1], exec, s[0:1]
; %bb.645:
	v_cmp_ne_u32_e32 vcc, 0, v70
	s_nop 1
	v_cndmask_b32_e32 v70, 39, v70, vcc
; %bb.646:
	s_andn2_saveexec_b64 s[0:1], s[0:1]
	s_cbranch_execz .LBB116_648
; %bb.647:
	v_div_scale_f32 v71, s[2:3], v68, v68, 1.0
	v_rcp_f32_e32 v72, v71
	v_div_scale_f32 v73, vcc, 1.0, v68, 1.0
	v_fma_f32 v74, -v71, v72, 1.0
	v_fmac_f32_e32 v72, v74, v72
	v_mul_f32_e32 v74, v73, v72
	v_fma_f32 v75, -v71, v74, v73
	v_fmac_f32_e32 v74, v75, v72
	v_fma_f32 v71, -v71, v74, v73
	v_div_fmas_f32 v71, v71, v72, v74
	v_div_fixup_f32 v68, v71, v68, 1.0
.LBB116_648:
	s_or_b64 exec, exec, s[0:1]
	v_cmp_ne_u32_e32 vcc, v69, v66
	s_and_saveexec_b64 s[0:1], vcc
	s_xor_b64 s[0:1], exec, s[0:1]
	s_cbranch_execz .LBB116_654
; %bb.649:
	v_cmp_eq_u32_e32 vcc, 38, v69
	s_and_saveexec_b64 s[2:3], vcc
	s_cbranch_execz .LBB116_653
; %bb.650:
	v_cmp_ne_u32_e32 vcc, 38, v66
	s_xor_b64 s[12:13], s[20:21], -1
	s_and_b64 s[14:15], s[12:13], vcc
	s_and_saveexec_b64 s[12:13], s[14:15]
	s_cbranch_execz .LBB116_652
; %bb.651:
	v_ashrrev_i32_e32 v67, 31, v66
	v_lshl_add_u64 v[72:73], v[66:67], 2, v[4:5]
	global_load_dword v67, v[72:73], off
	global_load_dword v69, v[4:5], off offset:152
	s_waitcnt vmcnt(1)
	global_store_dword v[4:5], v67, off offset:152
	s_waitcnt vmcnt(1)
	global_store_dword v[72:73], v69, off
.LBB116_652:
	s_or_b64 exec, exec, s[12:13]
	v_mov_b32_e32 v67, v66
	v_mov_b32_e32 v69, v66
.LBB116_653:
	s_or_b64 exec, exec, s[2:3]
.LBB116_654:
	s_andn2_saveexec_b64 s[0:1], s[0:1]
	s_cbranch_execz .LBB116_656
; %bb.655:
	v_mov_b32_e32 v69, 38
	ds_write2_b32 v65, v16, v17 offset0:39 offset1:40
	ds_write2_b32 v65, v34, v35 offset0:41 offset1:42
	;; [unrolled: 1-line block ×10, first 2 shown]
.LBB116_656:
	s_or_b64 exec, exec, s[0:1]
	v_cmp_lt_i32_e32 vcc, 38, v69
	s_waitcnt lgkmcnt(0)
	s_barrier
	s_and_saveexec_b64 s[0:1], vcc
	s_cbranch_execz .LBB116_658
; %bb.657:
	ds_read2_b32 v[72:73], v65 offset0:39 offset1:40
	ds_read2_b32 v[74:75], v65 offset0:41 offset1:42
	;; [unrolled: 1-line block ×3, first 2 shown]
	v_mul_f32_e32 v66, v68, v25
	ds_read2_b32 v[78:79], v65 offset0:45 offset1:46
	s_waitcnt lgkmcnt(3)
	v_pk_fma_f32 v[16:17], v[66:67], v[72:73], v[16:17] op_sel_hi:[0,1,1] neg_lo:[1,0,0] neg_hi:[1,0,0]
	ds_read2_b32 v[72:73], v65 offset0:47 offset1:48
	s_waitcnt lgkmcnt(3)
	v_pk_fma_f32 v[34:35], v[66:67], v[74:75], v[34:35] op_sel_hi:[0,1,1] neg_lo:[1,0,0] neg_hi:[1,0,0]
	s_waitcnt lgkmcnt(2)
	v_pk_fma_f32 v[26:27], v[66:67], v[76:77], v[26:27] op_sel_hi:[0,1,1] neg_lo:[1,0,0] neg_hi:[1,0,0]
	;; [unrolled: 2-line block ×3, first 2 shown]
	ds_read2_b32 v[74:75], v65 offset0:49 offset1:50
	ds_read2_b32 v[76:77], v65 offset0:51 offset1:52
	;; [unrolled: 1-line block ×3, first 2 shown]
	s_waitcnt lgkmcnt(3)
	v_pk_fma_f32 v[8:9], v[66:67], v[72:73], v[8:9] op_sel_hi:[0,1,1] neg_lo:[1,0,0] neg_hi:[1,0,0]
	ds_read2_b32 v[72:73], v65 offset0:55 offset1:56
	ds_read2_b32 v[80:81], v65 offset0:57 offset1:58
	s_waitcnt lgkmcnt(4)
	v_pk_fma_f32 v[20:21], v[66:67], v[74:75], v[20:21] op_sel_hi:[0,1,1] neg_lo:[1,0,0] neg_hi:[1,0,0]
	s_waitcnt lgkmcnt(3)
	v_pk_fma_f32 v[12:13], v[66:67], v[76:77], v[12:13] op_sel_hi:[0,1,1] neg_lo:[1,0,0] neg_hi:[1,0,0]
	;; [unrolled: 2-line block ×5, first 2 shown]
	v_mov_b32_e32 v25, v66
.LBB116_658:
	s_or_b64 exec, exec, s[0:1]
	v_lshl_add_u32 v66, v69, 2, v65
	s_barrier
	ds_write_b32 v66, v16
	s_waitcnt lgkmcnt(0)
	s_barrier
	ds_read_b32 v68, v65 offset:156
	s_cmp_lt_i32 s22, 41
	v_mov_b32_e32 v66, 39
	s_cbranch_scc1 .LBB116_661
; %bb.659:
	v_add_u32_e32 v71, 0xa0, v65
	v_mov_b32_e32 v66, 39
	s_mov_b32 s0, 40
.LBB116_660:                            ; =>This Inner Loop Header: Depth=1
	ds_read_b32 v72, v71
	v_mov_b32_e32 v73, s0
	s_add_i32 s0, s0, 1
	v_add_u32_e32 v71, 4, v71
	s_cmp_lg_u32 s22, s0
	s_waitcnt lgkmcnt(0)
	v_cmp_lt_f32_e64 vcc, |v68|, |v72|
	s_nop 1
	v_cndmask_b32_e32 v68, v68, v72, vcc
	v_cndmask_b32_e32 v66, v66, v73, vcc
	s_cbranch_scc1 .LBB116_660
.LBB116_661:
	s_waitcnt lgkmcnt(0)
	v_cmp_eq_f32_e32 vcc, 0, v68
	s_and_saveexec_b64 s[0:1], vcc
	s_xor_b64 s[0:1], exec, s[0:1]
; %bb.662:
	v_cmp_ne_u32_e32 vcc, 0, v70
	s_nop 1
	v_cndmask_b32_e32 v70, 40, v70, vcc
; %bb.663:
	s_andn2_saveexec_b64 s[0:1], s[0:1]
	s_cbranch_execz .LBB116_665
; %bb.664:
	v_div_scale_f32 v71, s[2:3], v68, v68, 1.0
	v_rcp_f32_e32 v72, v71
	v_div_scale_f32 v73, vcc, 1.0, v68, 1.0
	v_fma_f32 v74, -v71, v72, 1.0
	v_fmac_f32_e32 v72, v74, v72
	v_mul_f32_e32 v74, v73, v72
	v_fma_f32 v75, -v71, v74, v73
	v_fmac_f32_e32 v74, v75, v72
	v_fma_f32 v71, -v71, v74, v73
	v_div_fmas_f32 v71, v71, v72, v74
	v_div_fixup_f32 v68, v71, v68, 1.0
.LBB116_665:
	s_or_b64 exec, exec, s[0:1]
	v_cmp_ne_u32_e32 vcc, v69, v66
	s_and_saveexec_b64 s[0:1], vcc
	s_xor_b64 s[0:1], exec, s[0:1]
	s_cbranch_execz .LBB116_671
; %bb.666:
	v_cmp_eq_u32_e32 vcc, 39, v69
	s_and_saveexec_b64 s[2:3], vcc
	s_cbranch_execz .LBB116_670
; %bb.667:
	v_cmp_ne_u32_e32 vcc, 39, v66
	s_xor_b64 s[12:13], s[20:21], -1
	s_and_b64 s[14:15], s[12:13], vcc
	s_and_saveexec_b64 s[12:13], s[14:15]
	s_cbranch_execz .LBB116_669
; %bb.668:
	v_ashrrev_i32_e32 v67, 31, v66
	v_lshl_add_u64 v[72:73], v[66:67], 2, v[4:5]
	global_load_dword v67, v[72:73], off
	global_load_dword v69, v[4:5], off offset:156
	s_waitcnt vmcnt(1)
	global_store_dword v[4:5], v67, off offset:156
	s_waitcnt vmcnt(1)
	global_store_dword v[72:73], v69, off
.LBB116_669:
	s_or_b64 exec, exec, s[12:13]
	v_mov_b32_e32 v67, v66
	v_mov_b32_e32 v69, v66
.LBB116_670:
	s_or_b64 exec, exec, s[2:3]
.LBB116_671:
	s_andn2_saveexec_b64 s[0:1], s[0:1]
	s_cbranch_execz .LBB116_673
; %bb.672:
	v_pk_mov_b32 v[72:73], v[16:17], v[34:35] op_sel:[1,0]
	ds_write2_b32 v65, v72, v73 offset0:40 offset1:41
	v_pk_mov_b32 v[72:73], v[34:35], v[26:27] op_sel:[1,0]
	ds_write2_b32 v65, v72, v73 offset0:42 offset1:43
	;; [unrolled: 2-line block ×8, first 2 shown]
	v_pk_mov_b32 v[72:73], v[0:1], v[14:15] op_sel:[1,0]
	v_mov_b32_e32 v69, 39
	ds_write2_b32 v65, v72, v73 offset0:56 offset1:57
	ds_write_b32 v65, v15 offset:232
.LBB116_673:
	s_or_b64 exec, exec, s[0:1]
	v_cmp_lt_i32_e32 vcc, 39, v69
	s_waitcnt lgkmcnt(0)
	s_barrier
	s_and_saveexec_b64 s[0:1], vcc
	s_cbranch_execz .LBB116_675
; %bb.674:
	ds_read_b32 v66, v65 offset:160
	ds_read2_b32 v[72:73], v65 offset0:41 offset1:42
	ds_read2_b32 v[74:75], v65 offset0:43 offset1:44
	v_mul_f32_e32 v16, v68, v16
	ds_read2_b32 v[76:77], v65 offset0:45 offset1:46
	s_waitcnt lgkmcnt(3)
	v_fma_f32 v17, -v16, v66, v17
	s_waitcnt lgkmcnt(2)
	v_pk_fma_f32 v[34:35], v[16:17], v[72:73], v[34:35] op_sel_hi:[0,1,1] neg_lo:[1,0,0] neg_hi:[1,0,0]
	ds_read2_b32 v[72:73], v65 offset0:47 offset1:48
	s_waitcnt lgkmcnt(2)
	v_pk_fma_f32 v[26:27], v[16:17], v[74:75], v[26:27] op_sel_hi:[0,1,1] neg_lo:[1,0,0] neg_hi:[1,0,0]
	s_waitcnt lgkmcnt(1)
	v_pk_fma_f32 v[18:19], v[16:17], v[76:77], v[18:19] op_sel_hi:[0,1,1] neg_lo:[1,0,0] neg_hi:[1,0,0]
	ds_read2_b32 v[74:75], v65 offset0:49 offset1:50
	ds_read2_b32 v[76:77], v65 offset0:51 offset1:52
	;; [unrolled: 1-line block ×3, first 2 shown]
	s_waitcnt lgkmcnt(3)
	v_pk_fma_f32 v[8:9], v[16:17], v[72:73], v[8:9] op_sel_hi:[0,1,1] neg_lo:[1,0,0] neg_hi:[1,0,0]
	ds_read2_b32 v[72:73], v65 offset0:55 offset1:56
	ds_read2_b32 v[80:81], v65 offset0:57 offset1:58
	s_waitcnt lgkmcnt(4)
	v_pk_fma_f32 v[20:21], v[16:17], v[74:75], v[20:21] op_sel_hi:[0,1,1] neg_lo:[1,0,0] neg_hi:[1,0,0]
	s_waitcnt lgkmcnt(3)
	v_pk_fma_f32 v[12:13], v[16:17], v[76:77], v[12:13] op_sel_hi:[0,1,1] neg_lo:[1,0,0] neg_hi:[1,0,0]
	s_waitcnt lgkmcnt(2)
	v_pk_fma_f32 v[10:11], v[16:17], v[78:79], v[10:11] op_sel_hi:[0,1,1] neg_lo:[1,0,0] neg_hi:[1,0,0]
	s_waitcnt lgkmcnt(1)
	v_pk_fma_f32 v[0:1], v[16:17], v[72:73], v[0:1] op_sel_hi:[0,1,1] neg_lo:[1,0,0] neg_hi:[1,0,0]
	s_waitcnt lgkmcnt(0)
	v_pk_fma_f32 v[14:15], v[16:17], v[80:81], v[14:15] op_sel_hi:[0,1,1] neg_lo:[1,0,0] neg_hi:[1,0,0]
.LBB116_675:
	s_or_b64 exec, exec, s[0:1]
	v_lshl_add_u32 v66, v69, 2, v65
	s_barrier
	ds_write_b32 v66, v17
	s_waitcnt lgkmcnt(0)
	s_barrier
	ds_read_b32 v68, v65 offset:160
	s_cmp_lt_i32 s22, 42
	v_mov_b32_e32 v66, 40
	s_cbranch_scc1 .LBB116_678
; %bb.676:
	v_add_u32_e32 v71, 0xa4, v65
	v_mov_b32_e32 v66, 40
	s_mov_b32 s0, 41
.LBB116_677:                            ; =>This Inner Loop Header: Depth=1
	ds_read_b32 v72, v71
	v_mov_b32_e32 v73, s0
	s_add_i32 s0, s0, 1
	v_add_u32_e32 v71, 4, v71
	s_cmp_lg_u32 s22, s0
	s_waitcnt lgkmcnt(0)
	v_cmp_lt_f32_e64 vcc, |v68|, |v72|
	s_nop 1
	v_cndmask_b32_e32 v68, v68, v72, vcc
	v_cndmask_b32_e32 v66, v66, v73, vcc
	s_cbranch_scc1 .LBB116_677
.LBB116_678:
	s_waitcnt lgkmcnt(0)
	v_cmp_eq_f32_e32 vcc, 0, v68
	s_and_saveexec_b64 s[0:1], vcc
	s_xor_b64 s[0:1], exec, s[0:1]
; %bb.679:
	v_cmp_ne_u32_e32 vcc, 0, v70
	s_nop 1
	v_cndmask_b32_e32 v70, 41, v70, vcc
; %bb.680:
	s_andn2_saveexec_b64 s[0:1], s[0:1]
	s_cbranch_execz .LBB116_682
; %bb.681:
	v_div_scale_f32 v71, s[2:3], v68, v68, 1.0
	v_rcp_f32_e32 v72, v71
	v_div_scale_f32 v73, vcc, 1.0, v68, 1.0
	v_fma_f32 v74, -v71, v72, 1.0
	v_fmac_f32_e32 v72, v74, v72
	v_mul_f32_e32 v74, v73, v72
	v_fma_f32 v75, -v71, v74, v73
	v_fmac_f32_e32 v74, v75, v72
	v_fma_f32 v71, -v71, v74, v73
	v_div_fmas_f32 v71, v71, v72, v74
	v_div_fixup_f32 v68, v71, v68, 1.0
.LBB116_682:
	s_or_b64 exec, exec, s[0:1]
	v_cmp_ne_u32_e32 vcc, v69, v66
	s_and_saveexec_b64 s[0:1], vcc
	s_xor_b64 s[0:1], exec, s[0:1]
	s_cbranch_execz .LBB116_688
; %bb.683:
	v_cmp_eq_u32_e32 vcc, 40, v69
	s_and_saveexec_b64 s[2:3], vcc
	s_cbranch_execz .LBB116_687
; %bb.684:
	v_cmp_ne_u32_e32 vcc, 40, v66
	s_xor_b64 s[12:13], s[20:21], -1
	s_and_b64 s[14:15], s[12:13], vcc
	s_and_saveexec_b64 s[12:13], s[14:15]
	s_cbranch_execz .LBB116_686
; %bb.685:
	v_ashrrev_i32_e32 v67, 31, v66
	v_lshl_add_u64 v[72:73], v[66:67], 2, v[4:5]
	global_load_dword v67, v[72:73], off
	global_load_dword v69, v[4:5], off offset:160
	s_waitcnt vmcnt(1)
	global_store_dword v[4:5], v67, off offset:160
	s_waitcnt vmcnt(1)
	global_store_dword v[72:73], v69, off
.LBB116_686:
	s_or_b64 exec, exec, s[12:13]
	v_mov_b32_e32 v67, v66
	v_mov_b32_e32 v69, v66
.LBB116_687:
	s_or_b64 exec, exec, s[2:3]
.LBB116_688:
	s_andn2_saveexec_b64 s[0:1], s[0:1]
	s_cbranch_execz .LBB116_690
; %bb.689:
	v_mov_b32_e32 v69, 40
	ds_write2_b32 v65, v34, v35 offset0:41 offset1:42
	ds_write2_b32 v65, v26, v27 offset0:43 offset1:44
	;; [unrolled: 1-line block ×9, first 2 shown]
.LBB116_690:
	s_or_b64 exec, exec, s[0:1]
	v_cmp_lt_i32_e32 vcc, 40, v69
	s_waitcnt lgkmcnt(0)
	s_barrier
	s_and_saveexec_b64 s[0:1], vcc
	s_cbranch_execz .LBB116_692
; %bb.691:
	ds_read2_b32 v[72:73], v65 offset0:41 offset1:42
	ds_read2_b32 v[74:75], v65 offset0:43 offset1:44
	;; [unrolled: 1-line block ×4, first 2 shown]
	v_mul_f32_e32 v66, v68, v17
	s_waitcnt lgkmcnt(3)
	v_pk_fma_f32 v[34:35], v[66:67], v[72:73], v[34:35] op_sel_hi:[0,1,1] neg_lo:[1,0,0] neg_hi:[1,0,0]
	s_waitcnt lgkmcnt(2)
	v_pk_fma_f32 v[26:27], v[66:67], v[74:75], v[26:27] op_sel_hi:[0,1,1] neg_lo:[1,0,0] neg_hi:[1,0,0]
	;; [unrolled: 2-line block ×4, first 2 shown]
	ds_read2_b32 v[72:73], v65 offset0:49 offset1:50
	ds_read2_b32 v[74:75], v65 offset0:51 offset1:52
	;; [unrolled: 1-line block ×5, first 2 shown]
	s_waitcnt lgkmcnt(4)
	v_pk_fma_f32 v[20:21], v[66:67], v[72:73], v[20:21] op_sel_hi:[0,1,1] neg_lo:[1,0,0] neg_hi:[1,0,0]
	s_waitcnt lgkmcnt(3)
	v_pk_fma_f32 v[12:13], v[66:67], v[74:75], v[12:13] op_sel_hi:[0,1,1] neg_lo:[1,0,0] neg_hi:[1,0,0]
	;; [unrolled: 2-line block ×5, first 2 shown]
	v_mov_b32_e32 v17, v66
.LBB116_692:
	s_or_b64 exec, exec, s[0:1]
	v_lshl_add_u32 v66, v69, 2, v65
	s_barrier
	ds_write_b32 v66, v34
	s_waitcnt lgkmcnt(0)
	s_barrier
	ds_read_b32 v68, v65 offset:164
	s_cmp_lt_i32 s22, 43
	v_mov_b32_e32 v66, 41
	s_cbranch_scc1 .LBB116_695
; %bb.693:
	v_add_u32_e32 v71, 0xa8, v65
	v_mov_b32_e32 v66, 41
	s_mov_b32 s0, 42
.LBB116_694:                            ; =>This Inner Loop Header: Depth=1
	ds_read_b32 v72, v71
	v_mov_b32_e32 v73, s0
	s_add_i32 s0, s0, 1
	v_add_u32_e32 v71, 4, v71
	s_cmp_lg_u32 s22, s0
	s_waitcnt lgkmcnt(0)
	v_cmp_lt_f32_e64 vcc, |v68|, |v72|
	s_nop 1
	v_cndmask_b32_e32 v68, v68, v72, vcc
	v_cndmask_b32_e32 v66, v66, v73, vcc
	s_cbranch_scc1 .LBB116_694
.LBB116_695:
	s_waitcnt lgkmcnt(0)
	v_cmp_eq_f32_e32 vcc, 0, v68
	s_and_saveexec_b64 s[0:1], vcc
	s_xor_b64 s[0:1], exec, s[0:1]
; %bb.696:
	v_cmp_ne_u32_e32 vcc, 0, v70
	s_nop 1
	v_cndmask_b32_e32 v70, 42, v70, vcc
; %bb.697:
	s_andn2_saveexec_b64 s[0:1], s[0:1]
	s_cbranch_execz .LBB116_699
; %bb.698:
	v_div_scale_f32 v71, s[2:3], v68, v68, 1.0
	v_rcp_f32_e32 v72, v71
	v_div_scale_f32 v73, vcc, 1.0, v68, 1.0
	v_fma_f32 v74, -v71, v72, 1.0
	v_fmac_f32_e32 v72, v74, v72
	v_mul_f32_e32 v74, v73, v72
	v_fma_f32 v75, -v71, v74, v73
	v_fmac_f32_e32 v74, v75, v72
	v_fma_f32 v71, -v71, v74, v73
	v_div_fmas_f32 v71, v71, v72, v74
	v_div_fixup_f32 v68, v71, v68, 1.0
.LBB116_699:
	s_or_b64 exec, exec, s[0:1]
	v_cmp_ne_u32_e32 vcc, v69, v66
	s_and_saveexec_b64 s[0:1], vcc
	s_xor_b64 s[0:1], exec, s[0:1]
	s_cbranch_execz .LBB116_705
; %bb.700:
	v_cmp_eq_u32_e32 vcc, 41, v69
	s_and_saveexec_b64 s[2:3], vcc
	s_cbranch_execz .LBB116_704
; %bb.701:
	v_cmp_ne_u32_e32 vcc, 41, v66
	s_xor_b64 s[12:13], s[20:21], -1
	s_and_b64 s[14:15], s[12:13], vcc
	s_and_saveexec_b64 s[12:13], s[14:15]
	s_cbranch_execz .LBB116_703
; %bb.702:
	v_ashrrev_i32_e32 v67, 31, v66
	v_lshl_add_u64 v[72:73], v[66:67], 2, v[4:5]
	global_load_dword v67, v[72:73], off
	global_load_dword v69, v[4:5], off offset:164
	s_waitcnt vmcnt(1)
	global_store_dword v[4:5], v67, off offset:164
	s_waitcnt vmcnt(1)
	global_store_dword v[72:73], v69, off
.LBB116_703:
	s_or_b64 exec, exec, s[12:13]
	v_mov_b32_e32 v67, v66
	v_mov_b32_e32 v69, v66
.LBB116_704:
	s_or_b64 exec, exec, s[2:3]
.LBB116_705:
	s_andn2_saveexec_b64 s[0:1], s[0:1]
	s_cbranch_execz .LBB116_707
; %bb.706:
	v_pk_mov_b32 v[72:73], v[34:35], v[26:27] op_sel:[1,0]
	ds_write2_b32 v65, v72, v73 offset0:42 offset1:43
	v_pk_mov_b32 v[72:73], v[26:27], v[18:19] op_sel:[1,0]
	ds_write2_b32 v65, v72, v73 offset0:44 offset1:45
	v_pk_mov_b32 v[72:73], v[18:19], v[8:9] op_sel:[1,0]
	ds_write2_b32 v65, v72, v73 offset0:46 offset1:47
	v_pk_mov_b32 v[72:73], v[8:9], v[20:21] op_sel:[1,0]
	ds_write2_b32 v65, v72, v73 offset0:48 offset1:49
	v_pk_mov_b32 v[72:73], v[20:21], v[12:13] op_sel:[1,0]
	ds_write2_b32 v65, v72, v73 offset0:50 offset1:51
	v_pk_mov_b32 v[72:73], v[12:13], v[10:11] op_sel:[1,0]
	ds_write2_b32 v65, v72, v73 offset0:52 offset1:53
	v_pk_mov_b32 v[72:73], v[10:11], v[0:1] op_sel:[1,0]
	ds_write2_b32 v65, v72, v73 offset0:54 offset1:55
	v_pk_mov_b32 v[72:73], v[0:1], v[14:15] op_sel:[1,0]
	v_mov_b32_e32 v69, 41
	ds_write2_b32 v65, v72, v73 offset0:56 offset1:57
	ds_write_b32 v65, v15 offset:232
.LBB116_707:
	s_or_b64 exec, exec, s[0:1]
	v_cmp_lt_i32_e32 vcc, 41, v69
	s_waitcnt lgkmcnt(0)
	s_barrier
	s_and_saveexec_b64 s[0:1], vcc
	s_cbranch_execz .LBB116_709
; %bb.708:
	ds_read_b32 v66, v65 offset:168
	ds_read2_b32 v[72:73], v65 offset0:43 offset1:44
	ds_read2_b32 v[74:75], v65 offset0:45 offset1:46
	ds_read2_b32 v[76:77], v65 offset0:47 offset1:48
	v_mul_f32_e32 v34, v68, v34
	s_waitcnt lgkmcnt(3)
	v_fma_f32 v35, -v34, v66, v35
	s_waitcnt lgkmcnt(2)
	v_pk_fma_f32 v[26:27], v[34:35], v[72:73], v[26:27] op_sel_hi:[0,1,1] neg_lo:[1,0,0] neg_hi:[1,0,0]
	s_waitcnt lgkmcnt(1)
	v_pk_fma_f32 v[18:19], v[34:35], v[74:75], v[18:19] op_sel_hi:[0,1,1] neg_lo:[1,0,0] neg_hi:[1,0,0]
	;; [unrolled: 2-line block ×3, first 2 shown]
	ds_read2_b32 v[72:73], v65 offset0:49 offset1:50
	ds_read2_b32 v[74:75], v65 offset0:51 offset1:52
	;; [unrolled: 1-line block ×5, first 2 shown]
	s_waitcnt lgkmcnt(4)
	v_pk_fma_f32 v[20:21], v[34:35], v[72:73], v[20:21] op_sel_hi:[0,1,1] neg_lo:[1,0,0] neg_hi:[1,0,0]
	s_waitcnt lgkmcnt(3)
	v_pk_fma_f32 v[12:13], v[34:35], v[74:75], v[12:13] op_sel_hi:[0,1,1] neg_lo:[1,0,0] neg_hi:[1,0,0]
	;; [unrolled: 2-line block ×5, first 2 shown]
.LBB116_709:
	s_or_b64 exec, exec, s[0:1]
	v_lshl_add_u32 v66, v69, 2, v65
	s_barrier
	ds_write_b32 v66, v35
	s_waitcnt lgkmcnt(0)
	s_barrier
	ds_read_b32 v68, v65 offset:168
	s_cmp_lt_i32 s22, 44
	v_mov_b32_e32 v66, 42
	s_cbranch_scc1 .LBB116_712
; %bb.710:
	v_add_u32_e32 v71, 0xac, v65
	v_mov_b32_e32 v66, 42
	s_mov_b32 s0, 43
.LBB116_711:                            ; =>This Inner Loop Header: Depth=1
	ds_read_b32 v72, v71
	v_mov_b32_e32 v73, s0
	s_add_i32 s0, s0, 1
	v_add_u32_e32 v71, 4, v71
	s_cmp_lg_u32 s22, s0
	s_waitcnt lgkmcnt(0)
	v_cmp_lt_f32_e64 vcc, |v68|, |v72|
	s_nop 1
	v_cndmask_b32_e32 v68, v68, v72, vcc
	v_cndmask_b32_e32 v66, v66, v73, vcc
	s_cbranch_scc1 .LBB116_711
.LBB116_712:
	s_waitcnt lgkmcnt(0)
	v_cmp_eq_f32_e32 vcc, 0, v68
	s_and_saveexec_b64 s[0:1], vcc
	s_xor_b64 s[0:1], exec, s[0:1]
; %bb.713:
	v_cmp_ne_u32_e32 vcc, 0, v70
	s_nop 1
	v_cndmask_b32_e32 v70, 43, v70, vcc
; %bb.714:
	s_andn2_saveexec_b64 s[0:1], s[0:1]
	s_cbranch_execz .LBB116_716
; %bb.715:
	v_div_scale_f32 v71, s[2:3], v68, v68, 1.0
	v_rcp_f32_e32 v72, v71
	v_div_scale_f32 v73, vcc, 1.0, v68, 1.0
	v_fma_f32 v74, -v71, v72, 1.0
	v_fmac_f32_e32 v72, v74, v72
	v_mul_f32_e32 v74, v73, v72
	v_fma_f32 v75, -v71, v74, v73
	v_fmac_f32_e32 v74, v75, v72
	v_fma_f32 v71, -v71, v74, v73
	v_div_fmas_f32 v71, v71, v72, v74
	v_div_fixup_f32 v68, v71, v68, 1.0
.LBB116_716:
	s_or_b64 exec, exec, s[0:1]
	v_cmp_ne_u32_e32 vcc, v69, v66
	s_and_saveexec_b64 s[0:1], vcc
	s_xor_b64 s[0:1], exec, s[0:1]
	s_cbranch_execz .LBB116_722
; %bb.717:
	v_cmp_eq_u32_e32 vcc, 42, v69
	s_and_saveexec_b64 s[2:3], vcc
	s_cbranch_execz .LBB116_721
; %bb.718:
	v_cmp_ne_u32_e32 vcc, 42, v66
	s_xor_b64 s[12:13], s[20:21], -1
	s_and_b64 s[14:15], s[12:13], vcc
	s_and_saveexec_b64 s[12:13], s[14:15]
	s_cbranch_execz .LBB116_720
; %bb.719:
	v_ashrrev_i32_e32 v67, 31, v66
	v_lshl_add_u64 v[72:73], v[66:67], 2, v[4:5]
	global_load_dword v67, v[72:73], off
	global_load_dword v69, v[4:5], off offset:168
	s_waitcnt vmcnt(1)
	global_store_dword v[4:5], v67, off offset:168
	s_waitcnt vmcnt(1)
	global_store_dword v[72:73], v69, off
.LBB116_720:
	s_or_b64 exec, exec, s[12:13]
	v_mov_b32_e32 v67, v66
	v_mov_b32_e32 v69, v66
.LBB116_721:
	s_or_b64 exec, exec, s[2:3]
.LBB116_722:
	s_andn2_saveexec_b64 s[0:1], s[0:1]
	s_cbranch_execz .LBB116_724
; %bb.723:
	v_mov_b32_e32 v69, 42
	ds_write2_b32 v65, v26, v27 offset0:43 offset1:44
	ds_write2_b32 v65, v18, v19 offset0:45 offset1:46
	;; [unrolled: 1-line block ×8, first 2 shown]
.LBB116_724:
	s_or_b64 exec, exec, s[0:1]
	v_cmp_lt_i32_e32 vcc, 42, v69
	s_waitcnt lgkmcnt(0)
	s_barrier
	s_and_saveexec_b64 s[0:1], vcc
	s_cbranch_execz .LBB116_726
; %bb.725:
	ds_read2_b32 v[72:73], v65 offset0:43 offset1:44
	ds_read2_b32 v[74:75], v65 offset0:45 offset1:46
	ds_read2_b32 v[76:77], v65 offset0:47 offset1:48
	v_mul_f32_e32 v66, v68, v35
	ds_read2_b32 v[78:79], v65 offset0:49 offset1:50
	s_waitcnt lgkmcnt(3)
	v_pk_fma_f32 v[26:27], v[66:67], v[72:73], v[26:27] op_sel_hi:[0,1,1] neg_lo:[1,0,0] neg_hi:[1,0,0]
	s_waitcnt lgkmcnt(2)
	v_pk_fma_f32 v[18:19], v[66:67], v[74:75], v[18:19] op_sel_hi:[0,1,1] neg_lo:[1,0,0] neg_hi:[1,0,0]
	;; [unrolled: 2-line block ×3, first 2 shown]
	ds_read2_b32 v[72:73], v65 offset0:51 offset1:52
	ds_read2_b32 v[74:75], v65 offset0:53 offset1:54
	;; [unrolled: 1-line block ×4, first 2 shown]
	s_waitcnt lgkmcnt(4)
	v_pk_fma_f32 v[20:21], v[66:67], v[78:79], v[20:21] op_sel_hi:[0,1,1] neg_lo:[1,0,0] neg_hi:[1,0,0]
	s_waitcnt lgkmcnt(3)
	v_pk_fma_f32 v[12:13], v[66:67], v[72:73], v[12:13] op_sel_hi:[0,1,1] neg_lo:[1,0,0] neg_hi:[1,0,0]
	;; [unrolled: 2-line block ×5, first 2 shown]
	v_mov_b32_e32 v35, v66
.LBB116_726:
	s_or_b64 exec, exec, s[0:1]
	v_lshl_add_u32 v66, v69, 2, v65
	s_barrier
	ds_write_b32 v66, v26
	s_waitcnt lgkmcnt(0)
	s_barrier
	ds_read_b32 v68, v65 offset:172
	s_cmp_lt_i32 s22, 45
	v_mov_b32_e32 v66, 43
	s_cbranch_scc1 .LBB116_729
; %bb.727:
	v_add_u32_e32 v71, 0xb0, v65
	v_mov_b32_e32 v66, 43
	s_mov_b32 s0, 44
.LBB116_728:                            ; =>This Inner Loop Header: Depth=1
	ds_read_b32 v72, v71
	v_mov_b32_e32 v73, s0
	s_add_i32 s0, s0, 1
	v_add_u32_e32 v71, 4, v71
	s_cmp_lg_u32 s22, s0
	s_waitcnt lgkmcnt(0)
	v_cmp_lt_f32_e64 vcc, |v68|, |v72|
	s_nop 1
	v_cndmask_b32_e32 v68, v68, v72, vcc
	v_cndmask_b32_e32 v66, v66, v73, vcc
	s_cbranch_scc1 .LBB116_728
.LBB116_729:
	s_waitcnt lgkmcnt(0)
	v_cmp_eq_f32_e32 vcc, 0, v68
	s_and_saveexec_b64 s[0:1], vcc
	s_xor_b64 s[0:1], exec, s[0:1]
; %bb.730:
	v_cmp_ne_u32_e32 vcc, 0, v70
	s_nop 1
	v_cndmask_b32_e32 v70, 44, v70, vcc
; %bb.731:
	s_andn2_saveexec_b64 s[0:1], s[0:1]
	s_cbranch_execz .LBB116_733
; %bb.732:
	v_div_scale_f32 v71, s[2:3], v68, v68, 1.0
	v_rcp_f32_e32 v72, v71
	v_div_scale_f32 v73, vcc, 1.0, v68, 1.0
	v_fma_f32 v74, -v71, v72, 1.0
	v_fmac_f32_e32 v72, v74, v72
	v_mul_f32_e32 v74, v73, v72
	v_fma_f32 v75, -v71, v74, v73
	v_fmac_f32_e32 v74, v75, v72
	v_fma_f32 v71, -v71, v74, v73
	v_div_fmas_f32 v71, v71, v72, v74
	v_div_fixup_f32 v68, v71, v68, 1.0
.LBB116_733:
	s_or_b64 exec, exec, s[0:1]
	v_cmp_ne_u32_e32 vcc, v69, v66
	s_and_saveexec_b64 s[0:1], vcc
	s_xor_b64 s[0:1], exec, s[0:1]
	s_cbranch_execz .LBB116_739
; %bb.734:
	v_cmp_eq_u32_e32 vcc, 43, v69
	s_and_saveexec_b64 s[2:3], vcc
	s_cbranch_execz .LBB116_738
; %bb.735:
	v_cmp_ne_u32_e32 vcc, 43, v66
	s_xor_b64 s[12:13], s[20:21], -1
	s_and_b64 s[14:15], s[12:13], vcc
	s_and_saveexec_b64 s[12:13], s[14:15]
	s_cbranch_execz .LBB116_737
; %bb.736:
	v_ashrrev_i32_e32 v67, 31, v66
	v_lshl_add_u64 v[72:73], v[66:67], 2, v[4:5]
	global_load_dword v67, v[72:73], off
	global_load_dword v69, v[4:5], off offset:172
	s_waitcnt vmcnt(1)
	global_store_dword v[4:5], v67, off offset:172
	s_waitcnt vmcnt(1)
	global_store_dword v[72:73], v69, off
.LBB116_737:
	s_or_b64 exec, exec, s[12:13]
	v_mov_b32_e32 v67, v66
	v_mov_b32_e32 v69, v66
.LBB116_738:
	s_or_b64 exec, exec, s[2:3]
.LBB116_739:
	s_andn2_saveexec_b64 s[0:1], s[0:1]
	s_cbranch_execz .LBB116_741
; %bb.740:
	v_pk_mov_b32 v[72:73], v[26:27], v[18:19] op_sel:[1,0]
	ds_write2_b32 v65, v72, v73 offset0:44 offset1:45
	v_pk_mov_b32 v[72:73], v[18:19], v[8:9] op_sel:[1,0]
	ds_write2_b32 v65, v72, v73 offset0:46 offset1:47
	;; [unrolled: 2-line block ×6, first 2 shown]
	v_pk_mov_b32 v[72:73], v[0:1], v[14:15] op_sel:[1,0]
	v_mov_b32_e32 v69, 43
	ds_write2_b32 v65, v72, v73 offset0:56 offset1:57
	ds_write_b32 v65, v15 offset:232
.LBB116_741:
	s_or_b64 exec, exec, s[0:1]
	v_cmp_lt_i32_e32 vcc, 43, v69
	s_waitcnt lgkmcnt(0)
	s_barrier
	s_and_saveexec_b64 s[0:1], vcc
	s_cbranch_execz .LBB116_743
; %bb.742:
	ds_read_b32 v66, v65 offset:176
	ds_read2_b32 v[72:73], v65 offset0:45 offset1:46
	ds_read2_b32 v[74:75], v65 offset0:47 offset1:48
	v_mul_f32_e32 v26, v68, v26
	ds_read2_b32 v[76:77], v65 offset0:49 offset1:50
	s_waitcnt lgkmcnt(3)
	v_fma_f32 v27, -v26, v66, v27
	s_waitcnt lgkmcnt(2)
	v_pk_fma_f32 v[18:19], v[26:27], v[72:73], v[18:19] op_sel_hi:[0,1,1] neg_lo:[1,0,0] neg_hi:[1,0,0]
	s_waitcnt lgkmcnt(1)
	v_pk_fma_f32 v[8:9], v[26:27], v[74:75], v[8:9] op_sel_hi:[0,1,1] neg_lo:[1,0,0] neg_hi:[1,0,0]
	ds_read2_b32 v[72:73], v65 offset0:51 offset1:52
	ds_read2_b32 v[74:75], v65 offset0:53 offset1:54
	;; [unrolled: 1-line block ×4, first 2 shown]
	s_waitcnt lgkmcnt(4)
	v_pk_fma_f32 v[20:21], v[26:27], v[76:77], v[20:21] op_sel_hi:[0,1,1] neg_lo:[1,0,0] neg_hi:[1,0,0]
	s_waitcnt lgkmcnt(3)
	v_pk_fma_f32 v[12:13], v[26:27], v[72:73], v[12:13] op_sel_hi:[0,1,1] neg_lo:[1,0,0] neg_hi:[1,0,0]
	s_waitcnt lgkmcnt(2)
	v_pk_fma_f32 v[10:11], v[26:27], v[74:75], v[10:11] op_sel_hi:[0,1,1] neg_lo:[1,0,0] neg_hi:[1,0,0]
	s_waitcnt lgkmcnt(1)
	v_pk_fma_f32 v[0:1], v[26:27], v[78:79], v[0:1] op_sel_hi:[0,1,1] neg_lo:[1,0,0] neg_hi:[1,0,0]
	s_waitcnt lgkmcnt(0)
	v_pk_fma_f32 v[14:15], v[26:27], v[80:81], v[14:15] op_sel_hi:[0,1,1] neg_lo:[1,0,0] neg_hi:[1,0,0]
.LBB116_743:
	s_or_b64 exec, exec, s[0:1]
	v_lshl_add_u32 v66, v69, 2, v65
	s_barrier
	ds_write_b32 v66, v27
	s_waitcnt lgkmcnt(0)
	s_barrier
	ds_read_b32 v68, v65 offset:176
	s_cmp_lt_i32 s22, 46
	v_mov_b32_e32 v66, 44
	s_cbranch_scc1 .LBB116_746
; %bb.744:
	v_add_u32_e32 v71, 0xb4, v65
	v_mov_b32_e32 v66, 44
	s_mov_b32 s0, 45
.LBB116_745:                            ; =>This Inner Loop Header: Depth=1
	ds_read_b32 v72, v71
	v_mov_b32_e32 v73, s0
	s_add_i32 s0, s0, 1
	v_add_u32_e32 v71, 4, v71
	s_cmp_lg_u32 s22, s0
	s_waitcnt lgkmcnt(0)
	v_cmp_lt_f32_e64 vcc, |v68|, |v72|
	s_nop 1
	v_cndmask_b32_e32 v68, v68, v72, vcc
	v_cndmask_b32_e32 v66, v66, v73, vcc
	s_cbranch_scc1 .LBB116_745
.LBB116_746:
	s_waitcnt lgkmcnt(0)
	v_cmp_eq_f32_e32 vcc, 0, v68
	s_and_saveexec_b64 s[0:1], vcc
	s_xor_b64 s[0:1], exec, s[0:1]
; %bb.747:
	v_cmp_ne_u32_e32 vcc, 0, v70
	s_nop 1
	v_cndmask_b32_e32 v70, 45, v70, vcc
; %bb.748:
	s_andn2_saveexec_b64 s[0:1], s[0:1]
	s_cbranch_execz .LBB116_750
; %bb.749:
	v_div_scale_f32 v71, s[2:3], v68, v68, 1.0
	v_rcp_f32_e32 v72, v71
	v_div_scale_f32 v73, vcc, 1.0, v68, 1.0
	v_fma_f32 v74, -v71, v72, 1.0
	v_fmac_f32_e32 v72, v74, v72
	v_mul_f32_e32 v74, v73, v72
	v_fma_f32 v75, -v71, v74, v73
	v_fmac_f32_e32 v74, v75, v72
	v_fma_f32 v71, -v71, v74, v73
	v_div_fmas_f32 v71, v71, v72, v74
	v_div_fixup_f32 v68, v71, v68, 1.0
.LBB116_750:
	s_or_b64 exec, exec, s[0:1]
	v_cmp_ne_u32_e32 vcc, v69, v66
	s_and_saveexec_b64 s[0:1], vcc
	s_xor_b64 s[0:1], exec, s[0:1]
	s_cbranch_execz .LBB116_756
; %bb.751:
	v_cmp_eq_u32_e32 vcc, 44, v69
	s_and_saveexec_b64 s[2:3], vcc
	s_cbranch_execz .LBB116_755
; %bb.752:
	v_cmp_ne_u32_e32 vcc, 44, v66
	s_xor_b64 s[12:13], s[20:21], -1
	s_and_b64 s[14:15], s[12:13], vcc
	s_and_saveexec_b64 s[12:13], s[14:15]
	s_cbranch_execz .LBB116_754
; %bb.753:
	v_ashrrev_i32_e32 v67, 31, v66
	v_lshl_add_u64 v[72:73], v[66:67], 2, v[4:5]
	global_load_dword v67, v[72:73], off
	global_load_dword v69, v[4:5], off offset:176
	s_waitcnt vmcnt(1)
	global_store_dword v[4:5], v67, off offset:176
	s_waitcnt vmcnt(1)
	global_store_dword v[72:73], v69, off
.LBB116_754:
	s_or_b64 exec, exec, s[12:13]
	v_mov_b32_e32 v67, v66
	v_mov_b32_e32 v69, v66
.LBB116_755:
	s_or_b64 exec, exec, s[2:3]
.LBB116_756:
	s_andn2_saveexec_b64 s[0:1], s[0:1]
	s_cbranch_execz .LBB116_758
; %bb.757:
	v_mov_b32_e32 v69, 44
	ds_write2_b32 v65, v18, v19 offset0:45 offset1:46
	ds_write2_b32 v65, v8, v9 offset0:47 offset1:48
	;; [unrolled: 1-line block ×7, first 2 shown]
.LBB116_758:
	s_or_b64 exec, exec, s[0:1]
	v_cmp_lt_i32_e32 vcc, 44, v69
	s_waitcnt lgkmcnt(0)
	s_barrier
	s_and_saveexec_b64 s[0:1], vcc
	s_cbranch_execz .LBB116_760
; %bb.759:
	ds_read2_b32 v[72:73], v65 offset0:45 offset1:46
	ds_read2_b32 v[74:75], v65 offset0:47 offset1:48
	v_mul_f32_e32 v66, v68, v27
	ds_read2_b32 v[76:77], v65 offset0:49 offset1:50
	ds_read2_b32 v[78:79], v65 offset0:51 offset1:52
	v_mov_b32_e32 v27, v66
	s_waitcnt lgkmcnt(3)
	v_pk_fma_f32 v[18:19], v[66:67], v[72:73], v[18:19] op_sel_hi:[0,1,1] neg_lo:[1,0,0] neg_hi:[1,0,0]
	s_waitcnt lgkmcnt(2)
	v_pk_fma_f32 v[8:9], v[66:67], v[74:75], v[8:9] op_sel_hi:[0,1,1] neg_lo:[1,0,0] neg_hi:[1,0,0]
	ds_read2_b32 v[72:73], v65 offset0:53 offset1:54
	ds_read2_b32 v[74:75], v65 offset0:55 offset1:56
	;; [unrolled: 1-line block ×3, first 2 shown]
	s_waitcnt lgkmcnt(4)
	v_pk_fma_f32 v[20:21], v[66:67], v[76:77], v[20:21] op_sel_hi:[0,1,1] neg_lo:[1,0,0] neg_hi:[1,0,0]
	s_waitcnt lgkmcnt(3)
	v_pk_fma_f32 v[12:13], v[66:67], v[78:79], v[12:13] op_sel_hi:[0,1,1] neg_lo:[1,0,0] neg_hi:[1,0,0]
	;; [unrolled: 2-line block ×5, first 2 shown]
.LBB116_760:
	s_or_b64 exec, exec, s[0:1]
	v_lshl_add_u32 v66, v69, 2, v65
	s_barrier
	ds_write_b32 v66, v18
	s_waitcnt lgkmcnt(0)
	s_barrier
	ds_read_b32 v68, v65 offset:180
	s_cmp_lt_i32 s22, 47
	v_mov_b32_e32 v66, 45
	s_cbranch_scc1 .LBB116_763
; %bb.761:
	v_add_u32_e32 v71, 0xb8, v65
	v_mov_b32_e32 v66, 45
	s_mov_b32 s0, 46
.LBB116_762:                            ; =>This Inner Loop Header: Depth=1
	ds_read_b32 v72, v71
	v_mov_b32_e32 v73, s0
	s_add_i32 s0, s0, 1
	v_add_u32_e32 v71, 4, v71
	s_cmp_lg_u32 s22, s0
	s_waitcnt lgkmcnt(0)
	v_cmp_lt_f32_e64 vcc, |v68|, |v72|
	s_nop 1
	v_cndmask_b32_e32 v68, v68, v72, vcc
	v_cndmask_b32_e32 v66, v66, v73, vcc
	s_cbranch_scc1 .LBB116_762
.LBB116_763:
	s_waitcnt lgkmcnt(0)
	v_cmp_eq_f32_e32 vcc, 0, v68
	s_and_saveexec_b64 s[0:1], vcc
	s_xor_b64 s[0:1], exec, s[0:1]
; %bb.764:
	v_cmp_ne_u32_e32 vcc, 0, v70
	s_nop 1
	v_cndmask_b32_e32 v70, 46, v70, vcc
; %bb.765:
	s_andn2_saveexec_b64 s[0:1], s[0:1]
	s_cbranch_execz .LBB116_767
; %bb.766:
	v_div_scale_f32 v71, s[2:3], v68, v68, 1.0
	v_rcp_f32_e32 v72, v71
	v_div_scale_f32 v73, vcc, 1.0, v68, 1.0
	v_fma_f32 v74, -v71, v72, 1.0
	v_fmac_f32_e32 v72, v74, v72
	v_mul_f32_e32 v74, v73, v72
	v_fma_f32 v75, -v71, v74, v73
	v_fmac_f32_e32 v74, v75, v72
	v_fma_f32 v71, -v71, v74, v73
	v_div_fmas_f32 v71, v71, v72, v74
	v_div_fixup_f32 v68, v71, v68, 1.0
.LBB116_767:
	s_or_b64 exec, exec, s[0:1]
	v_cmp_ne_u32_e32 vcc, v69, v66
	s_and_saveexec_b64 s[0:1], vcc
	s_xor_b64 s[0:1], exec, s[0:1]
	s_cbranch_execz .LBB116_773
; %bb.768:
	v_cmp_eq_u32_e32 vcc, 45, v69
	s_and_saveexec_b64 s[2:3], vcc
	s_cbranch_execz .LBB116_772
; %bb.769:
	v_cmp_ne_u32_e32 vcc, 45, v66
	s_xor_b64 s[12:13], s[20:21], -1
	s_and_b64 s[14:15], s[12:13], vcc
	s_and_saveexec_b64 s[12:13], s[14:15]
	s_cbranch_execz .LBB116_771
; %bb.770:
	v_ashrrev_i32_e32 v67, 31, v66
	v_lshl_add_u64 v[72:73], v[66:67], 2, v[4:5]
	global_load_dword v67, v[72:73], off
	global_load_dword v69, v[4:5], off offset:180
	s_waitcnt vmcnt(1)
	global_store_dword v[4:5], v67, off offset:180
	s_waitcnt vmcnt(1)
	global_store_dword v[72:73], v69, off
.LBB116_771:
	s_or_b64 exec, exec, s[12:13]
	v_mov_b32_e32 v67, v66
	v_mov_b32_e32 v69, v66
.LBB116_772:
	s_or_b64 exec, exec, s[2:3]
.LBB116_773:
	s_andn2_saveexec_b64 s[0:1], s[0:1]
	s_cbranch_execz .LBB116_775
; %bb.774:
	v_pk_mov_b32 v[72:73], v[18:19], v[8:9] op_sel:[1,0]
	ds_write2_b32 v65, v72, v73 offset0:46 offset1:47
	v_pk_mov_b32 v[72:73], v[8:9], v[20:21] op_sel:[1,0]
	ds_write2_b32 v65, v72, v73 offset0:48 offset1:49
	;; [unrolled: 2-line block ×5, first 2 shown]
	v_pk_mov_b32 v[72:73], v[0:1], v[14:15] op_sel:[1,0]
	v_mov_b32_e32 v69, 45
	ds_write2_b32 v65, v72, v73 offset0:56 offset1:57
	ds_write_b32 v65, v15 offset:232
.LBB116_775:
	s_or_b64 exec, exec, s[0:1]
	v_cmp_lt_i32_e32 vcc, 45, v69
	s_waitcnt lgkmcnt(0)
	s_barrier
	s_and_saveexec_b64 s[0:1], vcc
	s_cbranch_execz .LBB116_777
; %bb.776:
	ds_read_b32 v66, v65 offset:184
	ds_read2_b32 v[72:73], v65 offset0:47 offset1:48
	v_mul_f32_e32 v18, v68, v18
	ds_read2_b32 v[74:75], v65 offset0:49 offset1:50
	ds_read2_b32 v[76:77], v65 offset0:51 offset1:52
	s_waitcnt lgkmcnt(3)
	v_fma_f32 v19, -v18, v66, v19
	s_waitcnt lgkmcnt(2)
	v_pk_fma_f32 v[8:9], v[18:19], v[72:73], v[8:9] op_sel_hi:[0,1,1] neg_lo:[1,0,0] neg_hi:[1,0,0]
	ds_read2_b32 v[72:73], v65 offset0:53 offset1:54
	ds_read2_b32 v[78:79], v65 offset0:55 offset1:56
	;; [unrolled: 1-line block ×3, first 2 shown]
	s_waitcnt lgkmcnt(4)
	v_pk_fma_f32 v[20:21], v[18:19], v[74:75], v[20:21] op_sel_hi:[0,1,1] neg_lo:[1,0,0] neg_hi:[1,0,0]
	s_waitcnt lgkmcnt(3)
	v_pk_fma_f32 v[12:13], v[18:19], v[76:77], v[12:13] op_sel_hi:[0,1,1] neg_lo:[1,0,0] neg_hi:[1,0,0]
	;; [unrolled: 2-line block ×5, first 2 shown]
.LBB116_777:
	s_or_b64 exec, exec, s[0:1]
	v_lshl_add_u32 v66, v69, 2, v65
	s_barrier
	ds_write_b32 v66, v19
	s_waitcnt lgkmcnt(0)
	s_barrier
	ds_read_b32 v68, v65 offset:184
	s_cmp_lt_i32 s22, 48
	v_mov_b32_e32 v66, 46
	s_cbranch_scc1 .LBB116_780
; %bb.778:
	v_add_u32_e32 v71, 0xbc, v65
	v_mov_b32_e32 v66, 46
	s_mov_b32 s0, 47
.LBB116_779:                            ; =>This Inner Loop Header: Depth=1
	ds_read_b32 v72, v71
	v_mov_b32_e32 v73, s0
	s_add_i32 s0, s0, 1
	v_add_u32_e32 v71, 4, v71
	s_cmp_lg_u32 s22, s0
	s_waitcnt lgkmcnt(0)
	v_cmp_lt_f32_e64 vcc, |v68|, |v72|
	s_nop 1
	v_cndmask_b32_e32 v68, v68, v72, vcc
	v_cndmask_b32_e32 v66, v66, v73, vcc
	s_cbranch_scc1 .LBB116_779
.LBB116_780:
	s_waitcnt lgkmcnt(0)
	v_cmp_eq_f32_e32 vcc, 0, v68
	s_and_saveexec_b64 s[0:1], vcc
	s_xor_b64 s[0:1], exec, s[0:1]
; %bb.781:
	v_cmp_ne_u32_e32 vcc, 0, v70
	s_nop 1
	v_cndmask_b32_e32 v70, 47, v70, vcc
; %bb.782:
	s_andn2_saveexec_b64 s[0:1], s[0:1]
	s_cbranch_execz .LBB116_784
; %bb.783:
	v_div_scale_f32 v71, s[2:3], v68, v68, 1.0
	v_rcp_f32_e32 v72, v71
	v_div_scale_f32 v73, vcc, 1.0, v68, 1.0
	v_fma_f32 v74, -v71, v72, 1.0
	v_fmac_f32_e32 v72, v74, v72
	v_mul_f32_e32 v74, v73, v72
	v_fma_f32 v75, -v71, v74, v73
	v_fmac_f32_e32 v74, v75, v72
	v_fma_f32 v71, -v71, v74, v73
	v_div_fmas_f32 v71, v71, v72, v74
	v_div_fixup_f32 v68, v71, v68, 1.0
.LBB116_784:
	s_or_b64 exec, exec, s[0:1]
	v_cmp_ne_u32_e32 vcc, v69, v66
	s_and_saveexec_b64 s[0:1], vcc
	s_xor_b64 s[0:1], exec, s[0:1]
	s_cbranch_execz .LBB116_790
; %bb.785:
	v_cmp_eq_u32_e32 vcc, 46, v69
	s_and_saveexec_b64 s[2:3], vcc
	s_cbranch_execz .LBB116_789
; %bb.786:
	v_cmp_ne_u32_e32 vcc, 46, v66
	s_xor_b64 s[12:13], s[20:21], -1
	s_and_b64 s[14:15], s[12:13], vcc
	s_and_saveexec_b64 s[12:13], s[14:15]
	s_cbranch_execz .LBB116_788
; %bb.787:
	v_ashrrev_i32_e32 v67, 31, v66
	v_lshl_add_u64 v[72:73], v[66:67], 2, v[4:5]
	global_load_dword v67, v[72:73], off
	global_load_dword v69, v[4:5], off offset:184
	s_waitcnt vmcnt(1)
	global_store_dword v[4:5], v67, off offset:184
	s_waitcnt vmcnt(1)
	global_store_dword v[72:73], v69, off
.LBB116_788:
	s_or_b64 exec, exec, s[12:13]
	v_mov_b32_e32 v67, v66
	v_mov_b32_e32 v69, v66
.LBB116_789:
	s_or_b64 exec, exec, s[2:3]
.LBB116_790:
	s_andn2_saveexec_b64 s[0:1], s[0:1]
	s_cbranch_execz .LBB116_792
; %bb.791:
	v_mov_b32_e32 v69, 46
	ds_write2_b32 v65, v8, v9 offset0:47 offset1:48
	ds_write2_b32 v65, v20, v21 offset0:49 offset1:50
	;; [unrolled: 1-line block ×6, first 2 shown]
.LBB116_792:
	s_or_b64 exec, exec, s[0:1]
	v_cmp_lt_i32_e32 vcc, 46, v69
	s_waitcnt lgkmcnt(0)
	s_barrier
	s_and_saveexec_b64 s[0:1], vcc
	s_cbranch_execz .LBB116_794
; %bb.793:
	ds_read2_b32 v[72:73], v65 offset0:47 offset1:48
	v_mul_f32_e32 v66, v68, v19
	ds_read2_b32 v[74:75], v65 offset0:49 offset1:50
	ds_read2_b32 v[76:77], v65 offset0:51 offset1:52
	;; [unrolled: 1-line block ×3, first 2 shown]
	v_mov_b32_e32 v19, v66
	s_waitcnt lgkmcnt(2)
	v_pk_fma_f32 v[20:21], v[66:67], v[74:75], v[20:21] op_sel_hi:[0,1,1] neg_lo:[1,0,0] neg_hi:[1,0,0]
	v_pk_fma_f32 v[8:9], v[66:67], v[72:73], v[8:9] op_sel_hi:[0,1,1] neg_lo:[1,0,0] neg_hi:[1,0,0]
	ds_read2_b32 v[72:73], v65 offset0:55 offset1:56
	ds_read2_b32 v[80:81], v65 offset0:57 offset1:58
	s_waitcnt lgkmcnt(3)
	v_pk_fma_f32 v[12:13], v[66:67], v[76:77], v[12:13] op_sel_hi:[0,1,1] neg_lo:[1,0,0] neg_hi:[1,0,0]
	s_waitcnt lgkmcnt(2)
	v_pk_fma_f32 v[10:11], v[66:67], v[78:79], v[10:11] op_sel_hi:[0,1,1] neg_lo:[1,0,0] neg_hi:[1,0,0]
	;; [unrolled: 2-line block ×4, first 2 shown]
.LBB116_794:
	s_or_b64 exec, exec, s[0:1]
	v_lshl_add_u32 v66, v69, 2, v65
	s_barrier
	ds_write_b32 v66, v8
	s_waitcnt lgkmcnt(0)
	s_barrier
	ds_read_b32 v68, v65 offset:188
	s_cmp_lt_i32 s22, 49
	v_mov_b32_e32 v66, 47
	s_cbranch_scc1 .LBB116_797
; %bb.795:
	v_add_u32_e32 v71, 0xc0, v65
	v_mov_b32_e32 v66, 47
	s_mov_b32 s0, 48
.LBB116_796:                            ; =>This Inner Loop Header: Depth=1
	ds_read_b32 v72, v71
	v_mov_b32_e32 v73, s0
	s_add_i32 s0, s0, 1
	v_add_u32_e32 v71, 4, v71
	s_cmp_lg_u32 s22, s0
	s_waitcnt lgkmcnt(0)
	v_cmp_lt_f32_e64 vcc, |v68|, |v72|
	s_nop 1
	v_cndmask_b32_e32 v68, v68, v72, vcc
	v_cndmask_b32_e32 v66, v66, v73, vcc
	s_cbranch_scc1 .LBB116_796
.LBB116_797:
	s_waitcnt lgkmcnt(0)
	v_cmp_eq_f32_e32 vcc, 0, v68
	s_and_saveexec_b64 s[0:1], vcc
	s_xor_b64 s[0:1], exec, s[0:1]
; %bb.798:
	v_cmp_ne_u32_e32 vcc, 0, v70
	s_nop 1
	v_cndmask_b32_e32 v70, 48, v70, vcc
; %bb.799:
	s_andn2_saveexec_b64 s[0:1], s[0:1]
	s_cbranch_execz .LBB116_801
; %bb.800:
	v_div_scale_f32 v71, s[2:3], v68, v68, 1.0
	v_rcp_f32_e32 v72, v71
	v_div_scale_f32 v73, vcc, 1.0, v68, 1.0
	v_fma_f32 v74, -v71, v72, 1.0
	v_fmac_f32_e32 v72, v74, v72
	v_mul_f32_e32 v74, v73, v72
	v_fma_f32 v75, -v71, v74, v73
	v_fmac_f32_e32 v74, v75, v72
	v_fma_f32 v71, -v71, v74, v73
	v_div_fmas_f32 v71, v71, v72, v74
	v_div_fixup_f32 v68, v71, v68, 1.0
.LBB116_801:
	s_or_b64 exec, exec, s[0:1]
	v_cmp_ne_u32_e32 vcc, v69, v66
	s_and_saveexec_b64 s[0:1], vcc
	s_xor_b64 s[0:1], exec, s[0:1]
	s_cbranch_execz .LBB116_807
; %bb.802:
	v_cmp_eq_u32_e32 vcc, 47, v69
	s_and_saveexec_b64 s[2:3], vcc
	s_cbranch_execz .LBB116_806
; %bb.803:
	v_cmp_ne_u32_e32 vcc, 47, v66
	s_xor_b64 s[12:13], s[20:21], -1
	s_and_b64 s[14:15], s[12:13], vcc
	s_and_saveexec_b64 s[12:13], s[14:15]
	s_cbranch_execz .LBB116_805
; %bb.804:
	v_ashrrev_i32_e32 v67, 31, v66
	v_lshl_add_u64 v[72:73], v[66:67], 2, v[4:5]
	global_load_dword v67, v[72:73], off
	global_load_dword v69, v[4:5], off offset:188
	s_waitcnt vmcnt(1)
	global_store_dword v[4:5], v67, off offset:188
	s_waitcnt vmcnt(1)
	global_store_dword v[72:73], v69, off
.LBB116_805:
	s_or_b64 exec, exec, s[12:13]
	v_mov_b32_e32 v67, v66
	v_mov_b32_e32 v69, v66
.LBB116_806:
	s_or_b64 exec, exec, s[2:3]
.LBB116_807:
	s_andn2_saveexec_b64 s[0:1], s[0:1]
	s_cbranch_execz .LBB116_809
; %bb.808:
	v_pk_mov_b32 v[72:73], v[8:9], v[20:21] op_sel:[1,0]
	ds_write2_b32 v65, v72, v73 offset0:48 offset1:49
	v_pk_mov_b32 v[72:73], v[20:21], v[12:13] op_sel:[1,0]
	ds_write2_b32 v65, v72, v73 offset0:50 offset1:51
	;; [unrolled: 2-line block ×4, first 2 shown]
	v_pk_mov_b32 v[72:73], v[0:1], v[14:15] op_sel:[1,0]
	v_mov_b32_e32 v69, 47
	ds_write2_b32 v65, v72, v73 offset0:56 offset1:57
	ds_write_b32 v65, v15 offset:232
.LBB116_809:
	s_or_b64 exec, exec, s[0:1]
	v_cmp_lt_i32_e32 vcc, 47, v69
	s_waitcnt lgkmcnt(0)
	s_barrier
	s_and_saveexec_b64 s[0:1], vcc
	s_cbranch_execz .LBB116_811
; %bb.810:
	ds_read_b32 v66, v65 offset:192
	ds_read2_b32 v[72:73], v65 offset0:49 offset1:50
	ds_read2_b32 v[74:75], v65 offset0:51 offset1:52
	;; [unrolled: 1-line block ×5, first 2 shown]
	v_mul_f32_e32 v8, v68, v8
	s_waitcnt lgkmcnt(5)
	v_fma_f32 v9, -v8, v66, v9
	s_waitcnt lgkmcnt(4)
	v_pk_fma_f32 v[20:21], v[8:9], v[72:73], v[20:21] op_sel_hi:[0,1,1] neg_lo:[1,0,0] neg_hi:[1,0,0]
	s_waitcnt lgkmcnt(3)
	v_pk_fma_f32 v[12:13], v[8:9], v[74:75], v[12:13] op_sel_hi:[0,1,1] neg_lo:[1,0,0] neg_hi:[1,0,0]
	;; [unrolled: 2-line block ×5, first 2 shown]
.LBB116_811:
	s_or_b64 exec, exec, s[0:1]
	v_lshl_add_u32 v66, v69, 2, v65
	s_barrier
	ds_write_b32 v66, v9
	s_waitcnt lgkmcnt(0)
	s_barrier
	ds_read_b32 v68, v65 offset:192
	s_cmp_lt_i32 s22, 50
	v_mov_b32_e32 v66, 48
	s_cbranch_scc1 .LBB116_814
; %bb.812:
	v_add_u32_e32 v71, 0xc4, v65
	v_mov_b32_e32 v66, 48
	s_mov_b32 s0, 49
.LBB116_813:                            ; =>This Inner Loop Header: Depth=1
	ds_read_b32 v72, v71
	v_mov_b32_e32 v73, s0
	s_add_i32 s0, s0, 1
	v_add_u32_e32 v71, 4, v71
	s_cmp_lg_u32 s22, s0
	s_waitcnt lgkmcnt(0)
	v_cmp_lt_f32_e64 vcc, |v68|, |v72|
	s_nop 1
	v_cndmask_b32_e32 v68, v68, v72, vcc
	v_cndmask_b32_e32 v66, v66, v73, vcc
	s_cbranch_scc1 .LBB116_813
.LBB116_814:
	s_waitcnt lgkmcnt(0)
	v_cmp_eq_f32_e32 vcc, 0, v68
	s_and_saveexec_b64 s[0:1], vcc
	s_xor_b64 s[0:1], exec, s[0:1]
; %bb.815:
	v_cmp_ne_u32_e32 vcc, 0, v70
	s_nop 1
	v_cndmask_b32_e32 v70, 49, v70, vcc
; %bb.816:
	s_andn2_saveexec_b64 s[0:1], s[0:1]
	s_cbranch_execz .LBB116_818
; %bb.817:
	v_div_scale_f32 v71, s[2:3], v68, v68, 1.0
	v_rcp_f32_e32 v72, v71
	v_div_scale_f32 v73, vcc, 1.0, v68, 1.0
	v_fma_f32 v74, -v71, v72, 1.0
	v_fmac_f32_e32 v72, v74, v72
	v_mul_f32_e32 v74, v73, v72
	v_fma_f32 v75, -v71, v74, v73
	v_fmac_f32_e32 v74, v75, v72
	v_fma_f32 v71, -v71, v74, v73
	v_div_fmas_f32 v71, v71, v72, v74
	v_div_fixup_f32 v68, v71, v68, 1.0
.LBB116_818:
	s_or_b64 exec, exec, s[0:1]
	v_cmp_ne_u32_e32 vcc, v69, v66
	s_and_saveexec_b64 s[0:1], vcc
	s_xor_b64 s[0:1], exec, s[0:1]
	s_cbranch_execz .LBB116_824
; %bb.819:
	v_cmp_eq_u32_e32 vcc, 48, v69
	s_and_saveexec_b64 s[2:3], vcc
	s_cbranch_execz .LBB116_823
; %bb.820:
	v_cmp_ne_u32_e32 vcc, 48, v66
	s_xor_b64 s[12:13], s[20:21], -1
	s_and_b64 s[14:15], s[12:13], vcc
	s_and_saveexec_b64 s[12:13], s[14:15]
	s_cbranch_execz .LBB116_822
; %bb.821:
	v_ashrrev_i32_e32 v67, 31, v66
	v_lshl_add_u64 v[72:73], v[66:67], 2, v[4:5]
	global_load_dword v67, v[72:73], off
	global_load_dword v69, v[4:5], off offset:192
	s_waitcnt vmcnt(1)
	global_store_dword v[4:5], v67, off offset:192
	s_waitcnt vmcnt(1)
	global_store_dword v[72:73], v69, off
.LBB116_822:
	s_or_b64 exec, exec, s[12:13]
	v_mov_b32_e32 v67, v66
	v_mov_b32_e32 v69, v66
.LBB116_823:
	s_or_b64 exec, exec, s[2:3]
.LBB116_824:
	s_andn2_saveexec_b64 s[0:1], s[0:1]
	s_cbranch_execz .LBB116_826
; %bb.825:
	v_mov_b32_e32 v69, 48
	ds_write2_b32 v65, v20, v21 offset0:49 offset1:50
	ds_write2_b32 v65, v12, v13 offset0:51 offset1:52
	;; [unrolled: 1-line block ×5, first 2 shown]
.LBB116_826:
	s_or_b64 exec, exec, s[0:1]
	v_cmp_lt_i32_e32 vcc, 48, v69
	s_waitcnt lgkmcnt(0)
	s_barrier
	s_and_saveexec_b64 s[0:1], vcc
	s_cbranch_execz .LBB116_828
; %bb.827:
	ds_read2_b32 v[72:73], v65 offset0:49 offset1:50
	ds_read2_b32 v[74:75], v65 offset0:51 offset1:52
	;; [unrolled: 1-line block ×5, first 2 shown]
	v_mul_f32_e32 v66, v68, v9
	s_waitcnt lgkmcnt(4)
	v_pk_fma_f32 v[20:21], v[66:67], v[72:73], v[20:21] op_sel_hi:[0,1,1] neg_lo:[1,0,0] neg_hi:[1,0,0]
	s_waitcnt lgkmcnt(3)
	v_pk_fma_f32 v[12:13], v[66:67], v[74:75], v[12:13] op_sel_hi:[0,1,1] neg_lo:[1,0,0] neg_hi:[1,0,0]
	;; [unrolled: 2-line block ×5, first 2 shown]
	v_mov_b32_e32 v9, v66
.LBB116_828:
	s_or_b64 exec, exec, s[0:1]
	v_lshl_add_u32 v66, v69, 2, v65
	s_barrier
	ds_write_b32 v66, v20
	s_waitcnt lgkmcnt(0)
	s_barrier
	ds_read_b32 v68, v65 offset:196
	s_cmp_lt_i32 s22, 51
	v_mov_b32_e32 v66, 49
	s_cbranch_scc1 .LBB116_831
; %bb.829:
	v_add_u32_e32 v71, 0xc8, v65
	v_mov_b32_e32 v66, 49
	s_mov_b32 s0, 50
.LBB116_830:                            ; =>This Inner Loop Header: Depth=1
	ds_read_b32 v72, v71
	v_mov_b32_e32 v73, s0
	s_add_i32 s0, s0, 1
	v_add_u32_e32 v71, 4, v71
	s_cmp_lg_u32 s22, s0
	s_waitcnt lgkmcnt(0)
	v_cmp_lt_f32_e64 vcc, |v68|, |v72|
	s_nop 1
	v_cndmask_b32_e32 v68, v68, v72, vcc
	v_cndmask_b32_e32 v66, v66, v73, vcc
	s_cbranch_scc1 .LBB116_830
.LBB116_831:
	s_waitcnt lgkmcnt(0)
	v_cmp_eq_f32_e32 vcc, 0, v68
	s_and_saveexec_b64 s[0:1], vcc
	s_xor_b64 s[0:1], exec, s[0:1]
; %bb.832:
	v_cmp_ne_u32_e32 vcc, 0, v70
	s_nop 1
	v_cndmask_b32_e32 v70, 50, v70, vcc
; %bb.833:
	s_andn2_saveexec_b64 s[0:1], s[0:1]
	s_cbranch_execz .LBB116_835
; %bb.834:
	v_div_scale_f32 v71, s[2:3], v68, v68, 1.0
	v_rcp_f32_e32 v72, v71
	v_div_scale_f32 v73, vcc, 1.0, v68, 1.0
	v_fma_f32 v74, -v71, v72, 1.0
	v_fmac_f32_e32 v72, v74, v72
	v_mul_f32_e32 v74, v73, v72
	v_fma_f32 v75, -v71, v74, v73
	v_fmac_f32_e32 v74, v75, v72
	v_fma_f32 v71, -v71, v74, v73
	v_div_fmas_f32 v71, v71, v72, v74
	v_div_fixup_f32 v68, v71, v68, 1.0
.LBB116_835:
	s_or_b64 exec, exec, s[0:1]
	v_cmp_ne_u32_e32 vcc, v69, v66
	s_and_saveexec_b64 s[0:1], vcc
	s_xor_b64 s[0:1], exec, s[0:1]
	s_cbranch_execz .LBB116_841
; %bb.836:
	v_cmp_eq_u32_e32 vcc, 49, v69
	s_and_saveexec_b64 s[2:3], vcc
	s_cbranch_execz .LBB116_840
; %bb.837:
	v_cmp_ne_u32_e32 vcc, 49, v66
	s_xor_b64 s[12:13], s[20:21], -1
	s_and_b64 s[14:15], s[12:13], vcc
	s_and_saveexec_b64 s[12:13], s[14:15]
	s_cbranch_execz .LBB116_839
; %bb.838:
	v_ashrrev_i32_e32 v67, 31, v66
	v_lshl_add_u64 v[72:73], v[66:67], 2, v[4:5]
	global_load_dword v67, v[72:73], off
	global_load_dword v69, v[4:5], off offset:196
	s_waitcnt vmcnt(1)
	global_store_dword v[4:5], v67, off offset:196
	s_waitcnt vmcnt(1)
	global_store_dword v[72:73], v69, off
.LBB116_839:
	s_or_b64 exec, exec, s[12:13]
	v_mov_b32_e32 v67, v66
	v_mov_b32_e32 v69, v66
.LBB116_840:
	s_or_b64 exec, exec, s[2:3]
.LBB116_841:
	s_andn2_saveexec_b64 s[0:1], s[0:1]
	s_cbranch_execz .LBB116_843
; %bb.842:
	v_pk_mov_b32 v[72:73], v[20:21], v[12:13] op_sel:[1,0]
	ds_write2_b32 v65, v72, v73 offset0:50 offset1:51
	v_pk_mov_b32 v[72:73], v[12:13], v[10:11] op_sel:[1,0]
	ds_write2_b32 v65, v72, v73 offset0:52 offset1:53
	;; [unrolled: 2-line block ×3, first 2 shown]
	v_pk_mov_b32 v[72:73], v[0:1], v[14:15] op_sel:[1,0]
	v_mov_b32_e32 v69, 49
	ds_write2_b32 v65, v72, v73 offset0:56 offset1:57
	ds_write_b32 v65, v15 offset:232
.LBB116_843:
	s_or_b64 exec, exec, s[0:1]
	v_cmp_lt_i32_e32 vcc, 49, v69
	s_waitcnt lgkmcnt(0)
	s_barrier
	s_and_saveexec_b64 s[0:1], vcc
	s_cbranch_execz .LBB116_845
; %bb.844:
	ds_read_b32 v66, v65 offset:200
	ds_read2_b32 v[72:73], v65 offset0:51 offset1:52
	ds_read2_b32 v[74:75], v65 offset0:53 offset1:54
	;; [unrolled: 1-line block ×4, first 2 shown]
	v_mul_f32_e32 v20, v68, v20
	s_waitcnt lgkmcnt(4)
	v_fma_f32 v21, -v20, v66, v21
	s_waitcnt lgkmcnt(3)
	v_pk_fma_f32 v[12:13], v[20:21], v[72:73], v[12:13] op_sel_hi:[0,1,1] neg_lo:[1,0,0] neg_hi:[1,0,0]
	s_waitcnt lgkmcnt(2)
	v_pk_fma_f32 v[10:11], v[20:21], v[74:75], v[10:11] op_sel_hi:[0,1,1] neg_lo:[1,0,0] neg_hi:[1,0,0]
	;; [unrolled: 2-line block ×4, first 2 shown]
.LBB116_845:
	s_or_b64 exec, exec, s[0:1]
	v_lshl_add_u32 v66, v69, 2, v65
	s_barrier
	ds_write_b32 v66, v21
	s_waitcnt lgkmcnt(0)
	s_barrier
	ds_read_b32 v68, v65 offset:200
	s_cmp_lt_i32 s22, 52
	v_mov_b32_e32 v66, 50
	s_cbranch_scc1 .LBB116_848
; %bb.846:
	v_add_u32_e32 v71, 0xcc, v65
	v_mov_b32_e32 v66, 50
	s_mov_b32 s0, 51
.LBB116_847:                            ; =>This Inner Loop Header: Depth=1
	ds_read_b32 v72, v71
	v_mov_b32_e32 v73, s0
	s_add_i32 s0, s0, 1
	v_add_u32_e32 v71, 4, v71
	s_cmp_lg_u32 s22, s0
	s_waitcnt lgkmcnt(0)
	v_cmp_lt_f32_e64 vcc, |v68|, |v72|
	s_nop 1
	v_cndmask_b32_e32 v68, v68, v72, vcc
	v_cndmask_b32_e32 v66, v66, v73, vcc
	s_cbranch_scc1 .LBB116_847
.LBB116_848:
	s_waitcnt lgkmcnt(0)
	v_cmp_eq_f32_e32 vcc, 0, v68
	s_and_saveexec_b64 s[0:1], vcc
	s_xor_b64 s[0:1], exec, s[0:1]
; %bb.849:
	v_cmp_ne_u32_e32 vcc, 0, v70
	s_nop 1
	v_cndmask_b32_e32 v70, 51, v70, vcc
; %bb.850:
	s_andn2_saveexec_b64 s[0:1], s[0:1]
	s_cbranch_execz .LBB116_852
; %bb.851:
	v_div_scale_f32 v71, s[2:3], v68, v68, 1.0
	v_rcp_f32_e32 v72, v71
	v_div_scale_f32 v73, vcc, 1.0, v68, 1.0
	v_fma_f32 v74, -v71, v72, 1.0
	v_fmac_f32_e32 v72, v74, v72
	v_mul_f32_e32 v74, v73, v72
	v_fma_f32 v75, -v71, v74, v73
	v_fmac_f32_e32 v74, v75, v72
	v_fma_f32 v71, -v71, v74, v73
	v_div_fmas_f32 v71, v71, v72, v74
	v_div_fixup_f32 v68, v71, v68, 1.0
.LBB116_852:
	s_or_b64 exec, exec, s[0:1]
	v_cmp_ne_u32_e32 vcc, v69, v66
	s_and_saveexec_b64 s[0:1], vcc
	s_xor_b64 s[0:1], exec, s[0:1]
	s_cbranch_execz .LBB116_858
; %bb.853:
	v_cmp_eq_u32_e32 vcc, 50, v69
	s_and_saveexec_b64 s[2:3], vcc
	s_cbranch_execz .LBB116_857
; %bb.854:
	v_cmp_ne_u32_e32 vcc, 50, v66
	s_xor_b64 s[12:13], s[20:21], -1
	s_and_b64 s[14:15], s[12:13], vcc
	s_and_saveexec_b64 s[12:13], s[14:15]
	s_cbranch_execz .LBB116_856
; %bb.855:
	v_ashrrev_i32_e32 v67, 31, v66
	v_lshl_add_u64 v[72:73], v[66:67], 2, v[4:5]
	global_load_dword v67, v[72:73], off
	global_load_dword v69, v[4:5], off offset:200
	s_waitcnt vmcnt(1)
	global_store_dword v[4:5], v67, off offset:200
	s_waitcnt vmcnt(1)
	global_store_dword v[72:73], v69, off
.LBB116_856:
	s_or_b64 exec, exec, s[12:13]
	v_mov_b32_e32 v67, v66
	v_mov_b32_e32 v69, v66
.LBB116_857:
	s_or_b64 exec, exec, s[2:3]
.LBB116_858:
	s_andn2_saveexec_b64 s[0:1], s[0:1]
	s_cbranch_execz .LBB116_860
; %bb.859:
	v_mov_b32_e32 v69, 50
	ds_write2_b32 v65, v12, v13 offset0:51 offset1:52
	ds_write2_b32 v65, v10, v11 offset0:53 offset1:54
	;; [unrolled: 1-line block ×4, first 2 shown]
.LBB116_860:
	s_or_b64 exec, exec, s[0:1]
	v_cmp_lt_i32_e32 vcc, 50, v69
	s_waitcnt lgkmcnt(0)
	s_barrier
	s_and_saveexec_b64 s[0:1], vcc
	s_cbranch_execz .LBB116_862
; %bb.861:
	ds_read2_b32 v[72:73], v65 offset0:51 offset1:52
	ds_read2_b32 v[74:75], v65 offset0:53 offset1:54
	;; [unrolled: 1-line block ×4, first 2 shown]
	v_mul_f32_e32 v66, v68, v21
	s_waitcnt lgkmcnt(3)
	v_pk_fma_f32 v[12:13], v[66:67], v[72:73], v[12:13] op_sel_hi:[0,1,1] neg_lo:[1,0,0] neg_hi:[1,0,0]
	s_waitcnt lgkmcnt(2)
	v_pk_fma_f32 v[10:11], v[66:67], v[74:75], v[10:11] op_sel_hi:[0,1,1] neg_lo:[1,0,0] neg_hi:[1,0,0]
	;; [unrolled: 2-line block ×4, first 2 shown]
	v_mov_b32_e32 v21, v66
.LBB116_862:
	s_or_b64 exec, exec, s[0:1]
	v_lshl_add_u32 v66, v69, 2, v65
	s_barrier
	ds_write_b32 v66, v12
	s_waitcnt lgkmcnt(0)
	s_barrier
	ds_read_b32 v68, v65 offset:204
	s_cmp_lt_i32 s22, 53
	v_mov_b32_e32 v66, 51
	s_cbranch_scc1 .LBB116_865
; %bb.863:
	v_add_u32_e32 v71, 0xd0, v65
	v_mov_b32_e32 v66, 51
	s_mov_b32 s0, 52
.LBB116_864:                            ; =>This Inner Loop Header: Depth=1
	ds_read_b32 v72, v71
	v_mov_b32_e32 v73, s0
	s_add_i32 s0, s0, 1
	v_add_u32_e32 v71, 4, v71
	s_cmp_lg_u32 s22, s0
	s_waitcnt lgkmcnt(0)
	v_cmp_lt_f32_e64 vcc, |v68|, |v72|
	s_nop 1
	v_cndmask_b32_e32 v68, v68, v72, vcc
	v_cndmask_b32_e32 v66, v66, v73, vcc
	s_cbranch_scc1 .LBB116_864
.LBB116_865:
	s_waitcnt lgkmcnt(0)
	v_cmp_eq_f32_e32 vcc, 0, v68
	s_and_saveexec_b64 s[0:1], vcc
	s_xor_b64 s[0:1], exec, s[0:1]
; %bb.866:
	v_cmp_ne_u32_e32 vcc, 0, v70
	s_nop 1
	v_cndmask_b32_e32 v70, 52, v70, vcc
; %bb.867:
	s_andn2_saveexec_b64 s[0:1], s[0:1]
	s_cbranch_execz .LBB116_869
; %bb.868:
	v_div_scale_f32 v71, s[2:3], v68, v68, 1.0
	v_rcp_f32_e32 v72, v71
	v_div_scale_f32 v73, vcc, 1.0, v68, 1.0
	v_fma_f32 v74, -v71, v72, 1.0
	v_fmac_f32_e32 v72, v74, v72
	v_mul_f32_e32 v74, v73, v72
	v_fma_f32 v75, -v71, v74, v73
	v_fmac_f32_e32 v74, v75, v72
	v_fma_f32 v71, -v71, v74, v73
	v_div_fmas_f32 v71, v71, v72, v74
	v_div_fixup_f32 v68, v71, v68, 1.0
.LBB116_869:
	s_or_b64 exec, exec, s[0:1]
	v_cmp_ne_u32_e32 vcc, v69, v66
	s_and_saveexec_b64 s[0:1], vcc
	s_xor_b64 s[0:1], exec, s[0:1]
	s_cbranch_execz .LBB116_875
; %bb.870:
	v_cmp_eq_u32_e32 vcc, 51, v69
	s_and_saveexec_b64 s[2:3], vcc
	s_cbranch_execz .LBB116_874
; %bb.871:
	v_cmp_ne_u32_e32 vcc, 51, v66
	s_xor_b64 s[12:13], s[20:21], -1
	s_and_b64 s[14:15], s[12:13], vcc
	s_and_saveexec_b64 s[12:13], s[14:15]
	s_cbranch_execz .LBB116_873
; %bb.872:
	v_ashrrev_i32_e32 v67, 31, v66
	v_lshl_add_u64 v[72:73], v[66:67], 2, v[4:5]
	global_load_dword v67, v[72:73], off
	global_load_dword v69, v[4:5], off offset:204
	s_waitcnt vmcnt(1)
	global_store_dword v[4:5], v67, off offset:204
	s_waitcnt vmcnt(1)
	global_store_dword v[72:73], v69, off
.LBB116_873:
	s_or_b64 exec, exec, s[12:13]
	v_mov_b32_e32 v67, v66
	v_mov_b32_e32 v69, v66
.LBB116_874:
	s_or_b64 exec, exec, s[2:3]
.LBB116_875:
	s_andn2_saveexec_b64 s[0:1], s[0:1]
	s_cbranch_execz .LBB116_877
; %bb.876:
	v_pk_mov_b32 v[72:73], v[12:13], v[10:11] op_sel:[1,0]
	ds_write2_b32 v65, v72, v73 offset0:52 offset1:53
	v_pk_mov_b32 v[72:73], v[10:11], v[0:1] op_sel:[1,0]
	ds_write2_b32 v65, v72, v73 offset0:54 offset1:55
	v_pk_mov_b32 v[72:73], v[0:1], v[14:15] op_sel:[1,0]
	v_mov_b32_e32 v69, 51
	ds_write2_b32 v65, v72, v73 offset0:56 offset1:57
	ds_write_b32 v65, v15 offset:232
.LBB116_877:
	s_or_b64 exec, exec, s[0:1]
	v_cmp_lt_i32_e32 vcc, 51, v69
	s_waitcnt lgkmcnt(0)
	s_barrier
	s_and_saveexec_b64 s[0:1], vcc
	s_cbranch_execz .LBB116_879
; %bb.878:
	ds_read_b32 v66, v65 offset:208
	ds_read2_b32 v[72:73], v65 offset0:53 offset1:54
	ds_read2_b32 v[74:75], v65 offset0:55 offset1:56
	;; [unrolled: 1-line block ×3, first 2 shown]
	v_mul_f32_e32 v12, v68, v12
	s_waitcnt lgkmcnt(3)
	v_fma_f32 v13, -v12, v66, v13
	s_waitcnt lgkmcnt(2)
	v_pk_fma_f32 v[10:11], v[12:13], v[72:73], v[10:11] op_sel_hi:[0,1,1] neg_lo:[1,0,0] neg_hi:[1,0,0]
	s_waitcnt lgkmcnt(1)
	v_pk_fma_f32 v[0:1], v[12:13], v[74:75], v[0:1] op_sel_hi:[0,1,1] neg_lo:[1,0,0] neg_hi:[1,0,0]
	;; [unrolled: 2-line block ×3, first 2 shown]
.LBB116_879:
	s_or_b64 exec, exec, s[0:1]
	v_lshl_add_u32 v66, v69, 2, v65
	s_barrier
	ds_write_b32 v66, v13
	s_waitcnt lgkmcnt(0)
	s_barrier
	ds_read_b32 v68, v65 offset:208
	s_cmp_lt_i32 s22, 54
	v_mov_b32_e32 v66, 52
	s_cbranch_scc1 .LBB116_882
; %bb.880:
	v_add_u32_e32 v71, 0xd4, v65
	v_mov_b32_e32 v66, 52
	s_mov_b32 s0, 53
.LBB116_881:                            ; =>This Inner Loop Header: Depth=1
	ds_read_b32 v72, v71
	v_mov_b32_e32 v73, s0
	s_add_i32 s0, s0, 1
	v_add_u32_e32 v71, 4, v71
	s_cmp_lg_u32 s22, s0
	s_waitcnt lgkmcnt(0)
	v_cmp_lt_f32_e64 vcc, |v68|, |v72|
	s_nop 1
	v_cndmask_b32_e32 v68, v68, v72, vcc
	v_cndmask_b32_e32 v66, v66, v73, vcc
	s_cbranch_scc1 .LBB116_881
.LBB116_882:
	s_waitcnt lgkmcnt(0)
	v_cmp_eq_f32_e32 vcc, 0, v68
	s_and_saveexec_b64 s[0:1], vcc
	s_xor_b64 s[0:1], exec, s[0:1]
; %bb.883:
	v_cmp_ne_u32_e32 vcc, 0, v70
	s_nop 1
	v_cndmask_b32_e32 v70, 53, v70, vcc
; %bb.884:
	s_andn2_saveexec_b64 s[0:1], s[0:1]
	s_cbranch_execz .LBB116_886
; %bb.885:
	v_div_scale_f32 v71, s[2:3], v68, v68, 1.0
	v_rcp_f32_e32 v72, v71
	v_div_scale_f32 v73, vcc, 1.0, v68, 1.0
	v_fma_f32 v74, -v71, v72, 1.0
	v_fmac_f32_e32 v72, v74, v72
	v_mul_f32_e32 v74, v73, v72
	v_fma_f32 v75, -v71, v74, v73
	v_fmac_f32_e32 v74, v75, v72
	v_fma_f32 v71, -v71, v74, v73
	v_div_fmas_f32 v71, v71, v72, v74
	v_div_fixup_f32 v68, v71, v68, 1.0
.LBB116_886:
	s_or_b64 exec, exec, s[0:1]
	v_cmp_ne_u32_e32 vcc, v69, v66
	s_and_saveexec_b64 s[0:1], vcc
	s_xor_b64 s[0:1], exec, s[0:1]
	s_cbranch_execz .LBB116_892
; %bb.887:
	v_cmp_eq_u32_e32 vcc, 52, v69
	s_and_saveexec_b64 s[2:3], vcc
	s_cbranch_execz .LBB116_891
; %bb.888:
	v_cmp_ne_u32_e32 vcc, 52, v66
	s_xor_b64 s[12:13], s[20:21], -1
	s_and_b64 s[14:15], s[12:13], vcc
	s_and_saveexec_b64 s[12:13], s[14:15]
	s_cbranch_execz .LBB116_890
; %bb.889:
	v_ashrrev_i32_e32 v67, 31, v66
	v_lshl_add_u64 v[72:73], v[66:67], 2, v[4:5]
	global_load_dword v67, v[72:73], off
	global_load_dword v69, v[4:5], off offset:208
	s_waitcnt vmcnt(1)
	global_store_dword v[4:5], v67, off offset:208
	s_waitcnt vmcnt(1)
	global_store_dword v[72:73], v69, off
.LBB116_890:
	s_or_b64 exec, exec, s[12:13]
	v_mov_b32_e32 v67, v66
	v_mov_b32_e32 v69, v66
.LBB116_891:
	s_or_b64 exec, exec, s[2:3]
.LBB116_892:
	s_andn2_saveexec_b64 s[0:1], s[0:1]
	s_cbranch_execz .LBB116_894
; %bb.893:
	v_mov_b32_e32 v69, 52
	ds_write2_b32 v65, v10, v11 offset0:53 offset1:54
	ds_write2_b32 v65, v0, v1 offset0:55 offset1:56
	;; [unrolled: 1-line block ×3, first 2 shown]
.LBB116_894:
	s_or_b64 exec, exec, s[0:1]
	v_cmp_lt_i32_e32 vcc, 52, v69
	s_waitcnt lgkmcnt(0)
	s_barrier
	s_and_saveexec_b64 s[0:1], vcc
	s_cbranch_execz .LBB116_896
; %bb.895:
	ds_read2_b32 v[72:73], v65 offset0:53 offset1:54
	ds_read2_b32 v[74:75], v65 offset0:55 offset1:56
	;; [unrolled: 1-line block ×3, first 2 shown]
	v_mul_f32_e32 v66, v68, v13
	v_mov_b32_e32 v13, v66
	s_waitcnt lgkmcnt(2)
	v_pk_fma_f32 v[10:11], v[66:67], v[72:73], v[10:11] op_sel_hi:[0,1,1] neg_lo:[1,0,0] neg_hi:[1,0,0]
	s_waitcnt lgkmcnt(1)
	v_pk_fma_f32 v[0:1], v[66:67], v[74:75], v[0:1] op_sel_hi:[0,1,1] neg_lo:[1,0,0] neg_hi:[1,0,0]
	s_waitcnt lgkmcnt(0)
	v_pk_fma_f32 v[14:15], v[66:67], v[76:77], v[14:15] op_sel_hi:[0,1,1] neg_lo:[1,0,0] neg_hi:[1,0,0]
.LBB116_896:
	s_or_b64 exec, exec, s[0:1]
	v_lshl_add_u32 v66, v69, 2, v65
	s_barrier
	ds_write_b32 v66, v10
	s_waitcnt lgkmcnt(0)
	s_barrier
	ds_read_b32 v68, v65 offset:212
	s_cmp_lt_i32 s22, 55
	v_mov_b32_e32 v66, 53
	s_cbranch_scc1 .LBB116_899
; %bb.897:
	v_add_u32_e32 v71, 0xd8, v65
	v_mov_b32_e32 v66, 53
	s_mov_b32 s0, 54
.LBB116_898:                            ; =>This Inner Loop Header: Depth=1
	ds_read_b32 v72, v71
	v_mov_b32_e32 v73, s0
	s_add_i32 s0, s0, 1
	v_add_u32_e32 v71, 4, v71
	s_cmp_lg_u32 s22, s0
	s_waitcnt lgkmcnt(0)
	v_cmp_lt_f32_e64 vcc, |v68|, |v72|
	s_nop 1
	v_cndmask_b32_e32 v68, v68, v72, vcc
	v_cndmask_b32_e32 v66, v66, v73, vcc
	s_cbranch_scc1 .LBB116_898
.LBB116_899:
	s_waitcnt lgkmcnt(0)
	v_cmp_eq_f32_e32 vcc, 0, v68
	s_and_saveexec_b64 s[0:1], vcc
	s_xor_b64 s[0:1], exec, s[0:1]
; %bb.900:
	v_cmp_ne_u32_e32 vcc, 0, v70
	s_nop 1
	v_cndmask_b32_e32 v70, 54, v70, vcc
; %bb.901:
	s_andn2_saveexec_b64 s[0:1], s[0:1]
	s_cbranch_execz .LBB116_903
; %bb.902:
	v_div_scale_f32 v71, s[2:3], v68, v68, 1.0
	v_rcp_f32_e32 v72, v71
	v_div_scale_f32 v73, vcc, 1.0, v68, 1.0
	v_fma_f32 v74, -v71, v72, 1.0
	v_fmac_f32_e32 v72, v74, v72
	v_mul_f32_e32 v74, v73, v72
	v_fma_f32 v75, -v71, v74, v73
	v_fmac_f32_e32 v74, v75, v72
	v_fma_f32 v71, -v71, v74, v73
	v_div_fmas_f32 v71, v71, v72, v74
	v_div_fixup_f32 v68, v71, v68, 1.0
.LBB116_903:
	s_or_b64 exec, exec, s[0:1]
	v_cmp_ne_u32_e32 vcc, v69, v66
	s_and_saveexec_b64 s[0:1], vcc
	s_xor_b64 s[0:1], exec, s[0:1]
	s_cbranch_execz .LBB116_909
; %bb.904:
	v_cmp_eq_u32_e32 vcc, 53, v69
	s_and_saveexec_b64 s[2:3], vcc
	s_cbranch_execz .LBB116_908
; %bb.905:
	v_cmp_ne_u32_e32 vcc, 53, v66
	s_xor_b64 s[12:13], s[20:21], -1
	s_and_b64 s[14:15], s[12:13], vcc
	s_and_saveexec_b64 s[12:13], s[14:15]
	s_cbranch_execz .LBB116_907
; %bb.906:
	v_ashrrev_i32_e32 v67, 31, v66
	v_lshl_add_u64 v[72:73], v[66:67], 2, v[4:5]
	global_load_dword v67, v[72:73], off
	global_load_dword v69, v[4:5], off offset:212
	s_waitcnt vmcnt(1)
	global_store_dword v[4:5], v67, off offset:212
	s_waitcnt vmcnt(1)
	global_store_dword v[72:73], v69, off
.LBB116_907:
	s_or_b64 exec, exec, s[12:13]
	v_mov_b32_e32 v67, v66
	v_mov_b32_e32 v69, v66
.LBB116_908:
	s_or_b64 exec, exec, s[2:3]
.LBB116_909:
	s_andn2_saveexec_b64 s[0:1], s[0:1]
	s_cbranch_execz .LBB116_911
; %bb.910:
	v_pk_mov_b32 v[72:73], v[10:11], v[0:1] op_sel:[1,0]
	ds_write2_b32 v65, v72, v73 offset0:54 offset1:55
	v_pk_mov_b32 v[72:73], v[0:1], v[14:15] op_sel:[1,0]
	v_mov_b32_e32 v69, 53
	ds_write2_b32 v65, v72, v73 offset0:56 offset1:57
	ds_write_b32 v65, v15 offset:232
.LBB116_911:
	s_or_b64 exec, exec, s[0:1]
	v_cmp_lt_i32_e32 vcc, 53, v69
	s_waitcnt lgkmcnt(0)
	s_barrier
	s_and_saveexec_b64 s[0:1], vcc
	s_cbranch_execz .LBB116_913
; %bb.912:
	ds_read_b32 v66, v65 offset:216
	ds_read2_b32 v[72:73], v65 offset0:55 offset1:56
	ds_read2_b32 v[74:75], v65 offset0:57 offset1:58
	v_mul_f32_e32 v10, v68, v10
	s_waitcnt lgkmcnt(2)
	v_fma_f32 v11, -v10, v66, v11
	s_waitcnt lgkmcnt(1)
	v_pk_fma_f32 v[0:1], v[10:11], v[72:73], v[0:1] op_sel_hi:[0,1,1] neg_lo:[1,0,0] neg_hi:[1,0,0]
	s_waitcnt lgkmcnt(0)
	v_pk_fma_f32 v[14:15], v[10:11], v[74:75], v[14:15] op_sel_hi:[0,1,1] neg_lo:[1,0,0] neg_hi:[1,0,0]
.LBB116_913:
	s_or_b64 exec, exec, s[0:1]
	v_lshl_add_u32 v66, v69, 2, v65
	s_barrier
	ds_write_b32 v66, v11
	s_waitcnt lgkmcnt(0)
	s_barrier
	ds_read_b32 v68, v65 offset:216
	s_cmp_lt_i32 s22, 56
	v_mov_b32_e32 v66, 54
	s_cbranch_scc1 .LBB116_916
; %bb.914:
	v_add_u32_e32 v71, 0xdc, v65
	v_mov_b32_e32 v66, 54
	s_mov_b32 s0, 55
.LBB116_915:                            ; =>This Inner Loop Header: Depth=1
	ds_read_b32 v72, v71
	v_mov_b32_e32 v73, s0
	s_add_i32 s0, s0, 1
	v_add_u32_e32 v71, 4, v71
	s_cmp_lg_u32 s22, s0
	s_waitcnt lgkmcnt(0)
	v_cmp_lt_f32_e64 vcc, |v68|, |v72|
	s_nop 1
	v_cndmask_b32_e32 v68, v68, v72, vcc
	v_cndmask_b32_e32 v66, v66, v73, vcc
	s_cbranch_scc1 .LBB116_915
.LBB116_916:
	s_waitcnt lgkmcnt(0)
	v_cmp_eq_f32_e32 vcc, 0, v68
	s_and_saveexec_b64 s[0:1], vcc
	s_xor_b64 s[0:1], exec, s[0:1]
; %bb.917:
	v_cmp_ne_u32_e32 vcc, 0, v70
	s_nop 1
	v_cndmask_b32_e32 v70, 55, v70, vcc
; %bb.918:
	s_andn2_saveexec_b64 s[0:1], s[0:1]
	s_cbranch_execz .LBB116_920
; %bb.919:
	v_div_scale_f32 v71, s[2:3], v68, v68, 1.0
	v_rcp_f32_e32 v72, v71
	v_div_scale_f32 v73, vcc, 1.0, v68, 1.0
	v_fma_f32 v74, -v71, v72, 1.0
	v_fmac_f32_e32 v72, v74, v72
	v_mul_f32_e32 v74, v73, v72
	v_fma_f32 v75, -v71, v74, v73
	v_fmac_f32_e32 v74, v75, v72
	v_fma_f32 v71, -v71, v74, v73
	v_div_fmas_f32 v71, v71, v72, v74
	v_div_fixup_f32 v68, v71, v68, 1.0
.LBB116_920:
	s_or_b64 exec, exec, s[0:1]
	v_cmp_ne_u32_e32 vcc, v69, v66
	s_and_saveexec_b64 s[0:1], vcc
	s_xor_b64 s[0:1], exec, s[0:1]
	s_cbranch_execz .LBB116_926
; %bb.921:
	v_cmp_eq_u32_e32 vcc, 54, v69
	s_and_saveexec_b64 s[2:3], vcc
	s_cbranch_execz .LBB116_925
; %bb.922:
	v_cmp_ne_u32_e32 vcc, 54, v66
	s_xor_b64 s[12:13], s[20:21], -1
	s_and_b64 s[14:15], s[12:13], vcc
	s_and_saveexec_b64 s[12:13], s[14:15]
	s_cbranch_execz .LBB116_924
; %bb.923:
	v_ashrrev_i32_e32 v67, 31, v66
	v_lshl_add_u64 v[72:73], v[66:67], 2, v[4:5]
	global_load_dword v67, v[72:73], off
	global_load_dword v69, v[4:5], off offset:216
	s_waitcnt vmcnt(1)
	global_store_dword v[4:5], v67, off offset:216
	s_waitcnt vmcnt(1)
	global_store_dword v[72:73], v69, off
.LBB116_924:
	s_or_b64 exec, exec, s[12:13]
	v_mov_b32_e32 v67, v66
	v_mov_b32_e32 v69, v66
.LBB116_925:
	s_or_b64 exec, exec, s[2:3]
.LBB116_926:
	s_andn2_saveexec_b64 s[0:1], s[0:1]
	s_cbranch_execz .LBB116_928
; %bb.927:
	v_mov_b32_e32 v69, 54
	ds_write2_b32 v65, v0, v1 offset0:55 offset1:56
	ds_write2_b32 v65, v14, v15 offset0:57 offset1:58
.LBB116_928:
	s_or_b64 exec, exec, s[0:1]
	v_cmp_lt_i32_e32 vcc, 54, v69
	s_waitcnt lgkmcnt(0)
	s_barrier
	s_and_saveexec_b64 s[0:1], vcc
	s_cbranch_execz .LBB116_930
; %bb.929:
	ds_read2_b32 v[72:73], v65 offset0:55 offset1:56
	ds_read2_b32 v[74:75], v65 offset0:57 offset1:58
	v_mul_f32_e32 v66, v68, v11
	v_mov_b32_e32 v11, v66
	s_waitcnt lgkmcnt(1)
	v_pk_fma_f32 v[0:1], v[66:67], v[72:73], v[0:1] op_sel_hi:[0,1,1] neg_lo:[1,0,0] neg_hi:[1,0,0]
	s_waitcnt lgkmcnt(0)
	v_pk_fma_f32 v[14:15], v[66:67], v[74:75], v[14:15] op_sel_hi:[0,1,1] neg_lo:[1,0,0] neg_hi:[1,0,0]
.LBB116_930:
	s_or_b64 exec, exec, s[0:1]
	v_lshl_add_u32 v66, v69, 2, v65
	s_barrier
	ds_write_b32 v66, v0
	s_waitcnt lgkmcnt(0)
	s_barrier
	ds_read_b32 v68, v65 offset:220
	s_cmp_lt_i32 s22, 57
	v_mov_b32_e32 v66, 55
	s_cbranch_scc1 .LBB116_933
; %bb.931:
	v_add_u32_e32 v71, 0xe0, v65
	v_mov_b32_e32 v66, 55
	s_mov_b32 s0, 56
.LBB116_932:                            ; =>This Inner Loop Header: Depth=1
	ds_read_b32 v72, v71
	v_mov_b32_e32 v73, s0
	s_add_i32 s0, s0, 1
	v_add_u32_e32 v71, 4, v71
	s_cmp_lg_u32 s22, s0
	s_waitcnt lgkmcnt(0)
	v_cmp_lt_f32_e64 vcc, |v68|, |v72|
	s_nop 1
	v_cndmask_b32_e32 v68, v68, v72, vcc
	v_cndmask_b32_e32 v66, v66, v73, vcc
	s_cbranch_scc1 .LBB116_932
.LBB116_933:
	s_waitcnt lgkmcnt(0)
	v_cmp_eq_f32_e32 vcc, 0, v68
	s_and_saveexec_b64 s[0:1], vcc
	s_xor_b64 s[0:1], exec, s[0:1]
; %bb.934:
	v_cmp_ne_u32_e32 vcc, 0, v70
	s_nop 1
	v_cndmask_b32_e32 v70, 56, v70, vcc
; %bb.935:
	s_andn2_saveexec_b64 s[0:1], s[0:1]
	s_cbranch_execz .LBB116_937
; %bb.936:
	v_div_scale_f32 v71, s[2:3], v68, v68, 1.0
	v_rcp_f32_e32 v72, v71
	v_div_scale_f32 v73, vcc, 1.0, v68, 1.0
	v_fma_f32 v74, -v71, v72, 1.0
	v_fmac_f32_e32 v72, v74, v72
	v_mul_f32_e32 v74, v73, v72
	v_fma_f32 v75, -v71, v74, v73
	v_fmac_f32_e32 v74, v75, v72
	v_fma_f32 v71, -v71, v74, v73
	v_div_fmas_f32 v71, v71, v72, v74
	v_div_fixup_f32 v68, v71, v68, 1.0
.LBB116_937:
	s_or_b64 exec, exec, s[0:1]
	v_cmp_ne_u32_e32 vcc, v69, v66
	s_and_saveexec_b64 s[0:1], vcc
	s_xor_b64 s[0:1], exec, s[0:1]
	s_cbranch_execz .LBB116_943
; %bb.938:
	v_cmp_eq_u32_e32 vcc, 55, v69
	s_and_saveexec_b64 s[2:3], vcc
	s_cbranch_execz .LBB116_942
; %bb.939:
	v_cmp_ne_u32_e32 vcc, 55, v66
	s_xor_b64 s[12:13], s[20:21], -1
	s_and_b64 s[14:15], s[12:13], vcc
	s_and_saveexec_b64 s[12:13], s[14:15]
	s_cbranch_execz .LBB116_941
; %bb.940:
	v_ashrrev_i32_e32 v67, 31, v66
	v_lshl_add_u64 v[72:73], v[66:67], 2, v[4:5]
	global_load_dword v67, v[72:73], off
	global_load_dword v69, v[4:5], off offset:220
	s_waitcnt vmcnt(1)
	global_store_dword v[4:5], v67, off offset:220
	s_waitcnt vmcnt(1)
	global_store_dword v[72:73], v69, off
.LBB116_941:
	s_or_b64 exec, exec, s[12:13]
	v_mov_b32_e32 v67, v66
	v_mov_b32_e32 v69, v66
.LBB116_942:
	s_or_b64 exec, exec, s[2:3]
.LBB116_943:
	s_andn2_saveexec_b64 s[0:1], s[0:1]
	s_cbranch_execz .LBB116_945
; %bb.944:
	v_pk_mov_b32 v[72:73], v[0:1], v[14:15] op_sel:[1,0]
	v_mov_b32_e32 v69, 55
	ds_write2_b32 v65, v72, v73 offset0:56 offset1:57
	ds_write_b32 v65, v15 offset:232
.LBB116_945:
	s_or_b64 exec, exec, s[0:1]
	v_cmp_lt_i32_e32 vcc, 55, v69
	s_waitcnt lgkmcnt(0)
	s_barrier
	s_and_saveexec_b64 s[0:1], vcc
	s_cbranch_execz .LBB116_947
; %bb.946:
	ds_read_b32 v66, v65 offset:224
	ds_read2_b32 v[72:73], v65 offset0:57 offset1:58
	v_mul_f32_e32 v0, v68, v0
	s_waitcnt lgkmcnt(1)
	v_fma_f32 v1, -v0, v66, v1
	s_waitcnt lgkmcnt(0)
	v_pk_fma_f32 v[14:15], v[0:1], v[72:73], v[14:15] op_sel_hi:[0,1,1] neg_lo:[1,0,0] neg_hi:[1,0,0]
.LBB116_947:
	s_or_b64 exec, exec, s[0:1]
	v_lshl_add_u32 v66, v69, 2, v65
	s_barrier
	ds_write_b32 v66, v1
	s_waitcnt lgkmcnt(0)
	s_barrier
	ds_read_b32 v68, v65 offset:224
	s_cmp_lt_i32 s22, 58
	v_mov_b32_e32 v66, 56
	s_cbranch_scc1 .LBB116_950
; %bb.948:
	v_add_u32_e32 v71, 0xe4, v65
	v_mov_b32_e32 v66, 56
	s_mov_b32 s0, 57
.LBB116_949:                            ; =>This Inner Loop Header: Depth=1
	ds_read_b32 v72, v71
	v_mov_b32_e32 v73, s0
	s_add_i32 s0, s0, 1
	v_add_u32_e32 v71, 4, v71
	s_cmp_lg_u32 s22, s0
	s_waitcnt lgkmcnt(0)
	v_cmp_lt_f32_e64 vcc, |v68|, |v72|
	s_nop 1
	v_cndmask_b32_e32 v68, v68, v72, vcc
	v_cndmask_b32_e32 v66, v66, v73, vcc
	s_cbranch_scc1 .LBB116_949
.LBB116_950:
	s_waitcnt lgkmcnt(0)
	v_cmp_eq_f32_e32 vcc, 0, v68
	s_and_saveexec_b64 s[0:1], vcc
	s_xor_b64 s[0:1], exec, s[0:1]
; %bb.951:
	v_cmp_ne_u32_e32 vcc, 0, v70
	s_nop 1
	v_cndmask_b32_e32 v70, 57, v70, vcc
; %bb.952:
	s_andn2_saveexec_b64 s[0:1], s[0:1]
	s_cbranch_execz .LBB116_954
; %bb.953:
	v_div_scale_f32 v71, s[2:3], v68, v68, 1.0
	v_rcp_f32_e32 v72, v71
	v_div_scale_f32 v73, vcc, 1.0, v68, 1.0
	v_fma_f32 v74, -v71, v72, 1.0
	v_fmac_f32_e32 v72, v74, v72
	v_mul_f32_e32 v74, v73, v72
	v_fma_f32 v75, -v71, v74, v73
	v_fmac_f32_e32 v74, v75, v72
	v_fma_f32 v71, -v71, v74, v73
	v_div_fmas_f32 v71, v71, v72, v74
	v_div_fixup_f32 v68, v71, v68, 1.0
.LBB116_954:
	s_or_b64 exec, exec, s[0:1]
	v_cmp_ne_u32_e32 vcc, v69, v66
	s_and_saveexec_b64 s[0:1], vcc
	s_xor_b64 s[0:1], exec, s[0:1]
	s_cbranch_execz .LBB116_960
; %bb.955:
	v_cmp_eq_u32_e32 vcc, 56, v69
	s_and_saveexec_b64 s[2:3], vcc
	s_cbranch_execz .LBB116_959
; %bb.956:
	v_cmp_ne_u32_e32 vcc, 56, v66
	s_xor_b64 s[12:13], s[20:21], -1
	s_and_b64 s[14:15], s[12:13], vcc
	s_and_saveexec_b64 s[12:13], s[14:15]
	s_cbranch_execz .LBB116_958
; %bb.957:
	v_ashrrev_i32_e32 v67, 31, v66
	v_lshl_add_u64 v[72:73], v[66:67], 2, v[4:5]
	global_load_dword v67, v[72:73], off
	global_load_dword v69, v[4:5], off offset:224
	s_waitcnt vmcnt(1)
	global_store_dword v[4:5], v67, off offset:224
	s_waitcnt vmcnt(1)
	global_store_dword v[72:73], v69, off
.LBB116_958:
	s_or_b64 exec, exec, s[12:13]
	v_mov_b32_e32 v67, v66
	v_mov_b32_e32 v69, v66
.LBB116_959:
	s_or_b64 exec, exec, s[2:3]
.LBB116_960:
	s_andn2_saveexec_b64 s[0:1], s[0:1]
; %bb.961:
	v_mov_b32_e32 v69, 56
	ds_write2_b32 v65, v14, v15 offset0:57 offset1:58
; %bb.962:
	s_or_b64 exec, exec, s[0:1]
	v_cmp_lt_i32_e32 vcc, 56, v69
	s_waitcnt lgkmcnt(0)
	s_barrier
	s_and_saveexec_b64 s[0:1], vcc
	s_cbranch_execz .LBB116_964
; %bb.963:
	ds_read2_b32 v[72:73], v65 offset0:57 offset1:58
	v_mul_f32_e32 v66, v68, v1
	v_mov_b32_e32 v1, v66
	s_waitcnt lgkmcnt(0)
	v_pk_fma_f32 v[14:15], v[66:67], v[72:73], v[14:15] op_sel_hi:[0,1,1] neg_lo:[1,0,0] neg_hi:[1,0,0]
.LBB116_964:
	s_or_b64 exec, exec, s[0:1]
	v_lshl_add_u32 v66, v69, 2, v65
	s_barrier
	ds_write_b32 v66, v14
	s_waitcnt lgkmcnt(0)
	s_barrier
	ds_read_b32 v68, v65 offset:228
	s_cmp_lt_i32 s22, 59
	v_mov_b32_e32 v66, 57
	s_cbranch_scc1 .LBB116_967
; %bb.965:
	v_add_u32_e32 v71, 0xe8, v65
	v_mov_b32_e32 v66, 57
	s_mov_b32 s0, 58
.LBB116_966:                            ; =>This Inner Loop Header: Depth=1
	ds_read_b32 v72, v71
	v_mov_b32_e32 v73, s0
	s_add_i32 s0, s0, 1
	v_add_u32_e32 v71, 4, v71
	s_cmp_lg_u32 s22, s0
	s_waitcnt lgkmcnt(0)
	v_cmp_lt_f32_e64 vcc, |v68|, |v72|
	s_nop 1
	v_cndmask_b32_e32 v68, v68, v72, vcc
	v_cndmask_b32_e32 v66, v66, v73, vcc
	s_cbranch_scc1 .LBB116_966
.LBB116_967:
	s_waitcnt lgkmcnt(0)
	v_cmp_eq_f32_e32 vcc, 0, v68
	s_and_saveexec_b64 s[0:1], vcc
	s_xor_b64 s[0:1], exec, s[0:1]
; %bb.968:
	v_cmp_ne_u32_e32 vcc, 0, v70
	s_nop 1
	v_cndmask_b32_e32 v70, 58, v70, vcc
; %bb.969:
	s_andn2_saveexec_b64 s[0:1], s[0:1]
	s_cbranch_execz .LBB116_971
; %bb.970:
	v_div_scale_f32 v71, s[2:3], v68, v68, 1.0
	v_rcp_f32_e32 v72, v71
	v_div_scale_f32 v73, vcc, 1.0, v68, 1.0
	v_fma_f32 v74, -v71, v72, 1.0
	v_fmac_f32_e32 v72, v74, v72
	v_mul_f32_e32 v74, v73, v72
	v_fma_f32 v75, -v71, v74, v73
	v_fmac_f32_e32 v74, v75, v72
	v_fma_f32 v71, -v71, v74, v73
	v_div_fmas_f32 v71, v71, v72, v74
	v_div_fixup_f32 v68, v71, v68, 1.0
.LBB116_971:
	s_or_b64 exec, exec, s[0:1]
	v_cmp_ne_u32_e32 vcc, v69, v66
	s_and_saveexec_b64 s[0:1], vcc
	s_xor_b64 s[0:1], exec, s[0:1]
	s_cbranch_execz .LBB116_977
; %bb.972:
	v_cmp_eq_u32_e32 vcc, 57, v69
	s_and_saveexec_b64 s[2:3], vcc
	s_cbranch_execz .LBB116_976
; %bb.973:
	v_cmp_ne_u32_e32 vcc, 57, v66
	s_xor_b64 s[12:13], s[20:21], -1
	s_and_b64 s[14:15], s[12:13], vcc
	s_and_saveexec_b64 s[12:13], s[14:15]
	s_cbranch_execz .LBB116_975
; %bb.974:
	v_ashrrev_i32_e32 v67, 31, v66
	v_lshl_add_u64 v[72:73], v[66:67], 2, v[4:5]
	global_load_dword v67, v[72:73], off
	global_load_dword v69, v[4:5], off offset:228
	s_waitcnt vmcnt(1)
	global_store_dword v[4:5], v67, off offset:228
	s_waitcnt vmcnt(1)
	global_store_dword v[72:73], v69, off
.LBB116_975:
	s_or_b64 exec, exec, s[12:13]
	v_mov_b32_e32 v67, v66
	v_mov_b32_e32 v69, v66
.LBB116_976:
	s_or_b64 exec, exec, s[2:3]
.LBB116_977:
	s_andn2_saveexec_b64 s[0:1], s[0:1]
; %bb.978:
	v_mov_b32_e32 v69, 57
	ds_write_b32 v65, v15 offset:232
; %bb.979:
	s_or_b64 exec, exec, s[0:1]
	v_cmp_lt_i32_e32 vcc, 57, v69
	s_waitcnt lgkmcnt(0)
	s_barrier
	s_and_saveexec_b64 s[0:1], vcc
	s_cbranch_execz .LBB116_981
; %bb.980:
	ds_read_b32 v66, v65 offset:232
	v_mul_f32_e32 v14, v68, v14
	s_waitcnt lgkmcnt(0)
	v_fma_f32 v15, -v14, v66, v15
.LBB116_981:
	s_or_b64 exec, exec, s[0:1]
	v_lshl_add_u32 v66, v69, 2, v65
	s_barrier
	ds_write_b32 v66, v15
	s_waitcnt lgkmcnt(0)
	s_barrier
	ds_read_b32 v71, v65 offset:232
	s_cmp_lt_i32 s22, 60
	v_mov_b32_e32 v66, 58
	s_cbranch_scc1 .LBB116_984
; %bb.982:
	v_add_u32_e32 v65, 0xec, v65
	v_mov_b32_e32 v66, 58
	s_mov_b32 s0, 59
.LBB116_983:                            ; =>This Inner Loop Header: Depth=1
	ds_read_b32 v68, v65
	v_mov_b32_e32 v72, s0
	s_add_i32 s0, s0, 1
	v_add_u32_e32 v65, 4, v65
	s_cmp_lg_u32 s22, s0
	s_waitcnt lgkmcnt(0)
	v_cmp_lt_f32_e64 vcc, |v71|, |v68|
	s_nop 1
	v_cndmask_b32_e32 v71, v71, v68, vcc
	v_cndmask_b32_e32 v66, v66, v72, vcc
	s_cbranch_scc1 .LBB116_983
.LBB116_984:
	s_waitcnt lgkmcnt(0)
	v_cmp_eq_f32_e32 vcc, 0, v71
	s_and_saveexec_b64 s[0:1], vcc
	s_xor_b64 s[0:1], exec, s[0:1]
; %bb.985:
	v_cmp_ne_u32_e32 vcc, 0, v70
	s_nop 1
	v_cndmask_b32_e32 v70, 59, v70, vcc
; %bb.986:
	s_andn2_saveexec_b64 s[0:1], s[0:1]
	s_cbranch_execz .LBB116_988
; %bb.987:
	v_div_scale_f32 v65, s[2:3], v71, v71, 1.0
	v_rcp_f32_e32 v68, v65
	v_div_scale_f32 v72, vcc, 1.0, v71, 1.0
	v_fma_f32 v73, -v65, v68, 1.0
	v_fmac_f32_e32 v68, v73, v68
	v_mul_f32_e32 v73, v72, v68
	v_fma_f32 v74, -v65, v73, v72
	v_fmac_f32_e32 v73, v74, v68
	v_fma_f32 v65, -v65, v73, v72
	v_div_fmas_f32 v65, v65, v68, v73
	v_div_fixup_f32 v71, v65, v71, 1.0
.LBB116_988:
	s_or_b64 exec, exec, s[0:1]
	v_cmp_ne_u32_e32 vcc, v69, v66
	v_mov_b32_e32 v68, 58
	s_and_saveexec_b64 s[0:1], vcc
	s_cbranch_execz .LBB116_994
; %bb.989:
	v_cmp_eq_u32_e32 vcc, 58, v69
	s_and_saveexec_b64 s[2:3], vcc
	s_cbranch_execz .LBB116_993
; %bb.990:
	v_cmp_ne_u32_e32 vcc, 58, v66
	s_xor_b64 s[12:13], s[20:21], -1
	s_and_b64 s[14:15], s[12:13], vcc
	s_and_saveexec_b64 s[12:13], s[14:15]
	s_cbranch_execz .LBB116_992
; %bb.991:
	v_ashrrev_i32_e32 v67, 31, v66
	v_lshl_add_u64 v[68:69], v[66:67], 2, v[4:5]
	global_load_dword v65, v[68:69], off
	global_load_dword v67, v[4:5], off offset:232
	s_waitcnt vmcnt(1)
	global_store_dword v[4:5], v65, off offset:232
	s_waitcnt vmcnt(1)
	global_store_dword v[68:69], v67, off
.LBB116_992:
	s_or_b64 exec, exec, s[12:13]
	v_mov_b32_e32 v67, v66
	v_mov_b32_e32 v69, v66
.LBB116_993:
	s_or_b64 exec, exec, s[2:3]
	v_mov_b32_e32 v68, v69
.LBB116_994:
	s_or_b64 exec, exec, s[0:1]
	v_cmp_gt_i32_e32 vcc, 59, v68
	v_ashrrev_i32_e32 v69, 31, v68
	s_barrier
	s_barrier
	s_and_saveexec_b64 s[0:1], vcc
	s_cbranch_execz .LBB116_996
; %bb.995:
	v_mul_lo_u32 v65, s11, v2
	v_mul_lo_u32 v66, s10, v3
	v_mad_u64_u32 v[72:73], s[2:3], s10, v2, 0
	v_mov_b32_e32 v4, s6
	v_mov_b32_e32 v5, s7
	v_add3_u32 v73, v73, v66, v65
	v_lshl_add_u64 v[4:5], v[72:73], 2, v[4:5]
	v_lshl_add_u64 v[4:5], s[8:9], 2, v[4:5]
	;; [unrolled: 1-line block ×3, first 2 shown]
	v_add3_u32 v65, v67, s19, 1
	global_store_dword v[4:5], v65, off
.LBB116_996:
	s_or_b64 exec, exec, s[0:1]
	v_cmp_eq_u32_e32 vcc, 0, v68
	s_and_saveexec_b64 s[2:3], vcc
	s_cbranch_execz .LBB116_999
; %bb.997:
	v_mov_b32_e32 v4, s4
	v_mov_b32_e32 v5, s5
	v_lshl_add_u64 v[2:3], v[2:3], 2, v[4:5]
	global_load_dword v4, v[2:3], off
	v_cmp_ne_u32_e64 s[0:1], 0, v70
	s_waitcnt vmcnt(0)
	v_cmp_eq_u32_e32 vcc, 0, v4
	s_and_b64 s[0:1], vcc, s[0:1]
	s_and_b64 exec, exec, s[0:1]
	s_cbranch_execz .LBB116_999
; %bb.998:
	v_add_u32_e32 v4, s19, v70
	global_store_dword v[2:3], v4, off
.LBB116_999:
	s_or_b64 exec, exec, s[2:3]
	v_mul_f32_e32 v2, v71, v15
	v_cmp_lt_i32_e32 vcc, 58, v68
	s_nop 1
	v_cndmask_b32_e32 v15, v15, v2, vcc
	v_lshl_add_u64 v[2:3], v[68:69], 2, v[6:7]
	global_store_dword v[2:3], v64, off
	v_lshl_add_u64 v[2:3], s[16:17], 2, v[2:3]
	global_store_dword v[2:3], v54, off
	v_add_u32_e32 v2, s18, v68
	v_ashrrev_i32_e32 v3, 31, v2
	v_lshl_add_u64 v[4:5], v[2:3], 2, v[6:7]
	v_add_u32_e32 v2, s16, v2
	v_ashrrev_i32_e32 v3, 31, v2
	global_store_dword v[4:5], v55, off
	v_lshl_add_u64 v[4:5], v[2:3], 2, v[6:7]
	v_add_u32_e32 v2, s16, v2
	v_ashrrev_i32_e32 v3, 31, v2
	global_store_dword v[4:5], v52, off
	;; [unrolled: 4-line block ×54, first 2 shown]
	v_lshl_add_u64 v[4:5], v[2:3], 2, v[6:7]
	v_add_u32_e32 v0, s16, v2
	global_store_dword v[4:5], v1, off
	v_ashrrev_i32_e32 v1, 31, v0
	v_lshl_add_u64 v[2:3], v[0:1], 2, v[6:7]
	v_add_u32_e32 v0, s16, v0
	v_ashrrev_i32_e32 v1, 31, v0
	v_lshl_add_u64 v[0:1], v[0:1], 2, v[6:7]
	global_store_dword v[2:3], v14, off
	global_store_dword v[0:1], v15, off
.LBB116_1000:
	s_endpgm
	.section	.rodata,"a",@progbits
	.p2align	6, 0x0
	.amdhsa_kernel _ZN9rocsolver6v33100L18getf2_small_kernelILi59EfiiPfEEvT1_T3_lS3_lPS3_llPT2_S3_S3_S5_l
		.amdhsa_group_segment_fixed_size 0
		.amdhsa_private_segment_fixed_size 0
		.amdhsa_kernarg_size 352
		.amdhsa_user_sgpr_count 2
		.amdhsa_user_sgpr_dispatch_ptr 0
		.amdhsa_user_sgpr_queue_ptr 0
		.amdhsa_user_sgpr_kernarg_segment_ptr 1
		.amdhsa_user_sgpr_dispatch_id 0
		.amdhsa_user_sgpr_kernarg_preload_length 0
		.amdhsa_user_sgpr_kernarg_preload_offset 0
		.amdhsa_user_sgpr_private_segment_size 0
		.amdhsa_uses_dynamic_stack 0
		.amdhsa_enable_private_segment 0
		.amdhsa_system_sgpr_workgroup_id_x 1
		.amdhsa_system_sgpr_workgroup_id_y 1
		.amdhsa_system_sgpr_workgroup_id_z 0
		.amdhsa_system_sgpr_workgroup_info 0
		.amdhsa_system_vgpr_workitem_id 1
		.amdhsa_next_free_vgpr 88
		.amdhsa_next_free_sgpr 26
		.amdhsa_accum_offset 88
		.amdhsa_reserve_vcc 1
		.amdhsa_float_round_mode_32 0
		.amdhsa_float_round_mode_16_64 0
		.amdhsa_float_denorm_mode_32 3
		.amdhsa_float_denorm_mode_16_64 3
		.amdhsa_dx10_clamp 1
		.amdhsa_ieee_mode 1
		.amdhsa_fp16_overflow 0
		.amdhsa_tg_split 0
		.amdhsa_exception_fp_ieee_invalid_op 0
		.amdhsa_exception_fp_denorm_src 0
		.amdhsa_exception_fp_ieee_div_zero 0
		.amdhsa_exception_fp_ieee_overflow 0
		.amdhsa_exception_fp_ieee_underflow 0
		.amdhsa_exception_fp_ieee_inexact 0
		.amdhsa_exception_int_div_zero 0
	.end_amdhsa_kernel
	.section	.text._ZN9rocsolver6v33100L18getf2_small_kernelILi59EfiiPfEEvT1_T3_lS3_lPS3_llPT2_S3_S3_S5_l,"axG",@progbits,_ZN9rocsolver6v33100L18getf2_small_kernelILi59EfiiPfEEvT1_T3_lS3_lPS3_llPT2_S3_S3_S5_l,comdat
.Lfunc_end116:
	.size	_ZN9rocsolver6v33100L18getf2_small_kernelILi59EfiiPfEEvT1_T3_lS3_lPS3_llPT2_S3_S3_S5_l, .Lfunc_end116-_ZN9rocsolver6v33100L18getf2_small_kernelILi59EfiiPfEEvT1_T3_lS3_lPS3_llPT2_S3_S3_S5_l
                                        ; -- End function
	.set _ZN9rocsolver6v33100L18getf2_small_kernelILi59EfiiPfEEvT1_T3_lS3_lPS3_llPT2_S3_S3_S5_l.num_vgpr, 88
	.set _ZN9rocsolver6v33100L18getf2_small_kernelILi59EfiiPfEEvT1_T3_lS3_lPS3_llPT2_S3_S3_S5_l.num_agpr, 0
	.set _ZN9rocsolver6v33100L18getf2_small_kernelILi59EfiiPfEEvT1_T3_lS3_lPS3_llPT2_S3_S3_S5_l.numbered_sgpr, 26
	.set _ZN9rocsolver6v33100L18getf2_small_kernelILi59EfiiPfEEvT1_T3_lS3_lPS3_llPT2_S3_S3_S5_l.num_named_barrier, 0
	.set _ZN9rocsolver6v33100L18getf2_small_kernelILi59EfiiPfEEvT1_T3_lS3_lPS3_llPT2_S3_S3_S5_l.private_seg_size, 0
	.set _ZN9rocsolver6v33100L18getf2_small_kernelILi59EfiiPfEEvT1_T3_lS3_lPS3_llPT2_S3_S3_S5_l.uses_vcc, 1
	.set _ZN9rocsolver6v33100L18getf2_small_kernelILi59EfiiPfEEvT1_T3_lS3_lPS3_llPT2_S3_S3_S5_l.uses_flat_scratch, 0
	.set _ZN9rocsolver6v33100L18getf2_small_kernelILi59EfiiPfEEvT1_T3_lS3_lPS3_llPT2_S3_S3_S5_l.has_dyn_sized_stack, 0
	.set _ZN9rocsolver6v33100L18getf2_small_kernelILi59EfiiPfEEvT1_T3_lS3_lPS3_llPT2_S3_S3_S5_l.has_recursion, 0
	.set _ZN9rocsolver6v33100L18getf2_small_kernelILi59EfiiPfEEvT1_T3_lS3_lPS3_llPT2_S3_S3_S5_l.has_indirect_call, 0
	.section	.AMDGPU.csdata,"",@progbits
; Kernel info:
; codeLenInByte = 53868
; TotalNumSgprs: 32
; NumVgprs: 88
; NumAgprs: 0
; TotalNumVgprs: 88
; ScratchSize: 0
; MemoryBound: 0
; FloatMode: 240
; IeeeMode: 1
; LDSByteSize: 0 bytes/workgroup (compile time only)
; SGPRBlocks: 3
; VGPRBlocks: 10
; NumSGPRsForWavesPerEU: 32
; NumVGPRsForWavesPerEU: 88
; AccumOffset: 88
; Occupancy: 5
; WaveLimiterHint : 0
; COMPUTE_PGM_RSRC2:SCRATCH_EN: 0
; COMPUTE_PGM_RSRC2:USER_SGPR: 2
; COMPUTE_PGM_RSRC2:TRAP_HANDLER: 0
; COMPUTE_PGM_RSRC2:TGID_X_EN: 1
; COMPUTE_PGM_RSRC2:TGID_Y_EN: 1
; COMPUTE_PGM_RSRC2:TGID_Z_EN: 0
; COMPUTE_PGM_RSRC2:TIDIG_COMP_CNT: 1
; COMPUTE_PGM_RSRC3_GFX90A:ACCUM_OFFSET: 21
; COMPUTE_PGM_RSRC3_GFX90A:TG_SPLIT: 0
	.section	.text._ZN9rocsolver6v33100L23getf2_npvt_small_kernelILi59EfiiPfEEvT1_T3_lS3_lPT2_S3_S3_,"axG",@progbits,_ZN9rocsolver6v33100L23getf2_npvt_small_kernelILi59EfiiPfEEvT1_T3_lS3_lPT2_S3_S3_,comdat
	.globl	_ZN9rocsolver6v33100L23getf2_npvt_small_kernelILi59EfiiPfEEvT1_T3_lS3_lPT2_S3_S3_ ; -- Begin function _ZN9rocsolver6v33100L23getf2_npvt_small_kernelILi59EfiiPfEEvT1_T3_lS3_lPT2_S3_S3_
	.p2align	8
	.type	_ZN9rocsolver6v33100L23getf2_npvt_small_kernelILi59EfiiPfEEvT1_T3_lS3_lPT2_S3_S3_,@function
_ZN9rocsolver6v33100L23getf2_npvt_small_kernelILi59EfiiPfEEvT1_T3_lS3_lPT2_S3_S3_: ; @_ZN9rocsolver6v33100L23getf2_npvt_small_kernelILi59EfiiPfEEvT1_T3_lS3_lPT2_S3_S3_
; %bb.0:
	s_load_dword s2, s[0:1], 0x44
	s_load_dwordx2 s[8:9], s[0:1], 0x30
	v_bfe_u32 v180, v0, 10, 10
	s_waitcnt lgkmcnt(0)
	s_lshr_b32 s10, s2, 16
	s_mul_i32 s3, s3, s10
	v_add_u32_e32 v34, s3, v180
	v_cmp_gt_i32_e32 vcc, s8, v34
	s_and_saveexec_b64 s[2:3], vcc
	s_cbranch_execz .LBB117_327
; %bb.1:
	s_load_dwordx4 s[12:15], s[0:1], 0x8
	s_load_dword s2, s[0:1], 0x18
	s_load_dwordx4 s[4:7], s[0:1], 0x20
	v_and_b32_e32 v25, 0x3ff, v0
	v_ashrrev_i32_e32 v35, 31, v34
	s_waitcnt lgkmcnt(0)
	v_mov_b32_e32 v2, s12
	v_mov_b32_e32 v3, s13
	v_mad_u64_u32 v[0:1], s[0:1], s4, v34, 0
	s_add_i32 s0, s2, s2
	s_nop 0
	v_add_u32_e32 v6, s0, v25
	v_add_u32_e32 v8, s2, v6
	;; [unrolled: 1-line block ×50, first 2 shown]
	v_mul_lo_u32 v4, s5, v34
	v_mul_lo_u32 v5, s4, v35
	v_add_u32_e32 v158, s2, v156
	v_add3_u32 v1, v1, v5, v4
	v_add_u32_e32 v160, s2, v158
	v_lshl_add_u64 v[0:1], v[0:1], 2, v[2:3]
	v_add_u32_e32 v162, s2, v160
	v_lshl_add_u64 v[176:177], s[14:15], 2, v[0:1]
	v_lshlrev_b32_e32 v0, 2, v25
	v_mov_b32_e32 v1, 0
	v_ashrrev_i32_e32 v7, 31, v6
	v_ashrrev_i32_e32 v9, 31, v8
	;; [unrolled: 1-line block ×47, first 2 shown]
	v_add_u32_e32 v172, s2, v162
	s_ashr_i32 s3, s2, 31
	v_lshl_add_u64 v[0:1], v[176:177], 0, v[0:1]
	v_lshl_add_u64 v[4:5], v[6:7], 2, v[176:177]
	;; [unrolled: 1-line block ×48, first 2 shown]
	v_ashrrev_i32_e32 v153, 31, v152
	v_ashrrev_i32_e32 v155, 31, v154
	;; [unrolled: 1-line block ×7, first 2 shown]
	v_lshl_add_u64 v[2:3], s[2:3], 2, v[0:1]
	global_load_dword v24, v[0:1], off
	global_load_dword v18, v[2:3], off
	;; [unrolled: 1-line block ×48, first 2 shown]
	v_lshl_add_u64 v[150:151], v[152:153], 2, v[176:177]
	v_lshl_add_u64 v[152:153], v[154:155], 2, v[176:177]
	;; [unrolled: 1-line block ×7, first 2 shown]
	global_load_dword v145, v[148:149], off
	global_load_dword v166, v[150:151], off
	;; [unrolled: 1-line block ×8, first 2 shown]
	v_add_u32_e32 v174, s2, v172
	v_add_u32_e32 v178, s2, v174
	v_ashrrev_i32_e32 v175, 31, v174
	v_ashrrev_i32_e32 v179, 31, v178
	v_lshl_add_u64 v[172:173], v[174:175], 2, v[176:177]
	v_lshl_add_u64 v[174:175], v[178:179], 2, v[176:177]
	v_add_u32_e32 v178, s2, v178
	v_ashrrev_i32_e32 v179, 31, v178
	v_lshl_add_u64 v[176:177], v[178:179], 2, v[176:177]
	global_load_dword v165, v[172:173], off
	global_load_dword v178, v[174:175], off
	;; [unrolled: 1-line block ×3, first 2 shown]
	s_mulk_i32 s10, 0xec
	v_cmp_eq_u32_e64 s[0:1], 0, v25
	v_cmp_ne_u32_e64 s[2:3], 0, v25
	s_movk_i32 s11, 0xec
	s_add_i32 s8, s10, 0
	s_and_saveexec_b64 s[4:5], s[2:3]
	s_xor_b64 s[4:5], exec, s[4:5]
	s_or_saveexec_b64 s[4:5], s[4:5]
	v_mad_u32_u24 v181, v180, s11, 0
	v_lshl_add_u32 v180, v180, 2, s8
	s_xor_b64 exec, exec, s[4:5]
	s_cbranch_execz .LBB117_5
; %bb.2:
	s_waitcnt vmcnt(58)
	ds_write_b32 v180, v24
	s_waitcnt vmcnt(56)
	ds_write2_b32 v181, v18, v19 offset0:1 offset1:2
	s_waitcnt vmcnt(54)
	ds_write2_b32 v181, v20, v21 offset0:3 offset1:4
	;; [unrolled: 2-line block ×29, first 2 shown]
	ds_read_b32 v182, v180
	s_waitcnt lgkmcnt(0)
	v_cmp_neq_f32_e32 vcc, 0, v182
	s_and_saveexec_b64 s[10:11], vcc
	s_cbranch_execz .LBB117_4
; %bb.3:
	v_div_scale_f32 v183, s[12:13], v182, v182, 1.0
	v_rcp_f32_e32 v184, v183
	v_div_scale_f32 v185, vcc, 1.0, v182, 1.0
	v_fma_f32 v186, -v183, v184, 1.0
	v_fmac_f32_e32 v184, v186, v184
	v_mul_f32_e32 v186, v185, v184
	v_fma_f32 v187, -v183, v186, v185
	v_fmac_f32_e32 v186, v187, v184
	v_fma_f32 v183, -v183, v186, v185
	v_div_fmas_f32 v183, v183, v184, v186
	v_div_fixup_f32 v182, v183, v182, 1.0
	ds_write_b32 v180, v182
.LBB117_4:
	s_or_b64 exec, exec, s[10:11]
.LBB117_5:
	s_or_b64 exec, exec, s[4:5]
	s_waitcnt lgkmcnt(0)
	s_barrier
	ds_read_b32 v182, v180
	s_and_saveexec_b64 s[4:5], s[2:3]
	s_cbranch_execz .LBB117_7
; %bb.6:
	ds_read2_b32 v[184:185], v181 offset0:1 offset1:2
	ds_read2_b32 v[186:187], v181 offset0:3 offset1:4
	;; [unrolled: 1-line block ×3, first 2 shown]
	s_waitcnt vmcnt(58) lgkmcnt(3)
	v_mul_f32_e32 v24, v182, v24
	ds_read2_b32 v[190:191], v181 offset0:7 offset1:8
	s_waitcnt vmcnt(56) lgkmcnt(3)
	v_pk_fma_f32 v[18:19], v[24:25], v[184:185], v[18:19] op_sel_hi:[0,1,1] neg_lo:[1,0,0] neg_hi:[1,0,0]
	s_waitcnt vmcnt(54) lgkmcnt(2)
	v_pk_fma_f32 v[20:21], v[24:25], v[186:187], v[20:21] op_sel_hi:[0,1,1] neg_lo:[1,0,0] neg_hi:[1,0,0]
	s_waitcnt vmcnt(52) lgkmcnt(1)
	v_pk_fma_f32 v[22:23], v[24:25], v[188:189], v[22:23] op_sel_hi:[0,1,1] neg_lo:[1,0,0] neg_hi:[1,0,0]
	ds_read2_b32 v[184:185], v181 offset0:9 offset1:10
	ds_read2_b32 v[186:187], v181 offset0:11 offset1:12
	ds_read2_b32 v[188:189], v181 offset0:13 offset1:14
	s_waitcnt vmcnt(50) lgkmcnt(3)
	v_pk_fma_f32 v[16:17], v[24:25], v[190:191], v[16:17] op_sel_hi:[0,1,1] neg_lo:[1,0,0] neg_hi:[1,0,0]
	ds_read2_b32 v[190:191], v181 offset0:15 offset1:16
	s_waitcnt vmcnt(48) lgkmcnt(3)
	v_pk_fma_f32 v[46:47], v[24:25], v[184:185], v[46:47] op_sel_hi:[0,1,1] neg_lo:[1,0,0] neg_hi:[1,0,0]
	s_waitcnt vmcnt(46) lgkmcnt(2)
	v_pk_fma_f32 v[50:51], v[24:25], v[186:187], v[50:51] op_sel_hi:[0,1,1] neg_lo:[1,0,0] neg_hi:[1,0,0]
	s_waitcnt vmcnt(44) lgkmcnt(1)
	v_pk_fma_f32 v[44:45], v[24:25], v[188:189], v[44:45] op_sel_hi:[0,1,1] neg_lo:[1,0,0] neg_hi:[1,0,0]
	ds_read2_b32 v[184:185], v181 offset0:17 offset1:18
	ds_read2_b32 v[186:187], v181 offset0:19 offset1:20
	ds_read2_b32 v[188:189], v181 offset0:21 offset1:22
	s_waitcnt vmcnt(42) lgkmcnt(3)
	v_pk_fma_f32 v[48:49], v[24:25], v[190:191], v[48:49] op_sel_hi:[0,1,1] neg_lo:[1,0,0] neg_hi:[1,0,0]
	ds_read2_b32 v[190:191], v181 offset0:23 offset1:24
	s_waitcnt vmcnt(40) lgkmcnt(3)
	v_pk_fma_f32 v[74:75], v[24:25], v[184:185], v[74:75] op_sel_hi:[0,1,1] neg_lo:[1,0,0] neg_hi:[1,0,0]
	s_waitcnt vmcnt(38) lgkmcnt(2)
	v_pk_fma_f32 v[68:69], v[24:25], v[186:187], v[68:69] op_sel_hi:[0,1,1] neg_lo:[1,0,0] neg_hi:[1,0,0]
	s_waitcnt vmcnt(36) lgkmcnt(1)
	v_pk_fma_f32 v[70:71], v[24:25], v[188:189], v[70:71] op_sel_hi:[0,1,1] neg_lo:[1,0,0] neg_hi:[1,0,0]
	ds_read2_b32 v[184:185], v181 offset0:25 offset1:26
	ds_read2_b32 v[186:187], v181 offset0:27 offset1:28
	ds_read2_b32 v[188:189], v181 offset0:29 offset1:30
	s_waitcnt vmcnt(34) lgkmcnt(3)
	v_pk_fma_f32 v[72:73], v[24:25], v[190:191], v[72:73] op_sel_hi:[0,1,1] neg_lo:[1,0,0] neg_hi:[1,0,0]
	ds_read2_b32 v[190:191], v181 offset0:31 offset1:32
	s_waitcnt vmcnt(32) lgkmcnt(3)
	v_pk_fma_f32 v[94:95], v[24:25], v[184:185], v[94:95] op_sel_hi:[0,1,1] neg_lo:[1,0,0] neg_hi:[1,0,0]
	s_waitcnt vmcnt(30) lgkmcnt(2)
	v_pk_fma_f32 v[96:97], v[24:25], v[186:187], v[96:97] op_sel_hi:[0,1,1] neg_lo:[1,0,0] neg_hi:[1,0,0]
	s_waitcnt vmcnt(28) lgkmcnt(1)
	v_pk_fma_f32 v[98:99], v[24:25], v[188:189], v[98:99] op_sel_hi:[0,1,1] neg_lo:[1,0,0] neg_hi:[1,0,0]
	ds_read2_b32 v[184:185], v181 offset0:33 offset1:34
	ds_read2_b32 v[186:187], v181 offset0:35 offset1:36
	ds_read2_b32 v[188:189], v181 offset0:37 offset1:38
	s_waitcnt vmcnt(26) lgkmcnt(3)
	v_pk_fma_f32 v[92:93], v[24:25], v[190:191], v[92:93] op_sel_hi:[0,1,1] neg_lo:[1,0,0] neg_hi:[1,0,0]
	ds_read2_b32 v[190:191], v181 offset0:39 offset1:40
	s_waitcnt vmcnt(24) lgkmcnt(3)
	v_pk_fma_f32 v[118:119], v[24:25], v[184:185], v[118:119] op_sel_hi:[0,1,1] neg_lo:[1,0,0] neg_hi:[1,0,0]
	s_waitcnt vmcnt(22) lgkmcnt(2)
	v_pk_fma_f32 v[122:123], v[24:25], v[186:187], v[122:123] op_sel_hi:[0,1,1] neg_lo:[1,0,0] neg_hi:[1,0,0]
	;; [unrolled: 2-line block ×3, first 2 shown]
	ds_read2_b32 v[184:185], v181 offset0:41 offset1:42
	ds_read2_b32 v[186:187], v181 offset0:43 offset1:44
	;; [unrolled: 1-line block ×4, first 2 shown]
	s_waitcnt vmcnt(18) lgkmcnt(4)
	v_pk_fma_f32 v[120:121], v[24:25], v[190:191], v[120:121] op_sel_hi:[0,1,1] neg_lo:[1,0,0] neg_hi:[1,0,0]
	s_waitcnt vmcnt(16) lgkmcnt(3)
	v_pk_fma_f32 v[146:147], v[24:25], v[184:185], v[146:147] op_sel_hi:[0,1,1] neg_lo:[1,0,0] neg_hi:[1,0,0]
	;; [unrolled: 2-line block ×5, first 2 shown]
	ds_read2_b32 v[184:185], v181 offset0:49 offset1:50
	ds_read2_b32 v[186:187], v181 offset0:51 offset1:52
	;; [unrolled: 1-line block ×5, first 2 shown]
	s_waitcnt vmcnt(8) lgkmcnt(4)
	v_pk_fma_f32 v[166:167], v[24:25], v[184:185], v[166:167] op_sel_hi:[0,1,1] neg_lo:[1,0,0] neg_hi:[1,0,0]
	s_waitcnt vmcnt(6) lgkmcnt(3)
	v_pk_fma_f32 v[168:169], v[24:25], v[186:187], v[168:169] op_sel_hi:[0,1,1] neg_lo:[1,0,0] neg_hi:[1,0,0]
	;; [unrolled: 2-line block ×5, first 2 shown]
.LBB117_7:
	s_or_b64 exec, exec, s[4:5]
	v_cmp_eq_u32_e32 vcc, 1, v25
	s_waitcnt lgkmcnt(0)
	s_barrier
	s_and_saveexec_b64 s[2:3], vcc
	s_cbranch_execz .LBB117_10
; %bb.8:
	s_waitcnt vmcnt(54)
	v_pk_mov_b32 v[184:185], v[18:19], v[20:21] op_sel:[1,0]
	ds_write_b32 v180, v18
	ds_write2_b32 v181, v184, v185 offset0:2 offset1:3
	s_waitcnt vmcnt(52)
	v_pk_mov_b32 v[184:185], v[20:21], v[22:23] op_sel:[1,0]
	ds_write2_b32 v181, v184, v185 offset0:4 offset1:5
	s_waitcnt vmcnt(50)
	v_pk_mov_b32 v[184:185], v[22:23], v[16:17] op_sel:[1,0]
	;; [unrolled: 3-line block ×27, first 2 shown]
	ds_write2_b32 v181, v184, v185 offset0:56 offset1:57
	ds_write_b32 v181, v179 offset:232
	ds_read_b32 v183, v180
	s_waitcnt lgkmcnt(0)
	v_cmp_neq_f32_e32 vcc, 0, v183
	s_and_b64 exec, exec, vcc
	s_cbranch_execz .LBB117_10
; %bb.9:
	v_div_scale_f32 v184, s[4:5], v183, v183, 1.0
	v_rcp_f32_e32 v185, v184
	v_div_scale_f32 v186, vcc, 1.0, v183, 1.0
	v_fma_f32 v187, -v184, v185, 1.0
	v_fmac_f32_e32 v185, v187, v185
	v_mul_f32_e32 v187, v186, v185
	v_fma_f32 v188, -v184, v187, v186
	v_fmac_f32_e32 v187, v188, v185
	v_fma_f32 v184, -v184, v187, v186
	v_div_fmas_f32 v184, v184, v185, v187
	v_div_fixup_f32 v183, v184, v183, 1.0
	ds_write_b32 v180, v183
.LBB117_10:
	s_or_b64 exec, exec, s[2:3]
	s_waitcnt lgkmcnt(0)
	s_barrier
	ds_read_b32 v183, v180
	v_cmp_lt_u32_e32 vcc, 1, v25
	s_and_saveexec_b64 s[2:3], vcc
	s_cbranch_execz .LBB117_12
; %bb.11:
	ds_read_b32 v190, v181 offset:8
	ds_read2_b32 v[184:185], v181 offset0:3 offset1:4
	ds_read2_b32 v[186:187], v181 offset0:5 offset1:6
	s_waitcnt vmcnt(57) lgkmcnt(3)
	v_mul_f32_e32 v18, v183, v18
	ds_read2_b32 v[188:189], v181 offset0:7 offset1:8
	s_waitcnt vmcnt(56) lgkmcnt(3)
	v_fma_f32 v19, -v18, v190, v19
	s_waitcnt vmcnt(54) lgkmcnt(2)
	v_pk_fma_f32 v[20:21], v[18:19], v[184:185], v[20:21] op_sel_hi:[0,1,1] neg_lo:[1,0,0] neg_hi:[1,0,0]
	s_waitcnt vmcnt(52) lgkmcnt(1)
	v_pk_fma_f32 v[22:23], v[18:19], v[186:187], v[22:23] op_sel_hi:[0,1,1] neg_lo:[1,0,0] neg_hi:[1,0,0]
	ds_read2_b32 v[184:185], v181 offset0:9 offset1:10
	ds_read2_b32 v[186:187], v181 offset0:11 offset1:12
	ds_read2_b32 v[190:191], v181 offset0:13 offset1:14
	s_waitcnt vmcnt(50) lgkmcnt(3)
	v_pk_fma_f32 v[16:17], v[18:19], v[188:189], v[16:17] op_sel_hi:[0,1,1] neg_lo:[1,0,0] neg_hi:[1,0,0]
	ds_read2_b32 v[188:189], v181 offset0:15 offset1:16
	s_waitcnt vmcnt(48) lgkmcnt(3)
	v_pk_fma_f32 v[46:47], v[18:19], v[184:185], v[46:47] op_sel_hi:[0,1,1] neg_lo:[1,0,0] neg_hi:[1,0,0]
	s_waitcnt vmcnt(46) lgkmcnt(2)
	v_pk_fma_f32 v[50:51], v[18:19], v[186:187], v[50:51] op_sel_hi:[0,1,1] neg_lo:[1,0,0] neg_hi:[1,0,0]
	s_waitcnt vmcnt(44) lgkmcnt(1)
	v_pk_fma_f32 v[44:45], v[18:19], v[190:191], v[44:45] op_sel_hi:[0,1,1] neg_lo:[1,0,0] neg_hi:[1,0,0]
	ds_read2_b32 v[184:185], v181 offset0:17 offset1:18
	ds_read2_b32 v[186:187], v181 offset0:19 offset1:20
	ds_read2_b32 v[190:191], v181 offset0:21 offset1:22
	s_waitcnt vmcnt(42) lgkmcnt(3)
	v_pk_fma_f32 v[48:49], v[18:19], v[188:189], v[48:49] op_sel_hi:[0,1,1] neg_lo:[1,0,0] neg_hi:[1,0,0]
	ds_read2_b32 v[188:189], v181 offset0:23 offset1:24
	s_waitcnt vmcnt(40) lgkmcnt(3)
	v_pk_fma_f32 v[74:75], v[18:19], v[184:185], v[74:75] op_sel_hi:[0,1,1] neg_lo:[1,0,0] neg_hi:[1,0,0]
	;; [unrolled: 12-line block ×4, first 2 shown]
	s_waitcnt vmcnt(22) lgkmcnt(2)
	v_pk_fma_f32 v[122:123], v[18:19], v[186:187], v[122:123] op_sel_hi:[0,1,1] neg_lo:[1,0,0] neg_hi:[1,0,0]
	s_waitcnt vmcnt(20) lgkmcnt(1)
	v_pk_fma_f32 v[116:117], v[18:19], v[190:191], v[116:117] op_sel_hi:[0,1,1] neg_lo:[1,0,0] neg_hi:[1,0,0]
	ds_read2_b32 v[184:185], v181 offset0:41 offset1:42
	ds_read2_b32 v[186:187], v181 offset0:43 offset1:44
	;; [unrolled: 1-line block ×4, first 2 shown]
	s_waitcnt vmcnt(18) lgkmcnt(4)
	v_pk_fma_f32 v[120:121], v[18:19], v[188:189], v[120:121] op_sel_hi:[0,1,1] neg_lo:[1,0,0] neg_hi:[1,0,0]
	s_waitcnt vmcnt(16) lgkmcnt(3)
	v_pk_fma_f32 v[146:147], v[18:19], v[184:185], v[146:147] op_sel_hi:[0,1,1] neg_lo:[1,0,0] neg_hi:[1,0,0]
	;; [unrolled: 2-line block ×5, first 2 shown]
	ds_read2_b32 v[184:185], v181 offset0:49 offset1:50
	ds_read2_b32 v[186:187], v181 offset0:51 offset1:52
	;; [unrolled: 1-line block ×5, first 2 shown]
	s_waitcnt vmcnt(8) lgkmcnt(4)
	v_pk_fma_f32 v[166:167], v[18:19], v[184:185], v[166:167] op_sel_hi:[0,1,1] neg_lo:[1,0,0] neg_hi:[1,0,0]
	s_waitcnt vmcnt(6) lgkmcnt(3)
	v_pk_fma_f32 v[168:169], v[18:19], v[186:187], v[168:169] op_sel_hi:[0,1,1] neg_lo:[1,0,0] neg_hi:[1,0,0]
	;; [unrolled: 2-line block ×5, first 2 shown]
.LBB117_12:
	s_or_b64 exec, exec, s[2:3]
	v_cmp_eq_u32_e32 vcc, 2, v25
	s_waitcnt lgkmcnt(0)
	s_barrier
	s_and_saveexec_b64 s[2:3], vcc
	s_cbranch_execz .LBB117_15
; %bb.13:
	s_waitcnt vmcnt(56)
	ds_write_b32 v180, v19
	s_waitcnt vmcnt(54)
	ds_write2_b32 v181, v20, v21 offset0:3 offset1:4
	s_waitcnt vmcnt(52)
	ds_write2_b32 v181, v22, v23 offset0:5 offset1:6
	;; [unrolled: 2-line block ×28, first 2 shown]
	ds_read_b32 v184, v180
	s_waitcnt lgkmcnt(0)
	v_cmp_neq_f32_e32 vcc, 0, v184
	s_and_b64 exec, exec, vcc
	s_cbranch_execz .LBB117_15
; %bb.14:
	v_div_scale_f32 v185, s[4:5], v184, v184, 1.0
	v_rcp_f32_e32 v186, v185
	v_div_scale_f32 v187, vcc, 1.0, v184, 1.0
	v_fma_f32 v188, -v185, v186, 1.0
	v_fmac_f32_e32 v186, v188, v186
	v_mul_f32_e32 v188, v187, v186
	v_fma_f32 v189, -v185, v188, v187
	v_fmac_f32_e32 v188, v189, v186
	v_fma_f32 v185, -v185, v188, v187
	v_div_fmas_f32 v185, v185, v186, v188
	v_div_fixup_f32 v184, v185, v184, 1.0
	ds_write_b32 v180, v184
.LBB117_15:
	s_or_b64 exec, exec, s[2:3]
	s_waitcnt lgkmcnt(0)
	s_barrier
	ds_read_b32 v184, v180
	v_cmp_lt_u32_e32 vcc, 2, v25
	s_and_saveexec_b64 s[2:3], vcc
	s_cbranch_execz .LBB117_17
; %bb.16:
	ds_read2_b32 v[186:187], v181 offset0:3 offset1:4
	ds_read2_b32 v[188:189], v181 offset0:5 offset1:6
	;; [unrolled: 1-line block ×3, first 2 shown]
	s_waitcnt vmcnt(56) lgkmcnt(3)
	v_mul_f32_e32 v192, v184, v19
	ds_read2_b32 v[194:195], v181 offset0:9 offset1:10
	s_waitcnt vmcnt(54) lgkmcnt(3)
	v_pk_fma_f32 v[20:21], v[192:193], v[186:187], v[20:21] op_sel_hi:[0,1,1] neg_lo:[1,0,0] neg_hi:[1,0,0]
	s_waitcnt vmcnt(52) lgkmcnt(2)
	v_pk_fma_f32 v[22:23], v[192:193], v[188:189], v[22:23] op_sel_hi:[0,1,1] neg_lo:[1,0,0] neg_hi:[1,0,0]
	s_waitcnt vmcnt(50) lgkmcnt(1)
	v_pk_fma_f32 v[16:17], v[192:193], v[190:191], v[16:17] op_sel_hi:[0,1,1] neg_lo:[1,0,0] neg_hi:[1,0,0]
	ds_read2_b32 v[186:187], v181 offset0:11 offset1:12
	ds_read2_b32 v[188:189], v181 offset0:13 offset1:14
	ds_read2_b32 v[190:191], v181 offset0:15 offset1:16
	s_waitcnt vmcnt(48) lgkmcnt(3)
	v_pk_fma_f32 v[46:47], v[192:193], v[194:195], v[46:47] op_sel_hi:[0,1,1] neg_lo:[1,0,0] neg_hi:[1,0,0]
	ds_read2_b32 v[194:195], v181 offset0:17 offset1:18
	s_waitcnt vmcnt(46) lgkmcnt(3)
	v_pk_fma_f32 v[50:51], v[192:193], v[186:187], v[50:51] op_sel_hi:[0,1,1] neg_lo:[1,0,0] neg_hi:[1,0,0]
	s_waitcnt vmcnt(44) lgkmcnt(2)
	v_pk_fma_f32 v[44:45], v[192:193], v[188:189], v[44:45] op_sel_hi:[0,1,1] neg_lo:[1,0,0] neg_hi:[1,0,0]
	s_waitcnt vmcnt(42) lgkmcnt(1)
	v_pk_fma_f32 v[48:49], v[192:193], v[190:191], v[48:49] op_sel_hi:[0,1,1] neg_lo:[1,0,0] neg_hi:[1,0,0]
	ds_read2_b32 v[186:187], v181 offset0:19 offset1:20
	ds_read2_b32 v[188:189], v181 offset0:21 offset1:22
	ds_read2_b32 v[190:191], v181 offset0:23 offset1:24
	s_waitcnt vmcnt(40) lgkmcnt(3)
	v_pk_fma_f32 v[74:75], v[192:193], v[194:195], v[74:75] op_sel_hi:[0,1,1] neg_lo:[1,0,0] neg_hi:[1,0,0]
	;; [unrolled: 12-line block ×5, first 2 shown]
	ds_read2_b32 v[194:195], v181 offset0:49 offset1:50
	s_waitcnt vmcnt(14) lgkmcnt(3)
	v_pk_fma_f32 v[140:141], v[192:193], v[186:187], v[140:141] op_sel_hi:[0,1,1] neg_lo:[1,0,0] neg_hi:[1,0,0]
	s_waitcnt vmcnt(12) lgkmcnt(2)
	v_pk_fma_f32 v[142:143], v[192:193], v[188:189], v[142:143] op_sel_hi:[0,1,1] neg_lo:[1,0,0] neg_hi:[1,0,0]
	;; [unrolled: 2-line block ×3, first 2 shown]
	ds_read2_b32 v[186:187], v181 offset0:51 offset1:52
	ds_read2_b32 v[188:189], v181 offset0:53 offset1:54
	;; [unrolled: 1-line block ×4, first 2 shown]
	s_waitcnt vmcnt(8) lgkmcnt(4)
	v_pk_fma_f32 v[166:167], v[192:193], v[194:195], v[166:167] op_sel_hi:[0,1,1] neg_lo:[1,0,0] neg_hi:[1,0,0]
	s_waitcnt vmcnt(6) lgkmcnt(3)
	v_pk_fma_f32 v[168:169], v[192:193], v[186:187], v[168:169] op_sel_hi:[0,1,1] neg_lo:[1,0,0] neg_hi:[1,0,0]
	;; [unrolled: 2-line block ×5, first 2 shown]
	v_mov_b32_e32 v19, v192
.LBB117_17:
	s_or_b64 exec, exec, s[2:3]
	v_cmp_eq_u32_e32 vcc, 3, v25
	s_waitcnt lgkmcnt(0)
	s_barrier
	s_and_saveexec_b64 s[2:3], vcc
	s_cbranch_execz .LBB117_20
; %bb.18:
	s_waitcnt vmcnt(52)
	v_pk_mov_b32 v[186:187], v[20:21], v[22:23] op_sel:[1,0]
	ds_write_b32 v180, v20
	ds_write2_b32 v181, v186, v187 offset0:4 offset1:5
	s_waitcnt vmcnt(50)
	v_pk_mov_b32 v[186:187], v[22:23], v[16:17] op_sel:[1,0]
	ds_write2_b32 v181, v186, v187 offset0:6 offset1:7
	s_waitcnt vmcnt(48)
	v_pk_mov_b32 v[186:187], v[16:17], v[46:47] op_sel:[1,0]
	;; [unrolled: 3-line block ×26, first 2 shown]
	ds_write2_b32 v181, v186, v187 offset0:56 offset1:57
	ds_write_b32 v181, v179 offset:232
	ds_read_b32 v185, v180
	s_waitcnt lgkmcnt(0)
	v_cmp_neq_f32_e32 vcc, 0, v185
	s_and_b64 exec, exec, vcc
	s_cbranch_execz .LBB117_20
; %bb.19:
	v_div_scale_f32 v186, s[4:5], v185, v185, 1.0
	v_rcp_f32_e32 v187, v186
	v_div_scale_f32 v188, vcc, 1.0, v185, 1.0
	v_fma_f32 v189, -v186, v187, 1.0
	v_fmac_f32_e32 v187, v189, v187
	v_mul_f32_e32 v189, v188, v187
	v_fma_f32 v190, -v186, v189, v188
	v_fmac_f32_e32 v189, v190, v187
	v_fma_f32 v186, -v186, v189, v188
	v_div_fmas_f32 v186, v186, v187, v189
	v_div_fixup_f32 v185, v186, v185, 1.0
	ds_write_b32 v180, v185
.LBB117_20:
	s_or_b64 exec, exec, s[2:3]
	s_waitcnt lgkmcnt(0)
	s_barrier
	ds_read_b32 v185, v180
	v_cmp_lt_u32_e32 vcc, 3, v25
	s_and_saveexec_b64 s[2:3], vcc
	s_cbranch_execz .LBB117_22
; %bb.21:
	ds_read_b32 v192, v181 offset:16
	ds_read2_b32 v[186:187], v181 offset0:5 offset1:6
	ds_read2_b32 v[188:189], v181 offset0:7 offset1:8
	s_waitcnt vmcnt(55) lgkmcnt(3)
	v_mul_f32_e32 v20, v185, v20
	ds_read2_b32 v[190:191], v181 offset0:9 offset1:10
	s_waitcnt vmcnt(54) lgkmcnt(3)
	v_fma_f32 v21, -v20, v192, v21
	s_waitcnt vmcnt(52) lgkmcnt(2)
	v_pk_fma_f32 v[22:23], v[20:21], v[186:187], v[22:23] op_sel_hi:[0,1,1] neg_lo:[1,0,0] neg_hi:[1,0,0]
	s_waitcnt vmcnt(50) lgkmcnt(1)
	v_pk_fma_f32 v[16:17], v[20:21], v[188:189], v[16:17] op_sel_hi:[0,1,1] neg_lo:[1,0,0] neg_hi:[1,0,0]
	ds_read2_b32 v[186:187], v181 offset0:11 offset1:12
	ds_read2_b32 v[188:189], v181 offset0:13 offset1:14
	ds_read2_b32 v[192:193], v181 offset0:15 offset1:16
	s_waitcnt vmcnt(48) lgkmcnt(3)
	v_pk_fma_f32 v[46:47], v[20:21], v[190:191], v[46:47] op_sel_hi:[0,1,1] neg_lo:[1,0,0] neg_hi:[1,0,0]
	ds_read2_b32 v[190:191], v181 offset0:17 offset1:18
	s_waitcnt vmcnt(46) lgkmcnt(3)
	v_pk_fma_f32 v[50:51], v[20:21], v[186:187], v[50:51] op_sel_hi:[0,1,1] neg_lo:[1,0,0] neg_hi:[1,0,0]
	s_waitcnt vmcnt(44) lgkmcnt(2)
	v_pk_fma_f32 v[44:45], v[20:21], v[188:189], v[44:45] op_sel_hi:[0,1,1] neg_lo:[1,0,0] neg_hi:[1,0,0]
	s_waitcnt vmcnt(42) lgkmcnt(1)
	v_pk_fma_f32 v[48:49], v[20:21], v[192:193], v[48:49] op_sel_hi:[0,1,1] neg_lo:[1,0,0] neg_hi:[1,0,0]
	ds_read2_b32 v[186:187], v181 offset0:19 offset1:20
	ds_read2_b32 v[188:189], v181 offset0:21 offset1:22
	ds_read2_b32 v[192:193], v181 offset0:23 offset1:24
	s_waitcnt vmcnt(40) lgkmcnt(3)
	v_pk_fma_f32 v[74:75], v[20:21], v[190:191], v[74:75] op_sel_hi:[0,1,1] neg_lo:[1,0,0] neg_hi:[1,0,0]
	ds_read2_b32 v[190:191], v181 offset0:25 offset1:26
	s_waitcnt vmcnt(38) lgkmcnt(3)
	v_pk_fma_f32 v[68:69], v[20:21], v[186:187], v[68:69] op_sel_hi:[0,1,1] neg_lo:[1,0,0] neg_hi:[1,0,0]
	s_waitcnt vmcnt(36) lgkmcnt(2)
	v_pk_fma_f32 v[70:71], v[20:21], v[188:189], v[70:71] op_sel_hi:[0,1,1] neg_lo:[1,0,0] neg_hi:[1,0,0]
	s_waitcnt vmcnt(34) lgkmcnt(1)
	v_pk_fma_f32 v[72:73], v[20:21], v[192:193], v[72:73] op_sel_hi:[0,1,1] neg_lo:[1,0,0] neg_hi:[1,0,0]
	ds_read2_b32 v[186:187], v181 offset0:27 offset1:28
	ds_read2_b32 v[188:189], v181 offset0:29 offset1:30
	ds_read2_b32 v[192:193], v181 offset0:31 offset1:32
	s_waitcnt vmcnt(32) lgkmcnt(3)
	v_pk_fma_f32 v[94:95], v[20:21], v[190:191], v[94:95] op_sel_hi:[0,1,1] neg_lo:[1,0,0] neg_hi:[1,0,0]
	ds_read2_b32 v[190:191], v181 offset0:33 offset1:34
	s_waitcnt vmcnt(30) lgkmcnt(3)
	v_pk_fma_f32 v[96:97], v[20:21], v[186:187], v[96:97] op_sel_hi:[0,1,1] neg_lo:[1,0,0] neg_hi:[1,0,0]
	s_waitcnt vmcnt(28) lgkmcnt(2)
	v_pk_fma_f32 v[98:99], v[20:21], v[188:189], v[98:99] op_sel_hi:[0,1,1] neg_lo:[1,0,0] neg_hi:[1,0,0]
	s_waitcnt vmcnt(26) lgkmcnt(1)
	v_pk_fma_f32 v[92:93], v[20:21], v[192:193], v[92:93] op_sel_hi:[0,1,1] neg_lo:[1,0,0] neg_hi:[1,0,0]
	ds_read2_b32 v[186:187], v181 offset0:35 offset1:36
	ds_read2_b32 v[188:189], v181 offset0:37 offset1:38
	ds_read2_b32 v[192:193], v181 offset0:39 offset1:40
	s_waitcnt vmcnt(24) lgkmcnt(3)
	v_pk_fma_f32 v[118:119], v[20:21], v[190:191], v[118:119] op_sel_hi:[0,1,1] neg_lo:[1,0,0] neg_hi:[1,0,0]
	ds_read2_b32 v[190:191], v181 offset0:41 offset1:42
	s_waitcnt vmcnt(22) lgkmcnt(3)
	v_pk_fma_f32 v[122:123], v[20:21], v[186:187], v[122:123] op_sel_hi:[0,1,1] neg_lo:[1,0,0] neg_hi:[1,0,0]
	s_waitcnt vmcnt(20) lgkmcnt(2)
	v_pk_fma_f32 v[116:117], v[20:21], v[188:189], v[116:117] op_sel_hi:[0,1,1] neg_lo:[1,0,0] neg_hi:[1,0,0]
	s_waitcnt vmcnt(18) lgkmcnt(1)
	v_pk_fma_f32 v[120:121], v[20:21], v[192:193], v[120:121] op_sel_hi:[0,1,1] neg_lo:[1,0,0] neg_hi:[1,0,0]
	ds_read2_b32 v[186:187], v181 offset0:43 offset1:44
	ds_read2_b32 v[188:189], v181 offset0:45 offset1:46
	ds_read2_b32 v[192:193], v181 offset0:47 offset1:48
	s_waitcnt vmcnt(16) lgkmcnt(3)
	v_pk_fma_f32 v[146:147], v[20:21], v[190:191], v[146:147] op_sel_hi:[0,1,1] neg_lo:[1,0,0] neg_hi:[1,0,0]
	ds_read2_b32 v[190:191], v181 offset0:49 offset1:50
	s_waitcnt vmcnt(14) lgkmcnt(3)
	v_pk_fma_f32 v[140:141], v[20:21], v[186:187], v[140:141] op_sel_hi:[0,1,1] neg_lo:[1,0,0] neg_hi:[1,0,0]
	s_waitcnt vmcnt(12) lgkmcnt(2)
	v_pk_fma_f32 v[142:143], v[20:21], v[188:189], v[142:143] op_sel_hi:[0,1,1] neg_lo:[1,0,0] neg_hi:[1,0,0]
	s_waitcnt vmcnt(10) lgkmcnt(1)
	v_pk_fma_f32 v[144:145], v[20:21], v[192:193], v[144:145] op_sel_hi:[0,1,1] neg_lo:[1,0,0] neg_hi:[1,0,0]
	ds_read2_b32 v[186:187], v181 offset0:51 offset1:52
	ds_read2_b32 v[188:189], v181 offset0:53 offset1:54
	;; [unrolled: 1-line block ×4, first 2 shown]
	s_waitcnt vmcnt(8) lgkmcnt(4)
	v_pk_fma_f32 v[166:167], v[20:21], v[190:191], v[166:167] op_sel_hi:[0,1,1] neg_lo:[1,0,0] neg_hi:[1,0,0]
	s_waitcnt vmcnt(6) lgkmcnt(3)
	v_pk_fma_f32 v[168:169], v[20:21], v[186:187], v[168:169] op_sel_hi:[0,1,1] neg_lo:[1,0,0] neg_hi:[1,0,0]
	;; [unrolled: 2-line block ×5, first 2 shown]
.LBB117_22:
	s_or_b64 exec, exec, s[2:3]
	v_cmp_ne_u32_e32 vcc, 4, v25
	s_waitcnt lgkmcnt(0)
	s_barrier
	s_and_saveexec_b64 s[2:3], vcc
	s_xor_b64 s[2:3], exec, s[2:3]
	s_andn2_saveexec_b64 s[2:3], s[2:3]
	s_cbranch_execz .LBB117_26
; %bb.23:
	s_waitcnt vmcnt(54)
	ds_write_b32 v180, v21
	s_waitcnt vmcnt(52)
	ds_write2_b32 v181, v22, v23 offset0:5 offset1:6
	s_waitcnt vmcnt(50)
	ds_write2_b32 v181, v16, v17 offset0:7 offset1:8
	;; [unrolled: 2-line block ×27, first 2 shown]
	ds_read_b32 v186, v180
	s_waitcnt lgkmcnt(0)
	v_cmp_neq_f32_e32 vcc, 0, v186
	s_and_saveexec_b64 s[4:5], vcc
	s_cbranch_execz .LBB117_25
; %bb.24:
	v_div_scale_f32 v187, s[10:11], v186, v186, 1.0
	v_rcp_f32_e32 v188, v187
	v_div_scale_f32 v189, vcc, 1.0, v186, 1.0
	v_fma_f32 v190, -v187, v188, 1.0
	v_fmac_f32_e32 v188, v190, v188
	v_mul_f32_e32 v190, v189, v188
	v_fma_f32 v191, -v187, v190, v189
	v_fmac_f32_e32 v190, v191, v188
	v_fma_f32 v187, -v187, v190, v189
	v_div_fmas_f32 v187, v187, v188, v190
	v_div_fixup_f32 v186, v187, v186, 1.0
	ds_write_b32 v180, v186
.LBB117_25:
	s_or_b64 exec, exec, s[4:5]
.LBB117_26:
	s_or_b64 exec, exec, s[2:3]
	s_waitcnt lgkmcnt(0)
	s_barrier
	ds_read_b32 v186, v180
	v_cmp_lt_u32_e32 vcc, 4, v25
	s_and_saveexec_b64 s[2:3], vcc
	s_cbranch_execz .LBB117_28
; %bb.27:
	ds_read2_b32 v[188:189], v181 offset0:5 offset1:6
	ds_read2_b32 v[190:191], v181 offset0:7 offset1:8
	;; [unrolled: 1-line block ×3, first 2 shown]
	s_waitcnt vmcnt(54) lgkmcnt(3)
	v_mul_f32_e32 v194, v186, v21
	ds_read2_b32 v[196:197], v181 offset0:11 offset1:12
	s_waitcnt vmcnt(52) lgkmcnt(3)
	v_pk_fma_f32 v[22:23], v[194:195], v[188:189], v[22:23] op_sel_hi:[0,1,1] neg_lo:[1,0,0] neg_hi:[1,0,0]
	s_waitcnt vmcnt(50) lgkmcnt(2)
	v_pk_fma_f32 v[16:17], v[194:195], v[190:191], v[16:17] op_sel_hi:[0,1,1] neg_lo:[1,0,0] neg_hi:[1,0,0]
	s_waitcnt vmcnt(48) lgkmcnt(1)
	v_pk_fma_f32 v[46:47], v[194:195], v[192:193], v[46:47] op_sel_hi:[0,1,1] neg_lo:[1,0,0] neg_hi:[1,0,0]
	ds_read2_b32 v[188:189], v181 offset0:13 offset1:14
	ds_read2_b32 v[190:191], v181 offset0:15 offset1:16
	ds_read2_b32 v[192:193], v181 offset0:17 offset1:18
	s_waitcnt vmcnt(46) lgkmcnt(3)
	v_pk_fma_f32 v[50:51], v[194:195], v[196:197], v[50:51] op_sel_hi:[0,1,1] neg_lo:[1,0,0] neg_hi:[1,0,0]
	ds_read2_b32 v[196:197], v181 offset0:19 offset1:20
	s_waitcnt vmcnt(44) lgkmcnt(3)
	v_pk_fma_f32 v[44:45], v[194:195], v[188:189], v[44:45] op_sel_hi:[0,1,1] neg_lo:[1,0,0] neg_hi:[1,0,0]
	s_waitcnt vmcnt(42) lgkmcnt(2)
	v_pk_fma_f32 v[48:49], v[194:195], v[190:191], v[48:49] op_sel_hi:[0,1,1] neg_lo:[1,0,0] neg_hi:[1,0,0]
	s_waitcnt vmcnt(40) lgkmcnt(1)
	v_pk_fma_f32 v[74:75], v[194:195], v[192:193], v[74:75] op_sel_hi:[0,1,1] neg_lo:[1,0,0] neg_hi:[1,0,0]
	ds_read2_b32 v[188:189], v181 offset0:21 offset1:22
	ds_read2_b32 v[190:191], v181 offset0:23 offset1:24
	ds_read2_b32 v[192:193], v181 offset0:25 offset1:26
	s_waitcnt vmcnt(38) lgkmcnt(3)
	v_pk_fma_f32 v[68:69], v[194:195], v[196:197], v[68:69] op_sel_hi:[0,1,1] neg_lo:[1,0,0] neg_hi:[1,0,0]
	;; [unrolled: 12-line block ×4, first 2 shown]
	ds_read2_b32 v[196:197], v181 offset0:43 offset1:44
	s_waitcnt vmcnt(20) lgkmcnt(3)
	v_pk_fma_f32 v[116:117], v[194:195], v[188:189], v[116:117] op_sel_hi:[0,1,1] neg_lo:[1,0,0] neg_hi:[1,0,0]
	s_waitcnt vmcnt(18) lgkmcnt(2)
	v_pk_fma_f32 v[120:121], v[194:195], v[190:191], v[120:121] op_sel_hi:[0,1,1] neg_lo:[1,0,0] neg_hi:[1,0,0]
	ds_read2_b32 v[188:189], v181 offset0:45 offset1:46
	ds_read2_b32 v[190:191], v181 offset0:47 offset1:48
	s_waitcnt vmcnt(16) lgkmcnt(3)
	v_pk_fma_f32 v[146:147], v[194:195], v[192:193], v[146:147] op_sel_hi:[0,1,1] neg_lo:[1,0,0] neg_hi:[1,0,0]
	s_waitcnt vmcnt(14) lgkmcnt(2)
	v_pk_fma_f32 v[140:141], v[194:195], v[196:197], v[140:141] op_sel_hi:[0,1,1] neg_lo:[1,0,0] neg_hi:[1,0,0]
	ds_read2_b32 v[192:193], v181 offset0:49 offset1:50
	;; [unrolled: 6-line block ×3, first 2 shown]
	ds_read2_b32 v[190:191], v181 offset0:55 offset1:56
	ds_read2_b32 v[198:199], v181 offset0:57 offset1:58
	s_waitcnt vmcnt(8) lgkmcnt(4)
	v_pk_fma_f32 v[166:167], v[194:195], v[192:193], v[166:167] op_sel_hi:[0,1,1] neg_lo:[1,0,0] neg_hi:[1,0,0]
	s_waitcnt vmcnt(6) lgkmcnt(3)
	v_pk_fma_f32 v[168:169], v[194:195], v[196:197], v[168:169] op_sel_hi:[0,1,1] neg_lo:[1,0,0] neg_hi:[1,0,0]
	;; [unrolled: 2-line block ×5, first 2 shown]
	v_mov_b32_e32 v21, v194
.LBB117_28:
	s_or_b64 exec, exec, s[2:3]
	v_cmp_eq_u32_e32 vcc, 5, v25
	s_waitcnt lgkmcnt(0)
	s_barrier
	s_and_saveexec_b64 s[2:3], vcc
	s_cbranch_execz .LBB117_31
; %bb.29:
	s_waitcnt vmcnt(50)
	v_pk_mov_b32 v[188:189], v[22:23], v[16:17] op_sel:[1,0]
	ds_write_b32 v180, v22
	ds_write2_b32 v181, v188, v189 offset0:6 offset1:7
	s_waitcnt vmcnt(48)
	v_pk_mov_b32 v[188:189], v[16:17], v[46:47] op_sel:[1,0]
	ds_write2_b32 v181, v188, v189 offset0:8 offset1:9
	s_waitcnt vmcnt(46)
	v_pk_mov_b32 v[188:189], v[46:47], v[50:51] op_sel:[1,0]
	;; [unrolled: 3-line block ×25, first 2 shown]
	ds_write2_b32 v181, v188, v189 offset0:56 offset1:57
	ds_write_b32 v181, v179 offset:232
	ds_read_b32 v187, v180
	s_waitcnt lgkmcnt(0)
	v_cmp_neq_f32_e32 vcc, 0, v187
	s_and_b64 exec, exec, vcc
	s_cbranch_execz .LBB117_31
; %bb.30:
	v_div_scale_f32 v188, s[4:5], v187, v187, 1.0
	v_rcp_f32_e32 v189, v188
	v_div_scale_f32 v190, vcc, 1.0, v187, 1.0
	v_fma_f32 v191, -v188, v189, 1.0
	v_fmac_f32_e32 v189, v191, v189
	v_mul_f32_e32 v191, v190, v189
	v_fma_f32 v192, -v188, v191, v190
	v_fmac_f32_e32 v191, v192, v189
	v_fma_f32 v188, -v188, v191, v190
	v_div_fmas_f32 v188, v188, v189, v191
	v_div_fixup_f32 v187, v188, v187, 1.0
	ds_write_b32 v180, v187
.LBB117_31:
	s_or_b64 exec, exec, s[2:3]
	s_waitcnt lgkmcnt(0)
	s_barrier
	ds_read_b32 v187, v180
	v_cmp_lt_u32_e32 vcc, 5, v25
	s_and_saveexec_b64 s[2:3], vcc
	s_cbranch_execz .LBB117_33
; %bb.32:
	ds_read_b32 v194, v181 offset:24
	ds_read2_b32 v[188:189], v181 offset0:7 offset1:8
	ds_read2_b32 v[190:191], v181 offset0:9 offset1:10
	s_waitcnt vmcnt(53) lgkmcnt(3)
	v_mul_f32_e32 v22, v187, v22
	ds_read2_b32 v[192:193], v181 offset0:11 offset1:12
	s_waitcnt vmcnt(52) lgkmcnt(3)
	v_fma_f32 v23, -v22, v194, v23
	s_waitcnt vmcnt(50) lgkmcnt(2)
	v_pk_fma_f32 v[16:17], v[22:23], v[188:189], v[16:17] op_sel_hi:[0,1,1] neg_lo:[1,0,0] neg_hi:[1,0,0]
	s_waitcnt vmcnt(48) lgkmcnt(1)
	v_pk_fma_f32 v[46:47], v[22:23], v[190:191], v[46:47] op_sel_hi:[0,1,1] neg_lo:[1,0,0] neg_hi:[1,0,0]
	ds_read2_b32 v[188:189], v181 offset0:13 offset1:14
	ds_read2_b32 v[190:191], v181 offset0:15 offset1:16
	ds_read2_b32 v[194:195], v181 offset0:17 offset1:18
	s_waitcnt vmcnt(46) lgkmcnt(3)
	v_pk_fma_f32 v[50:51], v[22:23], v[192:193], v[50:51] op_sel_hi:[0,1,1] neg_lo:[1,0,0] neg_hi:[1,0,0]
	ds_read2_b32 v[192:193], v181 offset0:19 offset1:20
	s_waitcnt vmcnt(44) lgkmcnt(3)
	v_pk_fma_f32 v[44:45], v[22:23], v[188:189], v[44:45] op_sel_hi:[0,1,1] neg_lo:[1,0,0] neg_hi:[1,0,0]
	s_waitcnt vmcnt(42) lgkmcnt(2)
	v_pk_fma_f32 v[48:49], v[22:23], v[190:191], v[48:49] op_sel_hi:[0,1,1] neg_lo:[1,0,0] neg_hi:[1,0,0]
	s_waitcnt vmcnt(40) lgkmcnt(1)
	v_pk_fma_f32 v[74:75], v[22:23], v[194:195], v[74:75] op_sel_hi:[0,1,1] neg_lo:[1,0,0] neg_hi:[1,0,0]
	ds_read2_b32 v[188:189], v181 offset0:21 offset1:22
	ds_read2_b32 v[190:191], v181 offset0:23 offset1:24
	ds_read2_b32 v[194:195], v181 offset0:25 offset1:26
	s_waitcnt vmcnt(38) lgkmcnt(3)
	v_pk_fma_f32 v[68:69], v[22:23], v[192:193], v[68:69] op_sel_hi:[0,1,1] neg_lo:[1,0,0] neg_hi:[1,0,0]
	ds_read2_b32 v[192:193], v181 offset0:27 offset1:28
	s_waitcnt vmcnt(36) lgkmcnt(3)
	v_pk_fma_f32 v[70:71], v[22:23], v[188:189], v[70:71] op_sel_hi:[0,1,1] neg_lo:[1,0,0] neg_hi:[1,0,0]
	s_waitcnt vmcnt(34) lgkmcnt(2)
	v_pk_fma_f32 v[72:73], v[22:23], v[190:191], v[72:73] op_sel_hi:[0,1,1] neg_lo:[1,0,0] neg_hi:[1,0,0]
	s_waitcnt vmcnt(32) lgkmcnt(1)
	v_pk_fma_f32 v[94:95], v[22:23], v[194:195], v[94:95] op_sel_hi:[0,1,1] neg_lo:[1,0,0] neg_hi:[1,0,0]
	ds_read2_b32 v[188:189], v181 offset0:29 offset1:30
	ds_read2_b32 v[190:191], v181 offset0:31 offset1:32
	ds_read2_b32 v[194:195], v181 offset0:33 offset1:34
	s_waitcnt vmcnt(30) lgkmcnt(3)
	v_pk_fma_f32 v[96:97], v[22:23], v[192:193], v[96:97] op_sel_hi:[0,1,1] neg_lo:[1,0,0] neg_hi:[1,0,0]
	ds_read2_b32 v[192:193], v181 offset0:35 offset1:36
	s_waitcnt vmcnt(28) lgkmcnt(3)
	v_pk_fma_f32 v[98:99], v[22:23], v[188:189], v[98:99] op_sel_hi:[0,1,1] neg_lo:[1,0,0] neg_hi:[1,0,0]
	s_waitcnt vmcnt(26) lgkmcnt(2)
	v_pk_fma_f32 v[92:93], v[22:23], v[190:191], v[92:93] op_sel_hi:[0,1,1] neg_lo:[1,0,0] neg_hi:[1,0,0]
	s_waitcnt vmcnt(24) lgkmcnt(1)
	v_pk_fma_f32 v[118:119], v[22:23], v[194:195], v[118:119] op_sel_hi:[0,1,1] neg_lo:[1,0,0] neg_hi:[1,0,0]
	ds_read2_b32 v[188:189], v181 offset0:37 offset1:38
	ds_read2_b32 v[190:191], v181 offset0:39 offset1:40
	ds_read2_b32 v[194:195], v181 offset0:41 offset1:42
	s_waitcnt vmcnt(22) lgkmcnt(3)
	v_pk_fma_f32 v[122:123], v[22:23], v[192:193], v[122:123] op_sel_hi:[0,1,1] neg_lo:[1,0,0] neg_hi:[1,0,0]
	ds_read2_b32 v[192:193], v181 offset0:43 offset1:44
	s_waitcnt vmcnt(20) lgkmcnt(3)
	v_pk_fma_f32 v[116:117], v[22:23], v[188:189], v[116:117] op_sel_hi:[0,1,1] neg_lo:[1,0,0] neg_hi:[1,0,0]
	s_waitcnt vmcnt(18) lgkmcnt(2)
	v_pk_fma_f32 v[120:121], v[22:23], v[190:191], v[120:121] op_sel_hi:[0,1,1] neg_lo:[1,0,0] neg_hi:[1,0,0]
	ds_read2_b32 v[188:189], v181 offset0:45 offset1:46
	ds_read2_b32 v[190:191], v181 offset0:47 offset1:48
	s_waitcnt vmcnt(16) lgkmcnt(3)
	v_pk_fma_f32 v[146:147], v[22:23], v[194:195], v[146:147] op_sel_hi:[0,1,1] neg_lo:[1,0,0] neg_hi:[1,0,0]
	s_waitcnt vmcnt(14) lgkmcnt(2)
	v_pk_fma_f32 v[140:141], v[22:23], v[192:193], v[140:141] op_sel_hi:[0,1,1] neg_lo:[1,0,0] neg_hi:[1,0,0]
	ds_read2_b32 v[192:193], v181 offset0:49 offset1:50
	ds_read2_b32 v[194:195], v181 offset0:51 offset1:52
	s_waitcnt vmcnt(12) lgkmcnt(3)
	v_pk_fma_f32 v[142:143], v[22:23], v[188:189], v[142:143] op_sel_hi:[0,1,1] neg_lo:[1,0,0] neg_hi:[1,0,0]
	s_waitcnt vmcnt(10) lgkmcnt(2)
	v_pk_fma_f32 v[144:145], v[22:23], v[190:191], v[144:145] op_sel_hi:[0,1,1] neg_lo:[1,0,0] neg_hi:[1,0,0]
	ds_read2_b32 v[188:189], v181 offset0:53 offset1:54
	ds_read2_b32 v[190:191], v181 offset0:55 offset1:56
	;; [unrolled: 1-line block ×3, first 2 shown]
	s_waitcnt vmcnt(8) lgkmcnt(4)
	v_pk_fma_f32 v[166:167], v[22:23], v[192:193], v[166:167] op_sel_hi:[0,1,1] neg_lo:[1,0,0] neg_hi:[1,0,0]
	s_waitcnt vmcnt(6) lgkmcnt(3)
	v_pk_fma_f32 v[168:169], v[22:23], v[194:195], v[168:169] op_sel_hi:[0,1,1] neg_lo:[1,0,0] neg_hi:[1,0,0]
	;; [unrolled: 2-line block ×5, first 2 shown]
.LBB117_33:
	s_or_b64 exec, exec, s[2:3]
	v_cmp_ne_u32_e32 vcc, 6, v25
	s_waitcnt lgkmcnt(0)
	s_barrier
	s_and_saveexec_b64 s[2:3], vcc
	s_xor_b64 s[2:3], exec, s[2:3]
	s_andn2_saveexec_b64 s[2:3], s[2:3]
	s_cbranch_execz .LBB117_37
; %bb.34:
	s_waitcnt vmcnt(52)
	ds_write_b32 v180, v23
	s_waitcnt vmcnt(50)
	ds_write2_b32 v181, v16, v17 offset0:7 offset1:8
	s_waitcnt vmcnt(48)
	ds_write2_b32 v181, v46, v47 offset0:9 offset1:10
	s_waitcnt vmcnt(46)
	ds_write2_b32 v181, v50, v51 offset0:11 offset1:12
	s_waitcnt vmcnt(44)
	ds_write2_b32 v181, v44, v45 offset0:13 offset1:14
	s_waitcnt vmcnt(42)
	ds_write2_b32 v181, v48, v49 offset0:15 offset1:16
	s_waitcnt vmcnt(40)
	ds_write2_b32 v181, v74, v75 offset0:17 offset1:18
	s_waitcnt vmcnt(38)
	ds_write2_b32 v181, v68, v69 offset0:19 offset1:20
	s_waitcnt vmcnt(36)
	ds_write2_b32 v181, v70, v71 offset0:21 offset1:22
	s_waitcnt vmcnt(34)
	ds_write2_b32 v181, v72, v73 offset0:23 offset1:24
	s_waitcnt vmcnt(32)
	ds_write2_b32 v181, v94, v95 offset0:25 offset1:26
	s_waitcnt vmcnt(30)
	ds_write2_b32 v181, v96, v97 offset0:27 offset1:28
	s_waitcnt vmcnt(28)
	ds_write2_b32 v181, v98, v99 offset0:29 offset1:30
	s_waitcnt vmcnt(26)
	ds_write2_b32 v181, v92, v93 offset0:31 offset1:32
	s_waitcnt vmcnt(24)
	ds_write2_b32 v181, v118, v119 offset0:33 offset1:34
	s_waitcnt vmcnt(22)
	ds_write2_b32 v181, v122, v123 offset0:35 offset1:36
	s_waitcnt vmcnt(20)
	ds_write2_b32 v181, v116, v117 offset0:37 offset1:38
	s_waitcnt vmcnt(18)
	ds_write2_b32 v181, v120, v121 offset0:39 offset1:40
	s_waitcnt vmcnt(16)
	ds_write2_b32 v181, v146, v147 offset0:41 offset1:42
	s_waitcnt vmcnt(14)
	ds_write2_b32 v181, v140, v141 offset0:43 offset1:44
	s_waitcnt vmcnt(12)
	ds_write2_b32 v181, v142, v143 offset0:45 offset1:46
	s_waitcnt vmcnt(10)
	ds_write2_b32 v181, v144, v145 offset0:47 offset1:48
	s_waitcnt vmcnt(8)
	ds_write2_b32 v181, v166, v167 offset0:49 offset1:50
	s_waitcnt vmcnt(6)
	ds_write2_b32 v181, v168, v169 offset0:51 offset1:52
	s_waitcnt vmcnt(4)
	ds_write2_b32 v181, v170, v171 offset0:53 offset1:54
	s_waitcnt vmcnt(2)
	ds_write2_b32 v181, v164, v165 offset0:55 offset1:56
	s_waitcnt vmcnt(0)
	ds_write2_b32 v181, v178, v179 offset0:57 offset1:58
	ds_read_b32 v188, v180
	s_waitcnt lgkmcnt(0)
	v_cmp_neq_f32_e32 vcc, 0, v188
	s_and_saveexec_b64 s[4:5], vcc
	s_cbranch_execz .LBB117_36
; %bb.35:
	v_div_scale_f32 v189, s[10:11], v188, v188, 1.0
	v_rcp_f32_e32 v190, v189
	v_div_scale_f32 v191, vcc, 1.0, v188, 1.0
	v_fma_f32 v192, -v189, v190, 1.0
	v_fmac_f32_e32 v190, v192, v190
	v_mul_f32_e32 v192, v191, v190
	v_fma_f32 v193, -v189, v192, v191
	v_fmac_f32_e32 v192, v193, v190
	v_fma_f32 v189, -v189, v192, v191
	v_div_fmas_f32 v189, v189, v190, v192
	v_div_fixup_f32 v188, v189, v188, 1.0
	ds_write_b32 v180, v188
.LBB117_36:
	s_or_b64 exec, exec, s[4:5]
.LBB117_37:
	s_or_b64 exec, exec, s[2:3]
	s_waitcnt lgkmcnt(0)
	s_barrier
	ds_read_b32 v188, v180
	v_cmp_lt_u32_e32 vcc, 6, v25
	s_and_saveexec_b64 s[2:3], vcc
	s_cbranch_execz .LBB117_39
; %bb.38:
	ds_read2_b32 v[190:191], v181 offset0:7 offset1:8
	ds_read2_b32 v[192:193], v181 offset0:9 offset1:10
	;; [unrolled: 1-line block ×4, first 2 shown]
	s_waitcnt vmcnt(52) lgkmcnt(4)
	v_mul_f32_e32 v196, v188, v23
	s_waitcnt vmcnt(50) lgkmcnt(3)
	v_pk_fma_f32 v[16:17], v[196:197], v[190:191], v[16:17] op_sel_hi:[0,1,1] neg_lo:[1,0,0] neg_hi:[1,0,0]
	s_waitcnt vmcnt(48) lgkmcnt(2)
	v_pk_fma_f32 v[46:47], v[196:197], v[192:193], v[46:47] op_sel_hi:[0,1,1] neg_lo:[1,0,0] neg_hi:[1,0,0]
	s_waitcnt vmcnt(46) lgkmcnt(1)
	v_pk_fma_f32 v[50:51], v[196:197], v[194:195], v[50:51] op_sel_hi:[0,1,1] neg_lo:[1,0,0] neg_hi:[1,0,0]
	ds_read2_b32 v[190:191], v181 offset0:15 offset1:16
	ds_read2_b32 v[192:193], v181 offset0:17 offset1:18
	ds_read2_b32 v[194:195], v181 offset0:19 offset1:20
	s_waitcnt vmcnt(44) lgkmcnt(3)
	v_pk_fma_f32 v[44:45], v[196:197], v[198:199], v[44:45] op_sel_hi:[0,1,1] neg_lo:[1,0,0] neg_hi:[1,0,0]
	ds_read2_b32 v[198:199], v181 offset0:21 offset1:22
	s_waitcnt vmcnt(42) lgkmcnt(3)
	v_pk_fma_f32 v[48:49], v[196:197], v[190:191], v[48:49] op_sel_hi:[0,1,1] neg_lo:[1,0,0] neg_hi:[1,0,0]
	s_waitcnt vmcnt(40) lgkmcnt(2)
	v_pk_fma_f32 v[74:75], v[196:197], v[192:193], v[74:75] op_sel_hi:[0,1,1] neg_lo:[1,0,0] neg_hi:[1,0,0]
	s_waitcnt vmcnt(38) lgkmcnt(1)
	v_pk_fma_f32 v[68:69], v[196:197], v[194:195], v[68:69] op_sel_hi:[0,1,1] neg_lo:[1,0,0] neg_hi:[1,0,0]
	ds_read2_b32 v[190:191], v181 offset0:23 offset1:24
	ds_read2_b32 v[192:193], v181 offset0:25 offset1:26
	ds_read2_b32 v[194:195], v181 offset0:27 offset1:28
	s_waitcnt vmcnt(36) lgkmcnt(3)
	v_pk_fma_f32 v[70:71], v[196:197], v[198:199], v[70:71] op_sel_hi:[0,1,1] neg_lo:[1,0,0] neg_hi:[1,0,0]
	ds_read2_b32 v[198:199], v181 offset0:29 offset1:30
	;; [unrolled: 12-line block ×4, first 2 shown]
	s_waitcnt vmcnt(18) lgkmcnt(3)
	v_pk_fma_f32 v[120:121], v[196:197], v[190:191], v[120:121] op_sel_hi:[0,1,1] neg_lo:[1,0,0] neg_hi:[1,0,0]
	ds_read2_b32 v[190:191], v181 offset0:47 offset1:48
	s_waitcnt vmcnt(16) lgkmcnt(3)
	v_pk_fma_f32 v[146:147], v[196:197], v[192:193], v[146:147] op_sel_hi:[0,1,1] neg_lo:[1,0,0] neg_hi:[1,0,0]
	s_waitcnt vmcnt(14) lgkmcnt(2)
	v_pk_fma_f32 v[140:141], v[196:197], v[194:195], v[140:141] op_sel_hi:[0,1,1] neg_lo:[1,0,0] neg_hi:[1,0,0]
	;; [unrolled: 2-line block ×3, first 2 shown]
	ds_read2_b32 v[192:193], v181 offset0:49 offset1:50
	ds_read2_b32 v[194:195], v181 offset0:51 offset1:52
	;; [unrolled: 1-line block ×3, first 2 shown]
	s_waitcnt vmcnt(10) lgkmcnt(3)
	v_pk_fma_f32 v[144:145], v[196:197], v[190:191], v[144:145] op_sel_hi:[0,1,1] neg_lo:[1,0,0] neg_hi:[1,0,0]
	ds_read2_b32 v[190:191], v181 offset0:55 offset1:56
	ds_read2_b32 v[200:201], v181 offset0:57 offset1:58
	s_waitcnt vmcnt(8) lgkmcnt(4)
	v_pk_fma_f32 v[166:167], v[196:197], v[192:193], v[166:167] op_sel_hi:[0,1,1] neg_lo:[1,0,0] neg_hi:[1,0,0]
	s_waitcnt vmcnt(6) lgkmcnt(3)
	v_pk_fma_f32 v[168:169], v[196:197], v[194:195], v[168:169] op_sel_hi:[0,1,1] neg_lo:[1,0,0] neg_hi:[1,0,0]
	;; [unrolled: 2-line block ×5, first 2 shown]
	v_mov_b32_e32 v23, v196
.LBB117_39:
	s_or_b64 exec, exec, s[2:3]
	v_cmp_eq_u32_e32 vcc, 7, v25
	s_waitcnt lgkmcnt(0)
	s_barrier
	s_and_saveexec_b64 s[2:3], vcc
	s_cbranch_execz .LBB117_42
; %bb.40:
	s_waitcnt vmcnt(48)
	v_pk_mov_b32 v[190:191], v[16:17], v[46:47] op_sel:[1,0]
	ds_write_b32 v180, v16
	ds_write2_b32 v181, v190, v191 offset0:8 offset1:9
	s_waitcnt vmcnt(46)
	v_pk_mov_b32 v[190:191], v[46:47], v[50:51] op_sel:[1,0]
	ds_write2_b32 v181, v190, v191 offset0:10 offset1:11
	s_waitcnt vmcnt(44)
	v_pk_mov_b32 v[190:191], v[50:51], v[44:45] op_sel:[1,0]
	;; [unrolled: 3-line block ×24, first 2 shown]
	ds_write2_b32 v181, v190, v191 offset0:56 offset1:57
	ds_write_b32 v181, v179 offset:232
	ds_read_b32 v189, v180
	s_waitcnt lgkmcnt(0)
	v_cmp_neq_f32_e32 vcc, 0, v189
	s_and_b64 exec, exec, vcc
	s_cbranch_execz .LBB117_42
; %bb.41:
	v_div_scale_f32 v190, s[4:5], v189, v189, 1.0
	v_rcp_f32_e32 v191, v190
	v_div_scale_f32 v192, vcc, 1.0, v189, 1.0
	v_fma_f32 v193, -v190, v191, 1.0
	v_fmac_f32_e32 v191, v193, v191
	v_mul_f32_e32 v193, v192, v191
	v_fma_f32 v194, -v190, v193, v192
	v_fmac_f32_e32 v193, v194, v191
	v_fma_f32 v190, -v190, v193, v192
	v_div_fmas_f32 v190, v190, v191, v193
	v_div_fixup_f32 v189, v190, v189, 1.0
	ds_write_b32 v180, v189
.LBB117_42:
	s_or_b64 exec, exec, s[2:3]
	s_waitcnt lgkmcnt(0)
	s_barrier
	ds_read_b32 v189, v180
	v_cmp_lt_u32_e32 vcc, 7, v25
	s_and_saveexec_b64 s[2:3], vcc
	s_cbranch_execz .LBB117_44
; %bb.43:
	ds_read_b32 v196, v181 offset:32
	ds_read2_b32 v[190:191], v181 offset0:9 offset1:10
	ds_read2_b32 v[192:193], v181 offset0:11 offset1:12
	s_waitcnt vmcnt(51) lgkmcnt(3)
	v_mul_f32_e32 v16, v189, v16
	ds_read2_b32 v[194:195], v181 offset0:13 offset1:14
	s_waitcnt vmcnt(50) lgkmcnt(3)
	v_fma_f32 v17, -v16, v196, v17
	s_waitcnt vmcnt(48) lgkmcnt(2)
	v_pk_fma_f32 v[46:47], v[16:17], v[190:191], v[46:47] op_sel_hi:[0,1,1] neg_lo:[1,0,0] neg_hi:[1,0,0]
	s_waitcnt vmcnt(46) lgkmcnt(1)
	v_pk_fma_f32 v[50:51], v[16:17], v[192:193], v[50:51] op_sel_hi:[0,1,1] neg_lo:[1,0,0] neg_hi:[1,0,0]
	ds_read2_b32 v[190:191], v181 offset0:15 offset1:16
	ds_read2_b32 v[192:193], v181 offset0:17 offset1:18
	ds_read2_b32 v[196:197], v181 offset0:19 offset1:20
	s_waitcnt vmcnt(44) lgkmcnt(3)
	v_pk_fma_f32 v[44:45], v[16:17], v[194:195], v[44:45] op_sel_hi:[0,1,1] neg_lo:[1,0,0] neg_hi:[1,0,0]
	ds_read2_b32 v[194:195], v181 offset0:21 offset1:22
	s_waitcnt vmcnt(42) lgkmcnt(3)
	v_pk_fma_f32 v[48:49], v[16:17], v[190:191], v[48:49] op_sel_hi:[0,1,1] neg_lo:[1,0,0] neg_hi:[1,0,0]
	s_waitcnt vmcnt(40) lgkmcnt(2)
	v_pk_fma_f32 v[74:75], v[16:17], v[192:193], v[74:75] op_sel_hi:[0,1,1] neg_lo:[1,0,0] neg_hi:[1,0,0]
	s_waitcnt vmcnt(38) lgkmcnt(1)
	v_pk_fma_f32 v[68:69], v[16:17], v[196:197], v[68:69] op_sel_hi:[0,1,1] neg_lo:[1,0,0] neg_hi:[1,0,0]
	ds_read2_b32 v[190:191], v181 offset0:23 offset1:24
	ds_read2_b32 v[192:193], v181 offset0:25 offset1:26
	ds_read2_b32 v[196:197], v181 offset0:27 offset1:28
	s_waitcnt vmcnt(36) lgkmcnt(3)
	v_pk_fma_f32 v[70:71], v[16:17], v[194:195], v[70:71] op_sel_hi:[0,1,1] neg_lo:[1,0,0] neg_hi:[1,0,0]
	ds_read2_b32 v[194:195], v181 offset0:29 offset1:30
	s_waitcnt vmcnt(34) lgkmcnt(3)
	v_pk_fma_f32 v[72:73], v[16:17], v[190:191], v[72:73] op_sel_hi:[0,1,1] neg_lo:[1,0,0] neg_hi:[1,0,0]
	;; [unrolled: 12-line block ×4, first 2 shown]
	ds_read2_b32 v[190:191], v181 offset0:47 offset1:48
	s_waitcnt vmcnt(16) lgkmcnt(3)
	v_pk_fma_f32 v[146:147], v[16:17], v[192:193], v[146:147] op_sel_hi:[0,1,1] neg_lo:[1,0,0] neg_hi:[1,0,0]
	s_waitcnt vmcnt(14) lgkmcnt(2)
	v_pk_fma_f32 v[140:141], v[16:17], v[196:197], v[140:141] op_sel_hi:[0,1,1] neg_lo:[1,0,0] neg_hi:[1,0,0]
	;; [unrolled: 2-line block ×3, first 2 shown]
	ds_read2_b32 v[192:193], v181 offset0:49 offset1:50
	ds_read2_b32 v[194:195], v181 offset0:51 offset1:52
	;; [unrolled: 1-line block ×3, first 2 shown]
	s_waitcnt vmcnt(10) lgkmcnt(3)
	v_pk_fma_f32 v[144:145], v[16:17], v[190:191], v[144:145] op_sel_hi:[0,1,1] neg_lo:[1,0,0] neg_hi:[1,0,0]
	ds_read2_b32 v[190:191], v181 offset0:55 offset1:56
	ds_read2_b32 v[198:199], v181 offset0:57 offset1:58
	s_waitcnt vmcnt(8) lgkmcnt(4)
	v_pk_fma_f32 v[166:167], v[16:17], v[192:193], v[166:167] op_sel_hi:[0,1,1] neg_lo:[1,0,0] neg_hi:[1,0,0]
	s_waitcnt vmcnt(6) lgkmcnt(3)
	v_pk_fma_f32 v[168:169], v[16:17], v[194:195], v[168:169] op_sel_hi:[0,1,1] neg_lo:[1,0,0] neg_hi:[1,0,0]
	;; [unrolled: 2-line block ×5, first 2 shown]
.LBB117_44:
	s_or_b64 exec, exec, s[2:3]
	v_cmp_ne_u32_e32 vcc, 8, v25
	s_waitcnt lgkmcnt(0)
	s_barrier
	s_and_saveexec_b64 s[2:3], vcc
	s_xor_b64 s[2:3], exec, s[2:3]
	s_andn2_saveexec_b64 s[2:3], s[2:3]
	s_cbranch_execz .LBB117_48
; %bb.45:
	s_waitcnt vmcnt(50)
	ds_write_b32 v180, v17
	s_waitcnt vmcnt(48)
	ds_write2_b32 v181, v46, v47 offset0:9 offset1:10
	s_waitcnt vmcnt(46)
	ds_write2_b32 v181, v50, v51 offset0:11 offset1:12
	;; [unrolled: 2-line block ×25, first 2 shown]
	ds_read_b32 v190, v180
	s_waitcnt lgkmcnt(0)
	v_cmp_neq_f32_e32 vcc, 0, v190
	s_and_saveexec_b64 s[4:5], vcc
	s_cbranch_execz .LBB117_47
; %bb.46:
	v_div_scale_f32 v191, s[10:11], v190, v190, 1.0
	v_rcp_f32_e32 v192, v191
	v_div_scale_f32 v193, vcc, 1.0, v190, 1.0
	v_fma_f32 v194, -v191, v192, 1.0
	v_fmac_f32_e32 v192, v194, v192
	v_mul_f32_e32 v194, v193, v192
	v_fma_f32 v195, -v191, v194, v193
	v_fmac_f32_e32 v194, v195, v192
	v_fma_f32 v191, -v191, v194, v193
	v_div_fmas_f32 v191, v191, v192, v194
	v_div_fixup_f32 v190, v191, v190, 1.0
	ds_write_b32 v180, v190
.LBB117_47:
	s_or_b64 exec, exec, s[4:5]
.LBB117_48:
	s_or_b64 exec, exec, s[2:3]
	s_waitcnt lgkmcnt(0)
	s_barrier
	ds_read_b32 v190, v180
	v_cmp_lt_u32_e32 vcc, 8, v25
	s_and_saveexec_b64 s[2:3], vcc
	s_cbranch_execz .LBB117_50
; %bb.49:
	ds_read2_b32 v[192:193], v181 offset0:9 offset1:10
	ds_read2_b32 v[194:195], v181 offset0:11 offset1:12
	;; [unrolled: 1-line block ×3, first 2 shown]
	s_waitcnt vmcnt(50) lgkmcnt(3)
	v_mul_f32_e32 v198, v190, v17
	ds_read2_b32 v[200:201], v181 offset0:15 offset1:16
	s_waitcnt vmcnt(48) lgkmcnt(3)
	v_pk_fma_f32 v[46:47], v[198:199], v[192:193], v[46:47] op_sel_hi:[0,1,1] neg_lo:[1,0,0] neg_hi:[1,0,0]
	s_waitcnt vmcnt(46) lgkmcnt(2)
	v_pk_fma_f32 v[50:51], v[198:199], v[194:195], v[50:51] op_sel_hi:[0,1,1] neg_lo:[1,0,0] neg_hi:[1,0,0]
	s_waitcnt vmcnt(44) lgkmcnt(1)
	v_pk_fma_f32 v[44:45], v[198:199], v[196:197], v[44:45] op_sel_hi:[0,1,1] neg_lo:[1,0,0] neg_hi:[1,0,0]
	ds_read2_b32 v[192:193], v181 offset0:17 offset1:18
	ds_read2_b32 v[194:195], v181 offset0:19 offset1:20
	ds_read2_b32 v[196:197], v181 offset0:21 offset1:22
	s_waitcnt vmcnt(42) lgkmcnt(3)
	v_pk_fma_f32 v[48:49], v[198:199], v[200:201], v[48:49] op_sel_hi:[0,1,1] neg_lo:[1,0,0] neg_hi:[1,0,0]
	ds_read2_b32 v[200:201], v181 offset0:23 offset1:24
	s_waitcnt vmcnt(40) lgkmcnt(3)
	v_pk_fma_f32 v[74:75], v[198:199], v[192:193], v[74:75] op_sel_hi:[0,1,1] neg_lo:[1,0,0] neg_hi:[1,0,0]
	s_waitcnt vmcnt(38) lgkmcnt(2)
	v_pk_fma_f32 v[68:69], v[198:199], v[194:195], v[68:69] op_sel_hi:[0,1,1] neg_lo:[1,0,0] neg_hi:[1,0,0]
	s_waitcnt vmcnt(36) lgkmcnt(1)
	v_pk_fma_f32 v[70:71], v[198:199], v[196:197], v[70:71] op_sel_hi:[0,1,1] neg_lo:[1,0,0] neg_hi:[1,0,0]
	ds_read2_b32 v[192:193], v181 offset0:25 offset1:26
	ds_read2_b32 v[194:195], v181 offset0:27 offset1:28
	ds_read2_b32 v[196:197], v181 offset0:29 offset1:30
	s_waitcnt vmcnt(34) lgkmcnt(3)
	v_pk_fma_f32 v[72:73], v[198:199], v[200:201], v[72:73] op_sel_hi:[0,1,1] neg_lo:[1,0,0] neg_hi:[1,0,0]
	;; [unrolled: 12-line block ×3, first 2 shown]
	ds_read2_b32 v[200:201], v181 offset0:39 offset1:40
	s_waitcnt vmcnt(24) lgkmcnt(3)
	v_pk_fma_f32 v[118:119], v[198:199], v[192:193], v[118:119] op_sel_hi:[0,1,1] neg_lo:[1,0,0] neg_hi:[1,0,0]
	s_waitcnt vmcnt(22) lgkmcnt(2)
	v_pk_fma_f32 v[122:123], v[198:199], v[194:195], v[122:123] op_sel_hi:[0,1,1] neg_lo:[1,0,0] neg_hi:[1,0,0]
	;; [unrolled: 2-line block ×3, first 2 shown]
	ds_read2_b32 v[192:193], v181 offset0:41 offset1:42
	ds_read2_b32 v[194:195], v181 offset0:43 offset1:44
	;; [unrolled: 1-line block ×4, first 2 shown]
	s_waitcnt vmcnt(18) lgkmcnt(4)
	v_pk_fma_f32 v[120:121], v[198:199], v[200:201], v[120:121] op_sel_hi:[0,1,1] neg_lo:[1,0,0] neg_hi:[1,0,0]
	s_waitcnt vmcnt(16) lgkmcnt(3)
	v_pk_fma_f32 v[146:147], v[198:199], v[192:193], v[146:147] op_sel_hi:[0,1,1] neg_lo:[1,0,0] neg_hi:[1,0,0]
	;; [unrolled: 2-line block ×5, first 2 shown]
	ds_read2_b32 v[192:193], v181 offset0:49 offset1:50
	ds_read2_b32 v[194:195], v181 offset0:51 offset1:52
	ds_read2_b32 v[196:197], v181 offset0:53 offset1:54
	ds_read2_b32 v[200:201], v181 offset0:55 offset1:56
	ds_read2_b32 v[202:203], v181 offset0:57 offset1:58
	s_waitcnt vmcnt(8) lgkmcnt(4)
	v_pk_fma_f32 v[166:167], v[198:199], v[192:193], v[166:167] op_sel_hi:[0,1,1] neg_lo:[1,0,0] neg_hi:[1,0,0]
	s_waitcnt vmcnt(6) lgkmcnt(3)
	v_pk_fma_f32 v[168:169], v[198:199], v[194:195], v[168:169] op_sel_hi:[0,1,1] neg_lo:[1,0,0] neg_hi:[1,0,0]
	;; [unrolled: 2-line block ×5, first 2 shown]
	v_mov_b32_e32 v17, v198
.LBB117_50:
	s_or_b64 exec, exec, s[2:3]
	v_cmp_eq_u32_e32 vcc, 9, v25
	s_waitcnt lgkmcnt(0)
	s_barrier
	s_and_saveexec_b64 s[2:3], vcc
	s_cbranch_execz .LBB117_53
; %bb.51:
	s_waitcnt vmcnt(46)
	v_pk_mov_b32 v[192:193], v[46:47], v[50:51] op_sel:[1,0]
	ds_write_b32 v180, v46
	ds_write2_b32 v181, v192, v193 offset0:10 offset1:11
	s_waitcnt vmcnt(44)
	v_pk_mov_b32 v[192:193], v[50:51], v[44:45] op_sel:[1,0]
	ds_write2_b32 v181, v192, v193 offset0:12 offset1:13
	s_waitcnt vmcnt(42)
	v_pk_mov_b32 v[192:193], v[44:45], v[48:49] op_sel:[1,0]
	ds_write2_b32 v181, v192, v193 offset0:14 offset1:15
	s_waitcnt vmcnt(40)
	v_pk_mov_b32 v[192:193], v[48:49], v[74:75] op_sel:[1,0]
	ds_write2_b32 v181, v192, v193 offset0:16 offset1:17
	s_waitcnt vmcnt(38)
	v_pk_mov_b32 v[192:193], v[74:75], v[68:69] op_sel:[1,0]
	ds_write2_b32 v181, v192, v193 offset0:18 offset1:19
	s_waitcnt vmcnt(36)
	v_pk_mov_b32 v[192:193], v[68:69], v[70:71] op_sel:[1,0]
	ds_write2_b32 v181, v192, v193 offset0:20 offset1:21
	s_waitcnt vmcnt(34)
	v_pk_mov_b32 v[192:193], v[70:71], v[72:73] op_sel:[1,0]
	ds_write2_b32 v181, v192, v193 offset0:22 offset1:23
	s_waitcnt vmcnt(32)
	v_pk_mov_b32 v[192:193], v[72:73], v[94:95] op_sel:[1,0]
	ds_write2_b32 v181, v192, v193 offset0:24 offset1:25
	s_waitcnt vmcnt(30)
	v_pk_mov_b32 v[192:193], v[94:95], v[96:97] op_sel:[1,0]
	ds_write2_b32 v181, v192, v193 offset0:26 offset1:27
	s_waitcnt vmcnt(28)
	v_pk_mov_b32 v[192:193], v[96:97], v[98:99] op_sel:[1,0]
	ds_write2_b32 v181, v192, v193 offset0:28 offset1:29
	s_waitcnt vmcnt(26)
	v_pk_mov_b32 v[192:193], v[98:99], v[92:93] op_sel:[1,0]
	ds_write2_b32 v181, v192, v193 offset0:30 offset1:31
	s_waitcnt vmcnt(24)
	v_pk_mov_b32 v[192:193], v[92:93], v[118:119] op_sel:[1,0]
	ds_write2_b32 v181, v192, v193 offset0:32 offset1:33
	s_waitcnt vmcnt(22)
	v_pk_mov_b32 v[192:193], v[118:119], v[122:123] op_sel:[1,0]
	ds_write2_b32 v181, v192, v193 offset0:34 offset1:35
	s_waitcnt vmcnt(20)
	v_pk_mov_b32 v[192:193], v[122:123], v[116:117] op_sel:[1,0]
	ds_write2_b32 v181, v192, v193 offset0:36 offset1:37
	s_waitcnt vmcnt(18)
	v_pk_mov_b32 v[192:193], v[116:117], v[120:121] op_sel:[1,0]
	ds_write2_b32 v181, v192, v193 offset0:38 offset1:39
	s_waitcnt vmcnt(16)
	v_pk_mov_b32 v[192:193], v[120:121], v[146:147] op_sel:[1,0]
	ds_write2_b32 v181, v192, v193 offset0:40 offset1:41
	s_waitcnt vmcnt(14)
	v_pk_mov_b32 v[192:193], v[146:147], v[140:141] op_sel:[1,0]
	ds_write2_b32 v181, v192, v193 offset0:42 offset1:43
	s_waitcnt vmcnt(12)
	v_pk_mov_b32 v[192:193], v[140:141], v[142:143] op_sel:[1,0]
	ds_write2_b32 v181, v192, v193 offset0:44 offset1:45
	s_waitcnt vmcnt(10)
	v_pk_mov_b32 v[192:193], v[142:143], v[144:145] op_sel:[1,0]
	ds_write2_b32 v181, v192, v193 offset0:46 offset1:47
	s_waitcnt vmcnt(8)
	v_pk_mov_b32 v[192:193], v[144:145], v[166:167] op_sel:[1,0]
	ds_write2_b32 v181, v192, v193 offset0:48 offset1:49
	s_waitcnt vmcnt(6)
	v_pk_mov_b32 v[192:193], v[166:167], v[168:169] op_sel:[1,0]
	ds_write2_b32 v181, v192, v193 offset0:50 offset1:51
	s_waitcnt vmcnt(4)
	v_pk_mov_b32 v[192:193], v[168:169], v[170:171] op_sel:[1,0]
	ds_write2_b32 v181, v192, v193 offset0:52 offset1:53
	s_waitcnt vmcnt(2)
	v_pk_mov_b32 v[192:193], v[170:171], v[164:165] op_sel:[1,0]
	ds_write2_b32 v181, v192, v193 offset0:54 offset1:55
	s_waitcnt vmcnt(0)
	v_pk_mov_b32 v[192:193], v[164:165], v[178:179] op_sel:[1,0]
	ds_write2_b32 v181, v192, v193 offset0:56 offset1:57
	ds_write_b32 v181, v179 offset:232
	ds_read_b32 v191, v180
	s_waitcnt lgkmcnt(0)
	v_cmp_neq_f32_e32 vcc, 0, v191
	s_and_b64 exec, exec, vcc
	s_cbranch_execz .LBB117_53
; %bb.52:
	v_div_scale_f32 v192, s[4:5], v191, v191, 1.0
	v_rcp_f32_e32 v193, v192
	v_div_scale_f32 v194, vcc, 1.0, v191, 1.0
	v_fma_f32 v195, -v192, v193, 1.0
	v_fmac_f32_e32 v193, v195, v193
	v_mul_f32_e32 v195, v194, v193
	v_fma_f32 v196, -v192, v195, v194
	v_fmac_f32_e32 v195, v196, v193
	v_fma_f32 v192, -v192, v195, v194
	v_div_fmas_f32 v192, v192, v193, v195
	v_div_fixup_f32 v191, v192, v191, 1.0
	ds_write_b32 v180, v191
.LBB117_53:
	s_or_b64 exec, exec, s[2:3]
	s_waitcnt lgkmcnt(0)
	s_barrier
	ds_read_b32 v191, v180
	v_cmp_lt_u32_e32 vcc, 9, v25
	s_and_saveexec_b64 s[2:3], vcc
	s_cbranch_execz .LBB117_55
; %bb.54:
	ds_read_b32 v198, v181 offset:40
	ds_read2_b32 v[192:193], v181 offset0:11 offset1:12
	ds_read2_b32 v[194:195], v181 offset0:13 offset1:14
	s_waitcnt vmcnt(49) lgkmcnt(3)
	v_mul_f32_e32 v46, v191, v46
	ds_read2_b32 v[196:197], v181 offset0:15 offset1:16
	s_waitcnt vmcnt(48) lgkmcnt(3)
	v_fma_f32 v47, -v46, v198, v47
	s_waitcnt vmcnt(46) lgkmcnt(2)
	v_pk_fma_f32 v[50:51], v[46:47], v[192:193], v[50:51] op_sel_hi:[0,1,1] neg_lo:[1,0,0] neg_hi:[1,0,0]
	s_waitcnt vmcnt(44) lgkmcnt(1)
	v_pk_fma_f32 v[44:45], v[46:47], v[194:195], v[44:45] op_sel_hi:[0,1,1] neg_lo:[1,0,0] neg_hi:[1,0,0]
	ds_read2_b32 v[192:193], v181 offset0:17 offset1:18
	ds_read2_b32 v[194:195], v181 offset0:19 offset1:20
	ds_read2_b32 v[198:199], v181 offset0:21 offset1:22
	s_waitcnt vmcnt(42) lgkmcnt(3)
	v_pk_fma_f32 v[48:49], v[46:47], v[196:197], v[48:49] op_sel_hi:[0,1,1] neg_lo:[1,0,0] neg_hi:[1,0,0]
	ds_read2_b32 v[196:197], v181 offset0:23 offset1:24
	s_waitcnt vmcnt(40) lgkmcnt(3)
	v_pk_fma_f32 v[74:75], v[46:47], v[192:193], v[74:75] op_sel_hi:[0,1,1] neg_lo:[1,0,0] neg_hi:[1,0,0]
	s_waitcnt vmcnt(38) lgkmcnt(2)
	v_pk_fma_f32 v[68:69], v[46:47], v[194:195], v[68:69] op_sel_hi:[0,1,1] neg_lo:[1,0,0] neg_hi:[1,0,0]
	s_waitcnt vmcnt(36) lgkmcnt(1)
	v_pk_fma_f32 v[70:71], v[46:47], v[198:199], v[70:71] op_sel_hi:[0,1,1] neg_lo:[1,0,0] neg_hi:[1,0,0]
	ds_read2_b32 v[192:193], v181 offset0:25 offset1:26
	ds_read2_b32 v[194:195], v181 offset0:27 offset1:28
	ds_read2_b32 v[198:199], v181 offset0:29 offset1:30
	s_waitcnt vmcnt(34) lgkmcnt(3)
	v_pk_fma_f32 v[72:73], v[46:47], v[196:197], v[72:73] op_sel_hi:[0,1,1] neg_lo:[1,0,0] neg_hi:[1,0,0]
	ds_read2_b32 v[196:197], v181 offset0:31 offset1:32
	s_waitcnt vmcnt(32) lgkmcnt(3)
	v_pk_fma_f32 v[94:95], v[46:47], v[192:193], v[94:95] op_sel_hi:[0,1,1] neg_lo:[1,0,0] neg_hi:[1,0,0]
	;; [unrolled: 12-line block ×3, first 2 shown]
	s_waitcnt vmcnt(22) lgkmcnt(2)
	v_pk_fma_f32 v[122:123], v[46:47], v[194:195], v[122:123] op_sel_hi:[0,1,1] neg_lo:[1,0,0] neg_hi:[1,0,0]
	s_waitcnt vmcnt(20) lgkmcnt(1)
	v_pk_fma_f32 v[116:117], v[46:47], v[198:199], v[116:117] op_sel_hi:[0,1,1] neg_lo:[1,0,0] neg_hi:[1,0,0]
	ds_read2_b32 v[192:193], v181 offset0:41 offset1:42
	ds_read2_b32 v[194:195], v181 offset0:43 offset1:44
	;; [unrolled: 1-line block ×4, first 2 shown]
	s_waitcnt vmcnt(18) lgkmcnt(4)
	v_pk_fma_f32 v[120:121], v[46:47], v[196:197], v[120:121] op_sel_hi:[0,1,1] neg_lo:[1,0,0] neg_hi:[1,0,0]
	s_waitcnt vmcnt(16) lgkmcnt(3)
	v_pk_fma_f32 v[146:147], v[46:47], v[192:193], v[146:147] op_sel_hi:[0,1,1] neg_lo:[1,0,0] neg_hi:[1,0,0]
	;; [unrolled: 2-line block ×5, first 2 shown]
	ds_read2_b32 v[192:193], v181 offset0:49 offset1:50
	ds_read2_b32 v[194:195], v181 offset0:51 offset1:52
	;; [unrolled: 1-line block ×5, first 2 shown]
	s_waitcnt vmcnt(8) lgkmcnt(4)
	v_pk_fma_f32 v[166:167], v[46:47], v[192:193], v[166:167] op_sel_hi:[0,1,1] neg_lo:[1,0,0] neg_hi:[1,0,0]
	s_waitcnt vmcnt(6) lgkmcnt(3)
	v_pk_fma_f32 v[168:169], v[46:47], v[194:195], v[168:169] op_sel_hi:[0,1,1] neg_lo:[1,0,0] neg_hi:[1,0,0]
	;; [unrolled: 2-line block ×5, first 2 shown]
.LBB117_55:
	s_or_b64 exec, exec, s[2:3]
	v_cmp_ne_u32_e32 vcc, 10, v25
	s_waitcnt lgkmcnt(0)
	s_barrier
	s_and_saveexec_b64 s[2:3], vcc
	s_xor_b64 s[2:3], exec, s[2:3]
	s_andn2_saveexec_b64 s[2:3], s[2:3]
	s_cbranch_execz .LBB117_59
; %bb.56:
	s_waitcnt vmcnt(48)
	ds_write_b32 v180, v47
	s_waitcnt vmcnt(46)
	ds_write2_b32 v181, v50, v51 offset0:11 offset1:12
	s_waitcnt vmcnt(44)
	ds_write2_b32 v181, v44, v45 offset0:13 offset1:14
	;; [unrolled: 2-line block ×24, first 2 shown]
	ds_read_b32 v192, v180
	s_waitcnt lgkmcnt(0)
	v_cmp_neq_f32_e32 vcc, 0, v192
	s_and_saveexec_b64 s[4:5], vcc
	s_cbranch_execz .LBB117_58
; %bb.57:
	v_div_scale_f32 v193, s[10:11], v192, v192, 1.0
	v_rcp_f32_e32 v194, v193
	v_div_scale_f32 v195, vcc, 1.0, v192, 1.0
	v_fma_f32 v196, -v193, v194, 1.0
	v_fmac_f32_e32 v194, v196, v194
	v_mul_f32_e32 v196, v195, v194
	v_fma_f32 v197, -v193, v196, v195
	v_fmac_f32_e32 v196, v197, v194
	v_fma_f32 v193, -v193, v196, v195
	v_div_fmas_f32 v193, v193, v194, v196
	v_div_fixup_f32 v192, v193, v192, 1.0
	ds_write_b32 v180, v192
.LBB117_58:
	s_or_b64 exec, exec, s[4:5]
.LBB117_59:
	s_or_b64 exec, exec, s[2:3]
	s_waitcnt lgkmcnt(0)
	s_barrier
	ds_read_b32 v192, v180
	v_cmp_lt_u32_e32 vcc, 10, v25
	s_and_saveexec_b64 s[2:3], vcc
	s_cbranch_execz .LBB117_61
; %bb.60:
	ds_read2_b32 v[194:195], v181 offset0:11 offset1:12
	ds_read2_b32 v[196:197], v181 offset0:13 offset1:14
	;; [unrolled: 1-line block ×3, first 2 shown]
	s_waitcnt vmcnt(48) lgkmcnt(3)
	v_mul_f32_e32 v200, v192, v47
	ds_read2_b32 v[202:203], v181 offset0:17 offset1:18
	s_waitcnt vmcnt(46) lgkmcnt(3)
	v_pk_fma_f32 v[50:51], v[200:201], v[194:195], v[50:51] op_sel_hi:[0,1,1] neg_lo:[1,0,0] neg_hi:[1,0,0]
	s_waitcnt vmcnt(44) lgkmcnt(2)
	v_pk_fma_f32 v[44:45], v[200:201], v[196:197], v[44:45] op_sel_hi:[0,1,1] neg_lo:[1,0,0] neg_hi:[1,0,0]
	s_waitcnt vmcnt(42) lgkmcnt(1)
	v_pk_fma_f32 v[48:49], v[200:201], v[198:199], v[48:49] op_sel_hi:[0,1,1] neg_lo:[1,0,0] neg_hi:[1,0,0]
	ds_read2_b32 v[194:195], v181 offset0:19 offset1:20
	ds_read2_b32 v[196:197], v181 offset0:21 offset1:22
	ds_read2_b32 v[198:199], v181 offset0:23 offset1:24
	s_waitcnt vmcnt(40) lgkmcnt(3)
	v_pk_fma_f32 v[74:75], v[200:201], v[202:203], v[74:75] op_sel_hi:[0,1,1] neg_lo:[1,0,0] neg_hi:[1,0,0]
	ds_read2_b32 v[202:203], v181 offset0:25 offset1:26
	s_waitcnt vmcnt(38) lgkmcnt(3)
	v_pk_fma_f32 v[68:69], v[200:201], v[194:195], v[68:69] op_sel_hi:[0,1,1] neg_lo:[1,0,0] neg_hi:[1,0,0]
	s_waitcnt vmcnt(36) lgkmcnt(2)
	v_pk_fma_f32 v[70:71], v[200:201], v[196:197], v[70:71] op_sel_hi:[0,1,1] neg_lo:[1,0,0] neg_hi:[1,0,0]
	s_waitcnt vmcnt(34) lgkmcnt(1)
	v_pk_fma_f32 v[72:73], v[200:201], v[198:199], v[72:73] op_sel_hi:[0,1,1] neg_lo:[1,0,0] neg_hi:[1,0,0]
	ds_read2_b32 v[194:195], v181 offset0:27 offset1:28
	ds_read2_b32 v[196:197], v181 offset0:29 offset1:30
	ds_read2_b32 v[198:199], v181 offset0:31 offset1:32
	s_waitcnt vmcnt(32) lgkmcnt(3)
	v_pk_fma_f32 v[94:95], v[200:201], v[202:203], v[94:95] op_sel_hi:[0,1,1] neg_lo:[1,0,0] neg_hi:[1,0,0]
	;; [unrolled: 12-line block ×4, first 2 shown]
	ds_read2_b32 v[202:203], v181 offset0:49 offset1:50
	s_waitcnt vmcnt(14) lgkmcnt(3)
	v_pk_fma_f32 v[140:141], v[200:201], v[194:195], v[140:141] op_sel_hi:[0,1,1] neg_lo:[1,0,0] neg_hi:[1,0,0]
	s_waitcnt vmcnt(12) lgkmcnt(2)
	v_pk_fma_f32 v[142:143], v[200:201], v[196:197], v[142:143] op_sel_hi:[0,1,1] neg_lo:[1,0,0] neg_hi:[1,0,0]
	;; [unrolled: 2-line block ×3, first 2 shown]
	ds_read2_b32 v[194:195], v181 offset0:51 offset1:52
	ds_read2_b32 v[196:197], v181 offset0:53 offset1:54
	;; [unrolled: 1-line block ×4, first 2 shown]
	s_waitcnt vmcnt(8) lgkmcnt(4)
	v_pk_fma_f32 v[166:167], v[200:201], v[202:203], v[166:167] op_sel_hi:[0,1,1] neg_lo:[1,0,0] neg_hi:[1,0,0]
	s_waitcnt vmcnt(6) lgkmcnt(3)
	v_pk_fma_f32 v[168:169], v[200:201], v[194:195], v[168:169] op_sel_hi:[0,1,1] neg_lo:[1,0,0] neg_hi:[1,0,0]
	s_waitcnt vmcnt(4) lgkmcnt(2)
	v_pk_fma_f32 v[170:171], v[200:201], v[196:197], v[170:171] op_sel_hi:[0,1,1] neg_lo:[1,0,0] neg_hi:[1,0,0]
	s_waitcnt vmcnt(2) lgkmcnt(1)
	v_pk_fma_f32 v[164:165], v[200:201], v[198:199], v[164:165] op_sel_hi:[0,1,1] neg_lo:[1,0,0] neg_hi:[1,0,0]
	s_waitcnt vmcnt(0) lgkmcnt(0)
	v_pk_fma_f32 v[178:179], v[200:201], v[204:205], v[178:179] op_sel_hi:[0,1,1] neg_lo:[1,0,0] neg_hi:[1,0,0]
	v_mov_b32_e32 v47, v200
.LBB117_61:
	s_or_b64 exec, exec, s[2:3]
	v_cmp_eq_u32_e32 vcc, 11, v25
	s_waitcnt lgkmcnt(0)
	s_barrier
	s_and_saveexec_b64 s[2:3], vcc
	s_cbranch_execz .LBB117_64
; %bb.62:
	s_waitcnt vmcnt(44)
	v_pk_mov_b32 v[194:195], v[50:51], v[44:45] op_sel:[1,0]
	ds_write_b32 v180, v50
	ds_write2_b32 v181, v194, v195 offset0:12 offset1:13
	s_waitcnt vmcnt(42)
	v_pk_mov_b32 v[194:195], v[44:45], v[48:49] op_sel:[1,0]
	ds_write2_b32 v181, v194, v195 offset0:14 offset1:15
	s_waitcnt vmcnt(40)
	v_pk_mov_b32 v[194:195], v[48:49], v[74:75] op_sel:[1,0]
	;; [unrolled: 3-line block ×22, first 2 shown]
	ds_write2_b32 v181, v194, v195 offset0:56 offset1:57
	ds_write_b32 v181, v179 offset:232
	ds_read_b32 v193, v180
	s_waitcnt lgkmcnt(0)
	v_cmp_neq_f32_e32 vcc, 0, v193
	s_and_b64 exec, exec, vcc
	s_cbranch_execz .LBB117_64
; %bb.63:
	v_div_scale_f32 v194, s[4:5], v193, v193, 1.0
	v_rcp_f32_e32 v195, v194
	v_div_scale_f32 v196, vcc, 1.0, v193, 1.0
	v_fma_f32 v197, -v194, v195, 1.0
	v_fmac_f32_e32 v195, v197, v195
	v_mul_f32_e32 v197, v196, v195
	v_fma_f32 v198, -v194, v197, v196
	v_fmac_f32_e32 v197, v198, v195
	v_fma_f32 v194, -v194, v197, v196
	v_div_fmas_f32 v194, v194, v195, v197
	v_div_fixup_f32 v193, v194, v193, 1.0
	ds_write_b32 v180, v193
.LBB117_64:
	s_or_b64 exec, exec, s[2:3]
	s_waitcnt lgkmcnt(0)
	s_barrier
	ds_read_b32 v193, v180
	v_cmp_lt_u32_e32 vcc, 11, v25
	s_and_saveexec_b64 s[2:3], vcc
	s_cbranch_execz .LBB117_66
; %bb.65:
	ds_read_b32 v200, v181 offset:48
	ds_read2_b32 v[194:195], v181 offset0:13 offset1:14
	ds_read2_b32 v[196:197], v181 offset0:15 offset1:16
	s_waitcnt vmcnt(47) lgkmcnt(3)
	v_mul_f32_e32 v50, v193, v50
	ds_read2_b32 v[198:199], v181 offset0:17 offset1:18
	s_waitcnt vmcnt(46) lgkmcnt(3)
	v_fma_f32 v51, -v50, v200, v51
	s_waitcnt vmcnt(44) lgkmcnt(2)
	v_pk_fma_f32 v[44:45], v[50:51], v[194:195], v[44:45] op_sel_hi:[0,1,1] neg_lo:[1,0,0] neg_hi:[1,0,0]
	s_waitcnt vmcnt(42) lgkmcnt(1)
	v_pk_fma_f32 v[48:49], v[50:51], v[196:197], v[48:49] op_sel_hi:[0,1,1] neg_lo:[1,0,0] neg_hi:[1,0,0]
	ds_read2_b32 v[194:195], v181 offset0:19 offset1:20
	ds_read2_b32 v[196:197], v181 offset0:21 offset1:22
	ds_read2_b32 v[200:201], v181 offset0:23 offset1:24
	s_waitcnt vmcnt(40) lgkmcnt(3)
	v_pk_fma_f32 v[74:75], v[50:51], v[198:199], v[74:75] op_sel_hi:[0,1,1] neg_lo:[1,0,0] neg_hi:[1,0,0]
	ds_read2_b32 v[198:199], v181 offset0:25 offset1:26
	s_waitcnt vmcnt(38) lgkmcnt(3)
	v_pk_fma_f32 v[68:69], v[50:51], v[194:195], v[68:69] op_sel_hi:[0,1,1] neg_lo:[1,0,0] neg_hi:[1,0,0]
	s_waitcnt vmcnt(36) lgkmcnt(2)
	v_pk_fma_f32 v[70:71], v[50:51], v[196:197], v[70:71] op_sel_hi:[0,1,1] neg_lo:[1,0,0] neg_hi:[1,0,0]
	s_waitcnt vmcnt(34) lgkmcnt(1)
	v_pk_fma_f32 v[72:73], v[50:51], v[200:201], v[72:73] op_sel_hi:[0,1,1] neg_lo:[1,0,0] neg_hi:[1,0,0]
	ds_read2_b32 v[194:195], v181 offset0:27 offset1:28
	ds_read2_b32 v[196:197], v181 offset0:29 offset1:30
	ds_read2_b32 v[200:201], v181 offset0:31 offset1:32
	s_waitcnt vmcnt(32) lgkmcnt(3)
	v_pk_fma_f32 v[94:95], v[50:51], v[198:199], v[94:95] op_sel_hi:[0,1,1] neg_lo:[1,0,0] neg_hi:[1,0,0]
	ds_read2_b32 v[198:199], v181 offset0:33 offset1:34
	s_waitcnt vmcnt(30) lgkmcnt(3)
	v_pk_fma_f32 v[96:97], v[50:51], v[194:195], v[96:97] op_sel_hi:[0,1,1] neg_lo:[1,0,0] neg_hi:[1,0,0]
	;; [unrolled: 12-line block ×4, first 2 shown]
	s_waitcnt vmcnt(12) lgkmcnt(2)
	v_pk_fma_f32 v[142:143], v[50:51], v[196:197], v[142:143] op_sel_hi:[0,1,1] neg_lo:[1,0,0] neg_hi:[1,0,0]
	s_waitcnt vmcnt(10) lgkmcnt(1)
	v_pk_fma_f32 v[144:145], v[50:51], v[200:201], v[144:145] op_sel_hi:[0,1,1] neg_lo:[1,0,0] neg_hi:[1,0,0]
	ds_read2_b32 v[194:195], v181 offset0:51 offset1:52
	ds_read2_b32 v[196:197], v181 offset0:53 offset1:54
	;; [unrolled: 1-line block ×4, first 2 shown]
	s_waitcnt vmcnt(8) lgkmcnt(4)
	v_pk_fma_f32 v[166:167], v[50:51], v[198:199], v[166:167] op_sel_hi:[0,1,1] neg_lo:[1,0,0] neg_hi:[1,0,0]
	s_waitcnt vmcnt(6) lgkmcnt(3)
	v_pk_fma_f32 v[168:169], v[50:51], v[194:195], v[168:169] op_sel_hi:[0,1,1] neg_lo:[1,0,0] neg_hi:[1,0,0]
	;; [unrolled: 2-line block ×5, first 2 shown]
.LBB117_66:
	s_or_b64 exec, exec, s[2:3]
	v_cmp_ne_u32_e32 vcc, 12, v25
	s_waitcnt lgkmcnt(0)
	s_barrier
	s_and_saveexec_b64 s[2:3], vcc
	s_xor_b64 s[2:3], exec, s[2:3]
	s_andn2_saveexec_b64 s[2:3], s[2:3]
	s_cbranch_execz .LBB117_70
; %bb.67:
	s_waitcnt vmcnt(46)
	ds_write_b32 v180, v51
	s_waitcnt vmcnt(44)
	ds_write2_b32 v181, v44, v45 offset0:13 offset1:14
	s_waitcnt vmcnt(42)
	ds_write2_b32 v181, v48, v49 offset0:15 offset1:16
	;; [unrolled: 2-line block ×23, first 2 shown]
	ds_read_b32 v194, v180
	s_waitcnt lgkmcnt(0)
	v_cmp_neq_f32_e32 vcc, 0, v194
	s_and_saveexec_b64 s[4:5], vcc
	s_cbranch_execz .LBB117_69
; %bb.68:
	v_div_scale_f32 v195, s[10:11], v194, v194, 1.0
	v_rcp_f32_e32 v196, v195
	v_div_scale_f32 v197, vcc, 1.0, v194, 1.0
	v_fma_f32 v198, -v195, v196, 1.0
	v_fmac_f32_e32 v196, v198, v196
	v_mul_f32_e32 v198, v197, v196
	v_fma_f32 v199, -v195, v198, v197
	v_fmac_f32_e32 v198, v199, v196
	v_fma_f32 v195, -v195, v198, v197
	v_div_fmas_f32 v195, v195, v196, v198
	v_div_fixup_f32 v194, v195, v194, 1.0
	ds_write_b32 v180, v194
.LBB117_69:
	s_or_b64 exec, exec, s[4:5]
.LBB117_70:
	s_or_b64 exec, exec, s[2:3]
	s_waitcnt lgkmcnt(0)
	s_barrier
	ds_read_b32 v194, v180
	v_cmp_lt_u32_e32 vcc, 12, v25
	s_and_saveexec_b64 s[2:3], vcc
	s_cbranch_execz .LBB117_72
; %bb.71:
	ds_read2_b32 v[196:197], v181 offset0:13 offset1:14
	ds_read2_b32 v[198:199], v181 offset0:15 offset1:16
	;; [unrolled: 1-line block ×3, first 2 shown]
	s_waitcnt vmcnt(46) lgkmcnt(3)
	v_mul_f32_e32 v202, v194, v51
	ds_read2_b32 v[204:205], v181 offset0:19 offset1:20
	s_waitcnt vmcnt(44) lgkmcnt(3)
	v_pk_fma_f32 v[44:45], v[202:203], v[196:197], v[44:45] op_sel_hi:[0,1,1] neg_lo:[1,0,0] neg_hi:[1,0,0]
	s_waitcnt vmcnt(42) lgkmcnt(2)
	v_pk_fma_f32 v[48:49], v[202:203], v[198:199], v[48:49] op_sel_hi:[0,1,1] neg_lo:[1,0,0] neg_hi:[1,0,0]
	s_waitcnt vmcnt(40) lgkmcnt(1)
	v_pk_fma_f32 v[74:75], v[202:203], v[200:201], v[74:75] op_sel_hi:[0,1,1] neg_lo:[1,0,0] neg_hi:[1,0,0]
	ds_read2_b32 v[196:197], v181 offset0:21 offset1:22
	ds_read2_b32 v[198:199], v181 offset0:23 offset1:24
	ds_read2_b32 v[200:201], v181 offset0:25 offset1:26
	s_waitcnt vmcnt(38) lgkmcnt(3)
	v_pk_fma_f32 v[68:69], v[202:203], v[204:205], v[68:69] op_sel_hi:[0,1,1] neg_lo:[1,0,0] neg_hi:[1,0,0]
	ds_read2_b32 v[204:205], v181 offset0:27 offset1:28
	s_waitcnt vmcnt(36) lgkmcnt(3)
	v_pk_fma_f32 v[70:71], v[202:203], v[196:197], v[70:71] op_sel_hi:[0,1,1] neg_lo:[1,0,0] neg_hi:[1,0,0]
	s_waitcnt vmcnt(34) lgkmcnt(2)
	v_pk_fma_f32 v[72:73], v[202:203], v[198:199], v[72:73] op_sel_hi:[0,1,1] neg_lo:[1,0,0] neg_hi:[1,0,0]
	s_waitcnt vmcnt(32) lgkmcnt(1)
	v_pk_fma_f32 v[94:95], v[202:203], v[200:201], v[94:95] op_sel_hi:[0,1,1] neg_lo:[1,0,0] neg_hi:[1,0,0]
	ds_read2_b32 v[196:197], v181 offset0:29 offset1:30
	ds_read2_b32 v[198:199], v181 offset0:31 offset1:32
	ds_read2_b32 v[200:201], v181 offset0:33 offset1:34
	s_waitcnt vmcnt(30) lgkmcnt(3)
	v_pk_fma_f32 v[96:97], v[202:203], v[204:205], v[96:97] op_sel_hi:[0,1,1] neg_lo:[1,0,0] neg_hi:[1,0,0]
	;; [unrolled: 12-line block ×3, first 2 shown]
	ds_read2_b32 v[204:205], v181 offset0:43 offset1:44
	s_waitcnt vmcnt(20) lgkmcnt(3)
	v_pk_fma_f32 v[116:117], v[202:203], v[196:197], v[116:117] op_sel_hi:[0,1,1] neg_lo:[1,0,0] neg_hi:[1,0,0]
	s_waitcnt vmcnt(18) lgkmcnt(2)
	v_pk_fma_f32 v[120:121], v[202:203], v[198:199], v[120:121] op_sel_hi:[0,1,1] neg_lo:[1,0,0] neg_hi:[1,0,0]
	ds_read2_b32 v[196:197], v181 offset0:45 offset1:46
	ds_read2_b32 v[198:199], v181 offset0:47 offset1:48
	s_waitcnt vmcnt(16) lgkmcnt(3)
	v_pk_fma_f32 v[146:147], v[202:203], v[200:201], v[146:147] op_sel_hi:[0,1,1] neg_lo:[1,0,0] neg_hi:[1,0,0]
	s_waitcnt vmcnt(14) lgkmcnt(2)
	v_pk_fma_f32 v[140:141], v[202:203], v[204:205], v[140:141] op_sel_hi:[0,1,1] neg_lo:[1,0,0] neg_hi:[1,0,0]
	ds_read2_b32 v[200:201], v181 offset0:49 offset1:50
	;; [unrolled: 6-line block ×3, first 2 shown]
	ds_read2_b32 v[198:199], v181 offset0:55 offset1:56
	ds_read2_b32 v[206:207], v181 offset0:57 offset1:58
	s_waitcnt vmcnt(8) lgkmcnt(4)
	v_pk_fma_f32 v[166:167], v[202:203], v[200:201], v[166:167] op_sel_hi:[0,1,1] neg_lo:[1,0,0] neg_hi:[1,0,0]
	s_waitcnt vmcnt(6) lgkmcnt(3)
	v_pk_fma_f32 v[168:169], v[202:203], v[204:205], v[168:169] op_sel_hi:[0,1,1] neg_lo:[1,0,0] neg_hi:[1,0,0]
	;; [unrolled: 2-line block ×5, first 2 shown]
	v_mov_b32_e32 v51, v202
.LBB117_72:
	s_or_b64 exec, exec, s[2:3]
	v_cmp_eq_u32_e32 vcc, 13, v25
	s_waitcnt lgkmcnt(0)
	s_barrier
	s_and_saveexec_b64 s[2:3], vcc
	s_cbranch_execz .LBB117_75
; %bb.73:
	s_waitcnt vmcnt(42)
	v_pk_mov_b32 v[196:197], v[44:45], v[48:49] op_sel:[1,0]
	ds_write_b32 v180, v44
	ds_write2_b32 v181, v196, v197 offset0:14 offset1:15
	s_waitcnt vmcnt(40)
	v_pk_mov_b32 v[196:197], v[48:49], v[74:75] op_sel:[1,0]
	ds_write2_b32 v181, v196, v197 offset0:16 offset1:17
	s_waitcnt vmcnt(38)
	v_pk_mov_b32 v[196:197], v[74:75], v[68:69] op_sel:[1,0]
	;; [unrolled: 3-line block ×21, first 2 shown]
	ds_write2_b32 v181, v196, v197 offset0:56 offset1:57
	ds_write_b32 v181, v179 offset:232
	ds_read_b32 v195, v180
	s_waitcnt lgkmcnt(0)
	v_cmp_neq_f32_e32 vcc, 0, v195
	s_and_b64 exec, exec, vcc
	s_cbranch_execz .LBB117_75
; %bb.74:
	v_div_scale_f32 v196, s[4:5], v195, v195, 1.0
	v_rcp_f32_e32 v197, v196
	v_div_scale_f32 v198, vcc, 1.0, v195, 1.0
	v_fma_f32 v199, -v196, v197, 1.0
	v_fmac_f32_e32 v197, v199, v197
	v_mul_f32_e32 v199, v198, v197
	v_fma_f32 v200, -v196, v199, v198
	v_fmac_f32_e32 v199, v200, v197
	v_fma_f32 v196, -v196, v199, v198
	v_div_fmas_f32 v196, v196, v197, v199
	v_div_fixup_f32 v195, v196, v195, 1.0
	ds_write_b32 v180, v195
.LBB117_75:
	s_or_b64 exec, exec, s[2:3]
	s_waitcnt lgkmcnt(0)
	s_barrier
	ds_read_b32 v195, v180
	v_cmp_lt_u32_e32 vcc, 13, v25
	s_and_saveexec_b64 s[2:3], vcc
	s_cbranch_execz .LBB117_77
; %bb.76:
	ds_read_b32 v202, v181 offset:56
	ds_read2_b32 v[196:197], v181 offset0:15 offset1:16
	ds_read2_b32 v[198:199], v181 offset0:17 offset1:18
	s_waitcnt vmcnt(45) lgkmcnt(3)
	v_mul_f32_e32 v44, v195, v44
	ds_read2_b32 v[200:201], v181 offset0:19 offset1:20
	s_waitcnt vmcnt(44) lgkmcnt(3)
	v_fma_f32 v45, -v44, v202, v45
	s_waitcnt vmcnt(42) lgkmcnt(2)
	v_pk_fma_f32 v[48:49], v[44:45], v[196:197], v[48:49] op_sel_hi:[0,1,1] neg_lo:[1,0,0] neg_hi:[1,0,0]
	s_waitcnt vmcnt(40) lgkmcnt(1)
	v_pk_fma_f32 v[74:75], v[44:45], v[198:199], v[74:75] op_sel_hi:[0,1,1] neg_lo:[1,0,0] neg_hi:[1,0,0]
	ds_read2_b32 v[196:197], v181 offset0:21 offset1:22
	ds_read2_b32 v[198:199], v181 offset0:23 offset1:24
	ds_read2_b32 v[202:203], v181 offset0:25 offset1:26
	s_waitcnt vmcnt(38) lgkmcnt(3)
	v_pk_fma_f32 v[68:69], v[44:45], v[200:201], v[68:69] op_sel_hi:[0,1,1] neg_lo:[1,0,0] neg_hi:[1,0,0]
	ds_read2_b32 v[200:201], v181 offset0:27 offset1:28
	s_waitcnt vmcnt(36) lgkmcnt(3)
	v_pk_fma_f32 v[70:71], v[44:45], v[196:197], v[70:71] op_sel_hi:[0,1,1] neg_lo:[1,0,0] neg_hi:[1,0,0]
	s_waitcnt vmcnt(34) lgkmcnt(2)
	v_pk_fma_f32 v[72:73], v[44:45], v[198:199], v[72:73] op_sel_hi:[0,1,1] neg_lo:[1,0,0] neg_hi:[1,0,0]
	s_waitcnt vmcnt(32) lgkmcnt(1)
	v_pk_fma_f32 v[94:95], v[44:45], v[202:203], v[94:95] op_sel_hi:[0,1,1] neg_lo:[1,0,0] neg_hi:[1,0,0]
	ds_read2_b32 v[196:197], v181 offset0:29 offset1:30
	ds_read2_b32 v[198:199], v181 offset0:31 offset1:32
	ds_read2_b32 v[202:203], v181 offset0:33 offset1:34
	s_waitcnt vmcnt(30) lgkmcnt(3)
	v_pk_fma_f32 v[96:97], v[44:45], v[200:201], v[96:97] op_sel_hi:[0,1,1] neg_lo:[1,0,0] neg_hi:[1,0,0]
	ds_read2_b32 v[200:201], v181 offset0:35 offset1:36
	s_waitcnt vmcnt(28) lgkmcnt(3)
	v_pk_fma_f32 v[98:99], v[44:45], v[196:197], v[98:99] op_sel_hi:[0,1,1] neg_lo:[1,0,0] neg_hi:[1,0,0]
	s_waitcnt vmcnt(26) lgkmcnt(2)
	v_pk_fma_f32 v[92:93], v[44:45], v[198:199], v[92:93] op_sel_hi:[0,1,1] neg_lo:[1,0,0] neg_hi:[1,0,0]
	s_waitcnt vmcnt(24) lgkmcnt(1)
	v_pk_fma_f32 v[118:119], v[44:45], v[202:203], v[118:119] op_sel_hi:[0,1,1] neg_lo:[1,0,0] neg_hi:[1,0,0]
	ds_read2_b32 v[196:197], v181 offset0:37 offset1:38
	ds_read2_b32 v[198:199], v181 offset0:39 offset1:40
	ds_read2_b32 v[202:203], v181 offset0:41 offset1:42
	s_waitcnt vmcnt(22) lgkmcnt(3)
	v_pk_fma_f32 v[122:123], v[44:45], v[200:201], v[122:123] op_sel_hi:[0,1,1] neg_lo:[1,0,0] neg_hi:[1,0,0]
	ds_read2_b32 v[200:201], v181 offset0:43 offset1:44
	s_waitcnt vmcnt(20) lgkmcnt(3)
	v_pk_fma_f32 v[116:117], v[44:45], v[196:197], v[116:117] op_sel_hi:[0,1,1] neg_lo:[1,0,0] neg_hi:[1,0,0]
	s_waitcnt vmcnt(18) lgkmcnt(2)
	v_pk_fma_f32 v[120:121], v[44:45], v[198:199], v[120:121] op_sel_hi:[0,1,1] neg_lo:[1,0,0] neg_hi:[1,0,0]
	ds_read2_b32 v[196:197], v181 offset0:45 offset1:46
	ds_read2_b32 v[198:199], v181 offset0:47 offset1:48
	s_waitcnt vmcnt(16) lgkmcnt(3)
	v_pk_fma_f32 v[146:147], v[44:45], v[202:203], v[146:147] op_sel_hi:[0,1,1] neg_lo:[1,0,0] neg_hi:[1,0,0]
	s_waitcnt vmcnt(14) lgkmcnt(2)
	v_pk_fma_f32 v[140:141], v[44:45], v[200:201], v[140:141] op_sel_hi:[0,1,1] neg_lo:[1,0,0] neg_hi:[1,0,0]
	ds_read2_b32 v[200:201], v181 offset0:49 offset1:50
	ds_read2_b32 v[202:203], v181 offset0:51 offset1:52
	s_waitcnt vmcnt(12) lgkmcnt(3)
	v_pk_fma_f32 v[142:143], v[44:45], v[196:197], v[142:143] op_sel_hi:[0,1,1] neg_lo:[1,0,0] neg_hi:[1,0,0]
	s_waitcnt vmcnt(10) lgkmcnt(2)
	v_pk_fma_f32 v[144:145], v[44:45], v[198:199], v[144:145] op_sel_hi:[0,1,1] neg_lo:[1,0,0] neg_hi:[1,0,0]
	ds_read2_b32 v[196:197], v181 offset0:53 offset1:54
	ds_read2_b32 v[198:199], v181 offset0:55 offset1:56
	;; [unrolled: 1-line block ×3, first 2 shown]
	s_waitcnt vmcnt(8) lgkmcnt(4)
	v_pk_fma_f32 v[166:167], v[44:45], v[200:201], v[166:167] op_sel_hi:[0,1,1] neg_lo:[1,0,0] neg_hi:[1,0,0]
	s_waitcnt vmcnt(6) lgkmcnt(3)
	v_pk_fma_f32 v[168:169], v[44:45], v[202:203], v[168:169] op_sel_hi:[0,1,1] neg_lo:[1,0,0] neg_hi:[1,0,0]
	;; [unrolled: 2-line block ×5, first 2 shown]
.LBB117_77:
	s_or_b64 exec, exec, s[2:3]
	v_cmp_ne_u32_e32 vcc, 14, v25
	s_waitcnt lgkmcnt(0)
	s_barrier
	s_and_saveexec_b64 s[2:3], vcc
	s_xor_b64 s[2:3], exec, s[2:3]
	s_andn2_saveexec_b64 s[2:3], s[2:3]
	s_cbranch_execz .LBB117_81
; %bb.78:
	s_waitcnt vmcnt(44)
	ds_write_b32 v180, v45
	s_waitcnt vmcnt(42)
	ds_write2_b32 v181, v48, v49 offset0:15 offset1:16
	s_waitcnt vmcnt(40)
	ds_write2_b32 v181, v74, v75 offset0:17 offset1:18
	;; [unrolled: 2-line block ×22, first 2 shown]
	ds_read_b32 v196, v180
	s_waitcnt lgkmcnt(0)
	v_cmp_neq_f32_e32 vcc, 0, v196
	s_and_saveexec_b64 s[4:5], vcc
	s_cbranch_execz .LBB117_80
; %bb.79:
	v_div_scale_f32 v197, s[10:11], v196, v196, 1.0
	v_rcp_f32_e32 v198, v197
	v_div_scale_f32 v199, vcc, 1.0, v196, 1.0
	v_fma_f32 v200, -v197, v198, 1.0
	v_fmac_f32_e32 v198, v200, v198
	v_mul_f32_e32 v200, v199, v198
	v_fma_f32 v201, -v197, v200, v199
	v_fmac_f32_e32 v200, v201, v198
	v_fma_f32 v197, -v197, v200, v199
	v_div_fmas_f32 v197, v197, v198, v200
	v_div_fixup_f32 v196, v197, v196, 1.0
	ds_write_b32 v180, v196
.LBB117_80:
	s_or_b64 exec, exec, s[4:5]
.LBB117_81:
	s_or_b64 exec, exec, s[2:3]
	s_waitcnt lgkmcnt(0)
	s_barrier
	ds_read_b32 v196, v180
	v_cmp_lt_u32_e32 vcc, 14, v25
	s_and_saveexec_b64 s[2:3], vcc
	s_cbranch_execz .LBB117_83
; %bb.82:
	ds_read2_b32 v[198:199], v181 offset0:15 offset1:16
	ds_read2_b32 v[200:201], v181 offset0:17 offset1:18
	;; [unrolled: 1-line block ×4, first 2 shown]
	s_waitcnt vmcnt(44) lgkmcnt(4)
	v_mul_f32_e32 v204, v196, v45
	s_waitcnt vmcnt(42) lgkmcnt(3)
	v_pk_fma_f32 v[48:49], v[204:205], v[198:199], v[48:49] op_sel_hi:[0,1,1] neg_lo:[1,0,0] neg_hi:[1,0,0]
	s_waitcnt vmcnt(40) lgkmcnt(2)
	v_pk_fma_f32 v[74:75], v[204:205], v[200:201], v[74:75] op_sel_hi:[0,1,1] neg_lo:[1,0,0] neg_hi:[1,0,0]
	s_waitcnt vmcnt(38) lgkmcnt(1)
	v_pk_fma_f32 v[68:69], v[204:205], v[202:203], v[68:69] op_sel_hi:[0,1,1] neg_lo:[1,0,0] neg_hi:[1,0,0]
	ds_read2_b32 v[198:199], v181 offset0:23 offset1:24
	ds_read2_b32 v[200:201], v181 offset0:25 offset1:26
	ds_read2_b32 v[202:203], v181 offset0:27 offset1:28
	s_waitcnt vmcnt(36) lgkmcnt(3)
	v_pk_fma_f32 v[70:71], v[204:205], v[206:207], v[70:71] op_sel_hi:[0,1,1] neg_lo:[1,0,0] neg_hi:[1,0,0]
	ds_read2_b32 v[206:207], v181 offset0:29 offset1:30
	s_waitcnt vmcnt(34) lgkmcnt(3)
	v_pk_fma_f32 v[72:73], v[204:205], v[198:199], v[72:73] op_sel_hi:[0,1,1] neg_lo:[1,0,0] neg_hi:[1,0,0]
	s_waitcnt vmcnt(32) lgkmcnt(2)
	v_pk_fma_f32 v[94:95], v[204:205], v[200:201], v[94:95] op_sel_hi:[0,1,1] neg_lo:[1,0,0] neg_hi:[1,0,0]
	s_waitcnt vmcnt(30) lgkmcnt(1)
	v_pk_fma_f32 v[96:97], v[204:205], v[202:203], v[96:97] op_sel_hi:[0,1,1] neg_lo:[1,0,0] neg_hi:[1,0,0]
	ds_read2_b32 v[198:199], v181 offset0:31 offset1:32
	ds_read2_b32 v[200:201], v181 offset0:33 offset1:34
	ds_read2_b32 v[202:203], v181 offset0:35 offset1:36
	s_waitcnt vmcnt(28) lgkmcnt(3)
	v_pk_fma_f32 v[98:99], v[204:205], v[206:207], v[98:99] op_sel_hi:[0,1,1] neg_lo:[1,0,0] neg_hi:[1,0,0]
	ds_read2_b32 v[206:207], v181 offset0:37 offset1:38
	s_waitcnt vmcnt(26) lgkmcnt(3)
	v_pk_fma_f32 v[92:93], v[204:205], v[198:199], v[92:93] op_sel_hi:[0,1,1] neg_lo:[1,0,0] neg_hi:[1,0,0]
	s_waitcnt vmcnt(24) lgkmcnt(2)
	v_pk_fma_f32 v[118:119], v[204:205], v[200:201], v[118:119] op_sel_hi:[0,1,1] neg_lo:[1,0,0] neg_hi:[1,0,0]
	s_waitcnt vmcnt(22) lgkmcnt(1)
	v_pk_fma_f32 v[122:123], v[204:205], v[202:203], v[122:123] op_sel_hi:[0,1,1] neg_lo:[1,0,0] neg_hi:[1,0,0]
	ds_read2_b32 v[198:199], v181 offset0:39 offset1:40
	ds_read2_b32 v[200:201], v181 offset0:41 offset1:42
	ds_read2_b32 v[202:203], v181 offset0:43 offset1:44
	s_waitcnt vmcnt(20) lgkmcnt(3)
	v_pk_fma_f32 v[116:117], v[204:205], v[206:207], v[116:117] op_sel_hi:[0,1,1] neg_lo:[1,0,0] neg_hi:[1,0,0]
	ds_read2_b32 v[206:207], v181 offset0:45 offset1:46
	s_waitcnt vmcnt(18) lgkmcnt(3)
	v_pk_fma_f32 v[120:121], v[204:205], v[198:199], v[120:121] op_sel_hi:[0,1,1] neg_lo:[1,0,0] neg_hi:[1,0,0]
	ds_read2_b32 v[198:199], v181 offset0:47 offset1:48
	s_waitcnt vmcnt(16) lgkmcnt(3)
	v_pk_fma_f32 v[146:147], v[204:205], v[200:201], v[146:147] op_sel_hi:[0,1,1] neg_lo:[1,0,0] neg_hi:[1,0,0]
	s_waitcnt vmcnt(14) lgkmcnt(2)
	v_pk_fma_f32 v[140:141], v[204:205], v[202:203], v[140:141] op_sel_hi:[0,1,1] neg_lo:[1,0,0] neg_hi:[1,0,0]
	;; [unrolled: 2-line block ×3, first 2 shown]
	ds_read2_b32 v[200:201], v181 offset0:49 offset1:50
	ds_read2_b32 v[202:203], v181 offset0:51 offset1:52
	;; [unrolled: 1-line block ×3, first 2 shown]
	s_waitcnt vmcnt(10) lgkmcnt(3)
	v_pk_fma_f32 v[144:145], v[204:205], v[198:199], v[144:145] op_sel_hi:[0,1,1] neg_lo:[1,0,0] neg_hi:[1,0,0]
	ds_read2_b32 v[198:199], v181 offset0:55 offset1:56
	ds_read2_b32 v[208:209], v181 offset0:57 offset1:58
	s_waitcnt vmcnt(8) lgkmcnt(4)
	v_pk_fma_f32 v[166:167], v[204:205], v[200:201], v[166:167] op_sel_hi:[0,1,1] neg_lo:[1,0,0] neg_hi:[1,0,0]
	s_waitcnt vmcnt(6) lgkmcnt(3)
	v_pk_fma_f32 v[168:169], v[204:205], v[202:203], v[168:169] op_sel_hi:[0,1,1] neg_lo:[1,0,0] neg_hi:[1,0,0]
	;; [unrolled: 2-line block ×5, first 2 shown]
	v_mov_b32_e32 v45, v204
.LBB117_83:
	s_or_b64 exec, exec, s[2:3]
	v_cmp_eq_u32_e32 vcc, 15, v25
	s_waitcnt lgkmcnt(0)
	s_barrier
	s_and_saveexec_b64 s[2:3], vcc
	s_cbranch_execz .LBB117_86
; %bb.84:
	s_waitcnt vmcnt(40)
	v_pk_mov_b32 v[198:199], v[48:49], v[74:75] op_sel:[1,0]
	ds_write_b32 v180, v48
	ds_write2_b32 v181, v198, v199 offset0:16 offset1:17
	s_waitcnt vmcnt(38)
	v_pk_mov_b32 v[198:199], v[74:75], v[68:69] op_sel:[1,0]
	ds_write2_b32 v181, v198, v199 offset0:18 offset1:19
	s_waitcnt vmcnt(36)
	v_pk_mov_b32 v[198:199], v[68:69], v[70:71] op_sel:[1,0]
	;; [unrolled: 3-line block ×20, first 2 shown]
	ds_write2_b32 v181, v198, v199 offset0:56 offset1:57
	ds_write_b32 v181, v179 offset:232
	ds_read_b32 v197, v180
	s_waitcnt lgkmcnt(0)
	v_cmp_neq_f32_e32 vcc, 0, v197
	s_and_b64 exec, exec, vcc
	s_cbranch_execz .LBB117_86
; %bb.85:
	v_div_scale_f32 v198, s[4:5], v197, v197, 1.0
	v_rcp_f32_e32 v199, v198
	v_div_scale_f32 v200, vcc, 1.0, v197, 1.0
	v_fma_f32 v201, -v198, v199, 1.0
	v_fmac_f32_e32 v199, v201, v199
	v_mul_f32_e32 v201, v200, v199
	v_fma_f32 v202, -v198, v201, v200
	v_fmac_f32_e32 v201, v202, v199
	v_fma_f32 v198, -v198, v201, v200
	v_div_fmas_f32 v198, v198, v199, v201
	v_div_fixup_f32 v197, v198, v197, 1.0
	ds_write_b32 v180, v197
.LBB117_86:
	s_or_b64 exec, exec, s[2:3]
	s_waitcnt lgkmcnt(0)
	s_barrier
	ds_read_b32 v197, v180
	v_cmp_lt_u32_e32 vcc, 15, v25
	s_and_saveexec_b64 s[2:3], vcc
	s_cbranch_execz .LBB117_88
; %bb.87:
	ds_read_b32 v204, v181 offset:64
	ds_read2_b32 v[198:199], v181 offset0:17 offset1:18
	ds_read2_b32 v[200:201], v181 offset0:19 offset1:20
	s_waitcnt vmcnt(43) lgkmcnt(3)
	v_mul_f32_e32 v48, v197, v48
	ds_read2_b32 v[202:203], v181 offset0:21 offset1:22
	s_waitcnt vmcnt(42) lgkmcnt(3)
	v_fma_f32 v49, -v48, v204, v49
	s_waitcnt vmcnt(40) lgkmcnt(2)
	v_pk_fma_f32 v[74:75], v[48:49], v[198:199], v[74:75] op_sel_hi:[0,1,1] neg_lo:[1,0,0] neg_hi:[1,0,0]
	s_waitcnt vmcnt(38) lgkmcnt(1)
	v_pk_fma_f32 v[68:69], v[48:49], v[200:201], v[68:69] op_sel_hi:[0,1,1] neg_lo:[1,0,0] neg_hi:[1,0,0]
	ds_read2_b32 v[198:199], v181 offset0:23 offset1:24
	ds_read2_b32 v[200:201], v181 offset0:25 offset1:26
	ds_read2_b32 v[204:205], v181 offset0:27 offset1:28
	s_waitcnt vmcnt(36) lgkmcnt(3)
	v_pk_fma_f32 v[70:71], v[48:49], v[202:203], v[70:71] op_sel_hi:[0,1,1] neg_lo:[1,0,0] neg_hi:[1,0,0]
	ds_read2_b32 v[202:203], v181 offset0:29 offset1:30
	s_waitcnt vmcnt(34) lgkmcnt(3)
	v_pk_fma_f32 v[72:73], v[48:49], v[198:199], v[72:73] op_sel_hi:[0,1,1] neg_lo:[1,0,0] neg_hi:[1,0,0]
	s_waitcnt vmcnt(32) lgkmcnt(2)
	v_pk_fma_f32 v[94:95], v[48:49], v[200:201], v[94:95] op_sel_hi:[0,1,1] neg_lo:[1,0,0] neg_hi:[1,0,0]
	s_waitcnt vmcnt(30) lgkmcnt(1)
	v_pk_fma_f32 v[96:97], v[48:49], v[204:205], v[96:97] op_sel_hi:[0,1,1] neg_lo:[1,0,0] neg_hi:[1,0,0]
	ds_read2_b32 v[198:199], v181 offset0:31 offset1:32
	ds_read2_b32 v[200:201], v181 offset0:33 offset1:34
	ds_read2_b32 v[204:205], v181 offset0:35 offset1:36
	s_waitcnt vmcnt(28) lgkmcnt(3)
	v_pk_fma_f32 v[98:99], v[48:49], v[202:203], v[98:99] op_sel_hi:[0,1,1] neg_lo:[1,0,0] neg_hi:[1,0,0]
	ds_read2_b32 v[202:203], v181 offset0:37 offset1:38
	s_waitcnt vmcnt(26) lgkmcnt(3)
	v_pk_fma_f32 v[92:93], v[48:49], v[198:199], v[92:93] op_sel_hi:[0,1,1] neg_lo:[1,0,0] neg_hi:[1,0,0]
	;; [unrolled: 12-line block ×3, first 2 shown]
	ds_read2_b32 v[198:199], v181 offset0:47 offset1:48
	s_waitcnt vmcnt(16) lgkmcnt(3)
	v_pk_fma_f32 v[146:147], v[48:49], v[200:201], v[146:147] op_sel_hi:[0,1,1] neg_lo:[1,0,0] neg_hi:[1,0,0]
	s_waitcnt vmcnt(14) lgkmcnt(2)
	v_pk_fma_f32 v[140:141], v[48:49], v[204:205], v[140:141] op_sel_hi:[0,1,1] neg_lo:[1,0,0] neg_hi:[1,0,0]
	;; [unrolled: 2-line block ×3, first 2 shown]
	ds_read2_b32 v[200:201], v181 offset0:49 offset1:50
	ds_read2_b32 v[202:203], v181 offset0:51 offset1:52
	;; [unrolled: 1-line block ×3, first 2 shown]
	s_waitcnt vmcnt(10) lgkmcnt(3)
	v_pk_fma_f32 v[144:145], v[48:49], v[198:199], v[144:145] op_sel_hi:[0,1,1] neg_lo:[1,0,0] neg_hi:[1,0,0]
	ds_read2_b32 v[198:199], v181 offset0:55 offset1:56
	ds_read2_b32 v[206:207], v181 offset0:57 offset1:58
	s_waitcnt vmcnt(8) lgkmcnt(4)
	v_pk_fma_f32 v[166:167], v[48:49], v[200:201], v[166:167] op_sel_hi:[0,1,1] neg_lo:[1,0,0] neg_hi:[1,0,0]
	s_waitcnt vmcnt(6) lgkmcnt(3)
	v_pk_fma_f32 v[168:169], v[48:49], v[202:203], v[168:169] op_sel_hi:[0,1,1] neg_lo:[1,0,0] neg_hi:[1,0,0]
	;; [unrolled: 2-line block ×5, first 2 shown]
.LBB117_88:
	s_or_b64 exec, exec, s[2:3]
	v_cmp_ne_u32_e32 vcc, 16, v25
	s_waitcnt lgkmcnt(0)
	s_barrier
	s_and_saveexec_b64 s[2:3], vcc
	s_xor_b64 s[2:3], exec, s[2:3]
	s_andn2_saveexec_b64 s[2:3], s[2:3]
	s_cbranch_execz .LBB117_92
; %bb.89:
	s_waitcnt vmcnt(42)
	ds_write_b32 v180, v49
	s_waitcnt vmcnt(40)
	ds_write2_b32 v181, v74, v75 offset0:17 offset1:18
	s_waitcnt vmcnt(38)
	ds_write2_b32 v181, v68, v69 offset0:19 offset1:20
	;; [unrolled: 2-line block ×21, first 2 shown]
	ds_read_b32 v198, v180
	s_waitcnt lgkmcnt(0)
	v_cmp_neq_f32_e32 vcc, 0, v198
	s_and_saveexec_b64 s[4:5], vcc
	s_cbranch_execz .LBB117_91
; %bb.90:
	v_div_scale_f32 v199, s[10:11], v198, v198, 1.0
	v_rcp_f32_e32 v200, v199
	v_div_scale_f32 v201, vcc, 1.0, v198, 1.0
	v_fma_f32 v202, -v199, v200, 1.0
	v_fmac_f32_e32 v200, v202, v200
	v_mul_f32_e32 v202, v201, v200
	v_fma_f32 v203, -v199, v202, v201
	v_fmac_f32_e32 v202, v203, v200
	v_fma_f32 v199, -v199, v202, v201
	v_div_fmas_f32 v199, v199, v200, v202
	v_div_fixup_f32 v198, v199, v198, 1.0
	ds_write_b32 v180, v198
.LBB117_91:
	s_or_b64 exec, exec, s[4:5]
.LBB117_92:
	s_or_b64 exec, exec, s[2:3]
	s_waitcnt lgkmcnt(0)
	s_barrier
	ds_read_b32 v198, v180
	v_cmp_lt_u32_e32 vcc, 16, v25
	s_and_saveexec_b64 s[2:3], vcc
	s_cbranch_execz .LBB117_94
; %bb.93:
	ds_read2_b32 v[200:201], v181 offset0:17 offset1:18
	ds_read2_b32 v[202:203], v181 offset0:19 offset1:20
	;; [unrolled: 1-line block ×3, first 2 shown]
	s_waitcnt vmcnt(42) lgkmcnt(3)
	v_mul_f32_e32 v206, v198, v49
	ds_read2_b32 v[208:209], v181 offset0:23 offset1:24
	s_waitcnt vmcnt(40) lgkmcnt(3)
	v_pk_fma_f32 v[74:75], v[206:207], v[200:201], v[74:75] op_sel_hi:[0,1,1] neg_lo:[1,0,0] neg_hi:[1,0,0]
	s_waitcnt vmcnt(38) lgkmcnt(2)
	v_pk_fma_f32 v[68:69], v[206:207], v[202:203], v[68:69] op_sel_hi:[0,1,1] neg_lo:[1,0,0] neg_hi:[1,0,0]
	;; [unrolled: 2-line block ×3, first 2 shown]
	ds_read2_b32 v[200:201], v181 offset0:25 offset1:26
	ds_read2_b32 v[202:203], v181 offset0:27 offset1:28
	;; [unrolled: 1-line block ×3, first 2 shown]
	s_waitcnt vmcnt(34) lgkmcnt(3)
	v_pk_fma_f32 v[72:73], v[206:207], v[208:209], v[72:73] op_sel_hi:[0,1,1] neg_lo:[1,0,0] neg_hi:[1,0,0]
	ds_read2_b32 v[208:209], v181 offset0:31 offset1:32
	s_waitcnt vmcnt(32) lgkmcnt(3)
	v_pk_fma_f32 v[94:95], v[206:207], v[200:201], v[94:95] op_sel_hi:[0,1,1] neg_lo:[1,0,0] neg_hi:[1,0,0]
	s_waitcnt vmcnt(30) lgkmcnt(2)
	v_pk_fma_f32 v[96:97], v[206:207], v[202:203], v[96:97] op_sel_hi:[0,1,1] neg_lo:[1,0,0] neg_hi:[1,0,0]
	s_waitcnt vmcnt(28) lgkmcnt(1)
	v_pk_fma_f32 v[98:99], v[206:207], v[204:205], v[98:99] op_sel_hi:[0,1,1] neg_lo:[1,0,0] neg_hi:[1,0,0]
	ds_read2_b32 v[200:201], v181 offset0:33 offset1:34
	ds_read2_b32 v[202:203], v181 offset0:35 offset1:36
	ds_read2_b32 v[204:205], v181 offset0:37 offset1:38
	s_waitcnt vmcnt(26) lgkmcnt(3)
	v_pk_fma_f32 v[92:93], v[206:207], v[208:209], v[92:93] op_sel_hi:[0,1,1] neg_lo:[1,0,0] neg_hi:[1,0,0]
	ds_read2_b32 v[208:209], v181 offset0:39 offset1:40
	s_waitcnt vmcnt(24) lgkmcnt(3)
	v_pk_fma_f32 v[118:119], v[206:207], v[200:201], v[118:119] op_sel_hi:[0,1,1] neg_lo:[1,0,0] neg_hi:[1,0,0]
	s_waitcnt vmcnt(22) lgkmcnt(2)
	v_pk_fma_f32 v[122:123], v[206:207], v[202:203], v[122:123] op_sel_hi:[0,1,1] neg_lo:[1,0,0] neg_hi:[1,0,0]
	;; [unrolled: 2-line block ×3, first 2 shown]
	ds_read2_b32 v[200:201], v181 offset0:41 offset1:42
	ds_read2_b32 v[202:203], v181 offset0:43 offset1:44
	;; [unrolled: 1-line block ×4, first 2 shown]
	s_waitcnt vmcnt(18) lgkmcnt(4)
	v_pk_fma_f32 v[120:121], v[206:207], v[208:209], v[120:121] op_sel_hi:[0,1,1] neg_lo:[1,0,0] neg_hi:[1,0,0]
	s_waitcnt vmcnt(16) lgkmcnt(3)
	v_pk_fma_f32 v[146:147], v[206:207], v[200:201], v[146:147] op_sel_hi:[0,1,1] neg_lo:[1,0,0] neg_hi:[1,0,0]
	;; [unrolled: 2-line block ×5, first 2 shown]
	ds_read2_b32 v[200:201], v181 offset0:49 offset1:50
	ds_read2_b32 v[202:203], v181 offset0:51 offset1:52
	;; [unrolled: 1-line block ×5, first 2 shown]
	s_waitcnt vmcnt(8) lgkmcnt(4)
	v_pk_fma_f32 v[166:167], v[206:207], v[200:201], v[166:167] op_sel_hi:[0,1,1] neg_lo:[1,0,0] neg_hi:[1,0,0]
	s_waitcnt vmcnt(6) lgkmcnt(3)
	v_pk_fma_f32 v[168:169], v[206:207], v[202:203], v[168:169] op_sel_hi:[0,1,1] neg_lo:[1,0,0] neg_hi:[1,0,0]
	;; [unrolled: 2-line block ×5, first 2 shown]
	v_mov_b32_e32 v49, v206
.LBB117_94:
	s_or_b64 exec, exec, s[2:3]
	v_cmp_eq_u32_e32 vcc, 17, v25
	s_waitcnt lgkmcnt(0)
	s_barrier
	s_and_saveexec_b64 s[2:3], vcc
	s_cbranch_execz .LBB117_97
; %bb.95:
	s_waitcnt vmcnt(38)
	v_pk_mov_b32 v[200:201], v[74:75], v[68:69] op_sel:[1,0]
	ds_write_b32 v180, v74
	ds_write2_b32 v181, v200, v201 offset0:18 offset1:19
	s_waitcnt vmcnt(36)
	v_pk_mov_b32 v[200:201], v[68:69], v[70:71] op_sel:[1,0]
	ds_write2_b32 v181, v200, v201 offset0:20 offset1:21
	s_waitcnt vmcnt(34)
	v_pk_mov_b32 v[200:201], v[70:71], v[72:73] op_sel:[1,0]
	;; [unrolled: 3-line block ×19, first 2 shown]
	ds_write2_b32 v181, v200, v201 offset0:56 offset1:57
	ds_write_b32 v181, v179 offset:232
	ds_read_b32 v199, v180
	s_waitcnt lgkmcnt(0)
	v_cmp_neq_f32_e32 vcc, 0, v199
	s_and_b64 exec, exec, vcc
	s_cbranch_execz .LBB117_97
; %bb.96:
	v_div_scale_f32 v200, s[4:5], v199, v199, 1.0
	v_rcp_f32_e32 v201, v200
	v_div_scale_f32 v202, vcc, 1.0, v199, 1.0
	v_fma_f32 v203, -v200, v201, 1.0
	v_fmac_f32_e32 v201, v203, v201
	v_mul_f32_e32 v203, v202, v201
	v_fma_f32 v204, -v200, v203, v202
	v_fmac_f32_e32 v203, v204, v201
	v_fma_f32 v200, -v200, v203, v202
	v_div_fmas_f32 v200, v200, v201, v203
	v_div_fixup_f32 v199, v200, v199, 1.0
	ds_write_b32 v180, v199
.LBB117_97:
	s_or_b64 exec, exec, s[2:3]
	s_waitcnt lgkmcnt(0)
	s_barrier
	ds_read_b32 v199, v180
	v_cmp_lt_u32_e32 vcc, 17, v25
	s_and_saveexec_b64 s[2:3], vcc
	s_cbranch_execz .LBB117_99
; %bb.98:
	ds_read_b32 v206, v181 offset:72
	ds_read2_b32 v[200:201], v181 offset0:19 offset1:20
	ds_read2_b32 v[202:203], v181 offset0:21 offset1:22
	s_waitcnt vmcnt(41) lgkmcnt(3)
	v_mul_f32_e32 v74, v199, v74
	ds_read2_b32 v[204:205], v181 offset0:23 offset1:24
	s_waitcnt vmcnt(40) lgkmcnt(3)
	v_fma_f32 v75, -v74, v206, v75
	s_waitcnt vmcnt(38) lgkmcnt(2)
	v_pk_fma_f32 v[68:69], v[74:75], v[200:201], v[68:69] op_sel_hi:[0,1,1] neg_lo:[1,0,0] neg_hi:[1,0,0]
	s_waitcnt vmcnt(36) lgkmcnt(1)
	v_pk_fma_f32 v[70:71], v[74:75], v[202:203], v[70:71] op_sel_hi:[0,1,1] neg_lo:[1,0,0] neg_hi:[1,0,0]
	ds_read2_b32 v[200:201], v181 offset0:25 offset1:26
	ds_read2_b32 v[202:203], v181 offset0:27 offset1:28
	;; [unrolled: 1-line block ×3, first 2 shown]
	s_waitcnt vmcnt(34) lgkmcnt(3)
	v_pk_fma_f32 v[72:73], v[74:75], v[204:205], v[72:73] op_sel_hi:[0,1,1] neg_lo:[1,0,0] neg_hi:[1,0,0]
	ds_read2_b32 v[204:205], v181 offset0:31 offset1:32
	s_waitcnt vmcnt(32) lgkmcnt(3)
	v_pk_fma_f32 v[94:95], v[74:75], v[200:201], v[94:95] op_sel_hi:[0,1,1] neg_lo:[1,0,0] neg_hi:[1,0,0]
	s_waitcnt vmcnt(30) lgkmcnt(2)
	v_pk_fma_f32 v[96:97], v[74:75], v[202:203], v[96:97] op_sel_hi:[0,1,1] neg_lo:[1,0,0] neg_hi:[1,0,0]
	;; [unrolled: 2-line block ×3, first 2 shown]
	ds_read2_b32 v[200:201], v181 offset0:33 offset1:34
	ds_read2_b32 v[202:203], v181 offset0:35 offset1:36
	;; [unrolled: 1-line block ×3, first 2 shown]
	s_waitcnt vmcnt(26) lgkmcnt(3)
	v_pk_fma_f32 v[92:93], v[74:75], v[204:205], v[92:93] op_sel_hi:[0,1,1] neg_lo:[1,0,0] neg_hi:[1,0,0]
	ds_read2_b32 v[204:205], v181 offset0:39 offset1:40
	s_waitcnt vmcnt(24) lgkmcnt(3)
	v_pk_fma_f32 v[118:119], v[74:75], v[200:201], v[118:119] op_sel_hi:[0,1,1] neg_lo:[1,0,0] neg_hi:[1,0,0]
	s_waitcnt vmcnt(22) lgkmcnt(2)
	v_pk_fma_f32 v[122:123], v[74:75], v[202:203], v[122:123] op_sel_hi:[0,1,1] neg_lo:[1,0,0] neg_hi:[1,0,0]
	;; [unrolled: 2-line block ×3, first 2 shown]
	ds_read2_b32 v[200:201], v181 offset0:41 offset1:42
	ds_read2_b32 v[202:203], v181 offset0:43 offset1:44
	;; [unrolled: 1-line block ×4, first 2 shown]
	s_waitcnt vmcnt(18) lgkmcnt(4)
	v_pk_fma_f32 v[120:121], v[74:75], v[204:205], v[120:121] op_sel_hi:[0,1,1] neg_lo:[1,0,0] neg_hi:[1,0,0]
	s_waitcnt vmcnt(16) lgkmcnt(3)
	v_pk_fma_f32 v[146:147], v[74:75], v[200:201], v[146:147] op_sel_hi:[0,1,1] neg_lo:[1,0,0] neg_hi:[1,0,0]
	;; [unrolled: 2-line block ×5, first 2 shown]
	ds_read2_b32 v[200:201], v181 offset0:49 offset1:50
	ds_read2_b32 v[202:203], v181 offset0:51 offset1:52
	;; [unrolled: 1-line block ×5, first 2 shown]
	s_waitcnt vmcnt(8) lgkmcnt(4)
	v_pk_fma_f32 v[166:167], v[74:75], v[200:201], v[166:167] op_sel_hi:[0,1,1] neg_lo:[1,0,0] neg_hi:[1,0,0]
	s_waitcnt vmcnt(6) lgkmcnt(3)
	v_pk_fma_f32 v[168:169], v[74:75], v[202:203], v[168:169] op_sel_hi:[0,1,1] neg_lo:[1,0,0] neg_hi:[1,0,0]
	;; [unrolled: 2-line block ×5, first 2 shown]
.LBB117_99:
	s_or_b64 exec, exec, s[2:3]
	v_cmp_ne_u32_e32 vcc, 18, v25
	s_waitcnt lgkmcnt(0)
	s_barrier
	s_and_saveexec_b64 s[2:3], vcc
	s_xor_b64 s[2:3], exec, s[2:3]
	s_andn2_saveexec_b64 s[2:3], s[2:3]
	s_cbranch_execz .LBB117_103
; %bb.100:
	s_waitcnt vmcnt(40)
	ds_write_b32 v180, v75
	s_waitcnt vmcnt(38)
	ds_write2_b32 v181, v68, v69 offset0:19 offset1:20
	s_waitcnt vmcnt(36)
	ds_write2_b32 v181, v70, v71 offset0:21 offset1:22
	;; [unrolled: 2-line block ×20, first 2 shown]
	ds_read_b32 v200, v180
	s_waitcnt lgkmcnt(0)
	v_cmp_neq_f32_e32 vcc, 0, v200
	s_and_saveexec_b64 s[4:5], vcc
	s_cbranch_execz .LBB117_102
; %bb.101:
	v_div_scale_f32 v201, s[10:11], v200, v200, 1.0
	v_rcp_f32_e32 v202, v201
	v_div_scale_f32 v203, vcc, 1.0, v200, 1.0
	v_fma_f32 v204, -v201, v202, 1.0
	v_fmac_f32_e32 v202, v204, v202
	v_mul_f32_e32 v204, v203, v202
	v_fma_f32 v205, -v201, v204, v203
	v_fmac_f32_e32 v204, v205, v202
	v_fma_f32 v201, -v201, v204, v203
	v_div_fmas_f32 v201, v201, v202, v204
	v_div_fixup_f32 v200, v201, v200, 1.0
	ds_write_b32 v180, v200
.LBB117_102:
	s_or_b64 exec, exec, s[4:5]
.LBB117_103:
	s_or_b64 exec, exec, s[2:3]
	s_waitcnt lgkmcnt(0)
	s_barrier
	ds_read_b32 v200, v180
	v_cmp_lt_u32_e32 vcc, 18, v25
	s_and_saveexec_b64 s[2:3], vcc
	s_cbranch_execz .LBB117_105
; %bb.104:
	ds_read2_b32 v[202:203], v181 offset0:19 offset1:20
	ds_read2_b32 v[204:205], v181 offset0:21 offset1:22
	;; [unrolled: 1-line block ×3, first 2 shown]
	s_waitcnt vmcnt(40) lgkmcnt(3)
	v_mul_f32_e32 v208, v200, v75
	ds_read2_b32 v[210:211], v181 offset0:25 offset1:26
	s_waitcnt vmcnt(38) lgkmcnt(3)
	v_pk_fma_f32 v[68:69], v[208:209], v[202:203], v[68:69] op_sel_hi:[0,1,1] neg_lo:[1,0,0] neg_hi:[1,0,0]
	s_waitcnt vmcnt(36) lgkmcnt(2)
	v_pk_fma_f32 v[70:71], v[208:209], v[204:205], v[70:71] op_sel_hi:[0,1,1] neg_lo:[1,0,0] neg_hi:[1,0,0]
	s_waitcnt vmcnt(34) lgkmcnt(1)
	v_pk_fma_f32 v[72:73], v[208:209], v[206:207], v[72:73] op_sel_hi:[0,1,1] neg_lo:[1,0,0] neg_hi:[1,0,0]
	ds_read2_b32 v[202:203], v181 offset0:27 offset1:28
	ds_read2_b32 v[204:205], v181 offset0:29 offset1:30
	ds_read2_b32 v[206:207], v181 offset0:31 offset1:32
	s_waitcnt vmcnt(32) lgkmcnt(3)
	v_pk_fma_f32 v[94:95], v[208:209], v[210:211], v[94:95] op_sel_hi:[0,1,1] neg_lo:[1,0,0] neg_hi:[1,0,0]
	ds_read2_b32 v[210:211], v181 offset0:33 offset1:34
	s_waitcnt vmcnt(30) lgkmcnt(3)
	v_pk_fma_f32 v[96:97], v[208:209], v[202:203], v[96:97] op_sel_hi:[0,1,1] neg_lo:[1,0,0] neg_hi:[1,0,0]
	s_waitcnt vmcnt(28) lgkmcnt(2)
	v_pk_fma_f32 v[98:99], v[208:209], v[204:205], v[98:99] op_sel_hi:[0,1,1] neg_lo:[1,0,0] neg_hi:[1,0,0]
	s_waitcnt vmcnt(26) lgkmcnt(1)
	v_pk_fma_f32 v[92:93], v[208:209], v[206:207], v[92:93] op_sel_hi:[0,1,1] neg_lo:[1,0,0] neg_hi:[1,0,0]
	ds_read2_b32 v[202:203], v181 offset0:35 offset1:36
	ds_read2_b32 v[204:205], v181 offset0:37 offset1:38
	ds_read2_b32 v[206:207], v181 offset0:39 offset1:40
	s_waitcnt vmcnt(24) lgkmcnt(3)
	v_pk_fma_f32 v[118:119], v[208:209], v[210:211], v[118:119] op_sel_hi:[0,1,1] neg_lo:[1,0,0] neg_hi:[1,0,0]
	;; [unrolled: 12-line block ×3, first 2 shown]
	ds_read2_b32 v[210:211], v181 offset0:49 offset1:50
	s_waitcnt vmcnt(14) lgkmcnt(3)
	v_pk_fma_f32 v[140:141], v[208:209], v[202:203], v[140:141] op_sel_hi:[0,1,1] neg_lo:[1,0,0] neg_hi:[1,0,0]
	s_waitcnt vmcnt(12) lgkmcnt(2)
	v_pk_fma_f32 v[142:143], v[208:209], v[204:205], v[142:143] op_sel_hi:[0,1,1] neg_lo:[1,0,0] neg_hi:[1,0,0]
	;; [unrolled: 2-line block ×3, first 2 shown]
	ds_read2_b32 v[202:203], v181 offset0:51 offset1:52
	ds_read2_b32 v[204:205], v181 offset0:53 offset1:54
	ds_read2_b32 v[206:207], v181 offset0:55 offset1:56
	ds_read2_b32 v[212:213], v181 offset0:57 offset1:58
	s_waitcnt vmcnt(8) lgkmcnt(4)
	v_pk_fma_f32 v[166:167], v[208:209], v[210:211], v[166:167] op_sel_hi:[0,1,1] neg_lo:[1,0,0] neg_hi:[1,0,0]
	s_waitcnt vmcnt(6) lgkmcnt(3)
	v_pk_fma_f32 v[168:169], v[208:209], v[202:203], v[168:169] op_sel_hi:[0,1,1] neg_lo:[1,0,0] neg_hi:[1,0,0]
	;; [unrolled: 2-line block ×5, first 2 shown]
	v_mov_b32_e32 v75, v208
.LBB117_105:
	s_or_b64 exec, exec, s[2:3]
	v_cmp_eq_u32_e32 vcc, 19, v25
	s_waitcnt lgkmcnt(0)
	s_barrier
	s_and_saveexec_b64 s[2:3], vcc
	s_cbranch_execz .LBB117_108
; %bb.106:
	s_waitcnt vmcnt(36)
	v_pk_mov_b32 v[202:203], v[68:69], v[70:71] op_sel:[1,0]
	ds_write_b32 v180, v68
	ds_write2_b32 v181, v202, v203 offset0:20 offset1:21
	s_waitcnt vmcnt(34)
	v_pk_mov_b32 v[202:203], v[70:71], v[72:73] op_sel:[1,0]
	ds_write2_b32 v181, v202, v203 offset0:22 offset1:23
	s_waitcnt vmcnt(32)
	v_pk_mov_b32 v[202:203], v[72:73], v[94:95] op_sel:[1,0]
	;; [unrolled: 3-line block ×18, first 2 shown]
	ds_write2_b32 v181, v202, v203 offset0:56 offset1:57
	ds_write_b32 v181, v179 offset:232
	ds_read_b32 v201, v180
	s_waitcnt lgkmcnt(0)
	v_cmp_neq_f32_e32 vcc, 0, v201
	s_and_b64 exec, exec, vcc
	s_cbranch_execz .LBB117_108
; %bb.107:
	v_div_scale_f32 v202, s[4:5], v201, v201, 1.0
	v_rcp_f32_e32 v203, v202
	v_div_scale_f32 v204, vcc, 1.0, v201, 1.0
	v_fma_f32 v205, -v202, v203, 1.0
	v_fmac_f32_e32 v203, v205, v203
	v_mul_f32_e32 v205, v204, v203
	v_fma_f32 v206, -v202, v205, v204
	v_fmac_f32_e32 v205, v206, v203
	v_fma_f32 v202, -v202, v205, v204
	v_div_fmas_f32 v202, v202, v203, v205
	v_div_fixup_f32 v201, v202, v201, 1.0
	ds_write_b32 v180, v201
.LBB117_108:
	s_or_b64 exec, exec, s[2:3]
	s_waitcnt lgkmcnt(0)
	s_barrier
	ds_read_b32 v201, v180
	v_cmp_lt_u32_e32 vcc, 19, v25
	s_and_saveexec_b64 s[2:3], vcc
	s_cbranch_execz .LBB117_110
; %bb.109:
	ds_read_b32 v208, v181 offset:80
	ds_read2_b32 v[202:203], v181 offset0:21 offset1:22
	ds_read2_b32 v[204:205], v181 offset0:23 offset1:24
	s_waitcnt vmcnt(39) lgkmcnt(3)
	v_mul_f32_e32 v68, v201, v68
	ds_read2_b32 v[206:207], v181 offset0:25 offset1:26
	s_waitcnt vmcnt(38) lgkmcnt(3)
	v_fma_f32 v69, -v68, v208, v69
	s_waitcnt vmcnt(36) lgkmcnt(2)
	v_pk_fma_f32 v[70:71], v[68:69], v[202:203], v[70:71] op_sel_hi:[0,1,1] neg_lo:[1,0,0] neg_hi:[1,0,0]
	s_waitcnt vmcnt(34) lgkmcnt(1)
	v_pk_fma_f32 v[72:73], v[68:69], v[204:205], v[72:73] op_sel_hi:[0,1,1] neg_lo:[1,0,0] neg_hi:[1,0,0]
	ds_read2_b32 v[202:203], v181 offset0:27 offset1:28
	ds_read2_b32 v[204:205], v181 offset0:29 offset1:30
	ds_read2_b32 v[208:209], v181 offset0:31 offset1:32
	s_waitcnt vmcnt(32) lgkmcnt(3)
	v_pk_fma_f32 v[94:95], v[68:69], v[206:207], v[94:95] op_sel_hi:[0,1,1] neg_lo:[1,0,0] neg_hi:[1,0,0]
	ds_read2_b32 v[206:207], v181 offset0:33 offset1:34
	s_waitcnt vmcnt(30) lgkmcnt(3)
	v_pk_fma_f32 v[96:97], v[68:69], v[202:203], v[96:97] op_sel_hi:[0,1,1] neg_lo:[1,0,0] neg_hi:[1,0,0]
	s_waitcnt vmcnt(28) lgkmcnt(2)
	v_pk_fma_f32 v[98:99], v[68:69], v[204:205], v[98:99] op_sel_hi:[0,1,1] neg_lo:[1,0,0] neg_hi:[1,0,0]
	s_waitcnt vmcnt(26) lgkmcnt(1)
	v_pk_fma_f32 v[92:93], v[68:69], v[208:209], v[92:93] op_sel_hi:[0,1,1] neg_lo:[1,0,0] neg_hi:[1,0,0]
	ds_read2_b32 v[202:203], v181 offset0:35 offset1:36
	ds_read2_b32 v[204:205], v181 offset0:37 offset1:38
	ds_read2_b32 v[208:209], v181 offset0:39 offset1:40
	s_waitcnt vmcnt(24) lgkmcnt(3)
	v_pk_fma_f32 v[118:119], v[68:69], v[206:207], v[118:119] op_sel_hi:[0,1,1] neg_lo:[1,0,0] neg_hi:[1,0,0]
	ds_read2_b32 v[206:207], v181 offset0:41 offset1:42
	s_waitcnt vmcnt(22) lgkmcnt(3)
	v_pk_fma_f32 v[122:123], v[68:69], v[202:203], v[122:123] op_sel_hi:[0,1,1] neg_lo:[1,0,0] neg_hi:[1,0,0]
	;; [unrolled: 12-line block ×3, first 2 shown]
	s_waitcnt vmcnt(12) lgkmcnt(2)
	v_pk_fma_f32 v[142:143], v[68:69], v[204:205], v[142:143] op_sel_hi:[0,1,1] neg_lo:[1,0,0] neg_hi:[1,0,0]
	s_waitcnt vmcnt(10) lgkmcnt(1)
	v_pk_fma_f32 v[144:145], v[68:69], v[208:209], v[144:145] op_sel_hi:[0,1,1] neg_lo:[1,0,0] neg_hi:[1,0,0]
	ds_read2_b32 v[202:203], v181 offset0:51 offset1:52
	ds_read2_b32 v[204:205], v181 offset0:53 offset1:54
	;; [unrolled: 1-line block ×4, first 2 shown]
	s_waitcnt vmcnt(8) lgkmcnt(4)
	v_pk_fma_f32 v[166:167], v[68:69], v[206:207], v[166:167] op_sel_hi:[0,1,1] neg_lo:[1,0,0] neg_hi:[1,0,0]
	s_waitcnt vmcnt(6) lgkmcnt(3)
	v_pk_fma_f32 v[168:169], v[68:69], v[202:203], v[168:169] op_sel_hi:[0,1,1] neg_lo:[1,0,0] neg_hi:[1,0,0]
	;; [unrolled: 2-line block ×5, first 2 shown]
.LBB117_110:
	s_or_b64 exec, exec, s[2:3]
	v_cmp_ne_u32_e32 vcc, 20, v25
	s_waitcnt lgkmcnt(0)
	s_barrier
	s_and_saveexec_b64 s[2:3], vcc
	s_xor_b64 s[2:3], exec, s[2:3]
	s_andn2_saveexec_b64 s[2:3], s[2:3]
	s_cbranch_execz .LBB117_114
; %bb.111:
	s_waitcnt vmcnt(38)
	ds_write_b32 v180, v69
	s_waitcnt vmcnt(36)
	ds_write2_b32 v181, v70, v71 offset0:21 offset1:22
	s_waitcnt vmcnt(34)
	ds_write2_b32 v181, v72, v73 offset0:23 offset1:24
	s_waitcnt vmcnt(32)
	ds_write2_b32 v181, v94, v95 offset0:25 offset1:26
	s_waitcnt vmcnt(30)
	ds_write2_b32 v181, v96, v97 offset0:27 offset1:28
	s_waitcnt vmcnt(28)
	ds_write2_b32 v181, v98, v99 offset0:29 offset1:30
	s_waitcnt vmcnt(26)
	ds_write2_b32 v181, v92, v93 offset0:31 offset1:32
	s_waitcnt vmcnt(24)
	ds_write2_b32 v181, v118, v119 offset0:33 offset1:34
	s_waitcnt vmcnt(22)
	ds_write2_b32 v181, v122, v123 offset0:35 offset1:36
	s_waitcnt vmcnt(20)
	ds_write2_b32 v181, v116, v117 offset0:37 offset1:38
	s_waitcnt vmcnt(18)
	ds_write2_b32 v181, v120, v121 offset0:39 offset1:40
	s_waitcnt vmcnt(16)
	ds_write2_b32 v181, v146, v147 offset0:41 offset1:42
	s_waitcnt vmcnt(14)
	ds_write2_b32 v181, v140, v141 offset0:43 offset1:44
	s_waitcnt vmcnt(12)
	ds_write2_b32 v181, v142, v143 offset0:45 offset1:46
	s_waitcnt vmcnt(10)
	ds_write2_b32 v181, v144, v145 offset0:47 offset1:48
	s_waitcnt vmcnt(8)
	ds_write2_b32 v181, v166, v167 offset0:49 offset1:50
	s_waitcnt vmcnt(6)
	ds_write2_b32 v181, v168, v169 offset0:51 offset1:52
	s_waitcnt vmcnt(4)
	ds_write2_b32 v181, v170, v171 offset0:53 offset1:54
	s_waitcnt vmcnt(2)
	ds_write2_b32 v181, v164, v165 offset0:55 offset1:56
	s_waitcnt vmcnt(0)
	ds_write2_b32 v181, v178, v179 offset0:57 offset1:58
	ds_read_b32 v202, v180
	s_waitcnt lgkmcnt(0)
	v_cmp_neq_f32_e32 vcc, 0, v202
	s_and_saveexec_b64 s[4:5], vcc
	s_cbranch_execz .LBB117_113
; %bb.112:
	v_div_scale_f32 v203, s[10:11], v202, v202, 1.0
	v_rcp_f32_e32 v204, v203
	v_div_scale_f32 v205, vcc, 1.0, v202, 1.0
	v_fma_f32 v206, -v203, v204, 1.0
	v_fmac_f32_e32 v204, v206, v204
	v_mul_f32_e32 v206, v205, v204
	v_fma_f32 v207, -v203, v206, v205
	v_fmac_f32_e32 v206, v207, v204
	v_fma_f32 v203, -v203, v206, v205
	v_div_fmas_f32 v203, v203, v204, v206
	v_div_fixup_f32 v202, v203, v202, 1.0
	ds_write_b32 v180, v202
.LBB117_113:
	s_or_b64 exec, exec, s[4:5]
.LBB117_114:
	s_or_b64 exec, exec, s[2:3]
	s_waitcnt lgkmcnt(0)
	s_barrier
	ds_read_b32 v202, v180
	v_cmp_lt_u32_e32 vcc, 20, v25
	s_and_saveexec_b64 s[2:3], vcc
	s_cbranch_execz .LBB117_116
; %bb.115:
	ds_read2_b32 v[204:205], v181 offset0:21 offset1:22
	ds_read2_b32 v[206:207], v181 offset0:23 offset1:24
	;; [unrolled: 1-line block ×3, first 2 shown]
	s_waitcnt vmcnt(38) lgkmcnt(3)
	v_mul_f32_e32 v210, v202, v69
	ds_read2_b32 v[212:213], v181 offset0:27 offset1:28
	s_waitcnt vmcnt(36) lgkmcnt(3)
	v_pk_fma_f32 v[70:71], v[210:211], v[204:205], v[70:71] op_sel_hi:[0,1,1] neg_lo:[1,0,0] neg_hi:[1,0,0]
	s_waitcnt vmcnt(34) lgkmcnt(2)
	v_pk_fma_f32 v[72:73], v[210:211], v[206:207], v[72:73] op_sel_hi:[0,1,1] neg_lo:[1,0,0] neg_hi:[1,0,0]
	;; [unrolled: 2-line block ×3, first 2 shown]
	ds_read2_b32 v[204:205], v181 offset0:29 offset1:30
	ds_read2_b32 v[206:207], v181 offset0:31 offset1:32
	ds_read2_b32 v[208:209], v181 offset0:33 offset1:34
	s_waitcnt vmcnt(30) lgkmcnt(3)
	v_pk_fma_f32 v[96:97], v[210:211], v[212:213], v[96:97] op_sel_hi:[0,1,1] neg_lo:[1,0,0] neg_hi:[1,0,0]
	ds_read2_b32 v[212:213], v181 offset0:35 offset1:36
	s_waitcnt vmcnt(28) lgkmcnt(3)
	v_pk_fma_f32 v[98:99], v[210:211], v[204:205], v[98:99] op_sel_hi:[0,1,1] neg_lo:[1,0,0] neg_hi:[1,0,0]
	s_waitcnt vmcnt(26) lgkmcnt(2)
	v_pk_fma_f32 v[92:93], v[210:211], v[206:207], v[92:93] op_sel_hi:[0,1,1] neg_lo:[1,0,0] neg_hi:[1,0,0]
	;; [unrolled: 2-line block ×3, first 2 shown]
	ds_read2_b32 v[204:205], v181 offset0:37 offset1:38
	ds_read2_b32 v[206:207], v181 offset0:39 offset1:40
	;; [unrolled: 1-line block ×3, first 2 shown]
	s_waitcnt vmcnt(22) lgkmcnt(3)
	v_pk_fma_f32 v[122:123], v[210:211], v[212:213], v[122:123] op_sel_hi:[0,1,1] neg_lo:[1,0,0] neg_hi:[1,0,0]
	ds_read2_b32 v[212:213], v181 offset0:43 offset1:44
	s_waitcnt vmcnt(20) lgkmcnt(3)
	v_pk_fma_f32 v[116:117], v[210:211], v[204:205], v[116:117] op_sel_hi:[0,1,1] neg_lo:[1,0,0] neg_hi:[1,0,0]
	s_waitcnt vmcnt(18) lgkmcnt(2)
	v_pk_fma_f32 v[120:121], v[210:211], v[206:207], v[120:121] op_sel_hi:[0,1,1] neg_lo:[1,0,0] neg_hi:[1,0,0]
	ds_read2_b32 v[204:205], v181 offset0:45 offset1:46
	ds_read2_b32 v[206:207], v181 offset0:47 offset1:48
	s_waitcnt vmcnt(16) lgkmcnt(3)
	v_pk_fma_f32 v[146:147], v[210:211], v[208:209], v[146:147] op_sel_hi:[0,1,1] neg_lo:[1,0,0] neg_hi:[1,0,0]
	s_waitcnt vmcnt(14) lgkmcnt(2)
	v_pk_fma_f32 v[140:141], v[210:211], v[212:213], v[140:141] op_sel_hi:[0,1,1] neg_lo:[1,0,0] neg_hi:[1,0,0]
	ds_read2_b32 v[208:209], v181 offset0:49 offset1:50
	;; [unrolled: 6-line block ×3, first 2 shown]
	ds_read2_b32 v[206:207], v181 offset0:55 offset1:56
	ds_read2_b32 v[214:215], v181 offset0:57 offset1:58
	s_waitcnt vmcnt(8) lgkmcnt(4)
	v_pk_fma_f32 v[166:167], v[210:211], v[208:209], v[166:167] op_sel_hi:[0,1,1] neg_lo:[1,0,0] neg_hi:[1,0,0]
	s_waitcnt vmcnt(6) lgkmcnt(3)
	v_pk_fma_f32 v[168:169], v[210:211], v[212:213], v[168:169] op_sel_hi:[0,1,1] neg_lo:[1,0,0] neg_hi:[1,0,0]
	;; [unrolled: 2-line block ×5, first 2 shown]
	v_mov_b32_e32 v69, v210
.LBB117_116:
	s_or_b64 exec, exec, s[2:3]
	v_cmp_eq_u32_e32 vcc, 21, v25
	s_waitcnt lgkmcnt(0)
	s_barrier
	s_and_saveexec_b64 s[2:3], vcc
	s_cbranch_execz .LBB117_119
; %bb.117:
	s_waitcnt vmcnt(34)
	v_pk_mov_b32 v[204:205], v[70:71], v[72:73] op_sel:[1,0]
	ds_write_b32 v180, v70
	ds_write2_b32 v181, v204, v205 offset0:22 offset1:23
	s_waitcnt vmcnt(32)
	v_pk_mov_b32 v[204:205], v[72:73], v[94:95] op_sel:[1,0]
	ds_write2_b32 v181, v204, v205 offset0:24 offset1:25
	s_waitcnt vmcnt(30)
	v_pk_mov_b32 v[204:205], v[94:95], v[96:97] op_sel:[1,0]
	;; [unrolled: 3-line block ×17, first 2 shown]
	ds_write2_b32 v181, v204, v205 offset0:56 offset1:57
	ds_write_b32 v181, v179 offset:232
	ds_read_b32 v203, v180
	s_waitcnt lgkmcnt(0)
	v_cmp_neq_f32_e32 vcc, 0, v203
	s_and_b64 exec, exec, vcc
	s_cbranch_execz .LBB117_119
; %bb.118:
	v_div_scale_f32 v204, s[4:5], v203, v203, 1.0
	v_rcp_f32_e32 v205, v204
	v_div_scale_f32 v206, vcc, 1.0, v203, 1.0
	v_fma_f32 v207, -v204, v205, 1.0
	v_fmac_f32_e32 v205, v207, v205
	v_mul_f32_e32 v207, v206, v205
	v_fma_f32 v208, -v204, v207, v206
	v_fmac_f32_e32 v207, v208, v205
	v_fma_f32 v204, -v204, v207, v206
	v_div_fmas_f32 v204, v204, v205, v207
	v_div_fixup_f32 v203, v204, v203, 1.0
	ds_write_b32 v180, v203
.LBB117_119:
	s_or_b64 exec, exec, s[2:3]
	s_waitcnt lgkmcnt(0)
	s_barrier
	ds_read_b32 v203, v180
	v_cmp_lt_u32_e32 vcc, 21, v25
	s_and_saveexec_b64 s[2:3], vcc
	s_cbranch_execz .LBB117_121
; %bb.120:
	ds_read_b32 v210, v181 offset:88
	ds_read2_b32 v[204:205], v181 offset0:23 offset1:24
	ds_read2_b32 v[206:207], v181 offset0:25 offset1:26
	s_waitcnt vmcnt(37) lgkmcnt(3)
	v_mul_f32_e32 v70, v203, v70
	ds_read2_b32 v[208:209], v181 offset0:27 offset1:28
	s_waitcnt vmcnt(36) lgkmcnt(3)
	v_fma_f32 v71, -v70, v210, v71
	s_waitcnt vmcnt(34) lgkmcnt(2)
	v_pk_fma_f32 v[72:73], v[70:71], v[204:205], v[72:73] op_sel_hi:[0,1,1] neg_lo:[1,0,0] neg_hi:[1,0,0]
	s_waitcnt vmcnt(32) lgkmcnt(1)
	v_pk_fma_f32 v[94:95], v[70:71], v[206:207], v[94:95] op_sel_hi:[0,1,1] neg_lo:[1,0,0] neg_hi:[1,0,0]
	ds_read2_b32 v[204:205], v181 offset0:29 offset1:30
	ds_read2_b32 v[206:207], v181 offset0:31 offset1:32
	;; [unrolled: 1-line block ×3, first 2 shown]
	s_waitcnt vmcnt(30) lgkmcnt(3)
	v_pk_fma_f32 v[96:97], v[70:71], v[208:209], v[96:97] op_sel_hi:[0,1,1] neg_lo:[1,0,0] neg_hi:[1,0,0]
	ds_read2_b32 v[208:209], v181 offset0:35 offset1:36
	s_waitcnt vmcnt(28) lgkmcnt(3)
	v_pk_fma_f32 v[98:99], v[70:71], v[204:205], v[98:99] op_sel_hi:[0,1,1] neg_lo:[1,0,0] neg_hi:[1,0,0]
	s_waitcnt vmcnt(26) lgkmcnt(2)
	v_pk_fma_f32 v[92:93], v[70:71], v[206:207], v[92:93] op_sel_hi:[0,1,1] neg_lo:[1,0,0] neg_hi:[1,0,0]
	;; [unrolled: 2-line block ×3, first 2 shown]
	ds_read2_b32 v[204:205], v181 offset0:37 offset1:38
	ds_read2_b32 v[206:207], v181 offset0:39 offset1:40
	;; [unrolled: 1-line block ×3, first 2 shown]
	s_waitcnt vmcnt(22) lgkmcnt(3)
	v_pk_fma_f32 v[122:123], v[70:71], v[208:209], v[122:123] op_sel_hi:[0,1,1] neg_lo:[1,0,0] neg_hi:[1,0,0]
	ds_read2_b32 v[208:209], v181 offset0:43 offset1:44
	s_waitcnt vmcnt(20) lgkmcnt(3)
	v_pk_fma_f32 v[116:117], v[70:71], v[204:205], v[116:117] op_sel_hi:[0,1,1] neg_lo:[1,0,0] neg_hi:[1,0,0]
	s_waitcnt vmcnt(18) lgkmcnt(2)
	v_pk_fma_f32 v[120:121], v[70:71], v[206:207], v[120:121] op_sel_hi:[0,1,1] neg_lo:[1,0,0] neg_hi:[1,0,0]
	ds_read2_b32 v[204:205], v181 offset0:45 offset1:46
	ds_read2_b32 v[206:207], v181 offset0:47 offset1:48
	s_waitcnt vmcnt(16) lgkmcnt(3)
	v_pk_fma_f32 v[146:147], v[70:71], v[210:211], v[146:147] op_sel_hi:[0,1,1] neg_lo:[1,0,0] neg_hi:[1,0,0]
	s_waitcnt vmcnt(14) lgkmcnt(2)
	v_pk_fma_f32 v[140:141], v[70:71], v[208:209], v[140:141] op_sel_hi:[0,1,1] neg_lo:[1,0,0] neg_hi:[1,0,0]
	ds_read2_b32 v[208:209], v181 offset0:49 offset1:50
	;; [unrolled: 6-line block ×3, first 2 shown]
	ds_read2_b32 v[206:207], v181 offset0:55 offset1:56
	ds_read2_b32 v[212:213], v181 offset0:57 offset1:58
	s_waitcnt vmcnt(8) lgkmcnt(4)
	v_pk_fma_f32 v[166:167], v[70:71], v[208:209], v[166:167] op_sel_hi:[0,1,1] neg_lo:[1,0,0] neg_hi:[1,0,0]
	s_waitcnt vmcnt(6) lgkmcnt(3)
	v_pk_fma_f32 v[168:169], v[70:71], v[210:211], v[168:169] op_sel_hi:[0,1,1] neg_lo:[1,0,0] neg_hi:[1,0,0]
	;; [unrolled: 2-line block ×5, first 2 shown]
.LBB117_121:
	s_or_b64 exec, exec, s[2:3]
	v_cmp_ne_u32_e32 vcc, 22, v25
	s_waitcnt lgkmcnt(0)
	s_barrier
	s_and_saveexec_b64 s[2:3], vcc
	s_xor_b64 s[2:3], exec, s[2:3]
	s_andn2_saveexec_b64 s[2:3], s[2:3]
	s_cbranch_execz .LBB117_125
; %bb.122:
	s_waitcnt vmcnt(36)
	ds_write_b32 v180, v71
	s_waitcnt vmcnt(34)
	ds_write2_b32 v181, v72, v73 offset0:23 offset1:24
	s_waitcnt vmcnt(32)
	ds_write2_b32 v181, v94, v95 offset0:25 offset1:26
	;; [unrolled: 2-line block ×18, first 2 shown]
	ds_read_b32 v204, v180
	s_waitcnt lgkmcnt(0)
	v_cmp_neq_f32_e32 vcc, 0, v204
	s_and_saveexec_b64 s[4:5], vcc
	s_cbranch_execz .LBB117_124
; %bb.123:
	v_div_scale_f32 v205, s[10:11], v204, v204, 1.0
	v_rcp_f32_e32 v206, v205
	v_div_scale_f32 v207, vcc, 1.0, v204, 1.0
	v_fma_f32 v208, -v205, v206, 1.0
	v_fmac_f32_e32 v206, v208, v206
	v_mul_f32_e32 v208, v207, v206
	v_fma_f32 v209, -v205, v208, v207
	v_fmac_f32_e32 v208, v209, v206
	v_fma_f32 v205, -v205, v208, v207
	v_div_fmas_f32 v205, v205, v206, v208
	v_div_fixup_f32 v204, v205, v204, 1.0
	ds_write_b32 v180, v204
.LBB117_124:
	s_or_b64 exec, exec, s[4:5]
.LBB117_125:
	s_or_b64 exec, exec, s[2:3]
	s_waitcnt lgkmcnt(0)
	s_barrier
	ds_read_b32 v204, v180
	v_cmp_lt_u32_e32 vcc, 22, v25
	s_and_saveexec_b64 s[2:3], vcc
	s_cbranch_execz .LBB117_127
; %bb.126:
	ds_read2_b32 v[206:207], v181 offset0:23 offset1:24
	ds_read2_b32 v[208:209], v181 offset0:25 offset1:26
	;; [unrolled: 1-line block ×4, first 2 shown]
	s_waitcnt vmcnt(36) lgkmcnt(4)
	v_mul_f32_e32 v212, v204, v71
	s_waitcnt vmcnt(34) lgkmcnt(3)
	v_pk_fma_f32 v[72:73], v[212:213], v[206:207], v[72:73] op_sel_hi:[0,1,1] neg_lo:[1,0,0] neg_hi:[1,0,0]
	s_waitcnt vmcnt(32) lgkmcnt(2)
	v_pk_fma_f32 v[94:95], v[212:213], v[208:209], v[94:95] op_sel_hi:[0,1,1] neg_lo:[1,0,0] neg_hi:[1,0,0]
	;; [unrolled: 2-line block ×3, first 2 shown]
	ds_read2_b32 v[206:207], v181 offset0:31 offset1:32
	ds_read2_b32 v[208:209], v181 offset0:33 offset1:34
	;; [unrolled: 1-line block ×3, first 2 shown]
	s_waitcnt vmcnt(28) lgkmcnt(3)
	v_pk_fma_f32 v[98:99], v[212:213], v[214:215], v[98:99] op_sel_hi:[0,1,1] neg_lo:[1,0,0] neg_hi:[1,0,0]
	ds_read2_b32 v[214:215], v181 offset0:37 offset1:38
	s_waitcnt vmcnt(26) lgkmcnt(3)
	v_pk_fma_f32 v[92:93], v[212:213], v[206:207], v[92:93] op_sel_hi:[0,1,1] neg_lo:[1,0,0] neg_hi:[1,0,0]
	s_waitcnt vmcnt(24) lgkmcnt(2)
	v_pk_fma_f32 v[118:119], v[212:213], v[208:209], v[118:119] op_sel_hi:[0,1,1] neg_lo:[1,0,0] neg_hi:[1,0,0]
	;; [unrolled: 2-line block ×3, first 2 shown]
	ds_read2_b32 v[206:207], v181 offset0:39 offset1:40
	ds_read2_b32 v[208:209], v181 offset0:41 offset1:42
	ds_read2_b32 v[210:211], v181 offset0:43 offset1:44
	s_waitcnt vmcnt(20) lgkmcnt(3)
	v_pk_fma_f32 v[116:117], v[212:213], v[214:215], v[116:117] op_sel_hi:[0,1,1] neg_lo:[1,0,0] neg_hi:[1,0,0]
	ds_read2_b32 v[214:215], v181 offset0:45 offset1:46
	s_waitcnt vmcnt(18) lgkmcnt(3)
	v_pk_fma_f32 v[120:121], v[212:213], v[206:207], v[120:121] op_sel_hi:[0,1,1] neg_lo:[1,0,0] neg_hi:[1,0,0]
	ds_read2_b32 v[206:207], v181 offset0:47 offset1:48
	s_waitcnt vmcnt(16) lgkmcnt(3)
	v_pk_fma_f32 v[146:147], v[212:213], v[208:209], v[146:147] op_sel_hi:[0,1,1] neg_lo:[1,0,0] neg_hi:[1,0,0]
	s_waitcnt vmcnt(14) lgkmcnt(2)
	v_pk_fma_f32 v[140:141], v[212:213], v[210:211], v[140:141] op_sel_hi:[0,1,1] neg_lo:[1,0,0] neg_hi:[1,0,0]
	;; [unrolled: 2-line block ×3, first 2 shown]
	ds_read2_b32 v[208:209], v181 offset0:49 offset1:50
	ds_read2_b32 v[210:211], v181 offset0:51 offset1:52
	;; [unrolled: 1-line block ×3, first 2 shown]
	s_waitcnt vmcnt(10) lgkmcnt(3)
	v_pk_fma_f32 v[144:145], v[212:213], v[206:207], v[144:145] op_sel_hi:[0,1,1] neg_lo:[1,0,0] neg_hi:[1,0,0]
	ds_read2_b32 v[206:207], v181 offset0:55 offset1:56
	ds_read2_b32 v[216:217], v181 offset0:57 offset1:58
	s_waitcnt vmcnt(8) lgkmcnt(4)
	v_pk_fma_f32 v[166:167], v[212:213], v[208:209], v[166:167] op_sel_hi:[0,1,1] neg_lo:[1,0,0] neg_hi:[1,0,0]
	s_waitcnt vmcnt(6) lgkmcnt(3)
	v_pk_fma_f32 v[168:169], v[212:213], v[210:211], v[168:169] op_sel_hi:[0,1,1] neg_lo:[1,0,0] neg_hi:[1,0,0]
	;; [unrolled: 2-line block ×5, first 2 shown]
	v_mov_b32_e32 v71, v212
.LBB117_127:
	s_or_b64 exec, exec, s[2:3]
	v_cmp_eq_u32_e32 vcc, 23, v25
	s_waitcnt lgkmcnt(0)
	s_barrier
	s_and_saveexec_b64 s[2:3], vcc
	s_cbranch_execz .LBB117_130
; %bb.128:
	s_waitcnt vmcnt(32)
	v_pk_mov_b32 v[206:207], v[72:73], v[94:95] op_sel:[1,0]
	ds_write_b32 v180, v72
	ds_write2_b32 v181, v206, v207 offset0:24 offset1:25
	s_waitcnt vmcnt(30)
	v_pk_mov_b32 v[206:207], v[94:95], v[96:97] op_sel:[1,0]
	ds_write2_b32 v181, v206, v207 offset0:26 offset1:27
	s_waitcnt vmcnt(28)
	v_pk_mov_b32 v[206:207], v[96:97], v[98:99] op_sel:[1,0]
	;; [unrolled: 3-line block ×16, first 2 shown]
	ds_write2_b32 v181, v206, v207 offset0:56 offset1:57
	ds_write_b32 v181, v179 offset:232
	ds_read_b32 v205, v180
	s_waitcnt lgkmcnt(0)
	v_cmp_neq_f32_e32 vcc, 0, v205
	s_and_b64 exec, exec, vcc
	s_cbranch_execz .LBB117_130
; %bb.129:
	v_div_scale_f32 v206, s[4:5], v205, v205, 1.0
	v_rcp_f32_e32 v207, v206
	v_div_scale_f32 v208, vcc, 1.0, v205, 1.0
	v_fma_f32 v209, -v206, v207, 1.0
	v_fmac_f32_e32 v207, v209, v207
	v_mul_f32_e32 v209, v208, v207
	v_fma_f32 v210, -v206, v209, v208
	v_fmac_f32_e32 v209, v210, v207
	v_fma_f32 v206, -v206, v209, v208
	v_div_fmas_f32 v206, v206, v207, v209
	v_div_fixup_f32 v205, v206, v205, 1.0
	ds_write_b32 v180, v205
.LBB117_130:
	s_or_b64 exec, exec, s[2:3]
	s_waitcnt lgkmcnt(0)
	s_barrier
	ds_read_b32 v205, v180
	v_cmp_lt_u32_e32 vcc, 23, v25
	s_and_saveexec_b64 s[2:3], vcc
	s_cbranch_execz .LBB117_132
; %bb.131:
	ds_read_b32 v212, v181 offset:96
	ds_read2_b32 v[206:207], v181 offset0:25 offset1:26
	ds_read2_b32 v[208:209], v181 offset0:27 offset1:28
	s_waitcnt vmcnt(35) lgkmcnt(3)
	v_mul_f32_e32 v72, v205, v72
	ds_read2_b32 v[210:211], v181 offset0:29 offset1:30
	s_waitcnt vmcnt(34) lgkmcnt(3)
	v_fma_f32 v73, -v72, v212, v73
	s_waitcnt vmcnt(32) lgkmcnt(2)
	v_pk_fma_f32 v[94:95], v[72:73], v[206:207], v[94:95] op_sel_hi:[0,1,1] neg_lo:[1,0,0] neg_hi:[1,0,0]
	s_waitcnt vmcnt(30) lgkmcnt(1)
	v_pk_fma_f32 v[96:97], v[72:73], v[208:209], v[96:97] op_sel_hi:[0,1,1] neg_lo:[1,0,0] neg_hi:[1,0,0]
	ds_read2_b32 v[206:207], v181 offset0:31 offset1:32
	ds_read2_b32 v[208:209], v181 offset0:33 offset1:34
	;; [unrolled: 1-line block ×3, first 2 shown]
	s_waitcnt vmcnt(28) lgkmcnt(3)
	v_pk_fma_f32 v[98:99], v[72:73], v[210:211], v[98:99] op_sel_hi:[0,1,1] neg_lo:[1,0,0] neg_hi:[1,0,0]
	ds_read2_b32 v[210:211], v181 offset0:37 offset1:38
	s_waitcnt vmcnt(26) lgkmcnt(3)
	v_pk_fma_f32 v[92:93], v[72:73], v[206:207], v[92:93] op_sel_hi:[0,1,1] neg_lo:[1,0,0] neg_hi:[1,0,0]
	s_waitcnt vmcnt(24) lgkmcnt(2)
	v_pk_fma_f32 v[118:119], v[72:73], v[208:209], v[118:119] op_sel_hi:[0,1,1] neg_lo:[1,0,0] neg_hi:[1,0,0]
	;; [unrolled: 2-line block ×3, first 2 shown]
	ds_read2_b32 v[206:207], v181 offset0:39 offset1:40
	ds_read2_b32 v[208:209], v181 offset0:41 offset1:42
	;; [unrolled: 1-line block ×3, first 2 shown]
	s_waitcnt vmcnt(20) lgkmcnt(3)
	v_pk_fma_f32 v[116:117], v[72:73], v[210:211], v[116:117] op_sel_hi:[0,1,1] neg_lo:[1,0,0] neg_hi:[1,0,0]
	ds_read2_b32 v[210:211], v181 offset0:45 offset1:46
	s_waitcnt vmcnt(18) lgkmcnt(3)
	v_pk_fma_f32 v[120:121], v[72:73], v[206:207], v[120:121] op_sel_hi:[0,1,1] neg_lo:[1,0,0] neg_hi:[1,0,0]
	ds_read2_b32 v[206:207], v181 offset0:47 offset1:48
	s_waitcnt vmcnt(16) lgkmcnt(3)
	v_pk_fma_f32 v[146:147], v[72:73], v[208:209], v[146:147] op_sel_hi:[0,1,1] neg_lo:[1,0,0] neg_hi:[1,0,0]
	s_waitcnt vmcnt(14) lgkmcnt(2)
	v_pk_fma_f32 v[140:141], v[72:73], v[212:213], v[140:141] op_sel_hi:[0,1,1] neg_lo:[1,0,0] neg_hi:[1,0,0]
	;; [unrolled: 2-line block ×3, first 2 shown]
	ds_read2_b32 v[208:209], v181 offset0:49 offset1:50
	ds_read2_b32 v[210:211], v181 offset0:51 offset1:52
	;; [unrolled: 1-line block ×3, first 2 shown]
	s_waitcnt vmcnt(10) lgkmcnt(3)
	v_pk_fma_f32 v[144:145], v[72:73], v[206:207], v[144:145] op_sel_hi:[0,1,1] neg_lo:[1,0,0] neg_hi:[1,0,0]
	ds_read2_b32 v[206:207], v181 offset0:55 offset1:56
	ds_read2_b32 v[214:215], v181 offset0:57 offset1:58
	s_waitcnt vmcnt(8) lgkmcnt(4)
	v_pk_fma_f32 v[166:167], v[72:73], v[208:209], v[166:167] op_sel_hi:[0,1,1] neg_lo:[1,0,0] neg_hi:[1,0,0]
	s_waitcnt vmcnt(6) lgkmcnt(3)
	v_pk_fma_f32 v[168:169], v[72:73], v[210:211], v[168:169] op_sel_hi:[0,1,1] neg_lo:[1,0,0] neg_hi:[1,0,0]
	;; [unrolled: 2-line block ×5, first 2 shown]
.LBB117_132:
	s_or_b64 exec, exec, s[2:3]
	v_cmp_ne_u32_e32 vcc, 24, v25
	s_waitcnt lgkmcnt(0)
	s_barrier
	s_and_saveexec_b64 s[2:3], vcc
	s_xor_b64 s[2:3], exec, s[2:3]
	s_andn2_saveexec_b64 s[2:3], s[2:3]
	s_cbranch_execz .LBB117_136
; %bb.133:
	s_waitcnt vmcnt(34)
	ds_write_b32 v180, v73
	s_waitcnt vmcnt(32)
	ds_write2_b32 v181, v94, v95 offset0:25 offset1:26
	s_waitcnt vmcnt(30)
	ds_write2_b32 v181, v96, v97 offset0:27 offset1:28
	;; [unrolled: 2-line block ×17, first 2 shown]
	ds_read_b32 v206, v180
	s_waitcnt lgkmcnt(0)
	v_cmp_neq_f32_e32 vcc, 0, v206
	s_and_saveexec_b64 s[4:5], vcc
	s_cbranch_execz .LBB117_135
; %bb.134:
	v_div_scale_f32 v207, s[10:11], v206, v206, 1.0
	v_rcp_f32_e32 v208, v207
	v_div_scale_f32 v209, vcc, 1.0, v206, 1.0
	v_fma_f32 v210, -v207, v208, 1.0
	v_fmac_f32_e32 v208, v210, v208
	v_mul_f32_e32 v210, v209, v208
	v_fma_f32 v211, -v207, v210, v209
	v_fmac_f32_e32 v210, v211, v208
	v_fma_f32 v207, -v207, v210, v209
	v_div_fmas_f32 v207, v207, v208, v210
	v_div_fixup_f32 v206, v207, v206, 1.0
	ds_write_b32 v180, v206
.LBB117_135:
	s_or_b64 exec, exec, s[4:5]
.LBB117_136:
	s_or_b64 exec, exec, s[2:3]
	s_waitcnt lgkmcnt(0)
	s_barrier
	ds_read_b32 v206, v180
	v_cmp_lt_u32_e32 vcc, 24, v25
	s_and_saveexec_b64 s[2:3], vcc
	s_cbranch_execz .LBB117_138
; %bb.137:
	ds_read2_b32 v[208:209], v181 offset0:25 offset1:26
	ds_read2_b32 v[210:211], v181 offset0:27 offset1:28
	;; [unrolled: 1-line block ×3, first 2 shown]
	s_waitcnt vmcnt(34) lgkmcnt(3)
	v_mul_f32_e32 v214, v206, v73
	ds_read2_b32 v[216:217], v181 offset0:31 offset1:32
	s_waitcnt vmcnt(32) lgkmcnt(3)
	v_pk_fma_f32 v[94:95], v[214:215], v[208:209], v[94:95] op_sel_hi:[0,1,1] neg_lo:[1,0,0] neg_hi:[1,0,0]
	s_waitcnt vmcnt(30) lgkmcnt(2)
	v_pk_fma_f32 v[96:97], v[214:215], v[210:211], v[96:97] op_sel_hi:[0,1,1] neg_lo:[1,0,0] neg_hi:[1,0,0]
	;; [unrolled: 2-line block ×3, first 2 shown]
	ds_read2_b32 v[208:209], v181 offset0:33 offset1:34
	ds_read2_b32 v[210:211], v181 offset0:35 offset1:36
	ds_read2_b32 v[212:213], v181 offset0:37 offset1:38
	s_waitcnt vmcnt(26) lgkmcnt(3)
	v_pk_fma_f32 v[92:93], v[214:215], v[216:217], v[92:93] op_sel_hi:[0,1,1] neg_lo:[1,0,0] neg_hi:[1,0,0]
	ds_read2_b32 v[216:217], v181 offset0:39 offset1:40
	s_waitcnt vmcnt(24) lgkmcnt(3)
	v_pk_fma_f32 v[118:119], v[214:215], v[208:209], v[118:119] op_sel_hi:[0,1,1] neg_lo:[1,0,0] neg_hi:[1,0,0]
	s_waitcnt vmcnt(22) lgkmcnt(2)
	v_pk_fma_f32 v[122:123], v[214:215], v[210:211], v[122:123] op_sel_hi:[0,1,1] neg_lo:[1,0,0] neg_hi:[1,0,0]
	;; [unrolled: 2-line block ×3, first 2 shown]
	ds_read2_b32 v[208:209], v181 offset0:41 offset1:42
	ds_read2_b32 v[210:211], v181 offset0:43 offset1:44
	;; [unrolled: 1-line block ×4, first 2 shown]
	s_waitcnt vmcnt(18) lgkmcnt(4)
	v_pk_fma_f32 v[120:121], v[214:215], v[216:217], v[120:121] op_sel_hi:[0,1,1] neg_lo:[1,0,0] neg_hi:[1,0,0]
	s_waitcnt vmcnt(16) lgkmcnt(3)
	v_pk_fma_f32 v[146:147], v[214:215], v[208:209], v[146:147] op_sel_hi:[0,1,1] neg_lo:[1,0,0] neg_hi:[1,0,0]
	;; [unrolled: 2-line block ×5, first 2 shown]
	ds_read2_b32 v[208:209], v181 offset0:49 offset1:50
	ds_read2_b32 v[210:211], v181 offset0:51 offset1:52
	;; [unrolled: 1-line block ×5, first 2 shown]
	s_waitcnt vmcnt(8) lgkmcnt(4)
	v_pk_fma_f32 v[166:167], v[214:215], v[208:209], v[166:167] op_sel_hi:[0,1,1] neg_lo:[1,0,0] neg_hi:[1,0,0]
	s_waitcnt vmcnt(6) lgkmcnt(3)
	v_pk_fma_f32 v[168:169], v[214:215], v[210:211], v[168:169] op_sel_hi:[0,1,1] neg_lo:[1,0,0] neg_hi:[1,0,0]
	;; [unrolled: 2-line block ×5, first 2 shown]
	v_mov_b32_e32 v73, v214
.LBB117_138:
	s_or_b64 exec, exec, s[2:3]
	v_cmp_eq_u32_e32 vcc, 25, v25
	s_waitcnt lgkmcnt(0)
	s_barrier
	s_and_saveexec_b64 s[2:3], vcc
	s_cbranch_execz .LBB117_141
; %bb.139:
	s_waitcnt vmcnt(30)
	v_pk_mov_b32 v[208:209], v[94:95], v[96:97] op_sel:[1,0]
	ds_write_b32 v180, v94
	ds_write2_b32 v181, v208, v209 offset0:26 offset1:27
	s_waitcnt vmcnt(28)
	v_pk_mov_b32 v[208:209], v[96:97], v[98:99] op_sel:[1,0]
	ds_write2_b32 v181, v208, v209 offset0:28 offset1:29
	s_waitcnt vmcnt(26)
	v_pk_mov_b32 v[208:209], v[98:99], v[92:93] op_sel:[1,0]
	ds_write2_b32 v181, v208, v209 offset0:30 offset1:31
	s_waitcnt vmcnt(24)
	v_pk_mov_b32 v[208:209], v[92:93], v[118:119] op_sel:[1,0]
	ds_write2_b32 v181, v208, v209 offset0:32 offset1:33
	s_waitcnt vmcnt(22)
	v_pk_mov_b32 v[208:209], v[118:119], v[122:123] op_sel:[1,0]
	ds_write2_b32 v181, v208, v209 offset0:34 offset1:35
	s_waitcnt vmcnt(20)
	v_pk_mov_b32 v[208:209], v[122:123], v[116:117] op_sel:[1,0]
	ds_write2_b32 v181, v208, v209 offset0:36 offset1:37
	s_waitcnt vmcnt(18)
	v_pk_mov_b32 v[208:209], v[116:117], v[120:121] op_sel:[1,0]
	ds_write2_b32 v181, v208, v209 offset0:38 offset1:39
	s_waitcnt vmcnt(16)
	v_pk_mov_b32 v[208:209], v[120:121], v[146:147] op_sel:[1,0]
	ds_write2_b32 v181, v208, v209 offset0:40 offset1:41
	s_waitcnt vmcnt(14)
	v_pk_mov_b32 v[208:209], v[146:147], v[140:141] op_sel:[1,0]
	ds_write2_b32 v181, v208, v209 offset0:42 offset1:43
	s_waitcnt vmcnt(12)
	v_pk_mov_b32 v[208:209], v[140:141], v[142:143] op_sel:[1,0]
	ds_write2_b32 v181, v208, v209 offset0:44 offset1:45
	s_waitcnt vmcnt(10)
	v_pk_mov_b32 v[208:209], v[142:143], v[144:145] op_sel:[1,0]
	ds_write2_b32 v181, v208, v209 offset0:46 offset1:47
	s_waitcnt vmcnt(8)
	v_pk_mov_b32 v[208:209], v[144:145], v[166:167] op_sel:[1,0]
	ds_write2_b32 v181, v208, v209 offset0:48 offset1:49
	s_waitcnt vmcnt(6)
	v_pk_mov_b32 v[208:209], v[166:167], v[168:169] op_sel:[1,0]
	ds_write2_b32 v181, v208, v209 offset0:50 offset1:51
	s_waitcnt vmcnt(4)
	v_pk_mov_b32 v[208:209], v[168:169], v[170:171] op_sel:[1,0]
	ds_write2_b32 v181, v208, v209 offset0:52 offset1:53
	s_waitcnt vmcnt(2)
	v_pk_mov_b32 v[208:209], v[170:171], v[164:165] op_sel:[1,0]
	ds_write2_b32 v181, v208, v209 offset0:54 offset1:55
	s_waitcnt vmcnt(0)
	v_pk_mov_b32 v[208:209], v[164:165], v[178:179] op_sel:[1,0]
	ds_write2_b32 v181, v208, v209 offset0:56 offset1:57
	ds_write_b32 v181, v179 offset:232
	ds_read_b32 v207, v180
	s_waitcnt lgkmcnt(0)
	v_cmp_neq_f32_e32 vcc, 0, v207
	s_and_b64 exec, exec, vcc
	s_cbranch_execz .LBB117_141
; %bb.140:
	v_div_scale_f32 v208, s[4:5], v207, v207, 1.0
	v_rcp_f32_e32 v209, v208
	v_div_scale_f32 v210, vcc, 1.0, v207, 1.0
	v_fma_f32 v211, -v208, v209, 1.0
	v_fmac_f32_e32 v209, v211, v209
	v_mul_f32_e32 v211, v210, v209
	v_fma_f32 v212, -v208, v211, v210
	v_fmac_f32_e32 v211, v212, v209
	v_fma_f32 v208, -v208, v211, v210
	v_div_fmas_f32 v208, v208, v209, v211
	v_div_fixup_f32 v207, v208, v207, 1.0
	ds_write_b32 v180, v207
.LBB117_141:
	s_or_b64 exec, exec, s[2:3]
	s_waitcnt lgkmcnt(0)
	s_barrier
	ds_read_b32 v207, v180
	v_cmp_lt_u32_e32 vcc, 25, v25
	s_and_saveexec_b64 s[2:3], vcc
	s_cbranch_execz .LBB117_143
; %bb.142:
	ds_read_b32 v214, v181 offset:104
	ds_read2_b32 v[208:209], v181 offset0:27 offset1:28
	ds_read2_b32 v[210:211], v181 offset0:29 offset1:30
	s_waitcnt vmcnt(33) lgkmcnt(3)
	v_mul_f32_e32 v94, v207, v94
	ds_read2_b32 v[212:213], v181 offset0:31 offset1:32
	s_waitcnt vmcnt(32) lgkmcnt(3)
	v_fma_f32 v95, -v94, v214, v95
	s_waitcnt vmcnt(30) lgkmcnt(2)
	v_pk_fma_f32 v[96:97], v[94:95], v[208:209], v[96:97] op_sel_hi:[0,1,1] neg_lo:[1,0,0] neg_hi:[1,0,0]
	s_waitcnt vmcnt(28) lgkmcnt(1)
	v_pk_fma_f32 v[98:99], v[94:95], v[210:211], v[98:99] op_sel_hi:[0,1,1] neg_lo:[1,0,0] neg_hi:[1,0,0]
	ds_read2_b32 v[208:209], v181 offset0:33 offset1:34
	ds_read2_b32 v[210:211], v181 offset0:35 offset1:36
	;; [unrolled: 1-line block ×3, first 2 shown]
	s_waitcnt vmcnt(26) lgkmcnt(3)
	v_pk_fma_f32 v[92:93], v[94:95], v[212:213], v[92:93] op_sel_hi:[0,1,1] neg_lo:[1,0,0] neg_hi:[1,0,0]
	ds_read2_b32 v[212:213], v181 offset0:39 offset1:40
	s_waitcnt vmcnt(24) lgkmcnt(3)
	v_pk_fma_f32 v[118:119], v[94:95], v[208:209], v[118:119] op_sel_hi:[0,1,1] neg_lo:[1,0,0] neg_hi:[1,0,0]
	s_waitcnt vmcnt(22) lgkmcnt(2)
	v_pk_fma_f32 v[122:123], v[94:95], v[210:211], v[122:123] op_sel_hi:[0,1,1] neg_lo:[1,0,0] neg_hi:[1,0,0]
	;; [unrolled: 2-line block ×3, first 2 shown]
	ds_read2_b32 v[208:209], v181 offset0:41 offset1:42
	ds_read2_b32 v[210:211], v181 offset0:43 offset1:44
	;; [unrolled: 1-line block ×4, first 2 shown]
	s_waitcnt vmcnt(18) lgkmcnt(4)
	v_pk_fma_f32 v[120:121], v[94:95], v[212:213], v[120:121] op_sel_hi:[0,1,1] neg_lo:[1,0,0] neg_hi:[1,0,0]
	s_waitcnt vmcnt(16) lgkmcnt(3)
	v_pk_fma_f32 v[146:147], v[94:95], v[208:209], v[146:147] op_sel_hi:[0,1,1] neg_lo:[1,0,0] neg_hi:[1,0,0]
	;; [unrolled: 2-line block ×5, first 2 shown]
	ds_read2_b32 v[208:209], v181 offset0:49 offset1:50
	ds_read2_b32 v[210:211], v181 offset0:51 offset1:52
	;; [unrolled: 1-line block ×5, first 2 shown]
	s_waitcnt vmcnt(8) lgkmcnt(4)
	v_pk_fma_f32 v[166:167], v[94:95], v[208:209], v[166:167] op_sel_hi:[0,1,1] neg_lo:[1,0,0] neg_hi:[1,0,0]
	s_waitcnt vmcnt(6) lgkmcnt(3)
	v_pk_fma_f32 v[168:169], v[94:95], v[210:211], v[168:169] op_sel_hi:[0,1,1] neg_lo:[1,0,0] neg_hi:[1,0,0]
	;; [unrolled: 2-line block ×5, first 2 shown]
.LBB117_143:
	s_or_b64 exec, exec, s[2:3]
	v_cmp_ne_u32_e32 vcc, 26, v25
	s_waitcnt lgkmcnt(0)
	s_barrier
	s_and_saveexec_b64 s[2:3], vcc
	s_xor_b64 s[2:3], exec, s[2:3]
	s_andn2_saveexec_b64 s[2:3], s[2:3]
	s_cbranch_execz .LBB117_147
; %bb.144:
	s_waitcnt vmcnt(32)
	ds_write_b32 v180, v95
	s_waitcnt vmcnt(30)
	ds_write2_b32 v181, v96, v97 offset0:27 offset1:28
	s_waitcnt vmcnt(28)
	ds_write2_b32 v181, v98, v99 offset0:29 offset1:30
	;; [unrolled: 2-line block ×16, first 2 shown]
	ds_read_b32 v208, v180
	s_waitcnt lgkmcnt(0)
	v_cmp_neq_f32_e32 vcc, 0, v208
	s_and_saveexec_b64 s[4:5], vcc
	s_cbranch_execz .LBB117_146
; %bb.145:
	v_div_scale_f32 v209, s[10:11], v208, v208, 1.0
	v_rcp_f32_e32 v210, v209
	v_div_scale_f32 v211, vcc, 1.0, v208, 1.0
	v_fma_f32 v212, -v209, v210, 1.0
	v_fmac_f32_e32 v210, v212, v210
	v_mul_f32_e32 v212, v211, v210
	v_fma_f32 v213, -v209, v212, v211
	v_fmac_f32_e32 v212, v213, v210
	v_fma_f32 v209, -v209, v212, v211
	v_div_fmas_f32 v209, v209, v210, v212
	v_div_fixup_f32 v208, v209, v208, 1.0
	ds_write_b32 v180, v208
.LBB117_146:
	s_or_b64 exec, exec, s[4:5]
.LBB117_147:
	s_or_b64 exec, exec, s[2:3]
	s_waitcnt lgkmcnt(0)
	s_barrier
	ds_read_b32 v208, v180
	v_cmp_lt_u32_e32 vcc, 26, v25
	s_and_saveexec_b64 s[2:3], vcc
	s_cbranch_execz .LBB117_149
; %bb.148:
	ds_read2_b32 v[210:211], v181 offset0:27 offset1:28
	ds_read2_b32 v[212:213], v181 offset0:29 offset1:30
	;; [unrolled: 1-line block ×3, first 2 shown]
	s_waitcnt vmcnt(32) lgkmcnt(3)
	v_mul_f32_e32 v216, v208, v95
	ds_read2_b32 v[218:219], v181 offset0:33 offset1:34
	s_waitcnt vmcnt(30) lgkmcnt(3)
	v_pk_fma_f32 v[96:97], v[216:217], v[210:211], v[96:97] op_sel_hi:[0,1,1] neg_lo:[1,0,0] neg_hi:[1,0,0]
	s_waitcnt vmcnt(28) lgkmcnt(2)
	v_pk_fma_f32 v[98:99], v[216:217], v[212:213], v[98:99] op_sel_hi:[0,1,1] neg_lo:[1,0,0] neg_hi:[1,0,0]
	;; [unrolled: 2-line block ×3, first 2 shown]
	ds_read2_b32 v[210:211], v181 offset0:35 offset1:36
	ds_read2_b32 v[212:213], v181 offset0:37 offset1:38
	;; [unrolled: 1-line block ×3, first 2 shown]
	s_waitcnt vmcnt(24) lgkmcnt(3)
	v_pk_fma_f32 v[118:119], v[216:217], v[218:219], v[118:119] op_sel_hi:[0,1,1] neg_lo:[1,0,0] neg_hi:[1,0,0]
	ds_read2_b32 v[218:219], v181 offset0:41 offset1:42
	s_waitcnt vmcnt(22) lgkmcnt(3)
	v_pk_fma_f32 v[122:123], v[216:217], v[210:211], v[122:123] op_sel_hi:[0,1,1] neg_lo:[1,0,0] neg_hi:[1,0,0]
	s_waitcnt vmcnt(20) lgkmcnt(2)
	v_pk_fma_f32 v[116:117], v[216:217], v[212:213], v[116:117] op_sel_hi:[0,1,1] neg_lo:[1,0,0] neg_hi:[1,0,0]
	;; [unrolled: 2-line block ×3, first 2 shown]
	ds_read2_b32 v[210:211], v181 offset0:43 offset1:44
	ds_read2_b32 v[212:213], v181 offset0:45 offset1:46
	;; [unrolled: 1-line block ×3, first 2 shown]
	s_waitcnt vmcnt(16) lgkmcnt(3)
	v_pk_fma_f32 v[146:147], v[216:217], v[218:219], v[146:147] op_sel_hi:[0,1,1] neg_lo:[1,0,0] neg_hi:[1,0,0]
	ds_read2_b32 v[218:219], v181 offset0:49 offset1:50
	s_waitcnt vmcnt(14) lgkmcnt(3)
	v_pk_fma_f32 v[140:141], v[216:217], v[210:211], v[140:141] op_sel_hi:[0,1,1] neg_lo:[1,0,0] neg_hi:[1,0,0]
	s_waitcnt vmcnt(12) lgkmcnt(2)
	v_pk_fma_f32 v[142:143], v[216:217], v[212:213], v[142:143] op_sel_hi:[0,1,1] neg_lo:[1,0,0] neg_hi:[1,0,0]
	;; [unrolled: 2-line block ×3, first 2 shown]
	ds_read2_b32 v[210:211], v181 offset0:51 offset1:52
	ds_read2_b32 v[212:213], v181 offset0:53 offset1:54
	;; [unrolled: 1-line block ×4, first 2 shown]
	s_waitcnt vmcnt(8) lgkmcnt(4)
	v_pk_fma_f32 v[166:167], v[216:217], v[218:219], v[166:167] op_sel_hi:[0,1,1] neg_lo:[1,0,0] neg_hi:[1,0,0]
	s_waitcnt vmcnt(6) lgkmcnt(3)
	v_pk_fma_f32 v[168:169], v[216:217], v[210:211], v[168:169] op_sel_hi:[0,1,1] neg_lo:[1,0,0] neg_hi:[1,0,0]
	;; [unrolled: 2-line block ×5, first 2 shown]
	v_mov_b32_e32 v95, v216
.LBB117_149:
	s_or_b64 exec, exec, s[2:3]
	v_cmp_eq_u32_e32 vcc, 27, v25
	s_waitcnt lgkmcnt(0)
	s_barrier
	s_and_saveexec_b64 s[2:3], vcc
	s_cbranch_execz .LBB117_152
; %bb.150:
	s_waitcnt vmcnt(28)
	v_pk_mov_b32 v[210:211], v[96:97], v[98:99] op_sel:[1,0]
	ds_write_b32 v180, v96
	ds_write2_b32 v181, v210, v211 offset0:28 offset1:29
	s_waitcnt vmcnt(26)
	v_pk_mov_b32 v[210:211], v[98:99], v[92:93] op_sel:[1,0]
	ds_write2_b32 v181, v210, v211 offset0:30 offset1:31
	s_waitcnt vmcnt(24)
	v_pk_mov_b32 v[210:211], v[92:93], v[118:119] op_sel:[1,0]
	;; [unrolled: 3-line block ×14, first 2 shown]
	ds_write2_b32 v181, v210, v211 offset0:56 offset1:57
	ds_write_b32 v181, v179 offset:232
	ds_read_b32 v209, v180
	s_waitcnt lgkmcnt(0)
	v_cmp_neq_f32_e32 vcc, 0, v209
	s_and_b64 exec, exec, vcc
	s_cbranch_execz .LBB117_152
; %bb.151:
	v_div_scale_f32 v210, s[4:5], v209, v209, 1.0
	v_rcp_f32_e32 v211, v210
	v_div_scale_f32 v212, vcc, 1.0, v209, 1.0
	v_fma_f32 v213, -v210, v211, 1.0
	v_fmac_f32_e32 v211, v213, v211
	v_mul_f32_e32 v213, v212, v211
	v_fma_f32 v214, -v210, v213, v212
	v_fmac_f32_e32 v213, v214, v211
	v_fma_f32 v210, -v210, v213, v212
	v_div_fmas_f32 v210, v210, v211, v213
	v_div_fixup_f32 v209, v210, v209, 1.0
	ds_write_b32 v180, v209
.LBB117_152:
	s_or_b64 exec, exec, s[2:3]
	s_waitcnt lgkmcnt(0)
	s_barrier
	ds_read_b32 v209, v180
	v_cmp_lt_u32_e32 vcc, 27, v25
	s_and_saveexec_b64 s[2:3], vcc
	s_cbranch_execz .LBB117_154
; %bb.153:
	ds_read_b32 v216, v181 offset:112
	ds_read2_b32 v[210:211], v181 offset0:29 offset1:30
	ds_read2_b32 v[212:213], v181 offset0:31 offset1:32
	s_waitcnt vmcnt(31) lgkmcnt(3)
	v_mul_f32_e32 v96, v209, v96
	ds_read2_b32 v[214:215], v181 offset0:33 offset1:34
	s_waitcnt vmcnt(30) lgkmcnt(3)
	v_fma_f32 v97, -v96, v216, v97
	s_waitcnt vmcnt(28) lgkmcnt(2)
	v_pk_fma_f32 v[98:99], v[96:97], v[210:211], v[98:99] op_sel_hi:[0,1,1] neg_lo:[1,0,0] neg_hi:[1,0,0]
	s_waitcnt vmcnt(26) lgkmcnt(1)
	v_pk_fma_f32 v[92:93], v[96:97], v[212:213], v[92:93] op_sel_hi:[0,1,1] neg_lo:[1,0,0] neg_hi:[1,0,0]
	ds_read2_b32 v[210:211], v181 offset0:35 offset1:36
	ds_read2_b32 v[212:213], v181 offset0:37 offset1:38
	;; [unrolled: 1-line block ×3, first 2 shown]
	s_waitcnt vmcnt(24) lgkmcnt(3)
	v_pk_fma_f32 v[118:119], v[96:97], v[214:215], v[118:119] op_sel_hi:[0,1,1] neg_lo:[1,0,0] neg_hi:[1,0,0]
	ds_read2_b32 v[214:215], v181 offset0:41 offset1:42
	s_waitcnt vmcnt(22) lgkmcnt(3)
	v_pk_fma_f32 v[122:123], v[96:97], v[210:211], v[122:123] op_sel_hi:[0,1,1] neg_lo:[1,0,0] neg_hi:[1,0,0]
	s_waitcnt vmcnt(20) lgkmcnt(2)
	v_pk_fma_f32 v[116:117], v[96:97], v[212:213], v[116:117] op_sel_hi:[0,1,1] neg_lo:[1,0,0] neg_hi:[1,0,0]
	;; [unrolled: 2-line block ×3, first 2 shown]
	ds_read2_b32 v[210:211], v181 offset0:43 offset1:44
	ds_read2_b32 v[212:213], v181 offset0:45 offset1:46
	;; [unrolled: 1-line block ×3, first 2 shown]
	s_waitcnt vmcnt(16) lgkmcnt(3)
	v_pk_fma_f32 v[146:147], v[96:97], v[214:215], v[146:147] op_sel_hi:[0,1,1] neg_lo:[1,0,0] neg_hi:[1,0,0]
	ds_read2_b32 v[214:215], v181 offset0:49 offset1:50
	s_waitcnt vmcnt(14) lgkmcnt(3)
	v_pk_fma_f32 v[140:141], v[96:97], v[210:211], v[140:141] op_sel_hi:[0,1,1] neg_lo:[1,0,0] neg_hi:[1,0,0]
	s_waitcnt vmcnt(12) lgkmcnt(2)
	v_pk_fma_f32 v[142:143], v[96:97], v[212:213], v[142:143] op_sel_hi:[0,1,1] neg_lo:[1,0,0] neg_hi:[1,0,0]
	;; [unrolled: 2-line block ×3, first 2 shown]
	ds_read2_b32 v[210:211], v181 offset0:51 offset1:52
	ds_read2_b32 v[212:213], v181 offset0:53 offset1:54
	;; [unrolled: 1-line block ×4, first 2 shown]
	s_waitcnt vmcnt(8) lgkmcnt(4)
	v_pk_fma_f32 v[166:167], v[96:97], v[214:215], v[166:167] op_sel_hi:[0,1,1] neg_lo:[1,0,0] neg_hi:[1,0,0]
	s_waitcnt vmcnt(6) lgkmcnt(3)
	v_pk_fma_f32 v[168:169], v[96:97], v[210:211], v[168:169] op_sel_hi:[0,1,1] neg_lo:[1,0,0] neg_hi:[1,0,0]
	;; [unrolled: 2-line block ×5, first 2 shown]
.LBB117_154:
	s_or_b64 exec, exec, s[2:3]
	v_cmp_ne_u32_e32 vcc, 28, v25
	s_waitcnt lgkmcnt(0)
	s_barrier
	s_and_saveexec_b64 s[2:3], vcc
	s_xor_b64 s[2:3], exec, s[2:3]
	s_andn2_saveexec_b64 s[2:3], s[2:3]
	s_cbranch_execz .LBB117_158
; %bb.155:
	s_waitcnt vmcnt(30)
	ds_write_b32 v180, v97
	s_waitcnt vmcnt(28)
	ds_write2_b32 v181, v98, v99 offset0:29 offset1:30
	s_waitcnt vmcnt(26)
	ds_write2_b32 v181, v92, v93 offset0:31 offset1:32
	;; [unrolled: 2-line block ×15, first 2 shown]
	ds_read_b32 v210, v180
	s_waitcnt lgkmcnt(0)
	v_cmp_neq_f32_e32 vcc, 0, v210
	s_and_saveexec_b64 s[4:5], vcc
	s_cbranch_execz .LBB117_157
; %bb.156:
	v_div_scale_f32 v211, s[10:11], v210, v210, 1.0
	v_rcp_f32_e32 v212, v211
	v_div_scale_f32 v213, vcc, 1.0, v210, 1.0
	v_fma_f32 v214, -v211, v212, 1.0
	v_fmac_f32_e32 v212, v214, v212
	v_mul_f32_e32 v214, v213, v212
	v_fma_f32 v215, -v211, v214, v213
	v_fmac_f32_e32 v214, v215, v212
	v_fma_f32 v211, -v211, v214, v213
	v_div_fmas_f32 v211, v211, v212, v214
	v_div_fixup_f32 v210, v211, v210, 1.0
	ds_write_b32 v180, v210
.LBB117_157:
	s_or_b64 exec, exec, s[4:5]
.LBB117_158:
	s_or_b64 exec, exec, s[2:3]
	s_waitcnt lgkmcnt(0)
	s_barrier
	ds_read_b32 v210, v180
	v_cmp_lt_u32_e32 vcc, 28, v25
	s_and_saveexec_b64 s[2:3], vcc
	s_cbranch_execz .LBB117_160
; %bb.159:
	ds_read2_b32 v[212:213], v181 offset0:29 offset1:30
	ds_read2_b32 v[214:215], v181 offset0:31 offset1:32
	;; [unrolled: 1-line block ×3, first 2 shown]
	s_waitcnt vmcnt(30) lgkmcnt(3)
	v_mul_f32_e32 v218, v210, v97
	ds_read2_b32 v[220:221], v181 offset0:35 offset1:36
	s_waitcnt vmcnt(28) lgkmcnt(3)
	v_pk_fma_f32 v[98:99], v[218:219], v[212:213], v[98:99] op_sel_hi:[0,1,1] neg_lo:[1,0,0] neg_hi:[1,0,0]
	s_waitcnt vmcnt(26) lgkmcnt(2)
	v_pk_fma_f32 v[92:93], v[218:219], v[214:215], v[92:93] op_sel_hi:[0,1,1] neg_lo:[1,0,0] neg_hi:[1,0,0]
	;; [unrolled: 2-line block ×3, first 2 shown]
	ds_read2_b32 v[212:213], v181 offset0:37 offset1:38
	ds_read2_b32 v[214:215], v181 offset0:39 offset1:40
	;; [unrolled: 1-line block ×3, first 2 shown]
	s_waitcnt vmcnt(22) lgkmcnt(3)
	v_pk_fma_f32 v[122:123], v[218:219], v[220:221], v[122:123] op_sel_hi:[0,1,1] neg_lo:[1,0,0] neg_hi:[1,0,0]
	ds_read2_b32 v[220:221], v181 offset0:43 offset1:44
	s_waitcnt vmcnt(20) lgkmcnt(3)
	v_pk_fma_f32 v[116:117], v[218:219], v[212:213], v[116:117] op_sel_hi:[0,1,1] neg_lo:[1,0,0] neg_hi:[1,0,0]
	s_waitcnt vmcnt(18) lgkmcnt(2)
	v_pk_fma_f32 v[120:121], v[218:219], v[214:215], v[120:121] op_sel_hi:[0,1,1] neg_lo:[1,0,0] neg_hi:[1,0,0]
	ds_read2_b32 v[212:213], v181 offset0:45 offset1:46
	ds_read2_b32 v[214:215], v181 offset0:47 offset1:48
	s_waitcnt vmcnt(16) lgkmcnt(3)
	v_pk_fma_f32 v[146:147], v[218:219], v[216:217], v[146:147] op_sel_hi:[0,1,1] neg_lo:[1,0,0] neg_hi:[1,0,0]
	s_waitcnt vmcnt(14) lgkmcnt(2)
	v_pk_fma_f32 v[140:141], v[218:219], v[220:221], v[140:141] op_sel_hi:[0,1,1] neg_lo:[1,0,0] neg_hi:[1,0,0]
	ds_read2_b32 v[216:217], v181 offset0:49 offset1:50
	;; [unrolled: 6-line block ×3, first 2 shown]
	ds_read2_b32 v[214:215], v181 offset0:55 offset1:56
	ds_read2_b32 v[222:223], v181 offset0:57 offset1:58
	s_waitcnt vmcnt(8) lgkmcnt(4)
	v_pk_fma_f32 v[166:167], v[218:219], v[216:217], v[166:167] op_sel_hi:[0,1,1] neg_lo:[1,0,0] neg_hi:[1,0,0]
	s_waitcnt vmcnt(6) lgkmcnt(3)
	v_pk_fma_f32 v[168:169], v[218:219], v[220:221], v[168:169] op_sel_hi:[0,1,1] neg_lo:[1,0,0] neg_hi:[1,0,0]
	s_waitcnt vmcnt(4) lgkmcnt(2)
	v_pk_fma_f32 v[170:171], v[218:219], v[212:213], v[170:171] op_sel_hi:[0,1,1] neg_lo:[1,0,0] neg_hi:[1,0,0]
	s_waitcnt vmcnt(2) lgkmcnt(1)
	v_pk_fma_f32 v[164:165], v[218:219], v[214:215], v[164:165] op_sel_hi:[0,1,1] neg_lo:[1,0,0] neg_hi:[1,0,0]
	s_waitcnt vmcnt(0) lgkmcnt(0)
	v_pk_fma_f32 v[178:179], v[218:219], v[222:223], v[178:179] op_sel_hi:[0,1,1] neg_lo:[1,0,0] neg_hi:[1,0,0]
	v_mov_b32_e32 v97, v218
.LBB117_160:
	s_or_b64 exec, exec, s[2:3]
	v_cmp_eq_u32_e32 vcc, 29, v25
	s_waitcnt lgkmcnt(0)
	s_barrier
	s_and_saveexec_b64 s[2:3], vcc
	s_cbranch_execz .LBB117_163
; %bb.161:
	s_waitcnt vmcnt(26)
	v_pk_mov_b32 v[212:213], v[98:99], v[92:93] op_sel:[1,0]
	ds_write_b32 v180, v98
	ds_write2_b32 v181, v212, v213 offset0:30 offset1:31
	s_waitcnt vmcnt(24)
	v_pk_mov_b32 v[212:213], v[92:93], v[118:119] op_sel:[1,0]
	ds_write2_b32 v181, v212, v213 offset0:32 offset1:33
	s_waitcnt vmcnt(22)
	v_pk_mov_b32 v[212:213], v[118:119], v[122:123] op_sel:[1,0]
	;; [unrolled: 3-line block ×13, first 2 shown]
	ds_write2_b32 v181, v212, v213 offset0:56 offset1:57
	ds_write_b32 v181, v179 offset:232
	ds_read_b32 v211, v180
	s_waitcnt lgkmcnt(0)
	v_cmp_neq_f32_e32 vcc, 0, v211
	s_and_b64 exec, exec, vcc
	s_cbranch_execz .LBB117_163
; %bb.162:
	v_div_scale_f32 v212, s[4:5], v211, v211, 1.0
	v_rcp_f32_e32 v213, v212
	v_div_scale_f32 v214, vcc, 1.0, v211, 1.0
	v_fma_f32 v215, -v212, v213, 1.0
	v_fmac_f32_e32 v213, v215, v213
	v_mul_f32_e32 v215, v214, v213
	v_fma_f32 v216, -v212, v215, v214
	v_fmac_f32_e32 v215, v216, v213
	v_fma_f32 v212, -v212, v215, v214
	v_div_fmas_f32 v212, v212, v213, v215
	v_div_fixup_f32 v211, v212, v211, 1.0
	ds_write_b32 v180, v211
.LBB117_163:
	s_or_b64 exec, exec, s[2:3]
	s_waitcnt lgkmcnt(0)
	s_barrier
	ds_read_b32 v211, v180
	v_cmp_lt_u32_e32 vcc, 29, v25
	s_and_saveexec_b64 s[2:3], vcc
	s_cbranch_execz .LBB117_165
; %bb.164:
	ds_read_b32 v218, v181 offset:120
	ds_read2_b32 v[212:213], v181 offset0:31 offset1:32
	ds_read2_b32 v[214:215], v181 offset0:33 offset1:34
	s_waitcnt vmcnt(29) lgkmcnt(3)
	v_mul_f32_e32 v98, v211, v98
	ds_read2_b32 v[216:217], v181 offset0:35 offset1:36
	s_waitcnt vmcnt(28) lgkmcnt(3)
	v_fma_f32 v99, -v98, v218, v99
	s_waitcnt vmcnt(26) lgkmcnt(2)
	v_pk_fma_f32 v[92:93], v[98:99], v[212:213], v[92:93] op_sel_hi:[0,1,1] neg_lo:[1,0,0] neg_hi:[1,0,0]
	s_waitcnt vmcnt(24) lgkmcnt(1)
	v_pk_fma_f32 v[118:119], v[98:99], v[214:215], v[118:119] op_sel_hi:[0,1,1] neg_lo:[1,0,0] neg_hi:[1,0,0]
	ds_read2_b32 v[212:213], v181 offset0:37 offset1:38
	ds_read2_b32 v[214:215], v181 offset0:39 offset1:40
	;; [unrolled: 1-line block ×3, first 2 shown]
	s_waitcnt vmcnt(22) lgkmcnt(3)
	v_pk_fma_f32 v[122:123], v[98:99], v[216:217], v[122:123] op_sel_hi:[0,1,1] neg_lo:[1,0,0] neg_hi:[1,0,0]
	ds_read2_b32 v[216:217], v181 offset0:43 offset1:44
	s_waitcnt vmcnt(20) lgkmcnt(3)
	v_pk_fma_f32 v[116:117], v[98:99], v[212:213], v[116:117] op_sel_hi:[0,1,1] neg_lo:[1,0,0] neg_hi:[1,0,0]
	s_waitcnt vmcnt(18) lgkmcnt(2)
	v_pk_fma_f32 v[120:121], v[98:99], v[214:215], v[120:121] op_sel_hi:[0,1,1] neg_lo:[1,0,0] neg_hi:[1,0,0]
	ds_read2_b32 v[212:213], v181 offset0:45 offset1:46
	ds_read2_b32 v[214:215], v181 offset0:47 offset1:48
	s_waitcnt vmcnt(16) lgkmcnt(3)
	v_pk_fma_f32 v[146:147], v[98:99], v[218:219], v[146:147] op_sel_hi:[0,1,1] neg_lo:[1,0,0] neg_hi:[1,0,0]
	s_waitcnt vmcnt(14) lgkmcnt(2)
	v_pk_fma_f32 v[140:141], v[98:99], v[216:217], v[140:141] op_sel_hi:[0,1,1] neg_lo:[1,0,0] neg_hi:[1,0,0]
	ds_read2_b32 v[216:217], v181 offset0:49 offset1:50
	;; [unrolled: 6-line block ×3, first 2 shown]
	ds_read2_b32 v[214:215], v181 offset0:55 offset1:56
	ds_read2_b32 v[220:221], v181 offset0:57 offset1:58
	s_waitcnt vmcnt(8) lgkmcnt(4)
	v_pk_fma_f32 v[166:167], v[98:99], v[216:217], v[166:167] op_sel_hi:[0,1,1] neg_lo:[1,0,0] neg_hi:[1,0,0]
	s_waitcnt vmcnt(6) lgkmcnt(3)
	v_pk_fma_f32 v[168:169], v[98:99], v[218:219], v[168:169] op_sel_hi:[0,1,1] neg_lo:[1,0,0] neg_hi:[1,0,0]
	s_waitcnt vmcnt(4) lgkmcnt(2)
	v_pk_fma_f32 v[170:171], v[98:99], v[212:213], v[170:171] op_sel_hi:[0,1,1] neg_lo:[1,0,0] neg_hi:[1,0,0]
	s_waitcnt vmcnt(2) lgkmcnt(1)
	v_pk_fma_f32 v[164:165], v[98:99], v[214:215], v[164:165] op_sel_hi:[0,1,1] neg_lo:[1,0,0] neg_hi:[1,0,0]
	s_waitcnt vmcnt(0) lgkmcnt(0)
	v_pk_fma_f32 v[178:179], v[98:99], v[220:221], v[178:179] op_sel_hi:[0,1,1] neg_lo:[1,0,0] neg_hi:[1,0,0]
.LBB117_165:
	s_or_b64 exec, exec, s[2:3]
	v_cmp_ne_u32_e32 vcc, 30, v25
	s_waitcnt lgkmcnt(0)
	s_barrier
	s_and_saveexec_b64 s[2:3], vcc
	s_xor_b64 s[2:3], exec, s[2:3]
	s_andn2_saveexec_b64 s[2:3], s[2:3]
	s_cbranch_execz .LBB117_169
; %bb.166:
	s_waitcnt vmcnt(28)
	ds_write_b32 v180, v99
	s_waitcnt vmcnt(26)
	ds_write2_b32 v181, v92, v93 offset0:31 offset1:32
	s_waitcnt vmcnt(24)
	ds_write2_b32 v181, v118, v119 offset0:33 offset1:34
	;; [unrolled: 2-line block ×14, first 2 shown]
	ds_read_b32 v212, v180
	s_waitcnt lgkmcnt(0)
	v_cmp_neq_f32_e32 vcc, 0, v212
	s_and_saveexec_b64 s[4:5], vcc
	s_cbranch_execz .LBB117_168
; %bb.167:
	v_div_scale_f32 v213, s[10:11], v212, v212, 1.0
	v_rcp_f32_e32 v214, v213
	v_div_scale_f32 v215, vcc, 1.0, v212, 1.0
	v_fma_f32 v216, -v213, v214, 1.0
	v_fmac_f32_e32 v214, v216, v214
	v_mul_f32_e32 v216, v215, v214
	v_fma_f32 v217, -v213, v216, v215
	v_fmac_f32_e32 v216, v217, v214
	v_fma_f32 v213, -v213, v216, v215
	v_div_fmas_f32 v213, v213, v214, v216
	v_div_fixup_f32 v212, v213, v212, 1.0
	ds_write_b32 v180, v212
.LBB117_168:
	s_or_b64 exec, exec, s[4:5]
.LBB117_169:
	s_or_b64 exec, exec, s[2:3]
	s_waitcnt lgkmcnt(0)
	s_barrier
	ds_read_b32 v212, v180
	v_cmp_lt_u32_e32 vcc, 30, v25
	s_and_saveexec_b64 s[2:3], vcc
	s_cbranch_execz .LBB117_171
; %bb.170:
	ds_read2_b32 v[214:215], v181 offset0:31 offset1:32
	ds_read2_b32 v[216:217], v181 offset0:33 offset1:34
	;; [unrolled: 1-line block ×4, first 2 shown]
	s_waitcnt vmcnt(28) lgkmcnt(4)
	v_mul_f32_e32 v220, v212, v99
	s_waitcnt vmcnt(26) lgkmcnt(3)
	v_pk_fma_f32 v[92:93], v[220:221], v[214:215], v[92:93] op_sel_hi:[0,1,1] neg_lo:[1,0,0] neg_hi:[1,0,0]
	s_waitcnt vmcnt(24) lgkmcnt(2)
	v_pk_fma_f32 v[118:119], v[220:221], v[216:217], v[118:119] op_sel_hi:[0,1,1] neg_lo:[1,0,0] neg_hi:[1,0,0]
	;; [unrolled: 2-line block ×3, first 2 shown]
	ds_read2_b32 v[214:215], v181 offset0:39 offset1:40
	ds_read2_b32 v[216:217], v181 offset0:41 offset1:42
	;; [unrolled: 1-line block ×3, first 2 shown]
	s_waitcnt vmcnt(20) lgkmcnt(3)
	v_pk_fma_f32 v[116:117], v[220:221], v[222:223], v[116:117] op_sel_hi:[0,1,1] neg_lo:[1,0,0] neg_hi:[1,0,0]
	ds_read2_b32 v[222:223], v181 offset0:45 offset1:46
	s_waitcnt vmcnt(18) lgkmcnt(3)
	v_pk_fma_f32 v[120:121], v[220:221], v[214:215], v[120:121] op_sel_hi:[0,1,1] neg_lo:[1,0,0] neg_hi:[1,0,0]
	ds_read2_b32 v[214:215], v181 offset0:47 offset1:48
	s_waitcnt vmcnt(16) lgkmcnt(3)
	v_pk_fma_f32 v[146:147], v[220:221], v[216:217], v[146:147] op_sel_hi:[0,1,1] neg_lo:[1,0,0] neg_hi:[1,0,0]
	s_waitcnt vmcnt(14) lgkmcnt(2)
	v_pk_fma_f32 v[140:141], v[220:221], v[218:219], v[140:141] op_sel_hi:[0,1,1] neg_lo:[1,0,0] neg_hi:[1,0,0]
	;; [unrolled: 2-line block ×3, first 2 shown]
	ds_read2_b32 v[216:217], v181 offset0:49 offset1:50
	ds_read2_b32 v[218:219], v181 offset0:51 offset1:52
	;; [unrolled: 1-line block ×3, first 2 shown]
	s_waitcnt vmcnt(10) lgkmcnt(3)
	v_pk_fma_f32 v[144:145], v[220:221], v[214:215], v[144:145] op_sel_hi:[0,1,1] neg_lo:[1,0,0] neg_hi:[1,0,0]
	ds_read2_b32 v[214:215], v181 offset0:55 offset1:56
	ds_read2_b32 v[224:225], v181 offset0:57 offset1:58
	s_waitcnt vmcnt(8) lgkmcnt(4)
	v_pk_fma_f32 v[166:167], v[220:221], v[216:217], v[166:167] op_sel_hi:[0,1,1] neg_lo:[1,0,0] neg_hi:[1,0,0]
	s_waitcnt vmcnt(6) lgkmcnt(3)
	v_pk_fma_f32 v[168:169], v[220:221], v[218:219], v[168:169] op_sel_hi:[0,1,1] neg_lo:[1,0,0] neg_hi:[1,0,0]
	;; [unrolled: 2-line block ×5, first 2 shown]
	v_mov_b32_e32 v99, v220
.LBB117_171:
	s_or_b64 exec, exec, s[2:3]
	v_cmp_eq_u32_e32 vcc, 31, v25
	s_waitcnt lgkmcnt(0)
	s_barrier
	s_and_saveexec_b64 s[2:3], vcc
	s_cbranch_execz .LBB117_174
; %bb.172:
	s_waitcnt vmcnt(24)
	v_pk_mov_b32 v[214:215], v[92:93], v[118:119] op_sel:[1,0]
	ds_write_b32 v180, v92
	ds_write2_b32 v181, v214, v215 offset0:32 offset1:33
	s_waitcnt vmcnt(22)
	v_pk_mov_b32 v[214:215], v[118:119], v[122:123] op_sel:[1,0]
	ds_write2_b32 v181, v214, v215 offset0:34 offset1:35
	s_waitcnt vmcnt(20)
	v_pk_mov_b32 v[214:215], v[122:123], v[116:117] op_sel:[1,0]
	;; [unrolled: 3-line block ×12, first 2 shown]
	ds_write2_b32 v181, v214, v215 offset0:56 offset1:57
	ds_write_b32 v181, v179 offset:232
	ds_read_b32 v213, v180
	s_waitcnt lgkmcnt(0)
	v_cmp_neq_f32_e32 vcc, 0, v213
	s_and_b64 exec, exec, vcc
	s_cbranch_execz .LBB117_174
; %bb.173:
	v_div_scale_f32 v214, s[4:5], v213, v213, 1.0
	v_rcp_f32_e32 v215, v214
	v_div_scale_f32 v216, vcc, 1.0, v213, 1.0
	v_fma_f32 v217, -v214, v215, 1.0
	v_fmac_f32_e32 v215, v217, v215
	v_mul_f32_e32 v217, v216, v215
	v_fma_f32 v218, -v214, v217, v216
	v_fmac_f32_e32 v217, v218, v215
	v_fma_f32 v214, -v214, v217, v216
	v_div_fmas_f32 v214, v214, v215, v217
	v_div_fixup_f32 v213, v214, v213, 1.0
	ds_write_b32 v180, v213
.LBB117_174:
	s_or_b64 exec, exec, s[2:3]
	s_waitcnt lgkmcnt(0)
	s_barrier
	ds_read_b32 v213, v180
	v_cmp_lt_u32_e32 vcc, 31, v25
	s_and_saveexec_b64 s[2:3], vcc
	s_cbranch_execz .LBB117_176
; %bb.175:
	ds_read_b32 v220, v181 offset:128
	ds_read2_b32 v[214:215], v181 offset0:33 offset1:34
	ds_read2_b32 v[216:217], v181 offset0:35 offset1:36
	s_waitcnt vmcnt(27) lgkmcnt(3)
	v_mul_f32_e32 v92, v213, v92
	ds_read2_b32 v[218:219], v181 offset0:37 offset1:38
	s_waitcnt vmcnt(26) lgkmcnt(3)
	v_fma_f32 v93, -v92, v220, v93
	s_waitcnt vmcnt(24) lgkmcnt(2)
	v_pk_fma_f32 v[118:119], v[92:93], v[214:215], v[118:119] op_sel_hi:[0,1,1] neg_lo:[1,0,0] neg_hi:[1,0,0]
	s_waitcnt vmcnt(22) lgkmcnt(1)
	v_pk_fma_f32 v[122:123], v[92:93], v[216:217], v[122:123] op_sel_hi:[0,1,1] neg_lo:[1,0,0] neg_hi:[1,0,0]
	ds_read2_b32 v[214:215], v181 offset0:39 offset1:40
	ds_read2_b32 v[216:217], v181 offset0:41 offset1:42
	;; [unrolled: 1-line block ×3, first 2 shown]
	s_waitcnt vmcnt(20) lgkmcnt(3)
	v_pk_fma_f32 v[116:117], v[92:93], v[218:219], v[116:117] op_sel_hi:[0,1,1] neg_lo:[1,0,0] neg_hi:[1,0,0]
	ds_read2_b32 v[218:219], v181 offset0:45 offset1:46
	s_waitcnt vmcnt(18) lgkmcnt(3)
	v_pk_fma_f32 v[120:121], v[92:93], v[214:215], v[120:121] op_sel_hi:[0,1,1] neg_lo:[1,0,0] neg_hi:[1,0,0]
	ds_read2_b32 v[214:215], v181 offset0:47 offset1:48
	s_waitcnt vmcnt(16) lgkmcnt(3)
	v_pk_fma_f32 v[146:147], v[92:93], v[216:217], v[146:147] op_sel_hi:[0,1,1] neg_lo:[1,0,0] neg_hi:[1,0,0]
	s_waitcnt vmcnt(14) lgkmcnt(2)
	v_pk_fma_f32 v[140:141], v[92:93], v[220:221], v[140:141] op_sel_hi:[0,1,1] neg_lo:[1,0,0] neg_hi:[1,0,0]
	;; [unrolled: 2-line block ×3, first 2 shown]
	ds_read2_b32 v[216:217], v181 offset0:49 offset1:50
	ds_read2_b32 v[218:219], v181 offset0:51 offset1:52
	;; [unrolled: 1-line block ×3, first 2 shown]
	s_waitcnt vmcnt(10) lgkmcnt(3)
	v_pk_fma_f32 v[144:145], v[92:93], v[214:215], v[144:145] op_sel_hi:[0,1,1] neg_lo:[1,0,0] neg_hi:[1,0,0]
	ds_read2_b32 v[214:215], v181 offset0:55 offset1:56
	ds_read2_b32 v[222:223], v181 offset0:57 offset1:58
	s_waitcnt vmcnt(8) lgkmcnt(4)
	v_pk_fma_f32 v[166:167], v[92:93], v[216:217], v[166:167] op_sel_hi:[0,1,1] neg_lo:[1,0,0] neg_hi:[1,0,0]
	s_waitcnt vmcnt(6) lgkmcnt(3)
	v_pk_fma_f32 v[168:169], v[92:93], v[218:219], v[168:169] op_sel_hi:[0,1,1] neg_lo:[1,0,0] neg_hi:[1,0,0]
	;; [unrolled: 2-line block ×5, first 2 shown]
.LBB117_176:
	s_or_b64 exec, exec, s[2:3]
	v_cmp_ne_u32_e32 vcc, 32, v25
	s_waitcnt lgkmcnt(0)
	s_barrier
	s_and_saveexec_b64 s[2:3], vcc
	s_xor_b64 s[2:3], exec, s[2:3]
	s_andn2_saveexec_b64 s[2:3], s[2:3]
	s_cbranch_execz .LBB117_180
; %bb.177:
	s_waitcnt vmcnt(26)
	ds_write_b32 v180, v93
	s_waitcnt vmcnt(24)
	ds_write2_b32 v181, v118, v119 offset0:33 offset1:34
	s_waitcnt vmcnt(22)
	ds_write2_b32 v181, v122, v123 offset0:35 offset1:36
	;; [unrolled: 2-line block ×13, first 2 shown]
	ds_read_b32 v214, v180
	s_waitcnt lgkmcnt(0)
	v_cmp_neq_f32_e32 vcc, 0, v214
	s_and_saveexec_b64 s[4:5], vcc
	s_cbranch_execz .LBB117_179
; %bb.178:
	v_div_scale_f32 v215, s[10:11], v214, v214, 1.0
	v_rcp_f32_e32 v216, v215
	v_div_scale_f32 v217, vcc, 1.0, v214, 1.0
	v_fma_f32 v218, -v215, v216, 1.0
	v_fmac_f32_e32 v216, v218, v216
	v_mul_f32_e32 v218, v217, v216
	v_fma_f32 v219, -v215, v218, v217
	v_fmac_f32_e32 v218, v219, v216
	v_fma_f32 v215, -v215, v218, v217
	v_div_fmas_f32 v215, v215, v216, v218
	v_div_fixup_f32 v214, v215, v214, 1.0
	ds_write_b32 v180, v214
.LBB117_179:
	s_or_b64 exec, exec, s[4:5]
.LBB117_180:
	s_or_b64 exec, exec, s[2:3]
	s_waitcnt lgkmcnt(0)
	s_barrier
	ds_read_b32 v214, v180
	v_cmp_lt_u32_e32 vcc, 32, v25
	s_and_saveexec_b64 s[2:3], vcc
	s_cbranch_execz .LBB117_182
; %bb.181:
	ds_read2_b32 v[216:217], v181 offset0:33 offset1:34
	ds_read2_b32 v[218:219], v181 offset0:35 offset1:36
	;; [unrolled: 1-line block ×3, first 2 shown]
	s_waitcnt vmcnt(26) lgkmcnt(3)
	v_mul_f32_e32 v222, v214, v93
	ds_read2_b32 v[224:225], v181 offset0:39 offset1:40
	s_waitcnt vmcnt(24) lgkmcnt(3)
	v_pk_fma_f32 v[118:119], v[222:223], v[216:217], v[118:119] op_sel_hi:[0,1,1] neg_lo:[1,0,0] neg_hi:[1,0,0]
	s_waitcnt vmcnt(22) lgkmcnt(2)
	v_pk_fma_f32 v[122:123], v[222:223], v[218:219], v[122:123] op_sel_hi:[0,1,1] neg_lo:[1,0,0] neg_hi:[1,0,0]
	;; [unrolled: 2-line block ×3, first 2 shown]
	ds_read2_b32 v[216:217], v181 offset0:41 offset1:42
	ds_read2_b32 v[218:219], v181 offset0:43 offset1:44
	ds_read2_b32 v[220:221], v181 offset0:45 offset1:46
	ds_read2_b32 v[226:227], v181 offset0:47 offset1:48
	s_waitcnt vmcnt(18) lgkmcnt(4)
	v_pk_fma_f32 v[120:121], v[222:223], v[224:225], v[120:121] op_sel_hi:[0,1,1] neg_lo:[1,0,0] neg_hi:[1,0,0]
	s_waitcnt vmcnt(16) lgkmcnt(3)
	v_pk_fma_f32 v[146:147], v[222:223], v[216:217], v[146:147] op_sel_hi:[0,1,1] neg_lo:[1,0,0] neg_hi:[1,0,0]
	;; [unrolled: 2-line block ×5, first 2 shown]
	ds_read2_b32 v[216:217], v181 offset0:49 offset1:50
	ds_read2_b32 v[218:219], v181 offset0:51 offset1:52
	;; [unrolled: 1-line block ×5, first 2 shown]
	s_waitcnt vmcnt(8) lgkmcnt(4)
	v_pk_fma_f32 v[166:167], v[222:223], v[216:217], v[166:167] op_sel_hi:[0,1,1] neg_lo:[1,0,0] neg_hi:[1,0,0]
	s_waitcnt vmcnt(6) lgkmcnt(3)
	v_pk_fma_f32 v[168:169], v[222:223], v[218:219], v[168:169] op_sel_hi:[0,1,1] neg_lo:[1,0,0] neg_hi:[1,0,0]
	s_waitcnt vmcnt(4) lgkmcnt(2)
	v_pk_fma_f32 v[170:171], v[222:223], v[220:221], v[170:171] op_sel_hi:[0,1,1] neg_lo:[1,0,0] neg_hi:[1,0,0]
	s_waitcnt vmcnt(2) lgkmcnt(1)
	v_pk_fma_f32 v[164:165], v[222:223], v[224:225], v[164:165] op_sel_hi:[0,1,1] neg_lo:[1,0,0] neg_hi:[1,0,0]
	s_waitcnt vmcnt(0) lgkmcnt(0)
	v_pk_fma_f32 v[178:179], v[222:223], v[226:227], v[178:179] op_sel_hi:[0,1,1] neg_lo:[1,0,0] neg_hi:[1,0,0]
	v_mov_b32_e32 v93, v222
.LBB117_182:
	s_or_b64 exec, exec, s[2:3]
	v_cmp_eq_u32_e32 vcc, 33, v25
	s_waitcnt lgkmcnt(0)
	s_barrier
	s_and_saveexec_b64 s[2:3], vcc
	s_cbranch_execz .LBB117_185
; %bb.183:
	s_waitcnt vmcnt(22)
	v_pk_mov_b32 v[216:217], v[118:119], v[122:123] op_sel:[1,0]
	ds_write_b32 v180, v118
	ds_write2_b32 v181, v216, v217 offset0:34 offset1:35
	s_waitcnt vmcnt(20)
	v_pk_mov_b32 v[216:217], v[122:123], v[116:117] op_sel:[1,0]
	ds_write2_b32 v181, v216, v217 offset0:36 offset1:37
	s_waitcnt vmcnt(18)
	v_pk_mov_b32 v[216:217], v[116:117], v[120:121] op_sel:[1,0]
	ds_write2_b32 v181, v216, v217 offset0:38 offset1:39
	s_waitcnt vmcnt(16)
	v_pk_mov_b32 v[216:217], v[120:121], v[146:147] op_sel:[1,0]
	ds_write2_b32 v181, v216, v217 offset0:40 offset1:41
	s_waitcnt vmcnt(14)
	v_pk_mov_b32 v[216:217], v[146:147], v[140:141] op_sel:[1,0]
	ds_write2_b32 v181, v216, v217 offset0:42 offset1:43
	s_waitcnt vmcnt(12)
	v_pk_mov_b32 v[216:217], v[140:141], v[142:143] op_sel:[1,0]
	ds_write2_b32 v181, v216, v217 offset0:44 offset1:45
	s_waitcnt vmcnt(10)
	v_pk_mov_b32 v[216:217], v[142:143], v[144:145] op_sel:[1,0]
	ds_write2_b32 v181, v216, v217 offset0:46 offset1:47
	s_waitcnt vmcnt(8)
	v_pk_mov_b32 v[216:217], v[144:145], v[166:167] op_sel:[1,0]
	ds_write2_b32 v181, v216, v217 offset0:48 offset1:49
	s_waitcnt vmcnt(6)
	v_pk_mov_b32 v[216:217], v[166:167], v[168:169] op_sel:[1,0]
	ds_write2_b32 v181, v216, v217 offset0:50 offset1:51
	s_waitcnt vmcnt(4)
	v_pk_mov_b32 v[216:217], v[168:169], v[170:171] op_sel:[1,0]
	ds_write2_b32 v181, v216, v217 offset0:52 offset1:53
	s_waitcnt vmcnt(2)
	v_pk_mov_b32 v[216:217], v[170:171], v[164:165] op_sel:[1,0]
	ds_write2_b32 v181, v216, v217 offset0:54 offset1:55
	s_waitcnt vmcnt(0)
	v_pk_mov_b32 v[216:217], v[164:165], v[178:179] op_sel:[1,0]
	ds_write2_b32 v181, v216, v217 offset0:56 offset1:57
	ds_write_b32 v181, v179 offset:232
	ds_read_b32 v215, v180
	s_waitcnt lgkmcnt(0)
	v_cmp_neq_f32_e32 vcc, 0, v215
	s_and_b64 exec, exec, vcc
	s_cbranch_execz .LBB117_185
; %bb.184:
	v_div_scale_f32 v216, s[4:5], v215, v215, 1.0
	v_rcp_f32_e32 v217, v216
	v_div_scale_f32 v218, vcc, 1.0, v215, 1.0
	v_fma_f32 v219, -v216, v217, 1.0
	v_fmac_f32_e32 v217, v219, v217
	v_mul_f32_e32 v219, v218, v217
	v_fma_f32 v220, -v216, v219, v218
	v_fmac_f32_e32 v219, v220, v217
	v_fma_f32 v216, -v216, v219, v218
	v_div_fmas_f32 v216, v216, v217, v219
	v_div_fixup_f32 v215, v216, v215, 1.0
	ds_write_b32 v180, v215
.LBB117_185:
	s_or_b64 exec, exec, s[2:3]
	s_waitcnt lgkmcnt(0)
	s_barrier
	ds_read_b32 v215, v180
	v_cmp_lt_u32_e32 vcc, 33, v25
	s_and_saveexec_b64 s[2:3], vcc
	s_cbranch_execz .LBB117_187
; %bb.186:
	ds_read_b32 v222, v181 offset:136
	ds_read2_b32 v[216:217], v181 offset0:35 offset1:36
	ds_read2_b32 v[218:219], v181 offset0:37 offset1:38
	s_waitcnt vmcnt(25) lgkmcnt(3)
	v_mul_f32_e32 v118, v215, v118
	ds_read2_b32 v[220:221], v181 offset0:39 offset1:40
	s_waitcnt vmcnt(24) lgkmcnt(3)
	v_fma_f32 v119, -v118, v222, v119
	s_waitcnt vmcnt(22) lgkmcnt(2)
	v_pk_fma_f32 v[122:123], v[118:119], v[216:217], v[122:123] op_sel_hi:[0,1,1] neg_lo:[1,0,0] neg_hi:[1,0,0]
	s_waitcnt vmcnt(20) lgkmcnt(1)
	v_pk_fma_f32 v[116:117], v[118:119], v[218:219], v[116:117] op_sel_hi:[0,1,1] neg_lo:[1,0,0] neg_hi:[1,0,0]
	ds_read2_b32 v[216:217], v181 offset0:41 offset1:42
	ds_read2_b32 v[218:219], v181 offset0:43 offset1:44
	;; [unrolled: 1-line block ×4, first 2 shown]
	s_waitcnt vmcnt(18) lgkmcnt(4)
	v_pk_fma_f32 v[120:121], v[118:119], v[220:221], v[120:121] op_sel_hi:[0,1,1] neg_lo:[1,0,0] neg_hi:[1,0,0]
	s_waitcnt vmcnt(16) lgkmcnt(3)
	v_pk_fma_f32 v[146:147], v[118:119], v[216:217], v[146:147] op_sel_hi:[0,1,1] neg_lo:[1,0,0] neg_hi:[1,0,0]
	;; [unrolled: 2-line block ×5, first 2 shown]
	ds_read2_b32 v[216:217], v181 offset0:49 offset1:50
	ds_read2_b32 v[218:219], v181 offset0:51 offset1:52
	;; [unrolled: 1-line block ×5, first 2 shown]
	s_waitcnt vmcnt(8) lgkmcnt(4)
	v_pk_fma_f32 v[166:167], v[118:119], v[216:217], v[166:167] op_sel_hi:[0,1,1] neg_lo:[1,0,0] neg_hi:[1,0,0]
	s_waitcnt vmcnt(6) lgkmcnt(3)
	v_pk_fma_f32 v[168:169], v[118:119], v[218:219], v[168:169] op_sel_hi:[0,1,1] neg_lo:[1,0,0] neg_hi:[1,0,0]
	;; [unrolled: 2-line block ×5, first 2 shown]
.LBB117_187:
	s_or_b64 exec, exec, s[2:3]
	v_cmp_ne_u32_e32 vcc, 34, v25
	s_waitcnt lgkmcnt(0)
	s_barrier
	s_and_saveexec_b64 s[2:3], vcc
	s_xor_b64 s[2:3], exec, s[2:3]
	s_andn2_saveexec_b64 s[2:3], s[2:3]
	s_cbranch_execz .LBB117_191
; %bb.188:
	s_waitcnt vmcnt(24)
	ds_write_b32 v180, v119
	s_waitcnt vmcnt(22)
	ds_write2_b32 v181, v122, v123 offset0:35 offset1:36
	s_waitcnt vmcnt(20)
	ds_write2_b32 v181, v116, v117 offset0:37 offset1:38
	;; [unrolled: 2-line block ×12, first 2 shown]
	ds_read_b32 v216, v180
	s_waitcnt lgkmcnt(0)
	v_cmp_neq_f32_e32 vcc, 0, v216
	s_and_saveexec_b64 s[4:5], vcc
	s_cbranch_execz .LBB117_190
; %bb.189:
	v_div_scale_f32 v217, s[10:11], v216, v216, 1.0
	v_rcp_f32_e32 v218, v217
	v_div_scale_f32 v219, vcc, 1.0, v216, 1.0
	v_fma_f32 v220, -v217, v218, 1.0
	v_fmac_f32_e32 v218, v220, v218
	v_mul_f32_e32 v220, v219, v218
	v_fma_f32 v221, -v217, v220, v219
	v_fmac_f32_e32 v220, v221, v218
	v_fma_f32 v217, -v217, v220, v219
	v_div_fmas_f32 v217, v217, v218, v220
	v_div_fixup_f32 v216, v217, v216, 1.0
	ds_write_b32 v180, v216
.LBB117_190:
	s_or_b64 exec, exec, s[4:5]
.LBB117_191:
	s_or_b64 exec, exec, s[2:3]
	s_waitcnt lgkmcnt(0)
	s_barrier
	ds_read_b32 v216, v180
	v_cmp_lt_u32_e32 vcc, 34, v25
	s_and_saveexec_b64 s[2:3], vcc
	s_cbranch_execz .LBB117_193
; %bb.192:
	ds_read2_b32 v[218:219], v181 offset0:35 offset1:36
	ds_read2_b32 v[220:221], v181 offset0:37 offset1:38
	;; [unrolled: 1-line block ×3, first 2 shown]
	s_waitcnt vmcnt(24) lgkmcnt(3)
	v_mul_f32_e32 v224, v216, v119
	ds_read2_b32 v[226:227], v181 offset0:41 offset1:42
	s_waitcnt vmcnt(22) lgkmcnt(3)
	v_pk_fma_f32 v[122:123], v[224:225], v[218:219], v[122:123] op_sel_hi:[0,1,1] neg_lo:[1,0,0] neg_hi:[1,0,0]
	s_waitcnt vmcnt(20) lgkmcnt(2)
	v_pk_fma_f32 v[116:117], v[224:225], v[220:221], v[116:117] op_sel_hi:[0,1,1] neg_lo:[1,0,0] neg_hi:[1,0,0]
	;; [unrolled: 2-line block ×3, first 2 shown]
	ds_read2_b32 v[218:219], v181 offset0:43 offset1:44
	ds_read2_b32 v[220:221], v181 offset0:45 offset1:46
	;; [unrolled: 1-line block ×3, first 2 shown]
	s_waitcnt vmcnt(16) lgkmcnt(3)
	v_pk_fma_f32 v[146:147], v[224:225], v[226:227], v[146:147] op_sel_hi:[0,1,1] neg_lo:[1,0,0] neg_hi:[1,0,0]
	ds_read2_b32 v[226:227], v181 offset0:49 offset1:50
	s_waitcnt vmcnt(14) lgkmcnt(3)
	v_pk_fma_f32 v[140:141], v[224:225], v[218:219], v[140:141] op_sel_hi:[0,1,1] neg_lo:[1,0,0] neg_hi:[1,0,0]
	s_waitcnt vmcnt(12) lgkmcnt(2)
	v_pk_fma_f32 v[142:143], v[224:225], v[220:221], v[142:143] op_sel_hi:[0,1,1] neg_lo:[1,0,0] neg_hi:[1,0,0]
	;; [unrolled: 2-line block ×3, first 2 shown]
	ds_read2_b32 v[218:219], v181 offset0:51 offset1:52
	ds_read2_b32 v[220:221], v181 offset0:53 offset1:54
	;; [unrolled: 1-line block ×4, first 2 shown]
	s_waitcnt vmcnt(8) lgkmcnt(4)
	v_pk_fma_f32 v[166:167], v[224:225], v[226:227], v[166:167] op_sel_hi:[0,1,1] neg_lo:[1,0,0] neg_hi:[1,0,0]
	s_waitcnt vmcnt(6) lgkmcnt(3)
	v_pk_fma_f32 v[168:169], v[224:225], v[218:219], v[168:169] op_sel_hi:[0,1,1] neg_lo:[1,0,0] neg_hi:[1,0,0]
	;; [unrolled: 2-line block ×5, first 2 shown]
	v_mov_b32_e32 v119, v224
.LBB117_193:
	s_or_b64 exec, exec, s[2:3]
	v_cmp_eq_u32_e32 vcc, 35, v25
	s_waitcnt lgkmcnt(0)
	s_barrier
	s_and_saveexec_b64 s[2:3], vcc
	s_cbranch_execz .LBB117_196
; %bb.194:
	s_waitcnt vmcnt(20)
	v_pk_mov_b32 v[218:219], v[122:123], v[116:117] op_sel:[1,0]
	ds_write_b32 v180, v122
	ds_write2_b32 v181, v218, v219 offset0:36 offset1:37
	s_waitcnt vmcnt(18)
	v_pk_mov_b32 v[218:219], v[116:117], v[120:121] op_sel:[1,0]
	ds_write2_b32 v181, v218, v219 offset0:38 offset1:39
	s_waitcnt vmcnt(16)
	v_pk_mov_b32 v[218:219], v[120:121], v[146:147] op_sel:[1,0]
	;; [unrolled: 3-line block ×10, first 2 shown]
	ds_write2_b32 v181, v218, v219 offset0:56 offset1:57
	ds_write_b32 v181, v179 offset:232
	ds_read_b32 v217, v180
	s_waitcnt lgkmcnt(0)
	v_cmp_neq_f32_e32 vcc, 0, v217
	s_and_b64 exec, exec, vcc
	s_cbranch_execz .LBB117_196
; %bb.195:
	v_div_scale_f32 v218, s[4:5], v217, v217, 1.0
	v_rcp_f32_e32 v219, v218
	v_div_scale_f32 v220, vcc, 1.0, v217, 1.0
	v_fma_f32 v221, -v218, v219, 1.0
	v_fmac_f32_e32 v219, v221, v219
	v_mul_f32_e32 v221, v220, v219
	v_fma_f32 v222, -v218, v221, v220
	v_fmac_f32_e32 v221, v222, v219
	v_fma_f32 v218, -v218, v221, v220
	v_div_fmas_f32 v218, v218, v219, v221
	v_div_fixup_f32 v217, v218, v217, 1.0
	ds_write_b32 v180, v217
.LBB117_196:
	s_or_b64 exec, exec, s[2:3]
	s_waitcnt lgkmcnt(0)
	s_barrier
	ds_read_b32 v217, v180
	v_cmp_lt_u32_e32 vcc, 35, v25
	s_and_saveexec_b64 s[2:3], vcc
	s_cbranch_execz .LBB117_198
; %bb.197:
	ds_read_b32 v224, v181 offset:144
	ds_read2_b32 v[218:219], v181 offset0:37 offset1:38
	ds_read2_b32 v[220:221], v181 offset0:39 offset1:40
	s_waitcnt vmcnt(23) lgkmcnt(3)
	v_mul_f32_e32 v122, v217, v122
	ds_read2_b32 v[222:223], v181 offset0:41 offset1:42
	s_waitcnt vmcnt(22) lgkmcnt(3)
	v_fma_f32 v123, -v122, v224, v123
	s_waitcnt vmcnt(20) lgkmcnt(2)
	v_pk_fma_f32 v[116:117], v[122:123], v[218:219], v[116:117] op_sel_hi:[0,1,1] neg_lo:[1,0,0] neg_hi:[1,0,0]
	s_waitcnt vmcnt(18) lgkmcnt(1)
	v_pk_fma_f32 v[120:121], v[122:123], v[220:221], v[120:121] op_sel_hi:[0,1,1] neg_lo:[1,0,0] neg_hi:[1,0,0]
	ds_read2_b32 v[218:219], v181 offset0:43 offset1:44
	ds_read2_b32 v[220:221], v181 offset0:45 offset1:46
	;; [unrolled: 1-line block ×3, first 2 shown]
	s_waitcnt vmcnt(16) lgkmcnt(3)
	v_pk_fma_f32 v[146:147], v[122:123], v[222:223], v[146:147] op_sel_hi:[0,1,1] neg_lo:[1,0,0] neg_hi:[1,0,0]
	ds_read2_b32 v[222:223], v181 offset0:49 offset1:50
	s_waitcnt vmcnt(14) lgkmcnt(3)
	v_pk_fma_f32 v[140:141], v[122:123], v[218:219], v[140:141] op_sel_hi:[0,1,1] neg_lo:[1,0,0] neg_hi:[1,0,0]
	s_waitcnt vmcnt(12) lgkmcnt(2)
	v_pk_fma_f32 v[142:143], v[122:123], v[220:221], v[142:143] op_sel_hi:[0,1,1] neg_lo:[1,0,0] neg_hi:[1,0,0]
	;; [unrolled: 2-line block ×3, first 2 shown]
	ds_read2_b32 v[218:219], v181 offset0:51 offset1:52
	ds_read2_b32 v[220:221], v181 offset0:53 offset1:54
	;; [unrolled: 1-line block ×4, first 2 shown]
	s_waitcnt vmcnt(8) lgkmcnt(4)
	v_pk_fma_f32 v[166:167], v[122:123], v[222:223], v[166:167] op_sel_hi:[0,1,1] neg_lo:[1,0,0] neg_hi:[1,0,0]
	s_waitcnt vmcnt(6) lgkmcnt(3)
	v_pk_fma_f32 v[168:169], v[122:123], v[218:219], v[168:169] op_sel_hi:[0,1,1] neg_lo:[1,0,0] neg_hi:[1,0,0]
	;; [unrolled: 2-line block ×5, first 2 shown]
.LBB117_198:
	s_or_b64 exec, exec, s[2:3]
	v_cmp_ne_u32_e32 vcc, 36, v25
	s_waitcnt lgkmcnt(0)
	s_barrier
	s_and_saveexec_b64 s[2:3], vcc
	s_xor_b64 s[2:3], exec, s[2:3]
	s_andn2_saveexec_b64 s[2:3], s[2:3]
	s_cbranch_execz .LBB117_202
; %bb.199:
	s_waitcnt vmcnt(22)
	ds_write_b32 v180, v123
	s_waitcnt vmcnt(20)
	ds_write2_b32 v181, v116, v117 offset0:37 offset1:38
	s_waitcnt vmcnt(18)
	ds_write2_b32 v181, v120, v121 offset0:39 offset1:40
	;; [unrolled: 2-line block ×11, first 2 shown]
	ds_read_b32 v218, v180
	s_waitcnt lgkmcnt(0)
	v_cmp_neq_f32_e32 vcc, 0, v218
	s_and_saveexec_b64 s[4:5], vcc
	s_cbranch_execz .LBB117_201
; %bb.200:
	v_div_scale_f32 v219, s[10:11], v218, v218, 1.0
	v_rcp_f32_e32 v220, v219
	v_div_scale_f32 v221, vcc, 1.0, v218, 1.0
	v_fma_f32 v222, -v219, v220, 1.0
	v_fmac_f32_e32 v220, v222, v220
	v_mul_f32_e32 v222, v221, v220
	v_fma_f32 v223, -v219, v222, v221
	v_fmac_f32_e32 v222, v223, v220
	v_fma_f32 v219, -v219, v222, v221
	v_div_fmas_f32 v219, v219, v220, v222
	v_div_fixup_f32 v218, v219, v218, 1.0
	ds_write_b32 v180, v218
.LBB117_201:
	s_or_b64 exec, exec, s[4:5]
.LBB117_202:
	s_or_b64 exec, exec, s[2:3]
	s_waitcnt lgkmcnt(0)
	s_barrier
	ds_read_b32 v218, v180
	v_cmp_lt_u32_e32 vcc, 36, v25
	s_and_saveexec_b64 s[2:3], vcc
	s_cbranch_execz .LBB117_204
; %bb.203:
	ds_read2_b32 v[220:221], v181 offset0:37 offset1:38
	ds_read2_b32 v[222:223], v181 offset0:39 offset1:40
	;; [unrolled: 1-line block ×3, first 2 shown]
	s_waitcnt vmcnt(22) lgkmcnt(3)
	v_mul_f32_e32 v226, v218, v123
	ds_read2_b32 v[228:229], v181 offset0:43 offset1:44
	s_waitcnt vmcnt(20) lgkmcnt(3)
	v_pk_fma_f32 v[116:117], v[226:227], v[220:221], v[116:117] op_sel_hi:[0,1,1] neg_lo:[1,0,0] neg_hi:[1,0,0]
	s_waitcnt vmcnt(18) lgkmcnt(2)
	v_pk_fma_f32 v[120:121], v[226:227], v[222:223], v[120:121] op_sel_hi:[0,1,1] neg_lo:[1,0,0] neg_hi:[1,0,0]
	ds_read2_b32 v[220:221], v181 offset0:45 offset1:46
	ds_read2_b32 v[222:223], v181 offset0:47 offset1:48
	s_waitcnt vmcnt(16) lgkmcnt(3)
	v_pk_fma_f32 v[146:147], v[226:227], v[224:225], v[146:147] op_sel_hi:[0,1,1] neg_lo:[1,0,0] neg_hi:[1,0,0]
	s_waitcnt vmcnt(14) lgkmcnt(2)
	v_pk_fma_f32 v[140:141], v[226:227], v[228:229], v[140:141] op_sel_hi:[0,1,1] neg_lo:[1,0,0] neg_hi:[1,0,0]
	ds_read2_b32 v[224:225], v181 offset0:49 offset1:50
	ds_read2_b32 v[228:229], v181 offset0:51 offset1:52
	s_waitcnt vmcnt(12) lgkmcnt(3)
	v_pk_fma_f32 v[142:143], v[226:227], v[220:221], v[142:143] op_sel_hi:[0,1,1] neg_lo:[1,0,0] neg_hi:[1,0,0]
	s_waitcnt vmcnt(10) lgkmcnt(2)
	v_pk_fma_f32 v[144:145], v[226:227], v[222:223], v[144:145] op_sel_hi:[0,1,1] neg_lo:[1,0,0] neg_hi:[1,0,0]
	ds_read2_b32 v[220:221], v181 offset0:53 offset1:54
	ds_read2_b32 v[222:223], v181 offset0:55 offset1:56
	ds_read2_b32 v[230:231], v181 offset0:57 offset1:58
	s_waitcnt vmcnt(8) lgkmcnt(4)
	v_pk_fma_f32 v[166:167], v[226:227], v[224:225], v[166:167] op_sel_hi:[0,1,1] neg_lo:[1,0,0] neg_hi:[1,0,0]
	s_waitcnt vmcnt(6) lgkmcnt(3)
	v_pk_fma_f32 v[168:169], v[226:227], v[228:229], v[168:169] op_sel_hi:[0,1,1] neg_lo:[1,0,0] neg_hi:[1,0,0]
	;; [unrolled: 2-line block ×5, first 2 shown]
	v_mov_b32_e32 v123, v226
.LBB117_204:
	s_or_b64 exec, exec, s[2:3]
	v_cmp_eq_u32_e32 vcc, 37, v25
	s_waitcnt lgkmcnt(0)
	s_barrier
	s_and_saveexec_b64 s[2:3], vcc
	s_cbranch_execz .LBB117_207
; %bb.205:
	s_waitcnt vmcnt(18)
	v_pk_mov_b32 v[220:221], v[116:117], v[120:121] op_sel:[1,0]
	ds_write_b32 v180, v116
	ds_write2_b32 v181, v220, v221 offset0:38 offset1:39
	s_waitcnt vmcnt(16)
	v_pk_mov_b32 v[220:221], v[120:121], v[146:147] op_sel:[1,0]
	ds_write2_b32 v181, v220, v221 offset0:40 offset1:41
	s_waitcnt vmcnt(14)
	v_pk_mov_b32 v[220:221], v[146:147], v[140:141] op_sel:[1,0]
	;; [unrolled: 3-line block ×9, first 2 shown]
	ds_write2_b32 v181, v220, v221 offset0:56 offset1:57
	ds_write_b32 v181, v179 offset:232
	ds_read_b32 v219, v180
	s_waitcnt lgkmcnt(0)
	v_cmp_neq_f32_e32 vcc, 0, v219
	s_and_b64 exec, exec, vcc
	s_cbranch_execz .LBB117_207
; %bb.206:
	v_div_scale_f32 v220, s[4:5], v219, v219, 1.0
	v_rcp_f32_e32 v221, v220
	v_div_scale_f32 v222, vcc, 1.0, v219, 1.0
	v_fma_f32 v223, -v220, v221, 1.0
	v_fmac_f32_e32 v221, v223, v221
	v_mul_f32_e32 v223, v222, v221
	v_fma_f32 v224, -v220, v223, v222
	v_fmac_f32_e32 v223, v224, v221
	v_fma_f32 v220, -v220, v223, v222
	v_div_fmas_f32 v220, v220, v221, v223
	v_div_fixup_f32 v219, v220, v219, 1.0
	ds_write_b32 v180, v219
.LBB117_207:
	s_or_b64 exec, exec, s[2:3]
	s_waitcnt lgkmcnt(0)
	s_barrier
	ds_read_b32 v219, v180
	v_cmp_lt_u32_e32 vcc, 37, v25
	s_and_saveexec_b64 s[2:3], vcc
	s_cbranch_execz .LBB117_209
; %bb.208:
	ds_read_b32 v226, v181 offset:152
	ds_read2_b32 v[220:221], v181 offset0:39 offset1:40
	ds_read2_b32 v[222:223], v181 offset0:41 offset1:42
	s_waitcnt vmcnt(21) lgkmcnt(3)
	v_mul_f32_e32 v116, v219, v116
	ds_read2_b32 v[224:225], v181 offset0:43 offset1:44
	s_waitcnt vmcnt(20) lgkmcnt(3)
	v_fma_f32 v117, -v116, v226, v117
	s_waitcnt vmcnt(18) lgkmcnt(2)
	v_pk_fma_f32 v[120:121], v[116:117], v[220:221], v[120:121] op_sel_hi:[0,1,1] neg_lo:[1,0,0] neg_hi:[1,0,0]
	s_waitcnt vmcnt(16) lgkmcnt(1)
	v_pk_fma_f32 v[146:147], v[116:117], v[222:223], v[146:147] op_sel_hi:[0,1,1] neg_lo:[1,0,0] neg_hi:[1,0,0]
	ds_read2_b32 v[220:221], v181 offset0:45 offset1:46
	ds_read2_b32 v[222:223], v181 offset0:47 offset1:48
	s_waitcnt vmcnt(14) lgkmcnt(2)
	v_pk_fma_f32 v[140:141], v[116:117], v[224:225], v[140:141] op_sel_hi:[0,1,1] neg_lo:[1,0,0] neg_hi:[1,0,0]
	ds_read2_b32 v[224:225], v181 offset0:49 offset1:50
	ds_read2_b32 v[226:227], v181 offset0:51 offset1:52
	s_waitcnt vmcnt(12) lgkmcnt(3)
	v_pk_fma_f32 v[142:143], v[116:117], v[220:221], v[142:143] op_sel_hi:[0,1,1] neg_lo:[1,0,0] neg_hi:[1,0,0]
	s_waitcnt vmcnt(10) lgkmcnt(2)
	v_pk_fma_f32 v[144:145], v[116:117], v[222:223], v[144:145] op_sel_hi:[0,1,1] neg_lo:[1,0,0] neg_hi:[1,0,0]
	ds_read2_b32 v[220:221], v181 offset0:53 offset1:54
	ds_read2_b32 v[222:223], v181 offset0:55 offset1:56
	;; [unrolled: 1-line block ×3, first 2 shown]
	s_waitcnt vmcnt(8) lgkmcnt(4)
	v_pk_fma_f32 v[166:167], v[116:117], v[224:225], v[166:167] op_sel_hi:[0,1,1] neg_lo:[1,0,0] neg_hi:[1,0,0]
	s_waitcnt vmcnt(6) lgkmcnt(3)
	v_pk_fma_f32 v[168:169], v[116:117], v[226:227], v[168:169] op_sel_hi:[0,1,1] neg_lo:[1,0,0] neg_hi:[1,0,0]
	;; [unrolled: 2-line block ×5, first 2 shown]
.LBB117_209:
	s_or_b64 exec, exec, s[2:3]
	v_cmp_ne_u32_e32 vcc, 38, v25
	s_waitcnt lgkmcnt(0)
	s_barrier
	s_and_saveexec_b64 s[2:3], vcc
	s_xor_b64 s[2:3], exec, s[2:3]
	s_andn2_saveexec_b64 s[2:3], s[2:3]
	s_cbranch_execz .LBB117_213
; %bb.210:
	s_waitcnt vmcnt(20)
	ds_write_b32 v180, v117
	s_waitcnt vmcnt(18)
	ds_write2_b32 v181, v120, v121 offset0:39 offset1:40
	s_waitcnt vmcnt(16)
	ds_write2_b32 v181, v146, v147 offset0:41 offset1:42
	;; [unrolled: 2-line block ×10, first 2 shown]
	ds_read_b32 v220, v180
	s_waitcnt lgkmcnt(0)
	v_cmp_neq_f32_e32 vcc, 0, v220
	s_and_saveexec_b64 s[4:5], vcc
	s_cbranch_execz .LBB117_212
; %bb.211:
	v_div_scale_f32 v221, s[10:11], v220, v220, 1.0
	v_rcp_f32_e32 v222, v221
	v_div_scale_f32 v223, vcc, 1.0, v220, 1.0
	v_fma_f32 v224, -v221, v222, 1.0
	v_fmac_f32_e32 v222, v224, v222
	v_mul_f32_e32 v224, v223, v222
	v_fma_f32 v225, -v221, v224, v223
	v_fmac_f32_e32 v224, v225, v222
	v_fma_f32 v221, -v221, v224, v223
	v_div_fmas_f32 v221, v221, v222, v224
	v_div_fixup_f32 v220, v221, v220, 1.0
	ds_write_b32 v180, v220
.LBB117_212:
	s_or_b64 exec, exec, s[4:5]
.LBB117_213:
	s_or_b64 exec, exec, s[2:3]
	s_waitcnt lgkmcnt(0)
	s_barrier
	ds_read_b32 v220, v180
	v_cmp_lt_u32_e32 vcc, 38, v25
	s_and_saveexec_b64 s[2:3], vcc
	s_cbranch_execz .LBB117_215
; %bb.214:
	ds_read2_b32 v[222:223], v181 offset0:39 offset1:40
	ds_read2_b32 v[224:225], v181 offset0:41 offset1:42
	;; [unrolled: 1-line block ×3, first 2 shown]
	s_waitcnt vmcnt(20) lgkmcnt(3)
	v_mul_f32_e32 v228, v220, v117
	ds_read2_b32 v[230:231], v181 offset0:45 offset1:46
	s_waitcnt vmcnt(18) lgkmcnt(3)
	v_pk_fma_f32 v[120:121], v[228:229], v[222:223], v[120:121] op_sel_hi:[0,1,1] neg_lo:[1,0,0] neg_hi:[1,0,0]
	ds_read2_b32 v[222:223], v181 offset0:47 offset1:48
	s_waitcnt vmcnt(16) lgkmcnt(3)
	v_pk_fma_f32 v[146:147], v[228:229], v[224:225], v[146:147] op_sel_hi:[0,1,1] neg_lo:[1,0,0] neg_hi:[1,0,0]
	s_waitcnt vmcnt(14) lgkmcnt(2)
	v_pk_fma_f32 v[140:141], v[228:229], v[226:227], v[140:141] op_sel_hi:[0,1,1] neg_lo:[1,0,0] neg_hi:[1,0,0]
	;; [unrolled: 2-line block ×3, first 2 shown]
	ds_read2_b32 v[224:225], v181 offset0:49 offset1:50
	ds_read2_b32 v[226:227], v181 offset0:51 offset1:52
	;; [unrolled: 1-line block ×3, first 2 shown]
	s_waitcnt vmcnt(10) lgkmcnt(3)
	v_pk_fma_f32 v[144:145], v[228:229], v[222:223], v[144:145] op_sel_hi:[0,1,1] neg_lo:[1,0,0] neg_hi:[1,0,0]
	ds_read2_b32 v[222:223], v181 offset0:55 offset1:56
	ds_read2_b32 v[232:233], v181 offset0:57 offset1:58
	s_waitcnt vmcnt(8) lgkmcnt(4)
	v_pk_fma_f32 v[166:167], v[228:229], v[224:225], v[166:167] op_sel_hi:[0,1,1] neg_lo:[1,0,0] neg_hi:[1,0,0]
	s_waitcnt vmcnt(6) lgkmcnt(3)
	v_pk_fma_f32 v[168:169], v[228:229], v[226:227], v[168:169] op_sel_hi:[0,1,1] neg_lo:[1,0,0] neg_hi:[1,0,0]
	;; [unrolled: 2-line block ×5, first 2 shown]
	v_mov_b32_e32 v117, v228
.LBB117_215:
	s_or_b64 exec, exec, s[2:3]
	v_cmp_eq_u32_e32 vcc, 39, v25
	s_waitcnt lgkmcnt(0)
	s_barrier
	s_and_saveexec_b64 s[2:3], vcc
	s_cbranch_execz .LBB117_218
; %bb.216:
	s_waitcnt vmcnt(16)
	v_pk_mov_b32 v[222:223], v[120:121], v[146:147] op_sel:[1,0]
	ds_write_b32 v180, v120
	ds_write2_b32 v181, v222, v223 offset0:40 offset1:41
	s_waitcnt vmcnt(14)
	v_pk_mov_b32 v[222:223], v[146:147], v[140:141] op_sel:[1,0]
	ds_write2_b32 v181, v222, v223 offset0:42 offset1:43
	s_waitcnt vmcnt(12)
	v_pk_mov_b32 v[222:223], v[140:141], v[142:143] op_sel:[1,0]
	;; [unrolled: 3-line block ×8, first 2 shown]
	ds_write2_b32 v181, v222, v223 offset0:56 offset1:57
	ds_write_b32 v181, v179 offset:232
	ds_read_b32 v221, v180
	s_waitcnt lgkmcnt(0)
	v_cmp_neq_f32_e32 vcc, 0, v221
	s_and_b64 exec, exec, vcc
	s_cbranch_execz .LBB117_218
; %bb.217:
	v_div_scale_f32 v222, s[4:5], v221, v221, 1.0
	v_rcp_f32_e32 v223, v222
	v_div_scale_f32 v224, vcc, 1.0, v221, 1.0
	v_fma_f32 v225, -v222, v223, 1.0
	v_fmac_f32_e32 v223, v225, v223
	v_mul_f32_e32 v225, v224, v223
	v_fma_f32 v226, -v222, v225, v224
	v_fmac_f32_e32 v225, v226, v223
	v_fma_f32 v222, -v222, v225, v224
	v_div_fmas_f32 v222, v222, v223, v225
	v_div_fixup_f32 v221, v222, v221, 1.0
	ds_write_b32 v180, v221
.LBB117_218:
	s_or_b64 exec, exec, s[2:3]
	s_waitcnt lgkmcnt(0)
	s_barrier
	ds_read_b32 v221, v180
	v_cmp_lt_u32_e32 vcc, 39, v25
	s_and_saveexec_b64 s[2:3], vcc
	s_cbranch_execz .LBB117_220
; %bb.219:
	ds_read_b32 v228, v181 offset:160
	ds_read2_b32 v[222:223], v181 offset0:41 offset1:42
	ds_read2_b32 v[224:225], v181 offset0:43 offset1:44
	s_waitcnt vmcnt(19) lgkmcnt(3)
	v_mul_f32_e32 v120, v221, v120
	ds_read2_b32 v[226:227], v181 offset0:45 offset1:46
	s_waitcnt vmcnt(18) lgkmcnt(3)
	v_fma_f32 v121, -v120, v228, v121
	s_waitcnt vmcnt(16) lgkmcnt(2)
	v_pk_fma_f32 v[146:147], v[120:121], v[222:223], v[146:147] op_sel_hi:[0,1,1] neg_lo:[1,0,0] neg_hi:[1,0,0]
	ds_read2_b32 v[222:223], v181 offset0:47 offset1:48
	s_waitcnt vmcnt(14) lgkmcnt(2)
	v_pk_fma_f32 v[140:141], v[120:121], v[224:225], v[140:141] op_sel_hi:[0,1,1] neg_lo:[1,0,0] neg_hi:[1,0,0]
	s_waitcnt vmcnt(12) lgkmcnt(1)
	v_pk_fma_f32 v[142:143], v[120:121], v[226:227], v[142:143] op_sel_hi:[0,1,1] neg_lo:[1,0,0] neg_hi:[1,0,0]
	ds_read2_b32 v[224:225], v181 offset0:49 offset1:50
	ds_read2_b32 v[226:227], v181 offset0:51 offset1:52
	;; [unrolled: 1-line block ×3, first 2 shown]
	s_waitcnt vmcnt(10) lgkmcnt(3)
	v_pk_fma_f32 v[144:145], v[120:121], v[222:223], v[144:145] op_sel_hi:[0,1,1] neg_lo:[1,0,0] neg_hi:[1,0,0]
	ds_read2_b32 v[222:223], v181 offset0:55 offset1:56
	ds_read2_b32 v[230:231], v181 offset0:57 offset1:58
	s_waitcnt vmcnt(8) lgkmcnt(4)
	v_pk_fma_f32 v[166:167], v[120:121], v[224:225], v[166:167] op_sel_hi:[0,1,1] neg_lo:[1,0,0] neg_hi:[1,0,0]
	s_waitcnt vmcnt(6) lgkmcnt(3)
	v_pk_fma_f32 v[168:169], v[120:121], v[226:227], v[168:169] op_sel_hi:[0,1,1] neg_lo:[1,0,0] neg_hi:[1,0,0]
	;; [unrolled: 2-line block ×5, first 2 shown]
.LBB117_220:
	s_or_b64 exec, exec, s[2:3]
	v_cmp_ne_u32_e32 vcc, 40, v25
	s_waitcnt lgkmcnt(0)
	s_barrier
	s_and_saveexec_b64 s[2:3], vcc
	s_xor_b64 s[2:3], exec, s[2:3]
	s_andn2_saveexec_b64 s[2:3], s[2:3]
	s_cbranch_execz .LBB117_224
; %bb.221:
	s_waitcnt vmcnt(18)
	ds_write_b32 v180, v121
	s_waitcnt vmcnt(16)
	ds_write2_b32 v181, v146, v147 offset0:41 offset1:42
	s_waitcnt vmcnt(14)
	ds_write2_b32 v181, v140, v141 offset0:43 offset1:44
	;; [unrolled: 2-line block ×9, first 2 shown]
	ds_read_b32 v222, v180
	s_waitcnt lgkmcnt(0)
	v_cmp_neq_f32_e32 vcc, 0, v222
	s_and_saveexec_b64 s[4:5], vcc
	s_cbranch_execz .LBB117_223
; %bb.222:
	v_div_scale_f32 v223, s[10:11], v222, v222, 1.0
	v_rcp_f32_e32 v224, v223
	v_div_scale_f32 v225, vcc, 1.0, v222, 1.0
	v_fma_f32 v226, -v223, v224, 1.0
	v_fmac_f32_e32 v224, v226, v224
	v_mul_f32_e32 v226, v225, v224
	v_fma_f32 v227, -v223, v226, v225
	v_fmac_f32_e32 v226, v227, v224
	v_fma_f32 v223, -v223, v226, v225
	v_div_fmas_f32 v223, v223, v224, v226
	v_div_fixup_f32 v222, v223, v222, 1.0
	ds_write_b32 v180, v222
.LBB117_223:
	s_or_b64 exec, exec, s[4:5]
.LBB117_224:
	s_or_b64 exec, exec, s[2:3]
	s_waitcnt lgkmcnt(0)
	s_barrier
	ds_read_b32 v222, v180
	v_cmp_lt_u32_e32 vcc, 40, v25
	s_and_saveexec_b64 s[2:3], vcc
	s_cbranch_execz .LBB117_226
; %bb.225:
	ds_read2_b32 v[224:225], v181 offset0:41 offset1:42
	ds_read2_b32 v[226:227], v181 offset0:43 offset1:44
	;; [unrolled: 1-line block ×4, first 2 shown]
	s_waitcnt vmcnt(18) lgkmcnt(4)
	v_mul_f32_e32 v232, v222, v121
	s_waitcnt vmcnt(16) lgkmcnt(3)
	v_pk_fma_f32 v[146:147], v[232:233], v[224:225], v[146:147] op_sel_hi:[0,1,1] neg_lo:[1,0,0] neg_hi:[1,0,0]
	s_waitcnt vmcnt(14) lgkmcnt(2)
	v_pk_fma_f32 v[140:141], v[232:233], v[226:227], v[140:141] op_sel_hi:[0,1,1] neg_lo:[1,0,0] neg_hi:[1,0,0]
	;; [unrolled: 2-line block ×4, first 2 shown]
	ds_read2_b32 v[224:225], v181 offset0:49 offset1:50
	ds_read2_b32 v[226:227], v181 offset0:51 offset1:52
	;; [unrolled: 1-line block ×5, first 2 shown]
	s_waitcnt vmcnt(8) lgkmcnt(4)
	v_pk_fma_f32 v[166:167], v[232:233], v[224:225], v[166:167] op_sel_hi:[0,1,1] neg_lo:[1,0,0] neg_hi:[1,0,0]
	s_waitcnt vmcnt(6) lgkmcnt(3)
	v_pk_fma_f32 v[168:169], v[232:233], v[226:227], v[168:169] op_sel_hi:[0,1,1] neg_lo:[1,0,0] neg_hi:[1,0,0]
	;; [unrolled: 2-line block ×5, first 2 shown]
	v_mov_b32_e32 v121, v232
.LBB117_226:
	s_or_b64 exec, exec, s[2:3]
	v_cmp_eq_u32_e32 vcc, 41, v25
	s_waitcnt lgkmcnt(0)
	s_barrier
	s_and_saveexec_b64 s[2:3], vcc
	s_cbranch_execz .LBB117_229
; %bb.227:
	s_waitcnt vmcnt(14)
	v_pk_mov_b32 v[224:225], v[146:147], v[140:141] op_sel:[1,0]
	ds_write_b32 v180, v146
	ds_write2_b32 v181, v224, v225 offset0:42 offset1:43
	s_waitcnt vmcnt(12)
	v_pk_mov_b32 v[224:225], v[140:141], v[142:143] op_sel:[1,0]
	ds_write2_b32 v181, v224, v225 offset0:44 offset1:45
	s_waitcnt vmcnt(10)
	v_pk_mov_b32 v[224:225], v[142:143], v[144:145] op_sel:[1,0]
	;; [unrolled: 3-line block ×7, first 2 shown]
	ds_write2_b32 v181, v224, v225 offset0:56 offset1:57
	ds_write_b32 v181, v179 offset:232
	ds_read_b32 v223, v180
	s_waitcnt lgkmcnt(0)
	v_cmp_neq_f32_e32 vcc, 0, v223
	s_and_b64 exec, exec, vcc
	s_cbranch_execz .LBB117_229
; %bb.228:
	v_div_scale_f32 v224, s[4:5], v223, v223, 1.0
	v_rcp_f32_e32 v225, v224
	v_div_scale_f32 v226, vcc, 1.0, v223, 1.0
	v_fma_f32 v227, -v224, v225, 1.0
	v_fmac_f32_e32 v225, v227, v225
	v_mul_f32_e32 v227, v226, v225
	v_fma_f32 v228, -v224, v227, v226
	v_fmac_f32_e32 v227, v228, v225
	v_fma_f32 v224, -v224, v227, v226
	v_div_fmas_f32 v224, v224, v225, v227
	v_div_fixup_f32 v223, v224, v223, 1.0
	ds_write_b32 v180, v223
.LBB117_229:
	s_or_b64 exec, exec, s[2:3]
	s_waitcnt lgkmcnt(0)
	s_barrier
	ds_read_b32 v223, v180
	v_cmp_lt_u32_e32 vcc, 41, v25
	s_and_saveexec_b64 s[2:3], vcc
	s_cbranch_execz .LBB117_231
; %bb.230:
	ds_read_b32 v230, v181 offset:168
	ds_read2_b32 v[224:225], v181 offset0:43 offset1:44
	ds_read2_b32 v[226:227], v181 offset0:45 offset1:46
	;; [unrolled: 1-line block ×3, first 2 shown]
	s_waitcnt vmcnt(17) lgkmcnt(4)
	v_mul_f32_e32 v146, v223, v146
	s_waitcnt vmcnt(16) lgkmcnt(3)
	v_fma_f32 v147, -v146, v230, v147
	s_waitcnt vmcnt(14) lgkmcnt(2)
	v_pk_fma_f32 v[140:141], v[146:147], v[224:225], v[140:141] op_sel_hi:[0,1,1] neg_lo:[1,0,0] neg_hi:[1,0,0]
	s_waitcnt vmcnt(12) lgkmcnt(1)
	v_pk_fma_f32 v[142:143], v[146:147], v[226:227], v[142:143] op_sel_hi:[0,1,1] neg_lo:[1,0,0] neg_hi:[1,0,0]
	;; [unrolled: 2-line block ×3, first 2 shown]
	ds_read2_b32 v[224:225], v181 offset0:49 offset1:50
	ds_read2_b32 v[226:227], v181 offset0:51 offset1:52
	;; [unrolled: 1-line block ×5, first 2 shown]
	s_waitcnt vmcnt(8) lgkmcnt(4)
	v_pk_fma_f32 v[166:167], v[146:147], v[224:225], v[166:167] op_sel_hi:[0,1,1] neg_lo:[1,0,0] neg_hi:[1,0,0]
	s_waitcnt vmcnt(6) lgkmcnt(3)
	v_pk_fma_f32 v[168:169], v[146:147], v[226:227], v[168:169] op_sel_hi:[0,1,1] neg_lo:[1,0,0] neg_hi:[1,0,0]
	;; [unrolled: 2-line block ×5, first 2 shown]
.LBB117_231:
	s_or_b64 exec, exec, s[2:3]
	v_cmp_ne_u32_e32 vcc, 42, v25
	s_waitcnt lgkmcnt(0)
	s_barrier
	s_and_saveexec_b64 s[2:3], vcc
	s_xor_b64 s[2:3], exec, s[2:3]
	s_andn2_saveexec_b64 s[2:3], s[2:3]
	s_cbranch_execz .LBB117_235
; %bb.232:
	s_waitcnt vmcnt(16)
	ds_write_b32 v180, v147
	s_waitcnt vmcnt(14)
	ds_write2_b32 v181, v140, v141 offset0:43 offset1:44
	s_waitcnt vmcnt(12)
	ds_write2_b32 v181, v142, v143 offset0:45 offset1:46
	;; [unrolled: 2-line block ×8, first 2 shown]
	ds_read_b32 v224, v180
	s_waitcnt lgkmcnt(0)
	v_cmp_neq_f32_e32 vcc, 0, v224
	s_and_saveexec_b64 s[4:5], vcc
	s_cbranch_execz .LBB117_234
; %bb.233:
	v_div_scale_f32 v225, s[10:11], v224, v224, 1.0
	v_rcp_f32_e32 v226, v225
	v_div_scale_f32 v227, vcc, 1.0, v224, 1.0
	v_fma_f32 v228, -v225, v226, 1.0
	v_fmac_f32_e32 v226, v228, v226
	v_mul_f32_e32 v228, v227, v226
	v_fma_f32 v229, -v225, v228, v227
	v_fmac_f32_e32 v228, v229, v226
	v_fma_f32 v225, -v225, v228, v227
	v_div_fmas_f32 v225, v225, v226, v228
	v_div_fixup_f32 v224, v225, v224, 1.0
	ds_write_b32 v180, v224
.LBB117_234:
	s_or_b64 exec, exec, s[4:5]
.LBB117_235:
	s_or_b64 exec, exec, s[2:3]
	s_waitcnt lgkmcnt(0)
	s_barrier
	ds_read_b32 v224, v180
	v_cmp_lt_u32_e32 vcc, 42, v25
	s_and_saveexec_b64 s[2:3], vcc
	s_cbranch_execz .LBB117_237
; %bb.236:
	ds_read2_b32 v[226:227], v181 offset0:43 offset1:44
	ds_read2_b32 v[228:229], v181 offset0:45 offset1:46
	;; [unrolled: 1-line block ×3, first 2 shown]
	s_waitcnt vmcnt(16) lgkmcnt(3)
	v_mul_f32_e32 v232, v224, v147
	ds_read2_b32 v[234:235], v181 offset0:49 offset1:50
	s_waitcnt vmcnt(14) lgkmcnt(3)
	v_pk_fma_f32 v[140:141], v[232:233], v[226:227], v[140:141] op_sel_hi:[0,1,1] neg_lo:[1,0,0] neg_hi:[1,0,0]
	s_waitcnt vmcnt(12) lgkmcnt(2)
	v_pk_fma_f32 v[142:143], v[232:233], v[228:229], v[142:143] op_sel_hi:[0,1,1] neg_lo:[1,0,0] neg_hi:[1,0,0]
	;; [unrolled: 2-line block ×3, first 2 shown]
	ds_read2_b32 v[226:227], v181 offset0:51 offset1:52
	ds_read2_b32 v[228:229], v181 offset0:53 offset1:54
	;; [unrolled: 1-line block ×4, first 2 shown]
	s_waitcnt vmcnt(8) lgkmcnt(4)
	v_pk_fma_f32 v[166:167], v[232:233], v[234:235], v[166:167] op_sel_hi:[0,1,1] neg_lo:[1,0,0] neg_hi:[1,0,0]
	s_waitcnt vmcnt(6) lgkmcnt(3)
	v_pk_fma_f32 v[168:169], v[232:233], v[226:227], v[168:169] op_sel_hi:[0,1,1] neg_lo:[1,0,0] neg_hi:[1,0,0]
	;; [unrolled: 2-line block ×5, first 2 shown]
	v_mov_b32_e32 v147, v232
.LBB117_237:
	s_or_b64 exec, exec, s[2:3]
	v_cmp_eq_u32_e32 vcc, 43, v25
	s_waitcnt lgkmcnt(0)
	s_barrier
	s_and_saveexec_b64 s[2:3], vcc
	s_cbranch_execz .LBB117_240
; %bb.238:
	s_waitcnt vmcnt(12)
	v_pk_mov_b32 v[226:227], v[140:141], v[142:143] op_sel:[1,0]
	ds_write_b32 v180, v140
	ds_write2_b32 v181, v226, v227 offset0:44 offset1:45
	s_waitcnt vmcnt(10)
	v_pk_mov_b32 v[226:227], v[142:143], v[144:145] op_sel:[1,0]
	ds_write2_b32 v181, v226, v227 offset0:46 offset1:47
	s_waitcnt vmcnt(8)
	v_pk_mov_b32 v[226:227], v[144:145], v[166:167] op_sel:[1,0]
	;; [unrolled: 3-line block ×6, first 2 shown]
	ds_write2_b32 v181, v226, v227 offset0:56 offset1:57
	ds_write_b32 v181, v179 offset:232
	ds_read_b32 v225, v180
	s_waitcnt lgkmcnt(0)
	v_cmp_neq_f32_e32 vcc, 0, v225
	s_and_b64 exec, exec, vcc
	s_cbranch_execz .LBB117_240
; %bb.239:
	v_div_scale_f32 v226, s[4:5], v225, v225, 1.0
	v_rcp_f32_e32 v227, v226
	v_div_scale_f32 v228, vcc, 1.0, v225, 1.0
	v_fma_f32 v229, -v226, v227, 1.0
	v_fmac_f32_e32 v227, v229, v227
	v_mul_f32_e32 v229, v228, v227
	v_fma_f32 v230, -v226, v229, v228
	v_fmac_f32_e32 v229, v230, v227
	v_fma_f32 v226, -v226, v229, v228
	v_div_fmas_f32 v226, v226, v227, v229
	v_div_fixup_f32 v225, v226, v225, 1.0
	ds_write_b32 v180, v225
.LBB117_240:
	s_or_b64 exec, exec, s[2:3]
	s_waitcnt lgkmcnt(0)
	s_barrier
	ds_read_b32 v225, v180
	v_cmp_lt_u32_e32 vcc, 43, v25
	s_and_saveexec_b64 s[2:3], vcc
	s_cbranch_execz .LBB117_242
; %bb.241:
	ds_read_b32 v232, v181 offset:176
	ds_read2_b32 v[226:227], v181 offset0:45 offset1:46
	ds_read2_b32 v[228:229], v181 offset0:47 offset1:48
	s_waitcnt vmcnt(15) lgkmcnt(3)
	v_mul_f32_e32 v140, v225, v140
	ds_read2_b32 v[230:231], v181 offset0:49 offset1:50
	s_waitcnt vmcnt(14) lgkmcnt(3)
	v_fma_f32 v141, -v140, v232, v141
	s_waitcnt vmcnt(12) lgkmcnt(2)
	v_pk_fma_f32 v[142:143], v[140:141], v[226:227], v[142:143] op_sel_hi:[0,1,1] neg_lo:[1,0,0] neg_hi:[1,0,0]
	s_waitcnt vmcnt(10) lgkmcnt(1)
	v_pk_fma_f32 v[144:145], v[140:141], v[228:229], v[144:145] op_sel_hi:[0,1,1] neg_lo:[1,0,0] neg_hi:[1,0,0]
	ds_read2_b32 v[226:227], v181 offset0:51 offset1:52
	ds_read2_b32 v[228:229], v181 offset0:53 offset1:54
	;; [unrolled: 1-line block ×4, first 2 shown]
	s_waitcnt vmcnt(8) lgkmcnt(4)
	v_pk_fma_f32 v[166:167], v[140:141], v[230:231], v[166:167] op_sel_hi:[0,1,1] neg_lo:[1,0,0] neg_hi:[1,0,0]
	s_waitcnt vmcnt(6) lgkmcnt(3)
	v_pk_fma_f32 v[168:169], v[140:141], v[226:227], v[168:169] op_sel_hi:[0,1,1] neg_lo:[1,0,0] neg_hi:[1,0,0]
	;; [unrolled: 2-line block ×5, first 2 shown]
.LBB117_242:
	s_or_b64 exec, exec, s[2:3]
	v_cmp_ne_u32_e32 vcc, 44, v25
	s_waitcnt lgkmcnt(0)
	s_barrier
	s_and_saveexec_b64 s[2:3], vcc
	s_xor_b64 s[2:3], exec, s[2:3]
	s_andn2_saveexec_b64 s[2:3], s[2:3]
	s_cbranch_execz .LBB117_246
; %bb.243:
	s_waitcnt vmcnt(14)
	ds_write_b32 v180, v141
	s_waitcnt vmcnt(12)
	ds_write2_b32 v181, v142, v143 offset0:45 offset1:46
	s_waitcnt vmcnt(10)
	ds_write2_b32 v181, v144, v145 offset0:47 offset1:48
	;; [unrolled: 2-line block ×7, first 2 shown]
	ds_read_b32 v226, v180
	s_waitcnt lgkmcnt(0)
	v_cmp_neq_f32_e32 vcc, 0, v226
	s_and_saveexec_b64 s[4:5], vcc
	s_cbranch_execz .LBB117_245
; %bb.244:
	v_div_scale_f32 v227, s[10:11], v226, v226, 1.0
	v_rcp_f32_e32 v228, v227
	v_div_scale_f32 v229, vcc, 1.0, v226, 1.0
	v_fma_f32 v230, -v227, v228, 1.0
	v_fmac_f32_e32 v228, v230, v228
	v_mul_f32_e32 v230, v229, v228
	v_fma_f32 v231, -v227, v230, v229
	v_fmac_f32_e32 v230, v231, v228
	v_fma_f32 v227, -v227, v230, v229
	v_div_fmas_f32 v227, v227, v228, v230
	v_div_fixup_f32 v226, v227, v226, 1.0
	ds_write_b32 v180, v226
.LBB117_245:
	s_or_b64 exec, exec, s[4:5]
.LBB117_246:
	s_or_b64 exec, exec, s[2:3]
	s_waitcnt lgkmcnt(0)
	s_barrier
	ds_read_b32 v226, v180
	v_cmp_lt_u32_e32 vcc, 44, v25
	s_and_saveexec_b64 s[2:3], vcc
	s_cbranch_execz .LBB117_248
; %bb.247:
	ds_read2_b32 v[228:229], v181 offset0:45 offset1:46
	ds_read2_b32 v[230:231], v181 offset0:47 offset1:48
	s_waitcnt vmcnt(14) lgkmcnt(2)
	v_mul_f32_e32 v232, v226, v141
	ds_read2_b32 v[234:235], v181 offset0:49 offset1:50
	ds_read2_b32 v[236:237], v181 offset0:51 offset1:52
	v_mov_b32_e32 v141, v232
	s_waitcnt vmcnt(12) lgkmcnt(3)
	v_pk_fma_f32 v[142:143], v[232:233], v[228:229], v[142:143] op_sel_hi:[0,1,1] neg_lo:[1,0,0] neg_hi:[1,0,0]
	s_waitcnt vmcnt(10) lgkmcnt(2)
	v_pk_fma_f32 v[144:145], v[232:233], v[230:231], v[144:145] op_sel_hi:[0,1,1] neg_lo:[1,0,0] neg_hi:[1,0,0]
	ds_read2_b32 v[228:229], v181 offset0:53 offset1:54
	ds_read2_b32 v[230:231], v181 offset0:55 offset1:56
	;; [unrolled: 1-line block ×3, first 2 shown]
	s_waitcnt vmcnt(8) lgkmcnt(4)
	v_pk_fma_f32 v[166:167], v[232:233], v[234:235], v[166:167] op_sel_hi:[0,1,1] neg_lo:[1,0,0] neg_hi:[1,0,0]
	s_waitcnt vmcnt(6) lgkmcnt(3)
	v_pk_fma_f32 v[168:169], v[232:233], v[236:237], v[168:169] op_sel_hi:[0,1,1] neg_lo:[1,0,0] neg_hi:[1,0,0]
	;; [unrolled: 2-line block ×5, first 2 shown]
.LBB117_248:
	s_or_b64 exec, exec, s[2:3]
	v_cmp_eq_u32_e32 vcc, 45, v25
	s_waitcnt lgkmcnt(0)
	s_barrier
	s_and_saveexec_b64 s[2:3], vcc
	s_cbranch_execz .LBB117_251
; %bb.249:
	s_waitcnt vmcnt(10)
	v_pk_mov_b32 v[228:229], v[142:143], v[144:145] op_sel:[1,0]
	ds_write_b32 v180, v142
	ds_write2_b32 v181, v228, v229 offset0:46 offset1:47
	s_waitcnt vmcnt(8)
	v_pk_mov_b32 v[228:229], v[144:145], v[166:167] op_sel:[1,0]
	ds_write2_b32 v181, v228, v229 offset0:48 offset1:49
	s_waitcnt vmcnt(6)
	v_pk_mov_b32 v[228:229], v[166:167], v[168:169] op_sel:[1,0]
	;; [unrolled: 3-line block ×5, first 2 shown]
	ds_write2_b32 v181, v228, v229 offset0:56 offset1:57
	ds_write_b32 v181, v179 offset:232
	ds_read_b32 v227, v180
	s_waitcnt lgkmcnt(0)
	v_cmp_neq_f32_e32 vcc, 0, v227
	s_and_b64 exec, exec, vcc
	s_cbranch_execz .LBB117_251
; %bb.250:
	v_div_scale_f32 v228, s[4:5], v227, v227, 1.0
	v_rcp_f32_e32 v229, v228
	v_div_scale_f32 v230, vcc, 1.0, v227, 1.0
	v_fma_f32 v231, -v228, v229, 1.0
	v_fmac_f32_e32 v229, v231, v229
	v_mul_f32_e32 v231, v230, v229
	v_fma_f32 v232, -v228, v231, v230
	v_fmac_f32_e32 v231, v232, v229
	v_fma_f32 v228, -v228, v231, v230
	v_div_fmas_f32 v228, v228, v229, v231
	v_div_fixup_f32 v227, v228, v227, 1.0
	ds_write_b32 v180, v227
.LBB117_251:
	s_or_b64 exec, exec, s[2:3]
	s_waitcnt lgkmcnt(0)
	s_barrier
	ds_read_b32 v227, v180
	v_cmp_lt_u32_e32 vcc, 45, v25
	s_and_saveexec_b64 s[2:3], vcc
	s_cbranch_execz .LBB117_253
; %bb.252:
	ds_read_b32 v234, v181 offset:184
	ds_read2_b32 v[228:229], v181 offset0:47 offset1:48
	s_waitcnt vmcnt(13) lgkmcnt(2)
	v_mul_f32_e32 v142, v227, v142
	ds_read2_b32 v[230:231], v181 offset0:49 offset1:50
	ds_read2_b32 v[232:233], v181 offset0:51 offset1:52
	s_waitcnt vmcnt(12) lgkmcnt(3)
	v_fma_f32 v143, -v142, v234, v143
	s_waitcnt vmcnt(10) lgkmcnt(2)
	v_pk_fma_f32 v[144:145], v[142:143], v[228:229], v[144:145] op_sel_hi:[0,1,1] neg_lo:[1,0,0] neg_hi:[1,0,0]
	ds_read2_b32 v[228:229], v181 offset0:53 offset1:54
	ds_read2_b32 v[234:235], v181 offset0:55 offset1:56
	;; [unrolled: 1-line block ×3, first 2 shown]
	s_waitcnt vmcnt(8) lgkmcnt(4)
	v_pk_fma_f32 v[166:167], v[142:143], v[230:231], v[166:167] op_sel_hi:[0,1,1] neg_lo:[1,0,0] neg_hi:[1,0,0]
	s_waitcnt vmcnt(6) lgkmcnt(3)
	v_pk_fma_f32 v[168:169], v[142:143], v[232:233], v[168:169] op_sel_hi:[0,1,1] neg_lo:[1,0,0] neg_hi:[1,0,0]
	;; [unrolled: 2-line block ×5, first 2 shown]
.LBB117_253:
	s_or_b64 exec, exec, s[2:3]
	v_cmp_ne_u32_e32 vcc, 46, v25
	s_waitcnt lgkmcnt(0)
	s_barrier
	s_and_saveexec_b64 s[2:3], vcc
	s_xor_b64 s[2:3], exec, s[2:3]
	s_andn2_saveexec_b64 s[2:3], s[2:3]
	s_cbranch_execz .LBB117_257
; %bb.254:
	s_waitcnt vmcnt(12)
	ds_write_b32 v180, v143
	s_waitcnt vmcnt(10)
	ds_write2_b32 v181, v144, v145 offset0:47 offset1:48
	s_waitcnt vmcnt(8)
	ds_write2_b32 v181, v166, v167 offset0:49 offset1:50
	;; [unrolled: 2-line block ×6, first 2 shown]
	ds_read_b32 v228, v180
	s_waitcnt lgkmcnt(0)
	v_cmp_neq_f32_e32 vcc, 0, v228
	s_and_saveexec_b64 s[4:5], vcc
	s_cbranch_execz .LBB117_256
; %bb.255:
	v_div_scale_f32 v229, s[10:11], v228, v228, 1.0
	v_rcp_f32_e32 v230, v229
	v_div_scale_f32 v231, vcc, 1.0, v228, 1.0
	v_fma_f32 v232, -v229, v230, 1.0
	v_fmac_f32_e32 v230, v232, v230
	v_mul_f32_e32 v232, v231, v230
	v_fma_f32 v233, -v229, v232, v231
	v_fmac_f32_e32 v232, v233, v230
	v_fma_f32 v229, -v229, v232, v231
	v_div_fmas_f32 v229, v229, v230, v232
	v_div_fixup_f32 v228, v229, v228, 1.0
	ds_write_b32 v180, v228
.LBB117_256:
	s_or_b64 exec, exec, s[4:5]
.LBB117_257:
	s_or_b64 exec, exec, s[2:3]
	s_waitcnt lgkmcnt(0)
	s_barrier
	ds_read_b32 v228, v180
	v_cmp_lt_u32_e32 vcc, 46, v25
	s_and_saveexec_b64 s[2:3], vcc
	s_cbranch_execz .LBB117_259
; %bb.258:
	ds_read2_b32 v[230:231], v181 offset0:47 offset1:48
	s_waitcnt vmcnt(12) lgkmcnt(1)
	v_mul_f32_e32 v232, v228, v143
	ds_read2_b32 v[234:235], v181 offset0:49 offset1:50
	ds_read2_b32 v[236:237], v181 offset0:51 offset1:52
	;; [unrolled: 1-line block ×3, first 2 shown]
	v_mov_b32_e32 v143, v232
	s_waitcnt vmcnt(8) lgkmcnt(2)
	v_pk_fma_f32 v[166:167], v[232:233], v[234:235], v[166:167] op_sel_hi:[0,1,1] neg_lo:[1,0,0] neg_hi:[1,0,0]
	v_pk_fma_f32 v[144:145], v[232:233], v[230:231], v[144:145] op_sel_hi:[0,1,1] neg_lo:[1,0,0] neg_hi:[1,0,0]
	ds_read2_b32 v[230:231], v181 offset0:55 offset1:56
	ds_read2_b32 v[240:241], v181 offset0:57 offset1:58
	s_waitcnt vmcnt(6) lgkmcnt(3)
	v_pk_fma_f32 v[168:169], v[232:233], v[236:237], v[168:169] op_sel_hi:[0,1,1] neg_lo:[1,0,0] neg_hi:[1,0,0]
	s_waitcnt vmcnt(4) lgkmcnt(2)
	v_pk_fma_f32 v[170:171], v[232:233], v[238:239], v[170:171] op_sel_hi:[0,1,1] neg_lo:[1,0,0] neg_hi:[1,0,0]
	;; [unrolled: 2-line block ×4, first 2 shown]
.LBB117_259:
	s_or_b64 exec, exec, s[2:3]
	v_cmp_eq_u32_e32 vcc, 47, v25
	s_waitcnt lgkmcnt(0)
	s_barrier
	s_and_saveexec_b64 s[2:3], vcc
	s_cbranch_execz .LBB117_262
; %bb.260:
	s_waitcnt vmcnt(8)
	v_pk_mov_b32 v[230:231], v[144:145], v[166:167] op_sel:[1,0]
	ds_write_b32 v180, v144
	ds_write2_b32 v181, v230, v231 offset0:48 offset1:49
	s_waitcnt vmcnt(6)
	v_pk_mov_b32 v[230:231], v[166:167], v[168:169] op_sel:[1,0]
	ds_write2_b32 v181, v230, v231 offset0:50 offset1:51
	s_waitcnt vmcnt(4)
	v_pk_mov_b32 v[230:231], v[168:169], v[170:171] op_sel:[1,0]
	;; [unrolled: 3-line block ×4, first 2 shown]
	ds_write2_b32 v181, v230, v231 offset0:56 offset1:57
	ds_write_b32 v181, v179 offset:232
	ds_read_b32 v229, v180
	s_waitcnt lgkmcnt(0)
	v_cmp_neq_f32_e32 vcc, 0, v229
	s_and_b64 exec, exec, vcc
	s_cbranch_execz .LBB117_262
; %bb.261:
	v_div_scale_f32 v230, s[4:5], v229, v229, 1.0
	v_rcp_f32_e32 v231, v230
	v_div_scale_f32 v232, vcc, 1.0, v229, 1.0
	v_fma_f32 v233, -v230, v231, 1.0
	v_fmac_f32_e32 v231, v233, v231
	v_mul_f32_e32 v233, v232, v231
	v_fma_f32 v234, -v230, v233, v232
	v_fmac_f32_e32 v233, v234, v231
	v_fma_f32 v230, -v230, v233, v232
	v_div_fmas_f32 v230, v230, v231, v233
	v_div_fixup_f32 v229, v230, v229, 1.0
	ds_write_b32 v180, v229
.LBB117_262:
	s_or_b64 exec, exec, s[2:3]
	s_waitcnt lgkmcnt(0)
	s_barrier
	ds_read_b32 v229, v180
	v_cmp_lt_u32_e32 vcc, 47, v25
	s_and_saveexec_b64 s[2:3], vcc
	s_cbranch_execz .LBB117_264
; %bb.263:
	ds_read_b32 v236, v181 offset:192
	s_waitcnt vmcnt(11) lgkmcnt(1)
	v_mul_f32_e32 v144, v229, v144
	ds_read2_b32 v[230:231], v181 offset0:49 offset1:50
	ds_read2_b32 v[232:233], v181 offset0:51 offset1:52
	;; [unrolled: 1-line block ×3, first 2 shown]
	s_waitcnt vmcnt(10) lgkmcnt(3)
	v_fma_f32 v145, -v144, v236, v145
	ds_read2_b32 v[236:237], v181 offset0:55 offset1:56
	ds_read2_b32 v[238:239], v181 offset0:57 offset1:58
	s_waitcnt vmcnt(8) lgkmcnt(4)
	v_pk_fma_f32 v[166:167], v[144:145], v[230:231], v[166:167] op_sel_hi:[0,1,1] neg_lo:[1,0,0] neg_hi:[1,0,0]
	s_waitcnt vmcnt(6) lgkmcnt(3)
	v_pk_fma_f32 v[168:169], v[144:145], v[232:233], v[168:169] op_sel_hi:[0,1,1] neg_lo:[1,0,0] neg_hi:[1,0,0]
	;; [unrolled: 2-line block ×5, first 2 shown]
.LBB117_264:
	s_or_b64 exec, exec, s[2:3]
	v_cmp_ne_u32_e32 vcc, 48, v25
	s_waitcnt lgkmcnt(0)
	s_barrier
	s_and_saveexec_b64 s[2:3], vcc
	s_xor_b64 s[2:3], exec, s[2:3]
	s_andn2_saveexec_b64 s[2:3], s[2:3]
	s_cbranch_execz .LBB117_268
; %bb.265:
	s_waitcnt vmcnt(10)
	ds_write_b32 v180, v145
	s_waitcnt vmcnt(8)
	ds_write2_b32 v181, v166, v167 offset0:49 offset1:50
	s_waitcnt vmcnt(6)
	ds_write2_b32 v181, v168, v169 offset0:51 offset1:52
	;; [unrolled: 2-line block ×5, first 2 shown]
	ds_read_b32 v230, v180
	s_waitcnt lgkmcnt(0)
	v_cmp_neq_f32_e32 vcc, 0, v230
	s_and_saveexec_b64 s[4:5], vcc
	s_cbranch_execz .LBB117_267
; %bb.266:
	v_div_scale_f32 v231, s[10:11], v230, v230, 1.0
	v_rcp_f32_e32 v232, v231
	v_div_scale_f32 v233, vcc, 1.0, v230, 1.0
	v_fma_f32 v234, -v231, v232, 1.0
	v_fmac_f32_e32 v232, v234, v232
	v_mul_f32_e32 v234, v233, v232
	v_fma_f32 v235, -v231, v234, v233
	v_fmac_f32_e32 v234, v235, v232
	v_fma_f32 v231, -v231, v234, v233
	v_div_fmas_f32 v231, v231, v232, v234
	v_div_fixup_f32 v230, v231, v230, 1.0
	ds_write_b32 v180, v230
.LBB117_267:
	s_or_b64 exec, exec, s[4:5]
.LBB117_268:
	s_or_b64 exec, exec, s[2:3]
	s_waitcnt lgkmcnt(0)
	s_barrier
	ds_read_b32 v230, v180
	v_cmp_lt_u32_e32 vcc, 48, v25
	s_and_saveexec_b64 s[2:3], vcc
	s_cbranch_execz .LBB117_270
; %bb.269:
	ds_read2_b32 v[234:235], v181 offset0:49 offset1:50
	ds_read2_b32 v[236:237], v181 offset0:51 offset1:52
	;; [unrolled: 1-line block ×5, first 2 shown]
	s_waitcnt vmcnt(10) lgkmcnt(5)
	v_mul_f32_e32 v232, v230, v145
	s_waitcnt vmcnt(8) lgkmcnt(4)
	v_pk_fma_f32 v[166:167], v[232:233], v[234:235], v[166:167] op_sel_hi:[0,1,1] neg_lo:[1,0,0] neg_hi:[1,0,0]
	s_waitcnt vmcnt(6) lgkmcnt(3)
	v_pk_fma_f32 v[168:169], v[232:233], v[236:237], v[168:169] op_sel_hi:[0,1,1] neg_lo:[1,0,0] neg_hi:[1,0,0]
	s_waitcnt vmcnt(4) lgkmcnt(2)
	v_pk_fma_f32 v[170:171], v[232:233], v[238:239], v[170:171] op_sel_hi:[0,1,1] neg_lo:[1,0,0] neg_hi:[1,0,0]
	s_waitcnt vmcnt(2) lgkmcnt(1)
	v_pk_fma_f32 v[164:165], v[232:233], v[240:241], v[164:165] op_sel_hi:[0,1,1] neg_lo:[1,0,0] neg_hi:[1,0,0]
	s_waitcnt vmcnt(0) lgkmcnt(0)
	v_pk_fma_f32 v[178:179], v[232:233], v[242:243], v[178:179] op_sel_hi:[0,1,1] neg_lo:[1,0,0] neg_hi:[1,0,0]
	v_mov_b32_e32 v145, v232
.LBB117_270:
	s_or_b64 exec, exec, s[2:3]
	v_cmp_eq_u32_e32 vcc, 49, v25
	s_waitcnt lgkmcnt(0)
	s_barrier
	s_and_saveexec_b64 s[2:3], vcc
	s_cbranch_execz .LBB117_273
; %bb.271:
	s_waitcnt vmcnt(6)
	v_pk_mov_b32 v[232:233], v[166:167], v[168:169] op_sel:[1,0]
	ds_write_b32 v180, v166
	ds_write2_b32 v181, v232, v233 offset0:50 offset1:51
	s_waitcnt vmcnt(4)
	v_pk_mov_b32 v[232:233], v[168:169], v[170:171] op_sel:[1,0]
	ds_write2_b32 v181, v232, v233 offset0:52 offset1:53
	s_waitcnt vmcnt(2)
	v_pk_mov_b32 v[232:233], v[170:171], v[164:165] op_sel:[1,0]
	;; [unrolled: 3-line block ×3, first 2 shown]
	ds_write2_b32 v181, v232, v233 offset0:56 offset1:57
	ds_write_b32 v181, v179 offset:232
	ds_read_b32 v231, v180
	s_waitcnt lgkmcnt(0)
	v_cmp_neq_f32_e32 vcc, 0, v231
	s_and_b64 exec, exec, vcc
	s_cbranch_execz .LBB117_273
; %bb.272:
	v_div_scale_f32 v232, s[4:5], v231, v231, 1.0
	v_rcp_f32_e32 v233, v232
	v_div_scale_f32 v234, vcc, 1.0, v231, 1.0
	v_fma_f32 v235, -v232, v233, 1.0
	v_fmac_f32_e32 v233, v235, v233
	v_mul_f32_e32 v235, v234, v233
	v_fma_f32 v236, -v232, v235, v234
	v_fmac_f32_e32 v235, v236, v233
	v_fma_f32 v232, -v232, v235, v234
	v_div_fmas_f32 v232, v232, v233, v235
	v_div_fixup_f32 v231, v232, v231, 1.0
	ds_write_b32 v180, v231
.LBB117_273:
	s_or_b64 exec, exec, s[2:3]
	s_waitcnt lgkmcnt(0)
	s_barrier
	ds_read_b32 v231, v180
	v_cmp_lt_u32_e32 vcc, 49, v25
	s_and_saveexec_b64 s[2:3], vcc
	s_cbranch_execz .LBB117_275
; %bb.274:
	ds_read_b32 v240, v181 offset:200
	ds_read2_b32 v[232:233], v181 offset0:51 offset1:52
	ds_read2_b32 v[234:235], v181 offset0:53 offset1:54
	;; [unrolled: 1-line block ×4, first 2 shown]
	s_waitcnt vmcnt(9) lgkmcnt(5)
	v_mul_f32_e32 v166, v231, v166
	s_waitcnt vmcnt(8) lgkmcnt(4)
	v_fma_f32 v167, -v166, v240, v167
	s_waitcnt vmcnt(6) lgkmcnt(3)
	v_pk_fma_f32 v[168:169], v[166:167], v[232:233], v[168:169] op_sel_hi:[0,1,1] neg_lo:[1,0,0] neg_hi:[1,0,0]
	s_waitcnt vmcnt(4) lgkmcnt(2)
	v_pk_fma_f32 v[170:171], v[166:167], v[234:235], v[170:171] op_sel_hi:[0,1,1] neg_lo:[1,0,0] neg_hi:[1,0,0]
	;; [unrolled: 2-line block ×4, first 2 shown]
.LBB117_275:
	s_or_b64 exec, exec, s[2:3]
	v_cmp_ne_u32_e32 vcc, 50, v25
	s_waitcnt lgkmcnt(0)
	s_barrier
	s_and_saveexec_b64 s[2:3], vcc
	s_xor_b64 s[2:3], exec, s[2:3]
	s_andn2_saveexec_b64 s[2:3], s[2:3]
	s_cbranch_execz .LBB117_279
; %bb.276:
	s_waitcnt vmcnt(8)
	ds_write_b32 v180, v167
	s_waitcnt vmcnt(6)
	ds_write2_b32 v181, v168, v169 offset0:51 offset1:52
	s_waitcnt vmcnt(4)
	ds_write2_b32 v181, v170, v171 offset0:53 offset1:54
	;; [unrolled: 2-line block ×4, first 2 shown]
	ds_read_b32 v232, v180
	s_waitcnt lgkmcnt(0)
	v_cmp_neq_f32_e32 vcc, 0, v232
	s_and_saveexec_b64 s[4:5], vcc
	s_cbranch_execz .LBB117_278
; %bb.277:
	v_div_scale_f32 v233, s[10:11], v232, v232, 1.0
	v_rcp_f32_e32 v234, v233
	v_div_scale_f32 v235, vcc, 1.0, v232, 1.0
	v_fma_f32 v236, -v233, v234, 1.0
	v_fmac_f32_e32 v234, v236, v234
	v_mul_f32_e32 v236, v235, v234
	v_fma_f32 v237, -v233, v236, v235
	v_fmac_f32_e32 v236, v237, v234
	v_fma_f32 v233, -v233, v236, v235
	v_div_fmas_f32 v233, v233, v234, v236
	v_div_fixup_f32 v232, v233, v232, 1.0
	ds_write_b32 v180, v232
.LBB117_278:
	s_or_b64 exec, exec, s[4:5]
.LBB117_279:
	s_or_b64 exec, exec, s[2:3]
	s_waitcnt lgkmcnt(0)
	s_barrier
	ds_read_b32 v232, v180
	v_cmp_lt_u32_e32 vcc, 50, v25
	s_and_saveexec_b64 s[2:3], vcc
	s_cbranch_execz .LBB117_281
; %bb.280:
	ds_read2_b32 v[234:235], v181 offset0:51 offset1:52
	ds_read2_b32 v[236:237], v181 offset0:53 offset1:54
	;; [unrolled: 1-line block ×4, first 2 shown]
	s_waitcnt vmcnt(8) lgkmcnt(4)
	v_mul_f32_e32 v242, v232, v167
	s_waitcnt vmcnt(6) lgkmcnt(3)
	v_pk_fma_f32 v[168:169], v[242:243], v[234:235], v[168:169] op_sel_hi:[0,1,1] neg_lo:[1,0,0] neg_hi:[1,0,0]
	s_waitcnt vmcnt(4) lgkmcnt(2)
	v_pk_fma_f32 v[170:171], v[242:243], v[236:237], v[170:171] op_sel_hi:[0,1,1] neg_lo:[1,0,0] neg_hi:[1,0,0]
	;; [unrolled: 2-line block ×4, first 2 shown]
	v_mov_b32_e32 v167, v242
.LBB117_281:
	s_or_b64 exec, exec, s[2:3]
	v_cmp_eq_u32_e32 vcc, 51, v25
	s_waitcnt lgkmcnt(0)
	s_barrier
	s_and_saveexec_b64 s[2:3], vcc
	s_cbranch_execz .LBB117_284
; %bb.282:
	s_waitcnt vmcnt(4)
	v_pk_mov_b32 v[234:235], v[168:169], v[170:171] op_sel:[1,0]
	ds_write_b32 v180, v168
	ds_write2_b32 v181, v234, v235 offset0:52 offset1:53
	s_waitcnt vmcnt(2)
	v_pk_mov_b32 v[234:235], v[170:171], v[164:165] op_sel:[1,0]
	ds_write2_b32 v181, v234, v235 offset0:54 offset1:55
	s_waitcnt vmcnt(0)
	v_pk_mov_b32 v[234:235], v[164:165], v[178:179] op_sel:[1,0]
	ds_write2_b32 v181, v234, v235 offset0:56 offset1:57
	ds_write_b32 v181, v179 offset:232
	ds_read_b32 v233, v180
	s_waitcnt lgkmcnt(0)
	v_cmp_neq_f32_e32 vcc, 0, v233
	s_and_b64 exec, exec, vcc
	s_cbranch_execz .LBB117_284
; %bb.283:
	v_div_scale_f32 v234, s[4:5], v233, v233, 1.0
	v_rcp_f32_e32 v235, v234
	v_div_scale_f32 v236, vcc, 1.0, v233, 1.0
	v_fma_f32 v237, -v234, v235, 1.0
	v_fmac_f32_e32 v235, v237, v235
	v_mul_f32_e32 v237, v236, v235
	v_fma_f32 v238, -v234, v237, v236
	v_fmac_f32_e32 v237, v238, v235
	v_fma_f32 v234, -v234, v237, v236
	v_div_fmas_f32 v234, v234, v235, v237
	v_div_fixup_f32 v233, v234, v233, 1.0
	ds_write_b32 v180, v233
.LBB117_284:
	s_or_b64 exec, exec, s[2:3]
	s_waitcnt lgkmcnt(0)
	s_barrier
	ds_read_b32 v233, v180
	v_cmp_lt_u32_e32 vcc, 51, v25
	s_and_saveexec_b64 s[2:3], vcc
	s_cbranch_execz .LBB117_286
; %bb.285:
	ds_read_b32 v240, v181 offset:208
	ds_read2_b32 v[234:235], v181 offset0:53 offset1:54
	ds_read2_b32 v[236:237], v181 offset0:55 offset1:56
	;; [unrolled: 1-line block ×3, first 2 shown]
	s_waitcnt vmcnt(7) lgkmcnt(4)
	v_mul_f32_e32 v168, v233, v168
	s_waitcnt vmcnt(6) lgkmcnt(3)
	v_fma_f32 v169, -v168, v240, v169
	s_waitcnt vmcnt(4) lgkmcnt(2)
	v_pk_fma_f32 v[170:171], v[168:169], v[234:235], v[170:171] op_sel_hi:[0,1,1] neg_lo:[1,0,0] neg_hi:[1,0,0]
	s_waitcnt vmcnt(2) lgkmcnt(1)
	v_pk_fma_f32 v[164:165], v[168:169], v[236:237], v[164:165] op_sel_hi:[0,1,1] neg_lo:[1,0,0] neg_hi:[1,0,0]
	s_waitcnt vmcnt(0) lgkmcnt(0)
	v_pk_fma_f32 v[178:179], v[168:169], v[238:239], v[178:179] op_sel_hi:[0,1,1] neg_lo:[1,0,0] neg_hi:[1,0,0]
.LBB117_286:
	s_or_b64 exec, exec, s[2:3]
	v_cmp_ne_u32_e32 vcc, 52, v25
	s_waitcnt lgkmcnt(0)
	s_barrier
	s_and_saveexec_b64 s[2:3], vcc
	s_xor_b64 s[2:3], exec, s[2:3]
	s_andn2_saveexec_b64 s[2:3], s[2:3]
	s_cbranch_execz .LBB117_290
; %bb.287:
	s_waitcnt vmcnt(6)
	ds_write_b32 v180, v169
	s_waitcnt vmcnt(4)
	ds_write2_b32 v181, v170, v171 offset0:53 offset1:54
	s_waitcnt vmcnt(2)
	ds_write2_b32 v181, v164, v165 offset0:55 offset1:56
	;; [unrolled: 2-line block ×3, first 2 shown]
	ds_read_b32 v234, v180
	s_waitcnt lgkmcnt(0)
	v_cmp_neq_f32_e32 vcc, 0, v234
	s_and_saveexec_b64 s[4:5], vcc
	s_cbranch_execz .LBB117_289
; %bb.288:
	v_div_scale_f32 v235, s[10:11], v234, v234, 1.0
	v_rcp_f32_e32 v236, v235
	v_div_scale_f32 v237, vcc, 1.0, v234, 1.0
	v_fma_f32 v238, -v235, v236, 1.0
	v_fmac_f32_e32 v236, v238, v236
	v_mul_f32_e32 v238, v237, v236
	v_fma_f32 v239, -v235, v238, v237
	v_fmac_f32_e32 v238, v239, v236
	v_fma_f32 v235, -v235, v238, v237
	v_div_fmas_f32 v235, v235, v236, v238
	v_div_fixup_f32 v234, v235, v234, 1.0
	ds_write_b32 v180, v234
.LBB117_289:
	s_or_b64 exec, exec, s[4:5]
.LBB117_290:
	s_or_b64 exec, exec, s[2:3]
	s_waitcnt lgkmcnt(0)
	s_barrier
	ds_read_b32 v234, v180
	v_cmp_lt_u32_e32 vcc, 52, v25
	s_and_saveexec_b64 s[2:3], vcc
	s_cbranch_execz .LBB117_292
; %bb.291:
	ds_read2_b32 v[236:237], v181 offset0:53 offset1:54
	ds_read2_b32 v[238:239], v181 offset0:55 offset1:56
	ds_read2_b32 v[240:241], v181 offset0:57 offset1:58
	s_waitcnt vmcnt(6) lgkmcnt(3)
	v_mul_f32_e32 v242, v234, v169
	v_mov_b32_e32 v169, v242
	s_waitcnt vmcnt(4) lgkmcnt(2)
	v_pk_fma_f32 v[170:171], v[242:243], v[236:237], v[170:171] op_sel_hi:[0,1,1] neg_lo:[1,0,0] neg_hi:[1,0,0]
	s_waitcnt vmcnt(2) lgkmcnt(1)
	v_pk_fma_f32 v[164:165], v[242:243], v[238:239], v[164:165] op_sel_hi:[0,1,1] neg_lo:[1,0,0] neg_hi:[1,0,0]
	;; [unrolled: 2-line block ×3, first 2 shown]
.LBB117_292:
	s_or_b64 exec, exec, s[2:3]
	v_cmp_eq_u32_e32 vcc, 53, v25
	s_waitcnt lgkmcnt(0)
	s_barrier
	s_and_saveexec_b64 s[2:3], vcc
	s_cbranch_execz .LBB117_295
; %bb.293:
	s_waitcnt vmcnt(2)
	v_pk_mov_b32 v[236:237], v[170:171], v[164:165] op_sel:[1,0]
	ds_write_b32 v180, v170
	ds_write2_b32 v181, v236, v237 offset0:54 offset1:55
	s_waitcnt vmcnt(0)
	v_pk_mov_b32 v[236:237], v[164:165], v[178:179] op_sel:[1,0]
	ds_write2_b32 v181, v236, v237 offset0:56 offset1:57
	ds_write_b32 v181, v179 offset:232
	ds_read_b32 v235, v180
	s_waitcnt lgkmcnt(0)
	v_cmp_neq_f32_e32 vcc, 0, v235
	s_and_b64 exec, exec, vcc
	s_cbranch_execz .LBB117_295
; %bb.294:
	v_div_scale_f32 v236, s[4:5], v235, v235, 1.0
	v_rcp_f32_e32 v237, v236
	v_div_scale_f32 v238, vcc, 1.0, v235, 1.0
	v_fma_f32 v239, -v236, v237, 1.0
	v_fmac_f32_e32 v237, v239, v237
	v_mul_f32_e32 v239, v238, v237
	v_fma_f32 v240, -v236, v239, v238
	v_fmac_f32_e32 v239, v240, v237
	v_fma_f32 v236, -v236, v239, v238
	v_div_fmas_f32 v236, v236, v237, v239
	v_div_fixup_f32 v235, v236, v235, 1.0
	ds_write_b32 v180, v235
.LBB117_295:
	s_or_b64 exec, exec, s[2:3]
	s_waitcnt lgkmcnt(0)
	s_barrier
	ds_read_b32 v235, v180
	v_cmp_lt_u32_e32 vcc, 53, v25
	s_and_saveexec_b64 s[2:3], vcc
	s_cbranch_execz .LBB117_297
; %bb.296:
	ds_read_b32 v240, v181 offset:216
	ds_read2_b32 v[236:237], v181 offset0:55 offset1:56
	ds_read2_b32 v[238:239], v181 offset0:57 offset1:58
	s_waitcnt vmcnt(5) lgkmcnt(3)
	v_mul_f32_e32 v170, v235, v170
	s_waitcnt vmcnt(4) lgkmcnt(2)
	v_fma_f32 v171, -v170, v240, v171
	s_waitcnt vmcnt(2) lgkmcnt(1)
	v_pk_fma_f32 v[164:165], v[170:171], v[236:237], v[164:165] op_sel_hi:[0,1,1] neg_lo:[1,0,0] neg_hi:[1,0,0]
	s_waitcnt vmcnt(0) lgkmcnt(0)
	v_pk_fma_f32 v[178:179], v[170:171], v[238:239], v[178:179] op_sel_hi:[0,1,1] neg_lo:[1,0,0] neg_hi:[1,0,0]
.LBB117_297:
	s_or_b64 exec, exec, s[2:3]
	v_cmp_ne_u32_e32 vcc, 54, v25
	s_waitcnt lgkmcnt(0)
	s_barrier
	s_and_saveexec_b64 s[2:3], vcc
	s_xor_b64 s[2:3], exec, s[2:3]
	s_andn2_saveexec_b64 s[2:3], s[2:3]
	s_cbranch_execz .LBB117_301
; %bb.298:
	s_waitcnt vmcnt(4)
	ds_write_b32 v180, v171
	s_waitcnt vmcnt(2)
	ds_write2_b32 v181, v164, v165 offset0:55 offset1:56
	s_waitcnt vmcnt(0)
	ds_write2_b32 v181, v178, v179 offset0:57 offset1:58
	ds_read_b32 v236, v180
	s_waitcnt lgkmcnt(0)
	v_cmp_neq_f32_e32 vcc, 0, v236
	s_and_saveexec_b64 s[4:5], vcc
	s_cbranch_execz .LBB117_300
; %bb.299:
	v_div_scale_f32 v237, s[10:11], v236, v236, 1.0
	v_rcp_f32_e32 v238, v237
	v_div_scale_f32 v239, vcc, 1.0, v236, 1.0
	v_fma_f32 v240, -v237, v238, 1.0
	v_fmac_f32_e32 v238, v240, v238
	v_mul_f32_e32 v240, v239, v238
	v_fma_f32 v241, -v237, v240, v239
	v_fmac_f32_e32 v240, v241, v238
	v_fma_f32 v237, -v237, v240, v239
	v_div_fmas_f32 v237, v237, v238, v240
	v_div_fixup_f32 v236, v237, v236, 1.0
	ds_write_b32 v180, v236
.LBB117_300:
	s_or_b64 exec, exec, s[4:5]
.LBB117_301:
	s_or_b64 exec, exec, s[2:3]
	s_waitcnt lgkmcnt(0)
	s_barrier
	ds_read_b32 v236, v180
	v_cmp_lt_u32_e32 vcc, 54, v25
	s_and_saveexec_b64 s[2:3], vcc
	s_cbranch_execz .LBB117_303
; %bb.302:
	ds_read2_b32 v[238:239], v181 offset0:55 offset1:56
	ds_read2_b32 v[240:241], v181 offset0:57 offset1:58
	s_waitcnt vmcnt(4) lgkmcnt(2)
	v_mul_f32_e32 v242, v236, v171
	v_mov_b32_e32 v171, v242
	s_waitcnt vmcnt(2) lgkmcnt(1)
	v_pk_fma_f32 v[164:165], v[242:243], v[238:239], v[164:165] op_sel_hi:[0,1,1] neg_lo:[1,0,0] neg_hi:[1,0,0]
	s_waitcnt vmcnt(0) lgkmcnt(0)
	v_pk_fma_f32 v[178:179], v[242:243], v[240:241], v[178:179] op_sel_hi:[0,1,1] neg_lo:[1,0,0] neg_hi:[1,0,0]
.LBB117_303:
	s_or_b64 exec, exec, s[2:3]
	v_cmp_eq_u32_e32 vcc, 55, v25
	s_waitcnt lgkmcnt(0)
	s_barrier
	s_and_saveexec_b64 s[2:3], vcc
	s_cbranch_execz .LBB117_306
; %bb.304:
	s_waitcnt vmcnt(0)
	v_pk_mov_b32 v[238:239], v[164:165], v[178:179] op_sel:[1,0]
	ds_write_b32 v180, v164
	ds_write2_b32 v181, v238, v239 offset0:56 offset1:57
	ds_write_b32 v181, v179 offset:232
	ds_read_b32 v237, v180
	s_waitcnt lgkmcnt(0)
	v_cmp_neq_f32_e32 vcc, 0, v237
	s_and_b64 exec, exec, vcc
	s_cbranch_execz .LBB117_306
; %bb.305:
	v_div_scale_f32 v238, s[4:5], v237, v237, 1.0
	v_rcp_f32_e32 v239, v238
	v_div_scale_f32 v240, vcc, 1.0, v237, 1.0
	v_fma_f32 v241, -v238, v239, 1.0
	v_fmac_f32_e32 v239, v241, v239
	v_mul_f32_e32 v241, v240, v239
	v_fma_f32 v242, -v238, v241, v240
	v_fmac_f32_e32 v241, v242, v239
	v_fma_f32 v238, -v238, v241, v240
	v_div_fmas_f32 v238, v238, v239, v241
	v_div_fixup_f32 v237, v238, v237, 1.0
	ds_write_b32 v180, v237
.LBB117_306:
	s_or_b64 exec, exec, s[2:3]
	s_waitcnt lgkmcnt(0)
	s_barrier
	ds_read_b32 v237, v180
	v_cmp_lt_u32_e32 vcc, 55, v25
	s_and_saveexec_b64 s[2:3], vcc
	s_cbranch_execz .LBB117_308
; %bb.307:
	ds_read_b32 v240, v181 offset:224
	ds_read2_b32 v[238:239], v181 offset0:57 offset1:58
	s_waitcnt vmcnt(3) lgkmcnt(2)
	v_mul_f32_e32 v164, v237, v164
	s_waitcnt vmcnt(2) lgkmcnt(1)
	v_fma_f32 v165, -v164, v240, v165
	s_waitcnt vmcnt(0) lgkmcnt(0)
	v_pk_fma_f32 v[178:179], v[164:165], v[238:239], v[178:179] op_sel_hi:[0,1,1] neg_lo:[1,0,0] neg_hi:[1,0,0]
.LBB117_308:
	s_or_b64 exec, exec, s[2:3]
	v_cmp_ne_u32_e32 vcc, 56, v25
	s_waitcnt lgkmcnt(0)
	s_barrier
	s_and_saveexec_b64 s[2:3], vcc
	s_xor_b64 s[2:3], exec, s[2:3]
	s_andn2_saveexec_b64 s[2:3], s[2:3]
	s_cbranch_execz .LBB117_312
; %bb.309:
	s_waitcnt vmcnt(2)
	ds_write_b32 v180, v165
	s_waitcnt vmcnt(0)
	ds_write2_b32 v181, v178, v179 offset0:57 offset1:58
	ds_read_b32 v238, v180
	s_waitcnt lgkmcnt(0)
	v_cmp_neq_f32_e32 vcc, 0, v238
	s_and_saveexec_b64 s[4:5], vcc
	s_cbranch_execz .LBB117_311
; %bb.310:
	v_div_scale_f32 v239, s[10:11], v238, v238, 1.0
	v_rcp_f32_e32 v240, v239
	v_div_scale_f32 v241, vcc, 1.0, v238, 1.0
	v_fma_f32 v242, -v239, v240, 1.0
	v_fmac_f32_e32 v240, v242, v240
	v_mul_f32_e32 v242, v241, v240
	v_fma_f32 v243, -v239, v242, v241
	v_fmac_f32_e32 v242, v243, v240
	v_fma_f32 v239, -v239, v242, v241
	v_div_fmas_f32 v239, v239, v240, v242
	v_div_fixup_f32 v238, v239, v238, 1.0
	ds_write_b32 v180, v238
.LBB117_311:
	s_or_b64 exec, exec, s[4:5]
.LBB117_312:
	s_or_b64 exec, exec, s[2:3]
	s_waitcnt lgkmcnt(0)
	s_barrier
	ds_read_b32 v238, v180
	v_cmp_lt_u32_e32 vcc, 56, v25
	s_and_saveexec_b64 s[2:3], vcc
	s_cbranch_execz .LBB117_314
; %bb.313:
	ds_read2_b32 v[240:241], v181 offset0:57 offset1:58
	s_waitcnt vmcnt(2) lgkmcnt(1)
	v_mul_f32_e32 v242, v238, v165
	v_mov_b32_e32 v165, v242
	s_waitcnt vmcnt(0) lgkmcnt(0)
	v_pk_fma_f32 v[178:179], v[242:243], v[240:241], v[178:179] op_sel_hi:[0,1,1] neg_lo:[1,0,0] neg_hi:[1,0,0]
.LBB117_314:
	s_or_b64 exec, exec, s[2:3]
	v_cmp_eq_u32_e32 vcc, 57, v25
	s_waitcnt lgkmcnt(0)
	s_barrier
	s_and_saveexec_b64 s[2:3], vcc
	s_cbranch_execz .LBB117_317
; %bb.315:
	s_waitcnt vmcnt(1)
	ds_write_b32 v180, v178
	s_waitcnt vmcnt(0)
	ds_write_b32 v181, v179 offset:232
	ds_read_b32 v239, v180
	s_waitcnt lgkmcnt(0)
	v_cmp_neq_f32_e32 vcc, 0, v239
	s_and_b64 exec, exec, vcc
	s_cbranch_execz .LBB117_317
; %bb.316:
	v_div_scale_f32 v240, s[4:5], v239, v239, 1.0
	v_rcp_f32_e32 v241, v240
	v_div_scale_f32 v242, vcc, 1.0, v239, 1.0
	v_fma_f32 v243, -v240, v241, 1.0
	v_fmac_f32_e32 v241, v243, v241
	v_mul_f32_e32 v243, v242, v241
	v_fma_f32 v244, -v240, v243, v242
	v_fmac_f32_e32 v243, v244, v241
	v_fma_f32 v240, -v240, v243, v242
	v_div_fmas_f32 v240, v240, v241, v243
	v_div_fixup_f32 v239, v240, v239, 1.0
	ds_write_b32 v180, v239
.LBB117_317:
	s_or_b64 exec, exec, s[2:3]
	s_waitcnt lgkmcnt(0)
	s_barrier
	ds_read_b32 v239, v180
	v_cmp_lt_u32_e32 vcc, 57, v25
	s_and_saveexec_b64 s[2:3], vcc
	s_cbranch_execz .LBB117_319
; %bb.318:
	ds_read_b32 v181, v181 offset:232
	s_waitcnt vmcnt(1) lgkmcnt(1)
	v_mul_f32_e32 v178, v239, v178
	s_waitcnt vmcnt(0) lgkmcnt(0)
	v_fma_f32 v179, -v178, v181, v179
.LBB117_319:
	s_or_b64 exec, exec, s[2:3]
	v_cmp_ne_u32_e32 vcc, 58, v25
	s_waitcnt lgkmcnt(0)
	s_barrier
	s_and_saveexec_b64 s[2:3], vcc
	s_xor_b64 s[2:3], exec, s[2:3]
	s_andn2_saveexec_b64 s[2:3], s[2:3]
	s_cbranch_execz .LBB117_323
; %bb.320:
	s_waitcnt vmcnt(0)
	v_cmp_neq_f32_e32 vcc, 0, v179
	ds_write_b32 v180, v179
	s_and_saveexec_b64 s[4:5], vcc
	s_cbranch_execz .LBB117_322
; %bb.321:
	v_div_scale_f32 v181, s[10:11], v179, v179, 1.0
	v_rcp_f32_e32 v240, v181
	v_div_scale_f32 v241, vcc, 1.0, v179, 1.0
	v_fma_f32 v242, -v181, v240, 1.0
	v_fmac_f32_e32 v240, v242, v240
	v_mul_f32_e32 v242, v241, v240
	v_fma_f32 v243, -v181, v242, v241
	v_fmac_f32_e32 v242, v243, v240
	v_fma_f32 v181, -v181, v242, v241
	v_div_fmas_f32 v181, v181, v240, v242
	v_div_fixup_f32 v181, v181, v179, 1.0
	ds_write_b32 v180, v181
.LBB117_322:
	s_or_b64 exec, exec, s[4:5]
.LBB117_323:
	s_or_b64 exec, exec, s[2:3]
	s_waitcnt lgkmcnt(0)
	s_barrier
	ds_read_b32 v180, v180
	s_waitcnt lgkmcnt(0)
	s_barrier
	s_and_saveexec_b64 s[2:3], s[0:1]
	s_cbranch_execz .LBB117_326
; %bb.324:
	v_cmp_eq_f32_e32 vcc, 0, v182
	v_cmp_neq_f32_e64 s[0:1], 0, v183
	v_mov_b32_e32 v182, s6
	v_cndmask_b32_e64 v181, 0, 1, vcc
	s_or_b64 vcc, s[0:1], vcc
	v_cndmask_b32_e32 v181, 2, v181, vcc
	v_cmp_eq_f32_e32 vcc, 0, v184
	v_cmp_eq_u32_e64 s[0:1], 0, v181
	s_and_b64 s[0:1], vcc, s[0:1]
	v_cmp_eq_f32_e32 vcc, 0, v185
	v_cndmask_b32_e64 v181, v181, 3, s[0:1]
	v_cmp_eq_u32_e64 s[0:1], 0, v181
	s_and_b64 s[0:1], vcc, s[0:1]
	v_cmp_eq_f32_e32 vcc, 0, v186
	v_cndmask_b32_e64 v181, v181, 4, s[0:1]
	;; [unrolled: 4-line block ×29, first 2 shown]
	v_cmp_eq_u32_e64 s[0:1], 0, v181
	s_and_b64 s[0:1], vcc, s[0:1]
	v_mov_b32_e32 v183, s7
	v_cndmask_b32_e64 v181, v181, 32, s[0:1]
	v_cmp_eq_f32_e32 vcc, 0, v214
	v_cmp_eq_u32_e64 s[0:1], 0, v181
	v_lshl_add_u64 v[34:35], v[34:35], 2, v[182:183]
	s_and_b64 s[0:1], vcc, s[0:1]
	global_load_dword v182, v[34:35], off
	v_cndmask_b32_e64 v181, v181, 33, s[0:1]
	v_cmp_eq_f32_e32 vcc, 0, v215
	v_cmp_eq_u32_e64 s[0:1], 0, v181
	s_and_b64 s[0:1], vcc, s[0:1]
	v_cmp_eq_f32_e32 vcc, 0, v216
	v_cndmask_b32_e64 v181, v181, 34, s[0:1]
	v_cmp_eq_u32_e64 s[0:1], 0, v181
	s_and_b64 s[0:1], vcc, s[0:1]
	v_cmp_eq_f32_e32 vcc, 0, v217
	v_cndmask_b32_e64 v181, v181, 35, s[0:1]
	;; [unrolled: 4-line block ×25, first 2 shown]
	v_cmp_eq_u32_e64 s[0:1], 0, v181
	s_and_b64 s[0:1], vcc, s[0:1]
	s_waitcnt vmcnt(0)
	v_cmp_eq_u32_e32 vcc, 0, v182
	v_cndmask_b32_e64 v181, v181, 59, s[0:1]
	v_cmp_ne_u32_e64 s[0:1], 0, v181
	s_and_b64 s[0:1], vcc, s[0:1]
	s_and_b64 exec, exec, s[0:1]
	s_cbranch_execz .LBB117_326
; %bb.325:
	v_add_u32_e32 v181, s9, v181
	global_store_dword v[34:35], v181, off
.LBB117_326:
	s_or_b64 exec, exec, s[2:3]
	s_waitcnt vmcnt(0)
	v_mul_f32_e32 v34, v180, v179
	v_cmp_lt_u32_e32 vcc, 58, v25
	s_nop 1
	v_cndmask_b32_e32 v25, v179, v34, vcc
	global_store_dword v[0:1], v24, off
	global_store_dword v[2:3], v18, off
	;; [unrolled: 1-line block ×59, first 2 shown]
.LBB117_327:
	s_endpgm
	.section	.rodata,"a",@progbits
	.p2align	6, 0x0
	.amdhsa_kernel _ZN9rocsolver6v33100L23getf2_npvt_small_kernelILi59EfiiPfEEvT1_T3_lS3_lPT2_S3_S3_
		.amdhsa_group_segment_fixed_size 0
		.amdhsa_private_segment_fixed_size 0
		.amdhsa_kernarg_size 312
		.amdhsa_user_sgpr_count 2
		.amdhsa_user_sgpr_dispatch_ptr 0
		.amdhsa_user_sgpr_queue_ptr 0
		.amdhsa_user_sgpr_kernarg_segment_ptr 1
		.amdhsa_user_sgpr_dispatch_id 0
		.amdhsa_user_sgpr_kernarg_preload_length 0
		.amdhsa_user_sgpr_kernarg_preload_offset 0
		.amdhsa_user_sgpr_private_segment_size 0
		.amdhsa_uses_dynamic_stack 0
		.amdhsa_enable_private_segment 0
		.amdhsa_system_sgpr_workgroup_id_x 1
		.amdhsa_system_sgpr_workgroup_id_y 1
		.amdhsa_system_sgpr_workgroup_id_z 0
		.amdhsa_system_sgpr_workgroup_info 0
		.amdhsa_system_vgpr_workitem_id 1
		.amdhsa_next_free_vgpr 245
		.amdhsa_next_free_sgpr 16
		.amdhsa_accum_offset 248
		.amdhsa_reserve_vcc 1
		.amdhsa_float_round_mode_32 0
		.amdhsa_float_round_mode_16_64 0
		.amdhsa_float_denorm_mode_32 3
		.amdhsa_float_denorm_mode_16_64 3
		.amdhsa_dx10_clamp 1
		.amdhsa_ieee_mode 1
		.amdhsa_fp16_overflow 0
		.amdhsa_tg_split 0
		.amdhsa_exception_fp_ieee_invalid_op 0
		.amdhsa_exception_fp_denorm_src 0
		.amdhsa_exception_fp_ieee_div_zero 0
		.amdhsa_exception_fp_ieee_overflow 0
		.amdhsa_exception_fp_ieee_underflow 0
		.amdhsa_exception_fp_ieee_inexact 0
		.amdhsa_exception_int_div_zero 0
	.end_amdhsa_kernel
	.section	.text._ZN9rocsolver6v33100L23getf2_npvt_small_kernelILi59EfiiPfEEvT1_T3_lS3_lPT2_S3_S3_,"axG",@progbits,_ZN9rocsolver6v33100L23getf2_npvt_small_kernelILi59EfiiPfEEvT1_T3_lS3_lPT2_S3_S3_,comdat
.Lfunc_end117:
	.size	_ZN9rocsolver6v33100L23getf2_npvt_small_kernelILi59EfiiPfEEvT1_T3_lS3_lPT2_S3_S3_, .Lfunc_end117-_ZN9rocsolver6v33100L23getf2_npvt_small_kernelILi59EfiiPfEEvT1_T3_lS3_lPT2_S3_S3_
                                        ; -- End function
	.set _ZN9rocsolver6v33100L23getf2_npvt_small_kernelILi59EfiiPfEEvT1_T3_lS3_lPT2_S3_S3_.num_vgpr, 245
	.set _ZN9rocsolver6v33100L23getf2_npvt_small_kernelILi59EfiiPfEEvT1_T3_lS3_lPT2_S3_S3_.num_agpr, 0
	.set _ZN9rocsolver6v33100L23getf2_npvt_small_kernelILi59EfiiPfEEvT1_T3_lS3_lPT2_S3_S3_.numbered_sgpr, 16
	.set _ZN9rocsolver6v33100L23getf2_npvt_small_kernelILi59EfiiPfEEvT1_T3_lS3_lPT2_S3_S3_.num_named_barrier, 0
	.set _ZN9rocsolver6v33100L23getf2_npvt_small_kernelILi59EfiiPfEEvT1_T3_lS3_lPT2_S3_S3_.private_seg_size, 0
	.set _ZN9rocsolver6v33100L23getf2_npvt_small_kernelILi59EfiiPfEEvT1_T3_lS3_lPT2_S3_S3_.uses_vcc, 1
	.set _ZN9rocsolver6v33100L23getf2_npvt_small_kernelILi59EfiiPfEEvT1_T3_lS3_lPT2_S3_S3_.uses_flat_scratch, 0
	.set _ZN9rocsolver6v33100L23getf2_npvt_small_kernelILi59EfiiPfEEvT1_T3_lS3_lPT2_S3_S3_.has_dyn_sized_stack, 0
	.set _ZN9rocsolver6v33100L23getf2_npvt_small_kernelILi59EfiiPfEEvT1_T3_lS3_lPT2_S3_S3_.has_recursion, 0
	.set _ZN9rocsolver6v33100L23getf2_npvt_small_kernelILi59EfiiPfEEvT1_T3_lS3_lPT2_S3_S3_.has_indirect_call, 0
	.section	.AMDGPU.csdata,"",@progbits
; Kernel info:
; codeLenInByte = 45480
; TotalNumSgprs: 22
; NumVgprs: 245
; NumAgprs: 0
; TotalNumVgprs: 245
; ScratchSize: 0
; MemoryBound: 0
; FloatMode: 240
; IeeeMode: 1
; LDSByteSize: 0 bytes/workgroup (compile time only)
; SGPRBlocks: 2
; VGPRBlocks: 30
; NumSGPRsForWavesPerEU: 22
; NumVGPRsForWavesPerEU: 245
; AccumOffset: 248
; Occupancy: 2
; WaveLimiterHint : 0
; COMPUTE_PGM_RSRC2:SCRATCH_EN: 0
; COMPUTE_PGM_RSRC2:USER_SGPR: 2
; COMPUTE_PGM_RSRC2:TRAP_HANDLER: 0
; COMPUTE_PGM_RSRC2:TGID_X_EN: 1
; COMPUTE_PGM_RSRC2:TGID_Y_EN: 1
; COMPUTE_PGM_RSRC2:TGID_Z_EN: 0
; COMPUTE_PGM_RSRC2:TIDIG_COMP_CNT: 1
; COMPUTE_PGM_RSRC3_GFX90A:ACCUM_OFFSET: 61
; COMPUTE_PGM_RSRC3_GFX90A:TG_SPLIT: 0
	.section	.text._ZN9rocsolver6v33100L18getf2_small_kernelILi60EfiiPfEEvT1_T3_lS3_lPS3_llPT2_S3_S3_S5_l,"axG",@progbits,_ZN9rocsolver6v33100L18getf2_small_kernelILi60EfiiPfEEvT1_T3_lS3_lPS3_llPT2_S3_S3_S5_l,comdat
	.globl	_ZN9rocsolver6v33100L18getf2_small_kernelILi60EfiiPfEEvT1_T3_lS3_lPS3_llPT2_S3_S3_S5_l ; -- Begin function _ZN9rocsolver6v33100L18getf2_small_kernelILi60EfiiPfEEvT1_T3_lS3_lPS3_llPT2_S3_S3_S5_l
	.p2align	8
	.type	_ZN9rocsolver6v33100L18getf2_small_kernelILi60EfiiPfEEvT1_T3_lS3_lPS3_llPT2_S3_S3_S5_l,@function
_ZN9rocsolver6v33100L18getf2_small_kernelILi60EfiiPfEEvT1_T3_lS3_lPS3_llPT2_S3_S3_S5_l: ; @_ZN9rocsolver6v33100L18getf2_small_kernelILi60EfiiPfEEvT1_T3_lS3_lPS3_llPT2_S3_S3_S5_l
; %bb.0:
	s_load_dword s2, s[0:1], 0x6c
	s_load_dwordx2 s[18:19], s[0:1], 0x48
	v_bfe_u32 v65, v0, 10, 10
	s_waitcnt lgkmcnt(0)
	s_lshr_b32 s2, s2, 16
	s_mul_i32 s3, s3, s2
	v_add_u32_e32 v2, s3, v65
	v_cmp_gt_i32_e32 vcc, s18, v2
	s_and_saveexec_b64 s[2:3], vcc
	s_cbranch_execz .LBB118_1017
; %bb.1:
	s_load_dwordx4 s[4:7], s[0:1], 0x50
	v_ashrrev_i32_e32 v3, 31, v2
	v_mov_b64_e32 v[4:5], 0
	s_waitcnt lgkmcnt(0)
	s_cmp_eq_u64 s[4:5], 0
	s_cselect_b64 s[20:21], -1, 0
	s_and_b64 vcc, exec, s[20:21]
	s_cbranch_vccnz .LBB118_3
; %bb.2:
	v_mul_lo_u32 v1, s7, v2
	v_mul_lo_u32 v6, s6, v3
	v_mad_u64_u32 v[4:5], s[2:3], s6, v2, 0
	v_add3_u32 v5, v5, v6, v1
	v_lshl_add_u64 v[4:5], v[4:5], 2, s[4:5]
.LBB118_3:
	s_load_dwordx4 s[12:15], s[0:1], 0x8
	s_load_dwordx8 s[4:11], s[0:1], 0x20
	s_load_dword s16, s[0:1], 0x18
	s_load_dword s22, s[0:1], 0x0
	v_and_b32_e32 v76, 0x3ff, v0
	s_waitcnt lgkmcnt(0)
	v_mov_b32_e32 v6, s12
	v_mul_lo_u32 v1, s5, v2
	v_mul_lo_u32 v10, s4, v3
	v_mad_u64_u32 v[8:9], s[2:3], s4, v2, 0
	v_mov_b32_e32 v7, s13
	v_add3_u32 v9, v9, v10, v1
	s_add_i32 s18, s16, s16
	v_lshl_add_u64 v[6:7], v[8:9], 2, v[6:7]
	v_add_u32_e32 v0, s18, v76
	v_lshl_add_u64 v[6:7], s[14:15], 2, v[6:7]
	v_ashrrev_i32_e32 v1, 31, v0
	v_lshl_add_u64 v[58:59], v[0:1], 2, v[6:7]
	v_add_u32_e32 v0, s16, v0
	v_ashrrev_i32_e32 v1, 31, v0
	v_lshl_add_u64 v[66:67], v[0:1], 2, v[6:7]
	v_add_u32_e32 v0, s16, v0
	;; [unrolled: 3-line block ×4, first 2 shown]
	v_ashrrev_i32_e32 v1, 31, v0
	v_add_u32_e32 v60, s16, v0
	v_lshl_add_u64 v[70:71], v[0:1], 2, v[6:7]
	v_add_u32_e32 v0, s16, v60
	v_ashrrev_i32_e32 v1, 31, v0
	v_lshl_add_u64 v[8:9], v[0:1], 2, v[6:7]
	v_add_u32_e32 v0, s16, v0
	v_ashrrev_i32_e32 v1, 31, v0
	;; [unrolled: 3-line block ×9, first 2 shown]
	global_load_dword v56, v[8:9], off
	global_load_dword v57, v[10:11], off
	global_load_dword v52, v[12:13], off
	global_load_dword v53, v[14:15], off
	global_load_dword v46, v[16:17], off
	global_load_dword v47, v[18:19], off
	global_load_dword v38, v[20:21], off
	global_load_dword v39, v[22:23], off
	v_lshl_add_u64 v[8:9], v[0:1], 2, v[6:7]
	v_add_u32_e32 v0, s16, v0
	v_ashrrev_i32_e32 v1, 31, v0
	v_lshl_add_u64 v[10:11], v[0:1], 2, v[6:7]
	v_add_u32_e32 v0, s16, v0
	v_ashrrev_i32_e32 v1, 31, v0
	v_lshl_add_u64 v[12:13], v[0:1], 2, v[6:7]
	v_add_u32_e32 v0, s16, v0
	v_ashrrev_i32_e32 v1, 31, v0
	v_lshl_add_u64 v[14:15], v[0:1], 2, v[6:7]
	v_add_u32_e32 v0, s16, v0
	v_ashrrev_i32_e32 v1, 31, v0
	v_lshl_add_u64 v[16:17], v[0:1], 2, v[6:7]
	v_add_u32_e32 v0, s16, v0
	v_ashrrev_i32_e32 v1, 31, v0
	v_lshl_add_u64 v[18:19], v[0:1], 2, v[6:7]
	v_add_u32_e32 v0, s16, v0
	v_ashrrev_i32_e32 v1, 31, v0
	v_lshl_add_u64 v[20:21], v[0:1], 2, v[6:7]
	v_add_u32_e32 v0, s16, v0
	v_ashrrev_i32_e32 v1, 31, v0
	v_lshl_add_u64 v[22:23], v[0:1], 2, v[6:7]
	v_add_u32_e32 v0, s16, v0
	v_ashrrev_i32_e32 v1, 31, v0
	global_load_dword v54, v[8:9], off
	global_load_dword v55, v[10:11], off
	global_load_dword v48, v[12:13], off
	global_load_dword v49, v[14:15], off
	global_load_dword v40, v[16:17], off
	global_load_dword v41, v[18:19], off
	global_load_dword v30, v[20:21], off
	global_load_dword v31, v[22:23], off
	v_lshl_add_u64 v[8:9], v[0:1], 2, v[6:7]
	v_add_u32_e32 v0, s16, v0
	v_ashrrev_i32_e32 v1, 31, v0
	v_lshl_add_u64 v[10:11], v[0:1], 2, v[6:7]
	v_add_u32_e32 v0, s16, v0
	v_ashrrev_i32_e32 v1, 31, v0
	v_lshl_add_u64 v[12:13], v[0:1], 2, v[6:7]
	v_add_u32_e32 v0, s16, v0
	v_ashrrev_i32_e32 v1, 31, v0
	v_lshl_add_u64 v[14:15], v[0:1], 2, v[6:7]
	v_add_u32_e32 v0, s16, v0
	v_ashrrev_i32_e32 v1, 31, v0
	v_lshl_add_u64 v[16:17], v[0:1], 2, v[6:7]
	v_add_u32_e32 v0, s16, v0
	v_ashrrev_i32_e32 v1, 31, v0
	v_lshl_add_u64 v[18:19], v[0:1], 2, v[6:7]
	v_add_u32_e32 v0, s16, v0
	v_ashrrev_i32_e32 v1, 31, v0
	v_lshl_add_u64 v[20:21], v[0:1], 2, v[6:7]
	v_add_u32_e32 v0, s16, v0
	v_ashrrev_i32_e32 v1, 31, v0
	v_lshl_add_u64 v[24:25], v[0:1], 2, v[6:7]
	v_add_u32_e32 v0, s16, v0
	v_ashrrev_i32_e32 v1, 31, v0
	;; [unrolled: 32-line block ×4, first 2 shown]
	global_load_dword v36, v[8:9], off
	global_load_dword v37, v[12:13], off
	;; [unrolled: 1-line block ×8, first 2 shown]
	v_lshl_add_u64 v[8:9], v[0:1], 2, v[6:7]
	v_add_u32_e32 v0, s16, v0
	v_ashrrev_i32_e32 v1, 31, v0
	v_lshl_add_u64 v[12:13], v[0:1], 2, v[6:7]
	v_add_u32_e32 v0, s16, v0
	v_ashrrev_i32_e32 v1, 31, v0
	;; [unrolled: 3-line block ×5, first 2 shown]
	v_lshl_add_u64 v[78:79], v[0:1], 2, v[6:7]
	v_add_u32_e32 v0, s16, v0
	v_add_u32_e32 v82, s16, v0
	v_ashrrev_i32_e32 v1, 31, v0
	v_ashrrev_i32_e32 v83, 31, v82
	v_lshl_add_u64 v[80:81], v[0:1], 2, v[6:7]
	v_lshl_add_u64 v[84:85], v[82:83], 2, v[6:7]
	global_load_dword v28, v[8:9], off
	global_load_dword v29, v[12:13], off
	;; [unrolled: 1-line block ×3, first 2 shown]
                                        ; kill: killed $vgpr8_vgpr9
                                        ; kill: killed $vgpr12_vgpr13
                                        ; kill: killed $vgpr14_vgpr15
	global_load_dword v21, v[62:63], off
	s_nop 0
	global_load_dword v14, v[74:75], off
	global_load_dword v15, v[78:79], off
	;; [unrolled: 1-line block ×4, first 2 shown]
	v_add_u32_e32 v8, s16, v82
	v_ashrrev_i32_e32 v9, 31, v8
	v_lshl_add_u64 v[62:63], v[8:9], 2, v[6:7]
	v_add_u32_e32 v8, s16, v8
	v_ashrrev_i32_e32 v9, 31, v8
	v_lshl_add_u64 v[74:75], v[8:9], 2, v[6:7]
	;; [unrolled: 3-line block ×4, first 2 shown]
	global_load_dword v12, v[62:63], off
	global_load_dword v13, v[74:75], off
	;; [unrolled: 1-line block ×4, first 2 shown]
	v_lshlrev_b32_e32 v74, 2, v76
	v_mov_b32_e32 v75, 0
	v_ashrrev_i32_e32 v61, 31, v60
	v_lshl_add_u64 v[62:63], v[6:7], 0, v[74:75]
	s_ashr_i32 s17, s16, 31
	global_load_dword v64, v[62:63], off
	v_lshl_add_u64 v[78:79], v[60:61], 2, v[6:7]
	v_lshl_add_u64 v[80:81], s[16:17], 2, v[62:63]
	global_load_dword v62, v[58:59], off
	global_load_dword v63, v[66:67], off
	;; [unrolled: 1-line block ×3, first 2 shown]
                                        ; kill: killed $vgpr58_vgpr59
                                        ; kill: killed $vgpr66_vgpr67
                                        ; kill: killed $vgpr72_vgpr73
	global_load_dword v61, v[68:69], off
	s_nop 0
	global_load_dword v58, v[70:71], off
	global_load_dword v59, v[78:79], off
	global_load_dword v66, v[80:81], off
	s_max_i32 s2, s22, 60
	v_mul_lo_u32 v68, s2, v65
	v_lshl_add_u32 v65, v68, 2, 0
	v_add_u32_e32 v67, v65, v74
	s_load_dwordx2 s[4:5], s[0:1], 0x40
	s_cmp_lt_i32 s22, 2
	v_lshlrev_b32_e32 v70, 2, v68
	s_waitcnt vmcnt(7)
	ds_write_b32 v67, v64
	s_waitcnt lgkmcnt(0)
	s_barrier
	ds_read_b32 v67, v65
	s_cbranch_scc1 .LBB118_6
; %bb.4:
	v_add3_u32 v68, v70, 0, 4
	v_mov_b32_e32 v75, 0
	s_mov_b32 s0, 1
.LBB118_5:                              ; =>This Inner Loop Header: Depth=1
	ds_read_b32 v69, v68
	v_mov_b32_e32 v71, s0
	s_add_i32 s0, s0, 1
	v_add_u32_e32 v68, 4, v68
	s_cmp_eq_u32 s22, s0
	s_waitcnt lgkmcnt(0)
	v_cmp_lt_f32_e64 vcc, |v67|, |v69|
	s_nop 1
	v_cndmask_b32_e32 v67, v67, v69, vcc
	v_cndmask_b32_e32 v75, v75, v71, vcc
	s_cbranch_scc0 .LBB118_5
.LBB118_6:
	v_cmp_ne_u32_e32 vcc, v76, v75
                                        ; implicit-def: $vgpr71
	s_and_saveexec_b64 s[0:1], vcc
	s_xor_b64 s[0:1], exec, s[0:1]
	s_cbranch_execz .LBB118_12
; %bb.7:
	v_cmp_eq_u32_e32 vcc, 0, v76
	s_and_saveexec_b64 s[2:3], vcc
	s_cbranch_execz .LBB118_11
; %bb.8:
	v_cmp_ne_u32_e32 vcc, 0, v75
	s_xor_b64 s[12:13], s[20:21], -1
	s_and_b64 s[14:15], s[12:13], vcc
	s_and_saveexec_b64 s[12:13], s[14:15]
	s_cbranch_execz .LBB118_10
; %bb.9:
	v_ashrrev_i32_e32 v69, 31, v75
	v_mov_b32_e32 v68, v75
	v_lshl_add_u64 v[68:69], v[68:69], 2, v[4:5]
	global_load_dword v71, v[68:69], off
	global_load_dword v72, v[4:5], off
	s_waitcnt vmcnt(1)
	global_store_dword v[4:5], v71, off
	s_waitcnt vmcnt(1)
	global_store_dword v[68:69], v72, off
.LBB118_10:
	s_or_b64 exec, exec, s[12:13]
	v_mov_b32_e32 v76, v75
.LBB118_11:
	s_or_b64 exec, exec, s[2:3]
	v_mov_b32_e32 v71, v76
                                        ; implicit-def: $vgpr76
.LBB118_12:
	s_or_saveexec_b64 s[0:1], s[0:1]
	v_mov_b32_e32 v69, v71
	s_xor_b64 exec, exec, s[0:1]
	s_cbranch_execz .LBB118_14
; %bb.13:
	v_mov_b32_e32 v71, 0
	v_mov_b32_e32 v69, v76
	s_waitcnt vmcnt(0)
	ds_write2_b32 v65, v66, v62 offset0:1 offset1:2
	ds_write2_b32 v65, v63, v60 offset0:3 offset1:4
	;; [unrolled: 1-line block ×29, first 2 shown]
	ds_write_b32 v65, v9 offset:236
.LBB118_14:
	s_or_b64 exec, exec, s[0:1]
	s_waitcnt lgkmcnt(0)
	v_cmp_eq_f32_e64 s[0:1], 0, v67
	v_cmp_lt_i32_e32 vcc, 0, v71
	s_barrier
	s_and_saveexec_b64 s[2:3], vcc
	s_cbranch_execz .LBB118_16
; %bb.15:
	v_div_scale_f32 v68, s[12:13], v67, v67, 1.0
	v_rcp_f32_e32 v72, v68
	v_div_scale_f32 v73, vcc, 1.0, v67, 1.0
	v_fma_f32 v74, -v68, v72, 1.0
	v_fmac_f32_e32 v72, v74, v72
	v_mul_f32_e32 v74, v73, v72
	v_fma_f32 v75, -v68, v74, v73
	v_fmac_f32_e32 v74, v75, v72
	v_fma_f32 v68, -v68, v74, v73
	v_div_fmas_f32 v68, v68, v72, v74
	v_div_fixup_f32 v68, v68, v67, 1.0
	v_cndmask_b32_e64 v67, v68, v67, s[0:1]
	ds_read_b32 v68, v65 offset:4
	ds_read2_b32 v[72:73], v65 offset0:2 offset1:3
	ds_read2_b32 v[74:75], v65 offset0:4 offset1:5
	ds_read2_b32 v[76:77], v65 offset0:6 offset1:7
	v_mul_f32_e32 v64, v67, v64
	s_waitcnt vmcnt(0) lgkmcnt(3)
	v_fma_f32 v66, -v64, v68, v66
	s_waitcnt lgkmcnt(2)
	v_pk_fma_f32 v[62:63], v[64:65], v[72:73], v[62:63] op_sel_hi:[0,1,1] neg_lo:[1,0,0] neg_hi:[1,0,0]
	s_waitcnt lgkmcnt(1)
	v_pk_fma_f32 v[60:61], v[64:65], v[74:75], v[60:61] op_sel_hi:[0,1,1] neg_lo:[1,0,0] neg_hi:[1,0,0]
	ds_read2_b32 v[72:73], v65 offset0:8 offset1:9
	ds_read2_b32 v[74:75], v65 offset0:10 offset1:11
	ds_read2_b32 v[78:79], v65 offset0:12 offset1:13
	s_waitcnt lgkmcnt(3)
	v_pk_fma_f32 v[58:59], v[64:65], v[76:77], v[58:59] op_sel_hi:[0,1,1] neg_lo:[1,0,0] neg_hi:[1,0,0]
	ds_read2_b32 v[76:77], v65 offset0:14 offset1:15
	s_waitcnt lgkmcnt(3)
	v_pk_fma_f32 v[56:57], v[64:65], v[72:73], v[56:57] op_sel_hi:[0,1,1] neg_lo:[1,0,0] neg_hi:[1,0,0]
	s_waitcnt lgkmcnt(2)
	v_pk_fma_f32 v[52:53], v[64:65], v[74:75], v[52:53] op_sel_hi:[0,1,1] neg_lo:[1,0,0] neg_hi:[1,0,0]
	s_waitcnt lgkmcnt(1)
	v_pk_fma_f32 v[46:47], v[64:65], v[78:79], v[46:47] op_sel_hi:[0,1,1] neg_lo:[1,0,0] neg_hi:[1,0,0]
	ds_read2_b32 v[72:73], v65 offset0:16 offset1:17
	ds_read2_b32 v[74:75], v65 offset0:18 offset1:19
	ds_read2_b32 v[78:79], v65 offset0:20 offset1:21
	s_waitcnt lgkmcnt(3)
	v_pk_fma_f32 v[38:39], v[64:65], v[76:77], v[38:39] op_sel_hi:[0,1,1] neg_lo:[1,0,0] neg_hi:[1,0,0]
	ds_read2_b32 v[76:77], v65 offset0:22 offset1:23
	s_waitcnt lgkmcnt(3)
	v_pk_fma_f32 v[54:55], v[64:65], v[72:73], v[54:55] op_sel_hi:[0,1,1] neg_lo:[1,0,0] neg_hi:[1,0,0]
	;; [unrolled: 12-line block ×5, first 2 shown]
	ds_read2_b32 v[72:73], v65 offset0:48 offset1:49
	s_waitcnt lgkmcnt(3)
	v_pk_fma_f32 v[26:27], v[64:65], v[74:75], v[26:27] op_sel_hi:[0,1,1] neg_lo:[1,0,0] neg_hi:[1,0,0]
	s_waitcnt lgkmcnt(2)
	v_pk_fma_f32 v[18:19], v[64:65], v[78:79], v[18:19] op_sel_hi:[0,1,1] neg_lo:[1,0,0] neg_hi:[1,0,0]
	;; [unrolled: 2-line block ×3, first 2 shown]
	ds_read2_b32 v[74:75], v65 offset0:50 offset1:51
	ds_read2_b32 v[76:77], v65 offset0:52 offset1:53
	;; [unrolled: 1-line block ×3, first 2 shown]
	s_waitcnt lgkmcnt(3)
	v_pk_fma_f32 v[28:29], v[64:65], v[72:73], v[28:29] op_sel_hi:[0,1,1] neg_lo:[1,0,0] neg_hi:[1,0,0]
	ds_read2_b32 v[72:73], v65 offset0:56 offset1:57
	ds_read2_b32 v[80:81], v65 offset0:58 offset1:59
	s_waitcnt lgkmcnt(4)
	v_pk_fma_f32 v[20:21], v[64:65], v[74:75], v[20:21] op_sel_hi:[0,1,1] neg_lo:[1,0,0] neg_hi:[1,0,0]
	s_waitcnt lgkmcnt(3)
	v_pk_fma_f32 v[14:15], v[64:65], v[76:77], v[14:15] op_sel_hi:[0,1,1] neg_lo:[1,0,0] neg_hi:[1,0,0]
	;; [unrolled: 2-line block ×5, first 2 shown]
.LBB118_16:
	s_or_b64 exec, exec, s[2:3]
	v_lshl_add_u32 v67, v71, 2, v65
	s_barrier
	s_waitcnt vmcnt(0)
	ds_write_b32 v67, v66
	s_waitcnt lgkmcnt(0)
	s_barrier
	ds_read_b32 v67, v65 offset:4
	s_mov_b32 s2, 2
	s_cmp_lt_i32 s22, 3
	v_mov_b32_e32 v68, 1
	s_cbranch_scc1 .LBB118_19
; %bb.17:
	v_add3_u32 v72, v70, 0, 8
	v_mov_b32_e32 v68, 1
.LBB118_18:                             ; =>This Inner Loop Header: Depth=1
	ds_read_b32 v73, v72
	v_mov_b32_e32 v74, s2
	s_add_i32 s2, s2, 1
	v_add_u32_e32 v72, 4, v72
	s_cmp_lg_u32 s22, s2
	s_waitcnt lgkmcnt(0)
	v_cmp_lt_f32_e64 vcc, |v67|, |v73|
	s_nop 1
	v_cndmask_b32_e32 v67, v67, v73, vcc
	v_cndmask_b32_e32 v68, v68, v74, vcc
	s_cbranch_scc1 .LBB118_18
.LBB118_19:
	v_cmp_ne_u32_e32 vcc, v71, v68
	s_and_saveexec_b64 s[2:3], vcc
	s_xor_b64 s[2:3], exec, s[2:3]
	s_cbranch_execz .LBB118_25
; %bb.20:
	v_cmp_eq_u32_e32 vcc, 1, v71
	s_and_saveexec_b64 s[12:13], vcc
	s_cbranch_execz .LBB118_24
; %bb.21:
	v_cmp_ne_u32_e32 vcc, 1, v68
	s_xor_b64 s[14:15], s[20:21], -1
	s_and_b64 s[24:25], s[14:15], vcc
	s_and_saveexec_b64 s[14:15], s[24:25]
	s_cbranch_execz .LBB118_23
; %bb.22:
	v_ashrrev_i32_e32 v69, 31, v68
	v_lshl_add_u64 v[72:73], v[68:69], 2, v[4:5]
	global_load_dword v69, v[72:73], off
	global_load_dword v71, v[4:5], off offset:4
	s_waitcnt vmcnt(1)
	global_store_dword v[4:5], v69, off offset:4
	s_waitcnt vmcnt(1)
	global_store_dword v[72:73], v71, off
.LBB118_23:
	s_or_b64 exec, exec, s[14:15]
	v_mov_b32_e32 v69, v68
	v_mov_b32_e32 v71, v68
.LBB118_24:
	s_or_b64 exec, exec, s[12:13]
.LBB118_25:
	s_andn2_saveexec_b64 s[2:3], s[2:3]
	s_cbranch_execz .LBB118_27
; %bb.26:
	v_mov_b32_e32 v71, 1
	ds_write2_b32 v65, v62, v63 offset0:2 offset1:3
	ds_write2_b32 v65, v60, v61 offset0:4 offset1:5
	;; [unrolled: 1-line block ×29, first 2 shown]
.LBB118_27:
	s_or_b64 exec, exec, s[2:3]
	s_waitcnt lgkmcnt(0)
	v_cmp_neq_f32_e64 s[2:3], 0, v67
	v_cmp_lt_i32_e32 vcc, 1, v71
	s_barrier
	s_and_saveexec_b64 s[12:13], vcc
	s_cbranch_execz .LBB118_29
; %bb.28:
	v_div_scale_f32 v68, s[14:15], v67, v67, 1.0
	v_rcp_f32_e32 v72, v68
	v_div_scale_f32 v73, vcc, 1.0, v67, 1.0
	v_fma_f32 v74, -v68, v72, 1.0
	v_fmac_f32_e32 v72, v74, v72
	v_mul_f32_e32 v74, v73, v72
	v_fma_f32 v75, -v68, v74, v73
	v_fmac_f32_e32 v74, v75, v72
	v_fma_f32 v68, -v68, v74, v73
	v_div_fmas_f32 v68, v68, v72, v74
	ds_read2_b32 v[72:73], v65 offset0:2 offset1:3
	ds_read2_b32 v[74:75], v65 offset0:4 offset1:5
	;; [unrolled: 1-line block ×3, first 2 shown]
	v_div_fixup_f32 v68, v68, v67, 1.0
	v_cndmask_b32_e64 v67, v67, v68, s[2:3]
	v_mul_f32_e32 v66, v67, v66
	ds_read2_b32 v[78:79], v65 offset0:8 offset1:9
	s_waitcnt lgkmcnt(3)
	v_pk_fma_f32 v[62:63], v[66:67], v[72:73], v[62:63] op_sel_hi:[0,1,1] neg_lo:[1,0,0] neg_hi:[1,0,0]
	s_waitcnt lgkmcnt(2)
	v_pk_fma_f32 v[60:61], v[66:67], v[74:75], v[60:61] op_sel_hi:[0,1,1] neg_lo:[1,0,0] neg_hi:[1,0,0]
	s_waitcnt lgkmcnt(1)
	v_pk_fma_f32 v[58:59], v[66:67], v[76:77], v[58:59] op_sel_hi:[0,1,1] neg_lo:[1,0,0] neg_hi:[1,0,0]
	ds_read2_b32 v[72:73], v65 offset0:10 offset1:11
	ds_read2_b32 v[74:75], v65 offset0:12 offset1:13
	ds_read2_b32 v[76:77], v65 offset0:14 offset1:15
	s_waitcnt lgkmcnt(3)
	v_pk_fma_f32 v[56:57], v[66:67], v[78:79], v[56:57] op_sel_hi:[0,1,1] neg_lo:[1,0,0] neg_hi:[1,0,0]
	ds_read2_b32 v[78:79], v65 offset0:16 offset1:17
	s_waitcnt lgkmcnt(3)
	v_pk_fma_f32 v[52:53], v[66:67], v[72:73], v[52:53] op_sel_hi:[0,1,1] neg_lo:[1,0,0] neg_hi:[1,0,0]
	s_waitcnt lgkmcnt(2)
	v_pk_fma_f32 v[46:47], v[66:67], v[74:75], v[46:47] op_sel_hi:[0,1,1] neg_lo:[1,0,0] neg_hi:[1,0,0]
	s_waitcnt lgkmcnt(1)
	v_pk_fma_f32 v[38:39], v[66:67], v[76:77], v[38:39] op_sel_hi:[0,1,1] neg_lo:[1,0,0] neg_hi:[1,0,0]
	ds_read2_b32 v[72:73], v65 offset0:18 offset1:19
	ds_read2_b32 v[74:75], v65 offset0:20 offset1:21
	ds_read2_b32 v[76:77], v65 offset0:22 offset1:23
	s_waitcnt lgkmcnt(3)
	v_pk_fma_f32 v[54:55], v[66:67], v[78:79], v[54:55] op_sel_hi:[0,1,1] neg_lo:[1,0,0] neg_hi:[1,0,0]
	;; [unrolled: 12-line block ×4, first 2 shown]
	ds_read2_b32 v[78:79], v65 offset0:40 offset1:41
	s_waitcnt lgkmcnt(3)
	v_pk_fma_f32 v[34:35], v[66:67], v[72:73], v[34:35] op_sel_hi:[0,1,1] neg_lo:[1,0,0] neg_hi:[1,0,0]
	s_waitcnt lgkmcnt(2)
	v_pk_fma_f32 v[24:25], v[66:67], v[74:75], v[24:25] op_sel_hi:[0,1,1] neg_lo:[1,0,0] neg_hi:[1,0,0]
	;; [unrolled: 2-line block ×3, first 2 shown]
	ds_read2_b32 v[72:73], v65 offset0:42 offset1:43
	ds_read2_b32 v[74:75], v65 offset0:44 offset1:45
	;; [unrolled: 1-line block ×4, first 2 shown]
	s_waitcnt lgkmcnt(4)
	v_pk_fma_f32 v[36:37], v[66:67], v[78:79], v[36:37] op_sel_hi:[0,1,1] neg_lo:[1,0,0] neg_hi:[1,0,0]
	s_waitcnt lgkmcnt(3)
	v_pk_fma_f32 v[26:27], v[66:67], v[72:73], v[26:27] op_sel_hi:[0,1,1] neg_lo:[1,0,0] neg_hi:[1,0,0]
	;; [unrolled: 2-line block ×5, first 2 shown]
	ds_read2_b32 v[72:73], v65 offset0:50 offset1:51
	ds_read2_b32 v[74:75], v65 offset0:52 offset1:53
	;; [unrolled: 1-line block ×5, first 2 shown]
	s_waitcnt lgkmcnt(4)
	v_pk_fma_f32 v[20:21], v[66:67], v[72:73], v[20:21] op_sel_hi:[0,1,1] neg_lo:[1,0,0] neg_hi:[1,0,0]
	s_waitcnt lgkmcnt(3)
	v_pk_fma_f32 v[14:15], v[66:67], v[74:75], v[14:15] op_sel_hi:[0,1,1] neg_lo:[1,0,0] neg_hi:[1,0,0]
	;; [unrolled: 2-line block ×5, first 2 shown]
.LBB118_29:
	s_or_b64 exec, exec, s[12:13]
	v_lshl_add_u32 v67, v71, 2, v65
	s_barrier
	ds_write_b32 v67, v62
	s_waitcnt lgkmcnt(0)
	s_barrier
	ds_read_b32 v72, v65 offset:8
	s_cmp_lt_i32 s22, 4
	v_mov_b32_e32 v68, 2
	s_cbranch_scc1 .LBB118_32
; %bb.30:
	v_mov_b32_e32 v68, 2
	v_add3_u32 v67, v70, 0, 12
	s_mov_b32 s12, 3
.LBB118_31:                             ; =>This Inner Loop Header: Depth=1
	ds_read_b32 v73, v67
	v_mov_b32_e32 v74, s12
	s_add_i32 s12, s12, 1
	v_add_u32_e32 v67, 4, v67
	s_cmp_lg_u32 s22, s12
	s_waitcnt lgkmcnt(0)
	v_cmp_lt_f32_e64 vcc, |v72|, |v73|
	s_nop 1
	v_cndmask_b32_e32 v72, v72, v73, vcc
	v_cndmask_b32_e32 v68, v68, v74, vcc
	s_cbranch_scc1 .LBB118_31
.LBB118_32:
	v_cndmask_b32_e64 v67, 2, 1, s[0:1]
	v_cndmask_b32_e64 v73, 0, 1, s[0:1]
	;; [unrolled: 1-line block ×3, first 2 shown]
	s_waitcnt lgkmcnt(0)
	v_cmp_eq_f32_e32 vcc, 0, v72
	s_and_saveexec_b64 s[0:1], vcc
	s_xor_b64 s[0:1], exec, s[0:1]
; %bb.33:
	v_cmp_ne_u32_e32 vcc, 0, v67
	s_nop 1
	v_cndmask_b32_e32 v67, 3, v67, vcc
; %bb.34:
	s_andn2_saveexec_b64 s[0:1], s[0:1]
	s_cbranch_execz .LBB118_36
; %bb.35:
	v_div_scale_f32 v73, s[2:3], v72, v72, 1.0
	v_rcp_f32_e32 v74, v73
	v_div_scale_f32 v75, vcc, 1.0, v72, 1.0
	v_fma_f32 v76, -v73, v74, 1.0
	v_fmac_f32_e32 v74, v76, v74
	v_mul_f32_e32 v76, v75, v74
	v_fma_f32 v77, -v73, v76, v75
	v_fmac_f32_e32 v76, v77, v74
	v_fma_f32 v73, -v73, v76, v75
	v_div_fmas_f32 v73, v73, v74, v76
	v_div_fixup_f32 v72, v73, v72, 1.0
.LBB118_36:
	s_or_b64 exec, exec, s[0:1]
	v_cmp_ne_u32_e32 vcc, v71, v68
	s_and_saveexec_b64 s[0:1], vcc
	s_xor_b64 s[0:1], exec, s[0:1]
	s_cbranch_execz .LBB118_42
; %bb.37:
	v_cmp_eq_u32_e32 vcc, 2, v71
	s_and_saveexec_b64 s[2:3], vcc
	s_cbranch_execz .LBB118_41
; %bb.38:
	v_cmp_ne_u32_e32 vcc, 2, v68
	s_xor_b64 s[12:13], s[20:21], -1
	s_and_b64 s[14:15], s[12:13], vcc
	s_and_saveexec_b64 s[12:13], s[14:15]
	s_cbranch_execz .LBB118_40
; %bb.39:
	v_ashrrev_i32_e32 v69, 31, v68
	v_lshl_add_u64 v[74:75], v[68:69], 2, v[4:5]
	global_load_dword v69, v[74:75], off
	global_load_dword v71, v[4:5], off offset:8
	s_waitcnt vmcnt(1)
	global_store_dword v[4:5], v69, off offset:8
	s_waitcnt vmcnt(1)
	global_store_dword v[74:75], v71, off
.LBB118_40:
	s_or_b64 exec, exec, s[12:13]
	v_mov_b32_e32 v69, v68
	v_mov_b32_e32 v71, v68
.LBB118_41:
	s_or_b64 exec, exec, s[2:3]
.LBB118_42:
	s_andn2_saveexec_b64 s[0:1], s[0:1]
	s_cbranch_execz .LBB118_44
; %bb.43:
	v_pk_mov_b32 v[74:75], v[62:63], v[60:61] op_sel:[1,0]
	ds_write2_b32 v65, v74, v75 offset0:3 offset1:4
	v_pk_mov_b32 v[74:75], v[60:61], v[58:59] op_sel:[1,0]
	ds_write2_b32 v65, v74, v75 offset0:5 offset1:6
	;; [unrolled: 2-line block ×27, first 2 shown]
	v_pk_mov_b32 v[74:75], v[12:13], v[8:9] op_sel:[1,0]
	v_mov_b32_e32 v71, 2
	ds_write2_b32 v65, v74, v75 offset0:57 offset1:58
	ds_write_b32 v65, v9 offset:236
.LBB118_44:
	s_or_b64 exec, exec, s[0:1]
	v_cmp_lt_i32_e32 vcc, 2, v71
	s_waitcnt lgkmcnt(0)
	s_barrier
	s_and_saveexec_b64 s[0:1], vcc
	s_cbranch_execz .LBB118_46
; %bb.45:
	ds_read_b32 v68, v65 offset:12
	v_mul_f32_e32 v62, v72, v62
	ds_read2_b32 v[72:73], v65 offset0:4 offset1:5
	s_waitcnt lgkmcnt(1)
	v_fma_f32 v63, -v62, v68, v63
	s_waitcnt lgkmcnt(0)
	v_pk_fma_f32 v[60:61], v[62:63], v[72:73], v[60:61] op_sel_hi:[0,1,1] neg_lo:[1,0,0] neg_hi:[1,0,0]
	ds_read2_b32 v[72:73], v65 offset0:6 offset1:7
	s_waitcnt lgkmcnt(0)
	v_pk_fma_f32 v[58:59], v[62:63], v[72:73], v[58:59] op_sel_hi:[0,1,1] neg_lo:[1,0,0] neg_hi:[1,0,0]
	ds_read2_b32 v[72:73], v65 offset0:8 offset1:9
	;; [unrolled: 3-line block ×27, first 2 shown]
	s_waitcnt lgkmcnt(0)
	v_pk_fma_f32 v[8:9], v[62:63], v[72:73], v[8:9] op_sel_hi:[0,1,1] neg_lo:[1,0,0] neg_hi:[1,0,0]
.LBB118_46:
	s_or_b64 exec, exec, s[0:1]
	v_lshl_add_u32 v68, v71, 2, v65
	s_barrier
	ds_write_b32 v68, v63
	s_waitcnt lgkmcnt(0)
	s_barrier
	ds_read_b32 v72, v65 offset:12
	s_cmp_lt_i32 s22, 5
	v_mov_b32_e32 v68, 3
	s_cbranch_scc1 .LBB118_49
; %bb.47:
	v_add3_u32 v73, v70, 0, 16
	v_mov_b32_e32 v68, 3
	s_mov_b32 s0, 4
.LBB118_48:                             ; =>This Inner Loop Header: Depth=1
	ds_read_b32 v74, v73
	v_mov_b32_e32 v75, s0
	s_add_i32 s0, s0, 1
	v_add_u32_e32 v73, 4, v73
	s_cmp_lg_u32 s22, s0
	s_waitcnt lgkmcnt(0)
	v_cmp_lt_f32_e64 vcc, |v72|, |v74|
	s_nop 1
	v_cndmask_b32_e32 v72, v72, v74, vcc
	v_cndmask_b32_e32 v68, v68, v75, vcc
	s_cbranch_scc1 .LBB118_48
.LBB118_49:
	s_waitcnt lgkmcnt(0)
	v_cmp_eq_f32_e32 vcc, 0, v72
	s_and_saveexec_b64 s[0:1], vcc
	s_xor_b64 s[0:1], exec, s[0:1]
; %bb.50:
	v_cmp_ne_u32_e32 vcc, 0, v67
	s_nop 1
	v_cndmask_b32_e32 v67, 4, v67, vcc
; %bb.51:
	s_andn2_saveexec_b64 s[0:1], s[0:1]
	s_cbranch_execz .LBB118_53
; %bb.52:
	v_div_scale_f32 v73, s[2:3], v72, v72, 1.0
	v_rcp_f32_e32 v74, v73
	v_div_scale_f32 v75, vcc, 1.0, v72, 1.0
	v_fma_f32 v76, -v73, v74, 1.0
	v_fmac_f32_e32 v74, v76, v74
	v_mul_f32_e32 v76, v75, v74
	v_fma_f32 v77, -v73, v76, v75
	v_fmac_f32_e32 v76, v77, v74
	v_fma_f32 v73, -v73, v76, v75
	v_div_fmas_f32 v73, v73, v74, v76
	v_div_fixup_f32 v72, v73, v72, 1.0
.LBB118_53:
	s_or_b64 exec, exec, s[0:1]
	v_cmp_ne_u32_e32 vcc, v71, v68
	s_and_saveexec_b64 s[0:1], vcc
	s_xor_b64 s[0:1], exec, s[0:1]
	s_cbranch_execz .LBB118_59
; %bb.54:
	v_cmp_eq_u32_e32 vcc, 3, v71
	s_and_saveexec_b64 s[2:3], vcc
	s_cbranch_execz .LBB118_58
; %bb.55:
	v_cmp_ne_u32_e32 vcc, 3, v68
	s_xor_b64 s[12:13], s[20:21], -1
	s_and_b64 s[14:15], s[12:13], vcc
	s_and_saveexec_b64 s[12:13], s[14:15]
	s_cbranch_execz .LBB118_57
; %bb.56:
	v_ashrrev_i32_e32 v69, 31, v68
	v_lshl_add_u64 v[74:75], v[68:69], 2, v[4:5]
	global_load_dword v69, v[74:75], off
	global_load_dword v71, v[4:5], off offset:12
	s_waitcnt vmcnt(1)
	global_store_dword v[4:5], v69, off offset:12
	s_waitcnt vmcnt(1)
	global_store_dword v[74:75], v71, off
.LBB118_57:
	s_or_b64 exec, exec, s[12:13]
	v_mov_b32_e32 v69, v68
	v_mov_b32_e32 v71, v68
.LBB118_58:
	s_or_b64 exec, exec, s[2:3]
.LBB118_59:
	s_andn2_saveexec_b64 s[0:1], s[0:1]
	s_cbranch_execz .LBB118_61
; %bb.60:
	v_mov_b32_e32 v71, 3
	ds_write2_b32 v65, v60, v61 offset0:4 offset1:5
	ds_write2_b32 v65, v58, v59 offset0:6 offset1:7
	ds_write2_b32 v65, v56, v57 offset0:8 offset1:9
	ds_write2_b32 v65, v52, v53 offset0:10 offset1:11
	ds_write2_b32 v65, v46, v47 offset0:12 offset1:13
	ds_write2_b32 v65, v38, v39 offset0:14 offset1:15
	ds_write2_b32 v65, v54, v55 offset0:16 offset1:17
	ds_write2_b32 v65, v48, v49 offset0:18 offset1:19
	ds_write2_b32 v65, v40, v41 offset0:20 offset1:21
	ds_write2_b32 v65, v30, v31 offset0:22 offset1:23
	ds_write2_b32 v65, v50, v51 offset0:24 offset1:25
	ds_write2_b32 v65, v42, v43 offset0:26 offset1:27
	ds_write2_b32 v65, v32, v33 offset0:28 offset1:29
	ds_write2_b32 v65, v22, v23 offset0:30 offset1:31
	ds_write2_b32 v65, v44, v45 offset0:32 offset1:33
	ds_write2_b32 v65, v34, v35 offset0:34 offset1:35
	ds_write2_b32 v65, v24, v25 offset0:36 offset1:37
	ds_write2_b32 v65, v16, v17 offset0:38 offset1:39
	ds_write2_b32 v65, v36, v37 offset0:40 offset1:41
	ds_write2_b32 v65, v26, v27 offset0:42 offset1:43
	ds_write2_b32 v65, v18, v19 offset0:44 offset1:45
	ds_write2_b32 v65, v10, v11 offset0:46 offset1:47
	ds_write2_b32 v65, v28, v29 offset0:48 offset1:49
	ds_write2_b32 v65, v20, v21 offset0:50 offset1:51
	ds_write2_b32 v65, v14, v15 offset0:52 offset1:53
	ds_write2_b32 v65, v0, v1 offset0:54 offset1:55
	ds_write2_b32 v65, v12, v13 offset0:56 offset1:57
	ds_write2_b32 v65, v8, v9 offset0:58 offset1:59
.LBB118_61:
	s_or_b64 exec, exec, s[0:1]
	v_cmp_lt_i32_e32 vcc, 3, v71
	s_waitcnt lgkmcnt(0)
	s_barrier
	s_and_saveexec_b64 s[0:1], vcc
	s_cbranch_execz .LBB118_63
; %bb.62:
	v_mul_f32_e32 v68, v72, v63
	ds_read2_b32 v[72:73], v65 offset0:4 offset1:5
	v_mov_b32_e32 v63, v68
	s_waitcnt lgkmcnt(0)
	v_pk_fma_f32 v[60:61], v[68:69], v[72:73], v[60:61] op_sel_hi:[0,1,1] neg_lo:[1,0,0] neg_hi:[1,0,0]
	ds_read2_b32 v[72:73], v65 offset0:6 offset1:7
	s_waitcnt lgkmcnt(0)
	v_pk_fma_f32 v[58:59], v[68:69], v[72:73], v[58:59] op_sel_hi:[0,1,1] neg_lo:[1,0,0] neg_hi:[1,0,0]
	ds_read2_b32 v[72:73], v65 offset0:8 offset1:9
	;; [unrolled: 3-line block ×27, first 2 shown]
	s_waitcnt lgkmcnt(0)
	v_pk_fma_f32 v[8:9], v[68:69], v[72:73], v[8:9] op_sel_hi:[0,1,1] neg_lo:[1,0,0] neg_hi:[1,0,0]
.LBB118_63:
	s_or_b64 exec, exec, s[0:1]
	v_lshl_add_u32 v68, v71, 2, v65
	s_barrier
	ds_write_b32 v68, v60
	s_waitcnt lgkmcnt(0)
	s_barrier
	ds_read_b32 v72, v65 offset:16
	s_cmp_lt_i32 s22, 6
	v_mov_b32_e32 v68, 4
	s_cbranch_scc1 .LBB118_66
; %bb.64:
	v_add3_u32 v73, v70, 0, 20
	v_mov_b32_e32 v68, 4
	s_mov_b32 s0, 5
.LBB118_65:                             ; =>This Inner Loop Header: Depth=1
	ds_read_b32 v74, v73
	v_mov_b32_e32 v75, s0
	s_add_i32 s0, s0, 1
	v_add_u32_e32 v73, 4, v73
	s_cmp_lg_u32 s22, s0
	s_waitcnt lgkmcnt(0)
	v_cmp_lt_f32_e64 vcc, |v72|, |v74|
	s_nop 1
	v_cndmask_b32_e32 v72, v72, v74, vcc
	v_cndmask_b32_e32 v68, v68, v75, vcc
	s_cbranch_scc1 .LBB118_65
.LBB118_66:
	s_waitcnt lgkmcnt(0)
	v_cmp_eq_f32_e32 vcc, 0, v72
	s_and_saveexec_b64 s[0:1], vcc
	s_xor_b64 s[0:1], exec, s[0:1]
; %bb.67:
	v_cmp_ne_u32_e32 vcc, 0, v67
	s_nop 1
	v_cndmask_b32_e32 v67, 5, v67, vcc
; %bb.68:
	s_andn2_saveexec_b64 s[0:1], s[0:1]
	s_cbranch_execz .LBB118_70
; %bb.69:
	v_div_scale_f32 v73, s[2:3], v72, v72, 1.0
	v_rcp_f32_e32 v74, v73
	v_div_scale_f32 v75, vcc, 1.0, v72, 1.0
	v_fma_f32 v76, -v73, v74, 1.0
	v_fmac_f32_e32 v74, v76, v74
	v_mul_f32_e32 v76, v75, v74
	v_fma_f32 v77, -v73, v76, v75
	v_fmac_f32_e32 v76, v77, v74
	v_fma_f32 v73, -v73, v76, v75
	v_div_fmas_f32 v73, v73, v74, v76
	v_div_fixup_f32 v72, v73, v72, 1.0
.LBB118_70:
	s_or_b64 exec, exec, s[0:1]
	v_cmp_ne_u32_e32 vcc, v71, v68
	s_and_saveexec_b64 s[0:1], vcc
	s_xor_b64 s[0:1], exec, s[0:1]
	s_cbranch_execz .LBB118_76
; %bb.71:
	v_cmp_eq_u32_e32 vcc, 4, v71
	s_and_saveexec_b64 s[2:3], vcc
	s_cbranch_execz .LBB118_75
; %bb.72:
	v_cmp_ne_u32_e32 vcc, 4, v68
	s_xor_b64 s[12:13], s[20:21], -1
	s_and_b64 s[14:15], s[12:13], vcc
	s_and_saveexec_b64 s[12:13], s[14:15]
	s_cbranch_execz .LBB118_74
; %bb.73:
	v_ashrrev_i32_e32 v69, 31, v68
	v_lshl_add_u64 v[74:75], v[68:69], 2, v[4:5]
	global_load_dword v69, v[74:75], off
	global_load_dword v71, v[4:5], off offset:16
	s_waitcnt vmcnt(1)
	global_store_dword v[4:5], v69, off offset:16
	s_waitcnt vmcnt(1)
	global_store_dword v[74:75], v71, off
.LBB118_74:
	s_or_b64 exec, exec, s[12:13]
	v_mov_b32_e32 v69, v68
	v_mov_b32_e32 v71, v68
.LBB118_75:
	s_or_b64 exec, exec, s[2:3]
.LBB118_76:
	s_andn2_saveexec_b64 s[0:1], s[0:1]
	s_cbranch_execz .LBB118_78
; %bb.77:
	v_pk_mov_b32 v[74:75], v[60:61], v[58:59] op_sel:[1,0]
	ds_write2_b32 v65, v74, v75 offset0:5 offset1:6
	v_pk_mov_b32 v[74:75], v[58:59], v[56:57] op_sel:[1,0]
	ds_write2_b32 v65, v74, v75 offset0:7 offset1:8
	;; [unrolled: 2-line block ×26, first 2 shown]
	v_pk_mov_b32 v[74:75], v[12:13], v[8:9] op_sel:[1,0]
	v_mov_b32_e32 v71, 4
	ds_write2_b32 v65, v74, v75 offset0:57 offset1:58
	ds_write_b32 v65, v9 offset:236
.LBB118_78:
	s_or_b64 exec, exec, s[0:1]
	v_cmp_lt_i32_e32 vcc, 4, v71
	s_waitcnt lgkmcnt(0)
	s_barrier
	s_and_saveexec_b64 s[0:1], vcc
	s_cbranch_execz .LBB118_80
; %bb.79:
	ds_read_b32 v68, v65 offset:20
	v_mul_f32_e32 v60, v72, v60
	ds_read2_b32 v[72:73], v65 offset0:6 offset1:7
	s_waitcnt lgkmcnt(1)
	v_fma_f32 v61, -v60, v68, v61
	s_waitcnt lgkmcnt(0)
	v_pk_fma_f32 v[58:59], v[60:61], v[72:73], v[58:59] op_sel_hi:[0,1,1] neg_lo:[1,0,0] neg_hi:[1,0,0]
	ds_read2_b32 v[72:73], v65 offset0:8 offset1:9
	s_waitcnt lgkmcnt(0)
	v_pk_fma_f32 v[56:57], v[60:61], v[72:73], v[56:57] op_sel_hi:[0,1,1] neg_lo:[1,0,0] neg_hi:[1,0,0]
	ds_read2_b32 v[72:73], v65 offset0:10 offset1:11
	;; [unrolled: 3-line block ×26, first 2 shown]
	s_waitcnt lgkmcnt(0)
	v_pk_fma_f32 v[8:9], v[60:61], v[72:73], v[8:9] op_sel_hi:[0,1,1] neg_lo:[1,0,0] neg_hi:[1,0,0]
.LBB118_80:
	s_or_b64 exec, exec, s[0:1]
	v_lshl_add_u32 v68, v71, 2, v65
	s_barrier
	ds_write_b32 v68, v61
	s_waitcnt lgkmcnt(0)
	s_barrier
	ds_read_b32 v72, v65 offset:20
	s_cmp_lt_i32 s22, 7
	v_mov_b32_e32 v68, 5
	s_cbranch_scc1 .LBB118_83
; %bb.81:
	v_add3_u32 v73, v70, 0, 24
	v_mov_b32_e32 v68, 5
	s_mov_b32 s0, 6
.LBB118_82:                             ; =>This Inner Loop Header: Depth=1
	ds_read_b32 v74, v73
	v_mov_b32_e32 v75, s0
	s_add_i32 s0, s0, 1
	v_add_u32_e32 v73, 4, v73
	s_cmp_lg_u32 s22, s0
	s_waitcnt lgkmcnt(0)
	v_cmp_lt_f32_e64 vcc, |v72|, |v74|
	s_nop 1
	v_cndmask_b32_e32 v72, v72, v74, vcc
	v_cndmask_b32_e32 v68, v68, v75, vcc
	s_cbranch_scc1 .LBB118_82
.LBB118_83:
	s_waitcnt lgkmcnt(0)
	v_cmp_eq_f32_e32 vcc, 0, v72
	s_and_saveexec_b64 s[0:1], vcc
	s_xor_b64 s[0:1], exec, s[0:1]
; %bb.84:
	v_cmp_ne_u32_e32 vcc, 0, v67
	s_nop 1
	v_cndmask_b32_e32 v67, 6, v67, vcc
; %bb.85:
	s_andn2_saveexec_b64 s[0:1], s[0:1]
	s_cbranch_execz .LBB118_87
; %bb.86:
	v_div_scale_f32 v73, s[2:3], v72, v72, 1.0
	v_rcp_f32_e32 v74, v73
	v_div_scale_f32 v75, vcc, 1.0, v72, 1.0
	v_fma_f32 v76, -v73, v74, 1.0
	v_fmac_f32_e32 v74, v76, v74
	v_mul_f32_e32 v76, v75, v74
	v_fma_f32 v77, -v73, v76, v75
	v_fmac_f32_e32 v76, v77, v74
	v_fma_f32 v73, -v73, v76, v75
	v_div_fmas_f32 v73, v73, v74, v76
	v_div_fixup_f32 v72, v73, v72, 1.0
.LBB118_87:
	s_or_b64 exec, exec, s[0:1]
	v_cmp_ne_u32_e32 vcc, v71, v68
	s_and_saveexec_b64 s[0:1], vcc
	s_xor_b64 s[0:1], exec, s[0:1]
	s_cbranch_execz .LBB118_93
; %bb.88:
	v_cmp_eq_u32_e32 vcc, 5, v71
	s_and_saveexec_b64 s[2:3], vcc
	s_cbranch_execz .LBB118_92
; %bb.89:
	v_cmp_ne_u32_e32 vcc, 5, v68
	s_xor_b64 s[12:13], s[20:21], -1
	s_and_b64 s[14:15], s[12:13], vcc
	s_and_saveexec_b64 s[12:13], s[14:15]
	s_cbranch_execz .LBB118_91
; %bb.90:
	v_ashrrev_i32_e32 v69, 31, v68
	v_lshl_add_u64 v[74:75], v[68:69], 2, v[4:5]
	global_load_dword v69, v[74:75], off
	global_load_dword v71, v[4:5], off offset:20
	s_waitcnt vmcnt(1)
	global_store_dword v[4:5], v69, off offset:20
	s_waitcnt vmcnt(1)
	global_store_dword v[74:75], v71, off
.LBB118_91:
	s_or_b64 exec, exec, s[12:13]
	v_mov_b32_e32 v69, v68
	v_mov_b32_e32 v71, v68
.LBB118_92:
	s_or_b64 exec, exec, s[2:3]
.LBB118_93:
	s_andn2_saveexec_b64 s[0:1], s[0:1]
	s_cbranch_execz .LBB118_95
; %bb.94:
	v_mov_b32_e32 v71, 5
	ds_write2_b32 v65, v58, v59 offset0:6 offset1:7
	ds_write2_b32 v65, v56, v57 offset0:8 offset1:9
	;; [unrolled: 1-line block ×27, first 2 shown]
.LBB118_95:
	s_or_b64 exec, exec, s[0:1]
	v_cmp_lt_i32_e32 vcc, 5, v71
	s_waitcnt lgkmcnt(0)
	s_barrier
	s_and_saveexec_b64 s[0:1], vcc
	s_cbranch_execz .LBB118_97
; %bb.96:
	v_mul_f32_e32 v68, v72, v61
	ds_read2_b32 v[72:73], v65 offset0:6 offset1:7
	v_mov_b32_e32 v61, v68
	s_waitcnt lgkmcnt(0)
	v_pk_fma_f32 v[58:59], v[68:69], v[72:73], v[58:59] op_sel_hi:[0,1,1] neg_lo:[1,0,0] neg_hi:[1,0,0]
	ds_read2_b32 v[72:73], v65 offset0:8 offset1:9
	s_waitcnt lgkmcnt(0)
	v_pk_fma_f32 v[56:57], v[68:69], v[72:73], v[56:57] op_sel_hi:[0,1,1] neg_lo:[1,0,0] neg_hi:[1,0,0]
	ds_read2_b32 v[72:73], v65 offset0:10 offset1:11
	;; [unrolled: 3-line block ×26, first 2 shown]
	s_waitcnt lgkmcnt(0)
	v_pk_fma_f32 v[8:9], v[68:69], v[72:73], v[8:9] op_sel_hi:[0,1,1] neg_lo:[1,0,0] neg_hi:[1,0,0]
.LBB118_97:
	s_or_b64 exec, exec, s[0:1]
	v_lshl_add_u32 v68, v71, 2, v65
	s_barrier
	ds_write_b32 v68, v58
	s_waitcnt lgkmcnt(0)
	s_barrier
	ds_read_b32 v72, v65 offset:24
	s_cmp_lt_i32 s22, 8
	v_mov_b32_e32 v68, 6
	s_cbranch_scc1 .LBB118_100
; %bb.98:
	v_add3_u32 v73, v70, 0, 28
	v_mov_b32_e32 v68, 6
	s_mov_b32 s0, 7
.LBB118_99:                             ; =>This Inner Loop Header: Depth=1
	ds_read_b32 v74, v73
	v_mov_b32_e32 v75, s0
	s_add_i32 s0, s0, 1
	v_add_u32_e32 v73, 4, v73
	s_cmp_lg_u32 s22, s0
	s_waitcnt lgkmcnt(0)
	v_cmp_lt_f32_e64 vcc, |v72|, |v74|
	s_nop 1
	v_cndmask_b32_e32 v72, v72, v74, vcc
	v_cndmask_b32_e32 v68, v68, v75, vcc
	s_cbranch_scc1 .LBB118_99
.LBB118_100:
	s_waitcnt lgkmcnt(0)
	v_cmp_eq_f32_e32 vcc, 0, v72
	s_and_saveexec_b64 s[0:1], vcc
	s_xor_b64 s[0:1], exec, s[0:1]
; %bb.101:
	v_cmp_ne_u32_e32 vcc, 0, v67
	s_nop 1
	v_cndmask_b32_e32 v67, 7, v67, vcc
; %bb.102:
	s_andn2_saveexec_b64 s[0:1], s[0:1]
	s_cbranch_execz .LBB118_104
; %bb.103:
	v_div_scale_f32 v73, s[2:3], v72, v72, 1.0
	v_rcp_f32_e32 v74, v73
	v_div_scale_f32 v75, vcc, 1.0, v72, 1.0
	v_fma_f32 v76, -v73, v74, 1.0
	v_fmac_f32_e32 v74, v76, v74
	v_mul_f32_e32 v76, v75, v74
	v_fma_f32 v77, -v73, v76, v75
	v_fmac_f32_e32 v76, v77, v74
	v_fma_f32 v73, -v73, v76, v75
	v_div_fmas_f32 v73, v73, v74, v76
	v_div_fixup_f32 v72, v73, v72, 1.0
.LBB118_104:
	s_or_b64 exec, exec, s[0:1]
	v_cmp_ne_u32_e32 vcc, v71, v68
	s_and_saveexec_b64 s[0:1], vcc
	s_xor_b64 s[0:1], exec, s[0:1]
	s_cbranch_execz .LBB118_110
; %bb.105:
	v_cmp_eq_u32_e32 vcc, 6, v71
	s_and_saveexec_b64 s[2:3], vcc
	s_cbranch_execz .LBB118_109
; %bb.106:
	v_cmp_ne_u32_e32 vcc, 6, v68
	s_xor_b64 s[12:13], s[20:21], -1
	s_and_b64 s[14:15], s[12:13], vcc
	s_and_saveexec_b64 s[12:13], s[14:15]
	s_cbranch_execz .LBB118_108
; %bb.107:
	v_ashrrev_i32_e32 v69, 31, v68
	v_lshl_add_u64 v[74:75], v[68:69], 2, v[4:5]
	global_load_dword v69, v[74:75], off
	global_load_dword v71, v[4:5], off offset:24
	s_waitcnt vmcnt(1)
	global_store_dword v[4:5], v69, off offset:24
	s_waitcnt vmcnt(1)
	global_store_dword v[74:75], v71, off
.LBB118_108:
	s_or_b64 exec, exec, s[12:13]
	v_mov_b32_e32 v69, v68
	v_mov_b32_e32 v71, v68
.LBB118_109:
	s_or_b64 exec, exec, s[2:3]
.LBB118_110:
	s_andn2_saveexec_b64 s[0:1], s[0:1]
	s_cbranch_execz .LBB118_112
; %bb.111:
	v_pk_mov_b32 v[74:75], v[58:59], v[56:57] op_sel:[1,0]
	ds_write2_b32 v65, v74, v75 offset0:7 offset1:8
	v_pk_mov_b32 v[74:75], v[56:57], v[52:53] op_sel:[1,0]
	ds_write2_b32 v65, v74, v75 offset0:9 offset1:10
	;; [unrolled: 2-line block ×25, first 2 shown]
	v_pk_mov_b32 v[74:75], v[12:13], v[8:9] op_sel:[1,0]
	v_mov_b32_e32 v71, 6
	ds_write2_b32 v65, v74, v75 offset0:57 offset1:58
	ds_write_b32 v65, v9 offset:236
.LBB118_112:
	s_or_b64 exec, exec, s[0:1]
	v_cmp_lt_i32_e32 vcc, 6, v71
	s_waitcnt lgkmcnt(0)
	s_barrier
	s_and_saveexec_b64 s[0:1], vcc
	s_cbranch_execz .LBB118_114
; %bb.113:
	ds_read_b32 v68, v65 offset:28
	v_mul_f32_e32 v58, v72, v58
	ds_read2_b32 v[72:73], v65 offset0:8 offset1:9
	s_waitcnt lgkmcnt(1)
	v_fma_f32 v59, -v58, v68, v59
	s_waitcnt lgkmcnt(0)
	v_pk_fma_f32 v[56:57], v[58:59], v[72:73], v[56:57] op_sel_hi:[0,1,1] neg_lo:[1,0,0] neg_hi:[1,0,0]
	ds_read2_b32 v[72:73], v65 offset0:10 offset1:11
	s_waitcnt lgkmcnt(0)
	v_pk_fma_f32 v[52:53], v[58:59], v[72:73], v[52:53] op_sel_hi:[0,1,1] neg_lo:[1,0,0] neg_hi:[1,0,0]
	ds_read2_b32 v[72:73], v65 offset0:12 offset1:13
	;; [unrolled: 3-line block ×25, first 2 shown]
	s_waitcnt lgkmcnt(0)
	v_pk_fma_f32 v[8:9], v[58:59], v[72:73], v[8:9] op_sel_hi:[0,1,1] neg_lo:[1,0,0] neg_hi:[1,0,0]
.LBB118_114:
	s_or_b64 exec, exec, s[0:1]
	v_lshl_add_u32 v68, v71, 2, v65
	s_barrier
	ds_write_b32 v68, v59
	s_waitcnt lgkmcnt(0)
	s_barrier
	ds_read_b32 v72, v65 offset:28
	s_cmp_lt_i32 s22, 9
	v_mov_b32_e32 v68, 7
	s_cbranch_scc1 .LBB118_117
; %bb.115:
	v_add3_u32 v73, v70, 0, 32
	v_mov_b32_e32 v68, 7
	s_mov_b32 s0, 8
.LBB118_116:                            ; =>This Inner Loop Header: Depth=1
	ds_read_b32 v74, v73
	v_mov_b32_e32 v75, s0
	s_add_i32 s0, s0, 1
	v_add_u32_e32 v73, 4, v73
	s_cmp_lg_u32 s22, s0
	s_waitcnt lgkmcnt(0)
	v_cmp_lt_f32_e64 vcc, |v72|, |v74|
	s_nop 1
	v_cndmask_b32_e32 v72, v72, v74, vcc
	v_cndmask_b32_e32 v68, v68, v75, vcc
	s_cbranch_scc1 .LBB118_116
.LBB118_117:
	s_waitcnt lgkmcnt(0)
	v_cmp_eq_f32_e32 vcc, 0, v72
	s_and_saveexec_b64 s[0:1], vcc
	s_xor_b64 s[0:1], exec, s[0:1]
; %bb.118:
	v_cmp_ne_u32_e32 vcc, 0, v67
	s_nop 1
	v_cndmask_b32_e32 v67, 8, v67, vcc
; %bb.119:
	s_andn2_saveexec_b64 s[0:1], s[0:1]
	s_cbranch_execz .LBB118_121
; %bb.120:
	v_div_scale_f32 v73, s[2:3], v72, v72, 1.0
	v_rcp_f32_e32 v74, v73
	v_div_scale_f32 v75, vcc, 1.0, v72, 1.0
	v_fma_f32 v76, -v73, v74, 1.0
	v_fmac_f32_e32 v74, v76, v74
	v_mul_f32_e32 v76, v75, v74
	v_fma_f32 v77, -v73, v76, v75
	v_fmac_f32_e32 v76, v77, v74
	v_fma_f32 v73, -v73, v76, v75
	v_div_fmas_f32 v73, v73, v74, v76
	v_div_fixup_f32 v72, v73, v72, 1.0
.LBB118_121:
	s_or_b64 exec, exec, s[0:1]
	v_cmp_ne_u32_e32 vcc, v71, v68
	s_and_saveexec_b64 s[0:1], vcc
	s_xor_b64 s[0:1], exec, s[0:1]
	s_cbranch_execz .LBB118_127
; %bb.122:
	v_cmp_eq_u32_e32 vcc, 7, v71
	s_and_saveexec_b64 s[2:3], vcc
	s_cbranch_execz .LBB118_126
; %bb.123:
	v_cmp_ne_u32_e32 vcc, 7, v68
	s_xor_b64 s[12:13], s[20:21], -1
	s_and_b64 s[14:15], s[12:13], vcc
	s_and_saveexec_b64 s[12:13], s[14:15]
	s_cbranch_execz .LBB118_125
; %bb.124:
	v_ashrrev_i32_e32 v69, 31, v68
	v_lshl_add_u64 v[74:75], v[68:69], 2, v[4:5]
	global_load_dword v69, v[74:75], off
	global_load_dword v71, v[4:5], off offset:28
	s_waitcnt vmcnt(1)
	global_store_dword v[4:5], v69, off offset:28
	s_waitcnt vmcnt(1)
	global_store_dword v[74:75], v71, off
.LBB118_125:
	s_or_b64 exec, exec, s[12:13]
	v_mov_b32_e32 v69, v68
	v_mov_b32_e32 v71, v68
.LBB118_126:
	s_or_b64 exec, exec, s[2:3]
.LBB118_127:
	s_andn2_saveexec_b64 s[0:1], s[0:1]
	s_cbranch_execz .LBB118_129
; %bb.128:
	v_mov_b32_e32 v71, 7
	ds_write2_b32 v65, v56, v57 offset0:8 offset1:9
	ds_write2_b32 v65, v52, v53 offset0:10 offset1:11
	;; [unrolled: 1-line block ×26, first 2 shown]
.LBB118_129:
	s_or_b64 exec, exec, s[0:1]
	v_cmp_lt_i32_e32 vcc, 7, v71
	s_waitcnt lgkmcnt(0)
	s_barrier
	s_and_saveexec_b64 s[0:1], vcc
	s_cbranch_execz .LBB118_131
; %bb.130:
	v_mul_f32_e32 v68, v72, v59
	ds_read2_b32 v[72:73], v65 offset0:8 offset1:9
	v_mov_b32_e32 v59, v68
	s_waitcnt lgkmcnt(0)
	v_pk_fma_f32 v[56:57], v[68:69], v[72:73], v[56:57] op_sel_hi:[0,1,1] neg_lo:[1,0,0] neg_hi:[1,0,0]
	ds_read2_b32 v[72:73], v65 offset0:10 offset1:11
	s_waitcnt lgkmcnt(0)
	v_pk_fma_f32 v[52:53], v[68:69], v[72:73], v[52:53] op_sel_hi:[0,1,1] neg_lo:[1,0,0] neg_hi:[1,0,0]
	ds_read2_b32 v[72:73], v65 offset0:12 offset1:13
	;; [unrolled: 3-line block ×25, first 2 shown]
	s_waitcnt lgkmcnt(0)
	v_pk_fma_f32 v[8:9], v[68:69], v[72:73], v[8:9] op_sel_hi:[0,1,1] neg_lo:[1,0,0] neg_hi:[1,0,0]
.LBB118_131:
	s_or_b64 exec, exec, s[0:1]
	v_lshl_add_u32 v68, v71, 2, v65
	s_barrier
	ds_write_b32 v68, v56
	s_waitcnt lgkmcnt(0)
	s_barrier
	ds_read_b32 v72, v65 offset:32
	s_cmp_lt_i32 s22, 10
	v_mov_b32_e32 v68, 8
	s_cbranch_scc1 .LBB118_134
; %bb.132:
	v_add3_u32 v73, v70, 0, 36
	v_mov_b32_e32 v68, 8
	s_mov_b32 s0, 9
.LBB118_133:                            ; =>This Inner Loop Header: Depth=1
	ds_read_b32 v74, v73
	v_mov_b32_e32 v75, s0
	s_add_i32 s0, s0, 1
	v_add_u32_e32 v73, 4, v73
	s_cmp_lg_u32 s22, s0
	s_waitcnt lgkmcnt(0)
	v_cmp_lt_f32_e64 vcc, |v72|, |v74|
	s_nop 1
	v_cndmask_b32_e32 v72, v72, v74, vcc
	v_cndmask_b32_e32 v68, v68, v75, vcc
	s_cbranch_scc1 .LBB118_133
.LBB118_134:
	s_waitcnt lgkmcnt(0)
	v_cmp_eq_f32_e32 vcc, 0, v72
	s_and_saveexec_b64 s[0:1], vcc
	s_xor_b64 s[0:1], exec, s[0:1]
; %bb.135:
	v_cmp_ne_u32_e32 vcc, 0, v67
	s_nop 1
	v_cndmask_b32_e32 v67, 9, v67, vcc
; %bb.136:
	s_andn2_saveexec_b64 s[0:1], s[0:1]
	s_cbranch_execz .LBB118_138
; %bb.137:
	v_div_scale_f32 v73, s[2:3], v72, v72, 1.0
	v_rcp_f32_e32 v74, v73
	v_div_scale_f32 v75, vcc, 1.0, v72, 1.0
	v_fma_f32 v76, -v73, v74, 1.0
	v_fmac_f32_e32 v74, v76, v74
	v_mul_f32_e32 v76, v75, v74
	v_fma_f32 v77, -v73, v76, v75
	v_fmac_f32_e32 v76, v77, v74
	v_fma_f32 v73, -v73, v76, v75
	v_div_fmas_f32 v73, v73, v74, v76
	v_div_fixup_f32 v72, v73, v72, 1.0
.LBB118_138:
	s_or_b64 exec, exec, s[0:1]
	v_cmp_ne_u32_e32 vcc, v71, v68
	s_and_saveexec_b64 s[0:1], vcc
	s_xor_b64 s[0:1], exec, s[0:1]
	s_cbranch_execz .LBB118_144
; %bb.139:
	v_cmp_eq_u32_e32 vcc, 8, v71
	s_and_saveexec_b64 s[2:3], vcc
	s_cbranch_execz .LBB118_143
; %bb.140:
	v_cmp_ne_u32_e32 vcc, 8, v68
	s_xor_b64 s[12:13], s[20:21], -1
	s_and_b64 s[14:15], s[12:13], vcc
	s_and_saveexec_b64 s[12:13], s[14:15]
	s_cbranch_execz .LBB118_142
; %bb.141:
	v_ashrrev_i32_e32 v69, 31, v68
	v_lshl_add_u64 v[74:75], v[68:69], 2, v[4:5]
	global_load_dword v69, v[74:75], off
	global_load_dword v71, v[4:5], off offset:32
	s_waitcnt vmcnt(1)
	global_store_dword v[4:5], v69, off offset:32
	s_waitcnt vmcnt(1)
	global_store_dword v[74:75], v71, off
.LBB118_142:
	s_or_b64 exec, exec, s[12:13]
	v_mov_b32_e32 v69, v68
	v_mov_b32_e32 v71, v68
.LBB118_143:
	s_or_b64 exec, exec, s[2:3]
.LBB118_144:
	s_andn2_saveexec_b64 s[0:1], s[0:1]
	s_cbranch_execz .LBB118_146
; %bb.145:
	v_pk_mov_b32 v[74:75], v[56:57], v[52:53] op_sel:[1,0]
	ds_write2_b32 v65, v74, v75 offset0:9 offset1:10
	v_pk_mov_b32 v[74:75], v[52:53], v[46:47] op_sel:[1,0]
	ds_write2_b32 v65, v74, v75 offset0:11 offset1:12
	;; [unrolled: 2-line block ×24, first 2 shown]
	v_pk_mov_b32 v[74:75], v[12:13], v[8:9] op_sel:[1,0]
	v_mov_b32_e32 v71, 8
	ds_write2_b32 v65, v74, v75 offset0:57 offset1:58
	ds_write_b32 v65, v9 offset:236
.LBB118_146:
	s_or_b64 exec, exec, s[0:1]
	v_cmp_lt_i32_e32 vcc, 8, v71
	s_waitcnt lgkmcnt(0)
	s_barrier
	s_and_saveexec_b64 s[0:1], vcc
	s_cbranch_execz .LBB118_148
; %bb.147:
	ds_read_b32 v68, v65 offset:36
	v_mul_f32_e32 v56, v72, v56
	ds_read2_b32 v[72:73], v65 offset0:10 offset1:11
	s_waitcnt lgkmcnt(1)
	v_fma_f32 v57, -v56, v68, v57
	s_waitcnt lgkmcnt(0)
	v_pk_fma_f32 v[52:53], v[56:57], v[72:73], v[52:53] op_sel_hi:[0,1,1] neg_lo:[1,0,0] neg_hi:[1,0,0]
	ds_read2_b32 v[72:73], v65 offset0:12 offset1:13
	s_waitcnt lgkmcnt(0)
	v_pk_fma_f32 v[46:47], v[56:57], v[72:73], v[46:47] op_sel_hi:[0,1,1] neg_lo:[1,0,0] neg_hi:[1,0,0]
	ds_read2_b32 v[72:73], v65 offset0:14 offset1:15
	;; [unrolled: 3-line block ×24, first 2 shown]
	s_waitcnt lgkmcnt(0)
	v_pk_fma_f32 v[8:9], v[56:57], v[72:73], v[8:9] op_sel_hi:[0,1,1] neg_lo:[1,0,0] neg_hi:[1,0,0]
.LBB118_148:
	s_or_b64 exec, exec, s[0:1]
	v_lshl_add_u32 v68, v71, 2, v65
	s_barrier
	ds_write_b32 v68, v57
	s_waitcnt lgkmcnt(0)
	s_barrier
	ds_read_b32 v72, v65 offset:36
	s_cmp_lt_i32 s22, 11
	v_mov_b32_e32 v68, 9
	s_cbranch_scc1 .LBB118_151
; %bb.149:
	v_add3_u32 v73, v70, 0, 40
	v_mov_b32_e32 v68, 9
	s_mov_b32 s0, 10
.LBB118_150:                            ; =>This Inner Loop Header: Depth=1
	ds_read_b32 v74, v73
	v_mov_b32_e32 v75, s0
	s_add_i32 s0, s0, 1
	v_add_u32_e32 v73, 4, v73
	s_cmp_lg_u32 s22, s0
	s_waitcnt lgkmcnt(0)
	v_cmp_lt_f32_e64 vcc, |v72|, |v74|
	s_nop 1
	v_cndmask_b32_e32 v72, v72, v74, vcc
	v_cndmask_b32_e32 v68, v68, v75, vcc
	s_cbranch_scc1 .LBB118_150
.LBB118_151:
	s_waitcnt lgkmcnt(0)
	v_cmp_eq_f32_e32 vcc, 0, v72
	s_and_saveexec_b64 s[0:1], vcc
	s_xor_b64 s[0:1], exec, s[0:1]
; %bb.152:
	v_cmp_ne_u32_e32 vcc, 0, v67
	s_nop 1
	v_cndmask_b32_e32 v67, 10, v67, vcc
; %bb.153:
	s_andn2_saveexec_b64 s[0:1], s[0:1]
	s_cbranch_execz .LBB118_155
; %bb.154:
	v_div_scale_f32 v73, s[2:3], v72, v72, 1.0
	v_rcp_f32_e32 v74, v73
	v_div_scale_f32 v75, vcc, 1.0, v72, 1.0
	v_fma_f32 v76, -v73, v74, 1.0
	v_fmac_f32_e32 v74, v76, v74
	v_mul_f32_e32 v76, v75, v74
	v_fma_f32 v77, -v73, v76, v75
	v_fmac_f32_e32 v76, v77, v74
	v_fma_f32 v73, -v73, v76, v75
	v_div_fmas_f32 v73, v73, v74, v76
	v_div_fixup_f32 v72, v73, v72, 1.0
.LBB118_155:
	s_or_b64 exec, exec, s[0:1]
	v_cmp_ne_u32_e32 vcc, v71, v68
	s_and_saveexec_b64 s[0:1], vcc
	s_xor_b64 s[0:1], exec, s[0:1]
	s_cbranch_execz .LBB118_161
; %bb.156:
	v_cmp_eq_u32_e32 vcc, 9, v71
	s_and_saveexec_b64 s[2:3], vcc
	s_cbranch_execz .LBB118_160
; %bb.157:
	v_cmp_ne_u32_e32 vcc, 9, v68
	s_xor_b64 s[12:13], s[20:21], -1
	s_and_b64 s[14:15], s[12:13], vcc
	s_and_saveexec_b64 s[12:13], s[14:15]
	s_cbranch_execz .LBB118_159
; %bb.158:
	v_ashrrev_i32_e32 v69, 31, v68
	v_lshl_add_u64 v[74:75], v[68:69], 2, v[4:5]
	global_load_dword v69, v[74:75], off
	global_load_dword v71, v[4:5], off offset:36
	s_waitcnt vmcnt(1)
	global_store_dword v[4:5], v69, off offset:36
	s_waitcnt vmcnt(1)
	global_store_dword v[74:75], v71, off
.LBB118_159:
	s_or_b64 exec, exec, s[12:13]
	v_mov_b32_e32 v69, v68
	v_mov_b32_e32 v71, v68
.LBB118_160:
	s_or_b64 exec, exec, s[2:3]
.LBB118_161:
	s_andn2_saveexec_b64 s[0:1], s[0:1]
	s_cbranch_execz .LBB118_163
; %bb.162:
	v_mov_b32_e32 v71, 9
	ds_write2_b32 v65, v52, v53 offset0:10 offset1:11
	ds_write2_b32 v65, v46, v47 offset0:12 offset1:13
	;; [unrolled: 1-line block ×25, first 2 shown]
.LBB118_163:
	s_or_b64 exec, exec, s[0:1]
	v_cmp_lt_i32_e32 vcc, 9, v71
	s_waitcnt lgkmcnt(0)
	s_barrier
	s_and_saveexec_b64 s[0:1], vcc
	s_cbranch_execz .LBB118_165
; %bb.164:
	v_mul_f32_e32 v68, v72, v57
	ds_read2_b32 v[72:73], v65 offset0:10 offset1:11
	v_mov_b32_e32 v57, v68
	s_waitcnt lgkmcnt(0)
	v_pk_fma_f32 v[52:53], v[68:69], v[72:73], v[52:53] op_sel_hi:[0,1,1] neg_lo:[1,0,0] neg_hi:[1,0,0]
	ds_read2_b32 v[72:73], v65 offset0:12 offset1:13
	s_waitcnt lgkmcnt(0)
	v_pk_fma_f32 v[46:47], v[68:69], v[72:73], v[46:47] op_sel_hi:[0,1,1] neg_lo:[1,0,0] neg_hi:[1,0,0]
	ds_read2_b32 v[72:73], v65 offset0:14 offset1:15
	;; [unrolled: 3-line block ×24, first 2 shown]
	s_waitcnt lgkmcnt(0)
	v_pk_fma_f32 v[8:9], v[68:69], v[72:73], v[8:9] op_sel_hi:[0,1,1] neg_lo:[1,0,0] neg_hi:[1,0,0]
.LBB118_165:
	s_or_b64 exec, exec, s[0:1]
	v_lshl_add_u32 v68, v71, 2, v65
	s_barrier
	ds_write_b32 v68, v52
	s_waitcnt lgkmcnt(0)
	s_barrier
	ds_read_b32 v72, v65 offset:40
	s_cmp_lt_i32 s22, 12
	v_mov_b32_e32 v68, 10
	s_cbranch_scc1 .LBB118_168
; %bb.166:
	v_add3_u32 v73, v70, 0, 44
	v_mov_b32_e32 v68, 10
	s_mov_b32 s0, 11
.LBB118_167:                            ; =>This Inner Loop Header: Depth=1
	ds_read_b32 v74, v73
	v_mov_b32_e32 v75, s0
	s_add_i32 s0, s0, 1
	v_add_u32_e32 v73, 4, v73
	s_cmp_lg_u32 s22, s0
	s_waitcnt lgkmcnt(0)
	v_cmp_lt_f32_e64 vcc, |v72|, |v74|
	s_nop 1
	v_cndmask_b32_e32 v72, v72, v74, vcc
	v_cndmask_b32_e32 v68, v68, v75, vcc
	s_cbranch_scc1 .LBB118_167
.LBB118_168:
	s_waitcnt lgkmcnt(0)
	v_cmp_eq_f32_e32 vcc, 0, v72
	s_and_saveexec_b64 s[0:1], vcc
	s_xor_b64 s[0:1], exec, s[0:1]
; %bb.169:
	v_cmp_ne_u32_e32 vcc, 0, v67
	s_nop 1
	v_cndmask_b32_e32 v67, 11, v67, vcc
; %bb.170:
	s_andn2_saveexec_b64 s[0:1], s[0:1]
	s_cbranch_execz .LBB118_172
; %bb.171:
	v_div_scale_f32 v73, s[2:3], v72, v72, 1.0
	v_rcp_f32_e32 v74, v73
	v_div_scale_f32 v75, vcc, 1.0, v72, 1.0
	v_fma_f32 v76, -v73, v74, 1.0
	v_fmac_f32_e32 v74, v76, v74
	v_mul_f32_e32 v76, v75, v74
	v_fma_f32 v77, -v73, v76, v75
	v_fmac_f32_e32 v76, v77, v74
	v_fma_f32 v73, -v73, v76, v75
	v_div_fmas_f32 v73, v73, v74, v76
	v_div_fixup_f32 v72, v73, v72, 1.0
.LBB118_172:
	s_or_b64 exec, exec, s[0:1]
	v_cmp_ne_u32_e32 vcc, v71, v68
	s_and_saveexec_b64 s[0:1], vcc
	s_xor_b64 s[0:1], exec, s[0:1]
	s_cbranch_execz .LBB118_178
; %bb.173:
	v_cmp_eq_u32_e32 vcc, 10, v71
	s_and_saveexec_b64 s[2:3], vcc
	s_cbranch_execz .LBB118_177
; %bb.174:
	v_cmp_ne_u32_e32 vcc, 10, v68
	s_xor_b64 s[12:13], s[20:21], -1
	s_and_b64 s[14:15], s[12:13], vcc
	s_and_saveexec_b64 s[12:13], s[14:15]
	s_cbranch_execz .LBB118_176
; %bb.175:
	v_ashrrev_i32_e32 v69, 31, v68
	v_lshl_add_u64 v[74:75], v[68:69], 2, v[4:5]
	global_load_dword v69, v[74:75], off
	global_load_dword v71, v[4:5], off offset:40
	s_waitcnt vmcnt(1)
	global_store_dword v[4:5], v69, off offset:40
	s_waitcnt vmcnt(1)
	global_store_dword v[74:75], v71, off
.LBB118_176:
	s_or_b64 exec, exec, s[12:13]
	v_mov_b32_e32 v69, v68
	v_mov_b32_e32 v71, v68
.LBB118_177:
	s_or_b64 exec, exec, s[2:3]
.LBB118_178:
	s_andn2_saveexec_b64 s[0:1], s[0:1]
	s_cbranch_execz .LBB118_180
; %bb.179:
	v_pk_mov_b32 v[74:75], v[52:53], v[46:47] op_sel:[1,0]
	ds_write2_b32 v65, v74, v75 offset0:11 offset1:12
	v_pk_mov_b32 v[74:75], v[46:47], v[38:39] op_sel:[1,0]
	ds_write2_b32 v65, v74, v75 offset0:13 offset1:14
	;; [unrolled: 2-line block ×23, first 2 shown]
	v_pk_mov_b32 v[74:75], v[12:13], v[8:9] op_sel:[1,0]
	v_mov_b32_e32 v71, 10
	ds_write2_b32 v65, v74, v75 offset0:57 offset1:58
	ds_write_b32 v65, v9 offset:236
.LBB118_180:
	s_or_b64 exec, exec, s[0:1]
	v_cmp_lt_i32_e32 vcc, 10, v71
	s_waitcnt lgkmcnt(0)
	s_barrier
	s_and_saveexec_b64 s[0:1], vcc
	s_cbranch_execz .LBB118_182
; %bb.181:
	ds_read_b32 v68, v65 offset:44
	v_mul_f32_e32 v52, v72, v52
	ds_read2_b32 v[72:73], v65 offset0:12 offset1:13
	s_waitcnt lgkmcnt(1)
	v_fma_f32 v53, -v52, v68, v53
	s_waitcnt lgkmcnt(0)
	v_pk_fma_f32 v[46:47], v[52:53], v[72:73], v[46:47] op_sel_hi:[0,1,1] neg_lo:[1,0,0] neg_hi:[1,0,0]
	ds_read2_b32 v[72:73], v65 offset0:14 offset1:15
	s_waitcnt lgkmcnt(0)
	v_pk_fma_f32 v[38:39], v[52:53], v[72:73], v[38:39] op_sel_hi:[0,1,1] neg_lo:[1,0,0] neg_hi:[1,0,0]
	ds_read2_b32 v[72:73], v65 offset0:16 offset1:17
	;; [unrolled: 3-line block ×23, first 2 shown]
	s_waitcnt lgkmcnt(0)
	v_pk_fma_f32 v[8:9], v[52:53], v[72:73], v[8:9] op_sel_hi:[0,1,1] neg_lo:[1,0,0] neg_hi:[1,0,0]
.LBB118_182:
	s_or_b64 exec, exec, s[0:1]
	v_lshl_add_u32 v68, v71, 2, v65
	s_barrier
	ds_write_b32 v68, v53
	s_waitcnt lgkmcnt(0)
	s_barrier
	ds_read_b32 v72, v65 offset:44
	s_cmp_lt_i32 s22, 13
	v_mov_b32_e32 v68, 11
	s_cbranch_scc1 .LBB118_185
; %bb.183:
	v_add3_u32 v73, v70, 0, 48
	v_mov_b32_e32 v68, 11
	s_mov_b32 s0, 12
.LBB118_184:                            ; =>This Inner Loop Header: Depth=1
	ds_read_b32 v74, v73
	v_mov_b32_e32 v75, s0
	s_add_i32 s0, s0, 1
	v_add_u32_e32 v73, 4, v73
	s_cmp_lg_u32 s22, s0
	s_waitcnt lgkmcnt(0)
	v_cmp_lt_f32_e64 vcc, |v72|, |v74|
	s_nop 1
	v_cndmask_b32_e32 v72, v72, v74, vcc
	v_cndmask_b32_e32 v68, v68, v75, vcc
	s_cbranch_scc1 .LBB118_184
.LBB118_185:
	s_waitcnt lgkmcnt(0)
	v_cmp_eq_f32_e32 vcc, 0, v72
	s_and_saveexec_b64 s[0:1], vcc
	s_xor_b64 s[0:1], exec, s[0:1]
; %bb.186:
	v_cmp_ne_u32_e32 vcc, 0, v67
	s_nop 1
	v_cndmask_b32_e32 v67, 12, v67, vcc
; %bb.187:
	s_andn2_saveexec_b64 s[0:1], s[0:1]
	s_cbranch_execz .LBB118_189
; %bb.188:
	v_div_scale_f32 v73, s[2:3], v72, v72, 1.0
	v_rcp_f32_e32 v74, v73
	v_div_scale_f32 v75, vcc, 1.0, v72, 1.0
	v_fma_f32 v76, -v73, v74, 1.0
	v_fmac_f32_e32 v74, v76, v74
	v_mul_f32_e32 v76, v75, v74
	v_fma_f32 v77, -v73, v76, v75
	v_fmac_f32_e32 v76, v77, v74
	v_fma_f32 v73, -v73, v76, v75
	v_div_fmas_f32 v73, v73, v74, v76
	v_div_fixup_f32 v72, v73, v72, 1.0
.LBB118_189:
	s_or_b64 exec, exec, s[0:1]
	v_cmp_ne_u32_e32 vcc, v71, v68
	s_and_saveexec_b64 s[0:1], vcc
	s_xor_b64 s[0:1], exec, s[0:1]
	s_cbranch_execz .LBB118_195
; %bb.190:
	v_cmp_eq_u32_e32 vcc, 11, v71
	s_and_saveexec_b64 s[2:3], vcc
	s_cbranch_execz .LBB118_194
; %bb.191:
	v_cmp_ne_u32_e32 vcc, 11, v68
	s_xor_b64 s[12:13], s[20:21], -1
	s_and_b64 s[14:15], s[12:13], vcc
	s_and_saveexec_b64 s[12:13], s[14:15]
	s_cbranch_execz .LBB118_193
; %bb.192:
	v_ashrrev_i32_e32 v69, 31, v68
	v_lshl_add_u64 v[74:75], v[68:69], 2, v[4:5]
	global_load_dword v69, v[74:75], off
	global_load_dword v71, v[4:5], off offset:44
	s_waitcnt vmcnt(1)
	global_store_dword v[4:5], v69, off offset:44
	s_waitcnt vmcnt(1)
	global_store_dword v[74:75], v71, off
.LBB118_193:
	s_or_b64 exec, exec, s[12:13]
	v_mov_b32_e32 v69, v68
	v_mov_b32_e32 v71, v68
.LBB118_194:
	s_or_b64 exec, exec, s[2:3]
.LBB118_195:
	s_andn2_saveexec_b64 s[0:1], s[0:1]
	s_cbranch_execz .LBB118_197
; %bb.196:
	v_mov_b32_e32 v71, 11
	ds_write2_b32 v65, v46, v47 offset0:12 offset1:13
	ds_write2_b32 v65, v38, v39 offset0:14 offset1:15
	;; [unrolled: 1-line block ×24, first 2 shown]
.LBB118_197:
	s_or_b64 exec, exec, s[0:1]
	v_cmp_lt_i32_e32 vcc, 11, v71
	s_waitcnt lgkmcnt(0)
	s_barrier
	s_and_saveexec_b64 s[0:1], vcc
	s_cbranch_execz .LBB118_199
; %bb.198:
	v_mul_f32_e32 v68, v72, v53
	ds_read2_b32 v[72:73], v65 offset0:12 offset1:13
	v_mov_b32_e32 v53, v68
	s_waitcnt lgkmcnt(0)
	v_pk_fma_f32 v[46:47], v[68:69], v[72:73], v[46:47] op_sel_hi:[0,1,1] neg_lo:[1,0,0] neg_hi:[1,0,0]
	ds_read2_b32 v[72:73], v65 offset0:14 offset1:15
	s_waitcnt lgkmcnt(0)
	v_pk_fma_f32 v[38:39], v[68:69], v[72:73], v[38:39] op_sel_hi:[0,1,1] neg_lo:[1,0,0] neg_hi:[1,0,0]
	ds_read2_b32 v[72:73], v65 offset0:16 offset1:17
	;; [unrolled: 3-line block ×23, first 2 shown]
	s_waitcnt lgkmcnt(0)
	v_pk_fma_f32 v[8:9], v[68:69], v[72:73], v[8:9] op_sel_hi:[0,1,1] neg_lo:[1,0,0] neg_hi:[1,0,0]
.LBB118_199:
	s_or_b64 exec, exec, s[0:1]
	v_lshl_add_u32 v68, v71, 2, v65
	s_barrier
	ds_write_b32 v68, v46
	s_waitcnt lgkmcnt(0)
	s_barrier
	ds_read_b32 v72, v65 offset:48
	s_cmp_lt_i32 s22, 14
	v_mov_b32_e32 v68, 12
	s_cbranch_scc1 .LBB118_202
; %bb.200:
	v_add3_u32 v73, v70, 0, 52
	v_mov_b32_e32 v68, 12
	s_mov_b32 s0, 13
.LBB118_201:                            ; =>This Inner Loop Header: Depth=1
	ds_read_b32 v74, v73
	v_mov_b32_e32 v75, s0
	s_add_i32 s0, s0, 1
	v_add_u32_e32 v73, 4, v73
	s_cmp_lg_u32 s22, s0
	s_waitcnt lgkmcnt(0)
	v_cmp_lt_f32_e64 vcc, |v72|, |v74|
	s_nop 1
	v_cndmask_b32_e32 v72, v72, v74, vcc
	v_cndmask_b32_e32 v68, v68, v75, vcc
	s_cbranch_scc1 .LBB118_201
.LBB118_202:
	s_waitcnt lgkmcnt(0)
	v_cmp_eq_f32_e32 vcc, 0, v72
	s_and_saveexec_b64 s[0:1], vcc
	s_xor_b64 s[0:1], exec, s[0:1]
; %bb.203:
	v_cmp_ne_u32_e32 vcc, 0, v67
	s_nop 1
	v_cndmask_b32_e32 v67, 13, v67, vcc
; %bb.204:
	s_andn2_saveexec_b64 s[0:1], s[0:1]
	s_cbranch_execz .LBB118_206
; %bb.205:
	v_div_scale_f32 v73, s[2:3], v72, v72, 1.0
	v_rcp_f32_e32 v74, v73
	v_div_scale_f32 v75, vcc, 1.0, v72, 1.0
	v_fma_f32 v76, -v73, v74, 1.0
	v_fmac_f32_e32 v74, v76, v74
	v_mul_f32_e32 v76, v75, v74
	v_fma_f32 v77, -v73, v76, v75
	v_fmac_f32_e32 v76, v77, v74
	v_fma_f32 v73, -v73, v76, v75
	v_div_fmas_f32 v73, v73, v74, v76
	v_div_fixup_f32 v72, v73, v72, 1.0
.LBB118_206:
	s_or_b64 exec, exec, s[0:1]
	v_cmp_ne_u32_e32 vcc, v71, v68
	s_and_saveexec_b64 s[0:1], vcc
	s_xor_b64 s[0:1], exec, s[0:1]
	s_cbranch_execz .LBB118_212
; %bb.207:
	v_cmp_eq_u32_e32 vcc, 12, v71
	s_and_saveexec_b64 s[2:3], vcc
	s_cbranch_execz .LBB118_211
; %bb.208:
	v_cmp_ne_u32_e32 vcc, 12, v68
	s_xor_b64 s[12:13], s[20:21], -1
	s_and_b64 s[14:15], s[12:13], vcc
	s_and_saveexec_b64 s[12:13], s[14:15]
	s_cbranch_execz .LBB118_210
; %bb.209:
	v_ashrrev_i32_e32 v69, 31, v68
	v_lshl_add_u64 v[74:75], v[68:69], 2, v[4:5]
	global_load_dword v69, v[74:75], off
	global_load_dword v71, v[4:5], off offset:48
	s_waitcnt vmcnt(1)
	global_store_dword v[4:5], v69, off offset:48
	s_waitcnt vmcnt(1)
	global_store_dword v[74:75], v71, off
.LBB118_210:
	s_or_b64 exec, exec, s[12:13]
	v_mov_b32_e32 v69, v68
	v_mov_b32_e32 v71, v68
.LBB118_211:
	s_or_b64 exec, exec, s[2:3]
.LBB118_212:
	s_andn2_saveexec_b64 s[0:1], s[0:1]
	s_cbranch_execz .LBB118_214
; %bb.213:
	v_pk_mov_b32 v[74:75], v[46:47], v[38:39] op_sel:[1,0]
	ds_write2_b32 v65, v74, v75 offset0:13 offset1:14
	v_pk_mov_b32 v[74:75], v[38:39], v[54:55] op_sel:[1,0]
	ds_write2_b32 v65, v74, v75 offset0:15 offset1:16
	;; [unrolled: 2-line block ×22, first 2 shown]
	v_pk_mov_b32 v[74:75], v[12:13], v[8:9] op_sel:[1,0]
	v_mov_b32_e32 v71, 12
	ds_write2_b32 v65, v74, v75 offset0:57 offset1:58
	ds_write_b32 v65, v9 offset:236
.LBB118_214:
	s_or_b64 exec, exec, s[0:1]
	v_cmp_lt_i32_e32 vcc, 12, v71
	s_waitcnt lgkmcnt(0)
	s_barrier
	s_and_saveexec_b64 s[0:1], vcc
	s_cbranch_execz .LBB118_216
; %bb.215:
	ds_read_b32 v68, v65 offset:52
	v_mul_f32_e32 v46, v72, v46
	ds_read2_b32 v[72:73], v65 offset0:14 offset1:15
	s_waitcnt lgkmcnt(1)
	v_fma_f32 v47, -v46, v68, v47
	s_waitcnt lgkmcnt(0)
	v_pk_fma_f32 v[38:39], v[46:47], v[72:73], v[38:39] op_sel_hi:[0,1,1] neg_lo:[1,0,0] neg_hi:[1,0,0]
	ds_read2_b32 v[72:73], v65 offset0:16 offset1:17
	s_waitcnt lgkmcnt(0)
	v_pk_fma_f32 v[54:55], v[46:47], v[72:73], v[54:55] op_sel_hi:[0,1,1] neg_lo:[1,0,0] neg_hi:[1,0,0]
	ds_read2_b32 v[72:73], v65 offset0:18 offset1:19
	;; [unrolled: 3-line block ×22, first 2 shown]
	s_waitcnt lgkmcnt(0)
	v_pk_fma_f32 v[8:9], v[46:47], v[72:73], v[8:9] op_sel_hi:[0,1,1] neg_lo:[1,0,0] neg_hi:[1,0,0]
.LBB118_216:
	s_or_b64 exec, exec, s[0:1]
	v_lshl_add_u32 v68, v71, 2, v65
	s_barrier
	ds_write_b32 v68, v47
	s_waitcnt lgkmcnt(0)
	s_barrier
	ds_read_b32 v72, v65 offset:52
	s_cmp_lt_i32 s22, 15
	v_mov_b32_e32 v68, 13
	s_cbranch_scc1 .LBB118_219
; %bb.217:
	v_add3_u32 v73, v70, 0, 56
	v_mov_b32_e32 v68, 13
	s_mov_b32 s0, 14
.LBB118_218:                            ; =>This Inner Loop Header: Depth=1
	ds_read_b32 v74, v73
	v_mov_b32_e32 v75, s0
	s_add_i32 s0, s0, 1
	v_add_u32_e32 v73, 4, v73
	s_cmp_lg_u32 s22, s0
	s_waitcnt lgkmcnt(0)
	v_cmp_lt_f32_e64 vcc, |v72|, |v74|
	s_nop 1
	v_cndmask_b32_e32 v72, v72, v74, vcc
	v_cndmask_b32_e32 v68, v68, v75, vcc
	s_cbranch_scc1 .LBB118_218
.LBB118_219:
	s_waitcnt lgkmcnt(0)
	v_cmp_eq_f32_e32 vcc, 0, v72
	s_and_saveexec_b64 s[0:1], vcc
	s_xor_b64 s[0:1], exec, s[0:1]
; %bb.220:
	v_cmp_ne_u32_e32 vcc, 0, v67
	s_nop 1
	v_cndmask_b32_e32 v67, 14, v67, vcc
; %bb.221:
	s_andn2_saveexec_b64 s[0:1], s[0:1]
	s_cbranch_execz .LBB118_223
; %bb.222:
	v_div_scale_f32 v73, s[2:3], v72, v72, 1.0
	v_rcp_f32_e32 v74, v73
	v_div_scale_f32 v75, vcc, 1.0, v72, 1.0
	v_fma_f32 v76, -v73, v74, 1.0
	v_fmac_f32_e32 v74, v76, v74
	v_mul_f32_e32 v76, v75, v74
	v_fma_f32 v77, -v73, v76, v75
	v_fmac_f32_e32 v76, v77, v74
	v_fma_f32 v73, -v73, v76, v75
	v_div_fmas_f32 v73, v73, v74, v76
	v_div_fixup_f32 v72, v73, v72, 1.0
.LBB118_223:
	s_or_b64 exec, exec, s[0:1]
	v_cmp_ne_u32_e32 vcc, v71, v68
	s_and_saveexec_b64 s[0:1], vcc
	s_xor_b64 s[0:1], exec, s[0:1]
	s_cbranch_execz .LBB118_229
; %bb.224:
	v_cmp_eq_u32_e32 vcc, 13, v71
	s_and_saveexec_b64 s[2:3], vcc
	s_cbranch_execz .LBB118_228
; %bb.225:
	v_cmp_ne_u32_e32 vcc, 13, v68
	s_xor_b64 s[12:13], s[20:21], -1
	s_and_b64 s[14:15], s[12:13], vcc
	s_and_saveexec_b64 s[12:13], s[14:15]
	s_cbranch_execz .LBB118_227
; %bb.226:
	v_ashrrev_i32_e32 v69, 31, v68
	v_lshl_add_u64 v[74:75], v[68:69], 2, v[4:5]
	global_load_dword v69, v[74:75], off
	global_load_dword v71, v[4:5], off offset:52
	s_waitcnt vmcnt(1)
	global_store_dword v[4:5], v69, off offset:52
	s_waitcnt vmcnt(1)
	global_store_dword v[74:75], v71, off
.LBB118_227:
	s_or_b64 exec, exec, s[12:13]
	v_mov_b32_e32 v69, v68
	v_mov_b32_e32 v71, v68
.LBB118_228:
	s_or_b64 exec, exec, s[2:3]
.LBB118_229:
	s_andn2_saveexec_b64 s[0:1], s[0:1]
	s_cbranch_execz .LBB118_231
; %bb.230:
	v_mov_b32_e32 v71, 13
	ds_write2_b32 v65, v38, v39 offset0:14 offset1:15
	ds_write2_b32 v65, v54, v55 offset0:16 offset1:17
	;; [unrolled: 1-line block ×23, first 2 shown]
.LBB118_231:
	s_or_b64 exec, exec, s[0:1]
	v_cmp_lt_i32_e32 vcc, 13, v71
	s_waitcnt lgkmcnt(0)
	s_barrier
	s_and_saveexec_b64 s[0:1], vcc
	s_cbranch_execz .LBB118_233
; %bb.232:
	v_mul_f32_e32 v68, v72, v47
	ds_read2_b32 v[72:73], v65 offset0:14 offset1:15
	v_mov_b32_e32 v47, v68
	s_waitcnt lgkmcnt(0)
	v_pk_fma_f32 v[38:39], v[68:69], v[72:73], v[38:39] op_sel_hi:[0,1,1] neg_lo:[1,0,0] neg_hi:[1,0,0]
	ds_read2_b32 v[72:73], v65 offset0:16 offset1:17
	s_waitcnt lgkmcnt(0)
	v_pk_fma_f32 v[54:55], v[68:69], v[72:73], v[54:55] op_sel_hi:[0,1,1] neg_lo:[1,0,0] neg_hi:[1,0,0]
	ds_read2_b32 v[72:73], v65 offset0:18 offset1:19
	;; [unrolled: 3-line block ×22, first 2 shown]
	s_waitcnt lgkmcnt(0)
	v_pk_fma_f32 v[8:9], v[68:69], v[72:73], v[8:9] op_sel_hi:[0,1,1] neg_lo:[1,0,0] neg_hi:[1,0,0]
.LBB118_233:
	s_or_b64 exec, exec, s[0:1]
	v_lshl_add_u32 v68, v71, 2, v65
	s_barrier
	ds_write_b32 v68, v38
	s_waitcnt lgkmcnt(0)
	s_barrier
	ds_read_b32 v72, v65 offset:56
	s_cmp_lt_i32 s22, 16
	v_mov_b32_e32 v68, 14
	s_cbranch_scc1 .LBB118_236
; %bb.234:
	v_add3_u32 v73, v70, 0, 60
	v_mov_b32_e32 v68, 14
	s_mov_b32 s0, 15
.LBB118_235:                            ; =>This Inner Loop Header: Depth=1
	ds_read_b32 v74, v73
	v_mov_b32_e32 v75, s0
	s_add_i32 s0, s0, 1
	v_add_u32_e32 v73, 4, v73
	s_cmp_lg_u32 s22, s0
	s_waitcnt lgkmcnt(0)
	v_cmp_lt_f32_e64 vcc, |v72|, |v74|
	s_nop 1
	v_cndmask_b32_e32 v72, v72, v74, vcc
	v_cndmask_b32_e32 v68, v68, v75, vcc
	s_cbranch_scc1 .LBB118_235
.LBB118_236:
	s_waitcnt lgkmcnt(0)
	v_cmp_eq_f32_e32 vcc, 0, v72
	s_and_saveexec_b64 s[0:1], vcc
	s_xor_b64 s[0:1], exec, s[0:1]
; %bb.237:
	v_cmp_ne_u32_e32 vcc, 0, v67
	s_nop 1
	v_cndmask_b32_e32 v67, 15, v67, vcc
; %bb.238:
	s_andn2_saveexec_b64 s[0:1], s[0:1]
	s_cbranch_execz .LBB118_240
; %bb.239:
	v_div_scale_f32 v73, s[2:3], v72, v72, 1.0
	v_rcp_f32_e32 v74, v73
	v_div_scale_f32 v75, vcc, 1.0, v72, 1.0
	v_fma_f32 v76, -v73, v74, 1.0
	v_fmac_f32_e32 v74, v76, v74
	v_mul_f32_e32 v76, v75, v74
	v_fma_f32 v77, -v73, v76, v75
	v_fmac_f32_e32 v76, v77, v74
	v_fma_f32 v73, -v73, v76, v75
	v_div_fmas_f32 v73, v73, v74, v76
	v_div_fixup_f32 v72, v73, v72, 1.0
.LBB118_240:
	s_or_b64 exec, exec, s[0:1]
	v_cmp_ne_u32_e32 vcc, v71, v68
	s_and_saveexec_b64 s[0:1], vcc
	s_xor_b64 s[0:1], exec, s[0:1]
	s_cbranch_execz .LBB118_246
; %bb.241:
	v_cmp_eq_u32_e32 vcc, 14, v71
	s_and_saveexec_b64 s[2:3], vcc
	s_cbranch_execz .LBB118_245
; %bb.242:
	v_cmp_ne_u32_e32 vcc, 14, v68
	s_xor_b64 s[12:13], s[20:21], -1
	s_and_b64 s[14:15], s[12:13], vcc
	s_and_saveexec_b64 s[12:13], s[14:15]
	s_cbranch_execz .LBB118_244
; %bb.243:
	v_ashrrev_i32_e32 v69, 31, v68
	v_lshl_add_u64 v[74:75], v[68:69], 2, v[4:5]
	global_load_dword v69, v[74:75], off
	global_load_dword v71, v[4:5], off offset:56
	s_waitcnt vmcnt(1)
	global_store_dword v[4:5], v69, off offset:56
	s_waitcnt vmcnt(1)
	global_store_dword v[74:75], v71, off
.LBB118_244:
	s_or_b64 exec, exec, s[12:13]
	v_mov_b32_e32 v69, v68
	v_mov_b32_e32 v71, v68
.LBB118_245:
	s_or_b64 exec, exec, s[2:3]
.LBB118_246:
	s_andn2_saveexec_b64 s[0:1], s[0:1]
	s_cbranch_execz .LBB118_248
; %bb.247:
	v_pk_mov_b32 v[74:75], v[38:39], v[54:55] op_sel:[1,0]
	ds_write2_b32 v65, v74, v75 offset0:15 offset1:16
	v_pk_mov_b32 v[74:75], v[54:55], v[48:49] op_sel:[1,0]
	ds_write2_b32 v65, v74, v75 offset0:17 offset1:18
	v_pk_mov_b32 v[74:75], v[48:49], v[40:41] op_sel:[1,0]
	ds_write2_b32 v65, v74, v75 offset0:19 offset1:20
	v_pk_mov_b32 v[74:75], v[40:41], v[30:31] op_sel:[1,0]
	ds_write2_b32 v65, v74, v75 offset0:21 offset1:22
	v_pk_mov_b32 v[74:75], v[30:31], v[50:51] op_sel:[1,0]
	ds_write2_b32 v65, v74, v75 offset0:23 offset1:24
	v_pk_mov_b32 v[74:75], v[50:51], v[42:43] op_sel:[1,0]
	ds_write2_b32 v65, v74, v75 offset0:25 offset1:26
	v_pk_mov_b32 v[74:75], v[42:43], v[32:33] op_sel:[1,0]
	ds_write2_b32 v65, v74, v75 offset0:27 offset1:28
	v_pk_mov_b32 v[74:75], v[32:33], v[22:23] op_sel:[1,0]
	ds_write2_b32 v65, v74, v75 offset0:29 offset1:30
	v_pk_mov_b32 v[74:75], v[22:23], v[44:45] op_sel:[1,0]
	ds_write2_b32 v65, v74, v75 offset0:31 offset1:32
	v_pk_mov_b32 v[74:75], v[44:45], v[34:35] op_sel:[1,0]
	ds_write2_b32 v65, v74, v75 offset0:33 offset1:34
	v_pk_mov_b32 v[74:75], v[34:35], v[24:25] op_sel:[1,0]
	ds_write2_b32 v65, v74, v75 offset0:35 offset1:36
	v_pk_mov_b32 v[74:75], v[24:25], v[16:17] op_sel:[1,0]
	ds_write2_b32 v65, v74, v75 offset0:37 offset1:38
	v_pk_mov_b32 v[74:75], v[16:17], v[36:37] op_sel:[1,0]
	ds_write2_b32 v65, v74, v75 offset0:39 offset1:40
	v_pk_mov_b32 v[74:75], v[36:37], v[26:27] op_sel:[1,0]
	ds_write2_b32 v65, v74, v75 offset0:41 offset1:42
	v_pk_mov_b32 v[74:75], v[26:27], v[18:19] op_sel:[1,0]
	ds_write2_b32 v65, v74, v75 offset0:43 offset1:44
	v_pk_mov_b32 v[74:75], v[18:19], v[10:11] op_sel:[1,0]
	ds_write2_b32 v65, v74, v75 offset0:45 offset1:46
	v_pk_mov_b32 v[74:75], v[10:11], v[28:29] op_sel:[1,0]
	ds_write2_b32 v65, v74, v75 offset0:47 offset1:48
	v_pk_mov_b32 v[74:75], v[28:29], v[20:21] op_sel:[1,0]
	ds_write2_b32 v65, v74, v75 offset0:49 offset1:50
	v_pk_mov_b32 v[74:75], v[20:21], v[14:15] op_sel:[1,0]
	ds_write2_b32 v65, v74, v75 offset0:51 offset1:52
	v_pk_mov_b32 v[74:75], v[14:15], v[0:1] op_sel:[1,0]
	ds_write2_b32 v65, v74, v75 offset0:53 offset1:54
	v_pk_mov_b32 v[74:75], v[0:1], v[12:13] op_sel:[1,0]
	ds_write2_b32 v65, v74, v75 offset0:55 offset1:56
	v_pk_mov_b32 v[74:75], v[12:13], v[8:9] op_sel:[1,0]
	v_mov_b32_e32 v71, 14
	ds_write2_b32 v65, v74, v75 offset0:57 offset1:58
	ds_write_b32 v65, v9 offset:236
.LBB118_248:
	s_or_b64 exec, exec, s[0:1]
	v_cmp_lt_i32_e32 vcc, 14, v71
	s_waitcnt lgkmcnt(0)
	s_barrier
	s_and_saveexec_b64 s[0:1], vcc
	s_cbranch_execz .LBB118_250
; %bb.249:
	ds_read_b32 v68, v65 offset:60
	v_mul_f32_e32 v38, v72, v38
	ds_read2_b32 v[72:73], v65 offset0:16 offset1:17
	s_waitcnt lgkmcnt(1)
	v_fma_f32 v39, -v38, v68, v39
	s_waitcnt lgkmcnt(0)
	v_pk_fma_f32 v[54:55], v[38:39], v[72:73], v[54:55] op_sel_hi:[0,1,1] neg_lo:[1,0,0] neg_hi:[1,0,0]
	ds_read2_b32 v[72:73], v65 offset0:18 offset1:19
	s_waitcnt lgkmcnt(0)
	v_pk_fma_f32 v[48:49], v[38:39], v[72:73], v[48:49] op_sel_hi:[0,1,1] neg_lo:[1,0,0] neg_hi:[1,0,0]
	ds_read2_b32 v[72:73], v65 offset0:20 offset1:21
	;; [unrolled: 3-line block ×21, first 2 shown]
	s_waitcnt lgkmcnt(0)
	v_pk_fma_f32 v[8:9], v[38:39], v[72:73], v[8:9] op_sel_hi:[0,1,1] neg_lo:[1,0,0] neg_hi:[1,0,0]
.LBB118_250:
	s_or_b64 exec, exec, s[0:1]
	v_lshl_add_u32 v68, v71, 2, v65
	s_barrier
	ds_write_b32 v68, v39
	s_waitcnt lgkmcnt(0)
	s_barrier
	ds_read_b32 v72, v65 offset:60
	s_cmp_lt_i32 s22, 17
	v_mov_b32_e32 v68, 15
	s_cbranch_scc1 .LBB118_253
; %bb.251:
	v_add3_u32 v70, v70, 0, 64
	v_mov_b32_e32 v68, 15
	s_mov_b32 s0, 16
.LBB118_252:                            ; =>This Inner Loop Header: Depth=1
	ds_read_b32 v73, v70
	v_mov_b32_e32 v74, s0
	s_add_i32 s0, s0, 1
	v_add_u32_e32 v70, 4, v70
	s_cmp_lg_u32 s22, s0
	s_waitcnt lgkmcnt(0)
	v_cmp_lt_f32_e64 vcc, |v72|, |v73|
	s_nop 1
	v_cndmask_b32_e32 v72, v72, v73, vcc
	v_cndmask_b32_e32 v68, v68, v74, vcc
	s_cbranch_scc1 .LBB118_252
.LBB118_253:
	s_waitcnt lgkmcnt(0)
	v_cmp_eq_f32_e32 vcc, 0, v72
	s_and_saveexec_b64 s[0:1], vcc
	s_xor_b64 s[0:1], exec, s[0:1]
; %bb.254:
	v_cmp_ne_u32_e32 vcc, 0, v67
	s_nop 1
	v_cndmask_b32_e32 v67, 16, v67, vcc
; %bb.255:
	s_andn2_saveexec_b64 s[0:1], s[0:1]
	s_cbranch_execz .LBB118_257
; %bb.256:
	v_div_scale_f32 v70, s[2:3], v72, v72, 1.0
	v_rcp_f32_e32 v73, v70
	v_div_scale_f32 v74, vcc, 1.0, v72, 1.0
	v_fma_f32 v75, -v70, v73, 1.0
	v_fmac_f32_e32 v73, v75, v73
	v_mul_f32_e32 v75, v74, v73
	v_fma_f32 v76, -v70, v75, v74
	v_fmac_f32_e32 v75, v76, v73
	v_fma_f32 v70, -v70, v75, v74
	v_div_fmas_f32 v70, v70, v73, v75
	v_div_fixup_f32 v72, v70, v72, 1.0
.LBB118_257:
	s_or_b64 exec, exec, s[0:1]
	v_cmp_ne_u32_e32 vcc, v71, v68
	s_and_saveexec_b64 s[0:1], vcc
	s_xor_b64 s[0:1], exec, s[0:1]
	s_cbranch_execz .LBB118_263
; %bb.258:
	v_cmp_eq_u32_e32 vcc, 15, v71
	s_and_saveexec_b64 s[2:3], vcc
	s_cbranch_execz .LBB118_262
; %bb.259:
	v_cmp_ne_u32_e32 vcc, 15, v68
	s_xor_b64 s[12:13], s[20:21], -1
	s_and_b64 s[14:15], s[12:13], vcc
	s_and_saveexec_b64 s[12:13], s[14:15]
	s_cbranch_execz .LBB118_261
; %bb.260:
	v_ashrrev_i32_e32 v69, 31, v68
	v_lshl_add_u64 v[70:71], v[68:69], 2, v[4:5]
	global_load_dword v69, v[70:71], off
	global_load_dword v73, v[4:5], off offset:60
	s_waitcnt vmcnt(1)
	global_store_dword v[4:5], v69, off offset:60
	s_waitcnt vmcnt(1)
	global_store_dword v[70:71], v73, off
.LBB118_261:
	s_or_b64 exec, exec, s[12:13]
	v_mov_b32_e32 v69, v68
	v_mov_b32_e32 v71, v68
.LBB118_262:
	s_or_b64 exec, exec, s[2:3]
.LBB118_263:
	s_andn2_saveexec_b64 s[0:1], s[0:1]
	s_cbranch_execz .LBB118_265
; %bb.264:
	v_mov_b32_e32 v71, 15
	ds_write2_b32 v65, v54, v55 offset0:16 offset1:17
	ds_write2_b32 v65, v48, v49 offset0:18 offset1:19
	;; [unrolled: 1-line block ×22, first 2 shown]
.LBB118_265:
	s_or_b64 exec, exec, s[0:1]
	v_cmp_lt_i32_e32 vcc, 15, v71
	s_waitcnt lgkmcnt(0)
	s_barrier
	s_and_saveexec_b64 s[0:1], vcc
	s_cbranch_execz .LBB118_267
; %bb.266:
	ds_read2_b32 v[74:75], v65 offset0:16 offset1:17
	ds_read2_b32 v[76:77], v65 offset0:18 offset1:19
	;; [unrolled: 1-line block ×3, first 2 shown]
	v_mul_f32_e32 v68, v72, v39
	ds_read2_b32 v[72:73], v65 offset0:22 offset1:23
	s_waitcnt lgkmcnt(3)
	v_pk_fma_f32 v[54:55], v[68:69], v[74:75], v[54:55] op_sel_hi:[0,1,1] neg_lo:[1,0,0] neg_hi:[1,0,0]
	s_waitcnt lgkmcnt(2)
	v_pk_fma_f32 v[48:49], v[68:69], v[76:77], v[48:49] op_sel_hi:[0,1,1] neg_lo:[1,0,0] neg_hi:[1,0,0]
	s_waitcnt lgkmcnt(1)
	v_pk_fma_f32 v[40:41], v[68:69], v[78:79], v[40:41] op_sel_hi:[0,1,1] neg_lo:[1,0,0] neg_hi:[1,0,0]
	ds_read2_b32 v[74:75], v65 offset0:24 offset1:25
	ds_read2_b32 v[76:77], v65 offset0:26 offset1:27
	ds_read2_b32 v[78:79], v65 offset0:28 offset1:29
	s_waitcnt lgkmcnt(3)
	v_pk_fma_f32 v[30:31], v[68:69], v[72:73], v[30:31] op_sel_hi:[0,1,1] neg_lo:[1,0,0] neg_hi:[1,0,0]
	ds_read2_b32 v[72:73], v65 offset0:30 offset1:31
	s_waitcnt lgkmcnt(3)
	v_pk_fma_f32 v[50:51], v[68:69], v[74:75], v[50:51] op_sel_hi:[0,1,1] neg_lo:[1,0,0] neg_hi:[1,0,0]
	s_waitcnt lgkmcnt(2)
	v_pk_fma_f32 v[42:43], v[68:69], v[76:77], v[42:43] op_sel_hi:[0,1,1] neg_lo:[1,0,0] neg_hi:[1,0,0]
	s_waitcnt lgkmcnt(1)
	v_pk_fma_f32 v[32:33], v[68:69], v[78:79], v[32:33] op_sel_hi:[0,1,1] neg_lo:[1,0,0] neg_hi:[1,0,0]
	ds_read2_b32 v[74:75], v65 offset0:32 offset1:33
	ds_read2_b32 v[76:77], v65 offset0:34 offset1:35
	ds_read2_b32 v[78:79], v65 offset0:36 offset1:37
	s_waitcnt lgkmcnt(3)
	v_pk_fma_f32 v[22:23], v[68:69], v[72:73], v[22:23] op_sel_hi:[0,1,1] neg_lo:[1,0,0] neg_hi:[1,0,0]
	;; [unrolled: 12-line block ×3, first 2 shown]
	ds_read2_b32 v[72:73], v65 offset0:46 offset1:47
	s_waitcnt lgkmcnt(3)
	v_pk_fma_f32 v[36:37], v[68:69], v[74:75], v[36:37] op_sel_hi:[0,1,1] neg_lo:[1,0,0] neg_hi:[1,0,0]
	ds_read2_b32 v[74:75], v65 offset0:48 offset1:49
	s_waitcnt lgkmcnt(3)
	v_pk_fma_f32 v[26:27], v[68:69], v[76:77], v[26:27] op_sel_hi:[0,1,1] neg_lo:[1,0,0] neg_hi:[1,0,0]
	s_waitcnt lgkmcnt(2)
	v_pk_fma_f32 v[18:19], v[68:69], v[78:79], v[18:19] op_sel_hi:[0,1,1] neg_lo:[1,0,0] neg_hi:[1,0,0]
	;; [unrolled: 2-line block ×3, first 2 shown]
	ds_read2_b32 v[72:73], v65 offset0:50 offset1:51
	ds_read2_b32 v[76:77], v65 offset0:52 offset1:53
	ds_read2_b32 v[78:79], v65 offset0:54 offset1:55
	s_waitcnt lgkmcnt(3)
	v_pk_fma_f32 v[28:29], v[68:69], v[74:75], v[28:29] op_sel_hi:[0,1,1] neg_lo:[1,0,0] neg_hi:[1,0,0]
	ds_read2_b32 v[74:75], v65 offset0:56 offset1:57
	ds_read2_b32 v[80:81], v65 offset0:58 offset1:59
	s_waitcnt lgkmcnt(4)
	v_pk_fma_f32 v[20:21], v[68:69], v[72:73], v[20:21] op_sel_hi:[0,1,1] neg_lo:[1,0,0] neg_hi:[1,0,0]
	s_waitcnt lgkmcnt(3)
	v_pk_fma_f32 v[14:15], v[68:69], v[76:77], v[14:15] op_sel_hi:[0,1,1] neg_lo:[1,0,0] neg_hi:[1,0,0]
	;; [unrolled: 2-line block ×5, first 2 shown]
	v_mov_b32_e32 v39, v68
.LBB118_267:
	s_or_b64 exec, exec, s[0:1]
	v_lshl_add_u32 v68, v71, 2, v65
	s_barrier
	ds_write_b32 v68, v54
	s_waitcnt lgkmcnt(0)
	s_barrier
	ds_read_b32 v70, v65 offset:64
	s_cmp_lt_i32 s22, 18
	v_mov_b32_e32 v68, 16
	s_cbranch_scc1 .LBB118_270
; %bb.268:
	v_add_u32_e32 v72, 0x44, v65
	v_mov_b32_e32 v68, 16
	s_mov_b32 s0, 17
.LBB118_269:                            ; =>This Inner Loop Header: Depth=1
	ds_read_b32 v73, v72
	v_mov_b32_e32 v74, s0
	s_add_i32 s0, s0, 1
	v_add_u32_e32 v72, 4, v72
	s_cmp_lg_u32 s22, s0
	s_waitcnt lgkmcnt(0)
	v_cmp_lt_f32_e64 vcc, |v70|, |v73|
	s_nop 1
	v_cndmask_b32_e32 v70, v70, v73, vcc
	v_cndmask_b32_e32 v68, v68, v74, vcc
	s_cbranch_scc1 .LBB118_269
.LBB118_270:
	s_waitcnt lgkmcnt(0)
	v_cmp_eq_f32_e32 vcc, 0, v70
	s_and_saveexec_b64 s[0:1], vcc
	s_xor_b64 s[0:1], exec, s[0:1]
; %bb.271:
	v_cmp_ne_u32_e32 vcc, 0, v67
	s_nop 1
	v_cndmask_b32_e32 v67, 17, v67, vcc
; %bb.272:
	s_andn2_saveexec_b64 s[0:1], s[0:1]
	s_cbranch_execz .LBB118_274
; %bb.273:
	v_div_scale_f32 v72, s[2:3], v70, v70, 1.0
	v_rcp_f32_e32 v73, v72
	v_div_scale_f32 v74, vcc, 1.0, v70, 1.0
	v_fma_f32 v75, -v72, v73, 1.0
	v_fmac_f32_e32 v73, v75, v73
	v_mul_f32_e32 v75, v74, v73
	v_fma_f32 v76, -v72, v75, v74
	v_fmac_f32_e32 v75, v76, v73
	v_fma_f32 v72, -v72, v75, v74
	v_div_fmas_f32 v72, v72, v73, v75
	v_div_fixup_f32 v70, v72, v70, 1.0
.LBB118_274:
	s_or_b64 exec, exec, s[0:1]
	v_cmp_ne_u32_e32 vcc, v71, v68
	s_and_saveexec_b64 s[0:1], vcc
	s_xor_b64 s[0:1], exec, s[0:1]
	s_cbranch_execz .LBB118_280
; %bb.275:
	v_cmp_eq_u32_e32 vcc, 16, v71
	s_and_saveexec_b64 s[2:3], vcc
	s_cbranch_execz .LBB118_279
; %bb.276:
	v_cmp_ne_u32_e32 vcc, 16, v68
	s_xor_b64 s[12:13], s[20:21], -1
	s_and_b64 s[14:15], s[12:13], vcc
	s_and_saveexec_b64 s[12:13], s[14:15]
	s_cbranch_execz .LBB118_278
; %bb.277:
	v_ashrrev_i32_e32 v69, 31, v68
	v_lshl_add_u64 v[72:73], v[68:69], 2, v[4:5]
	global_load_dword v69, v[72:73], off
	global_load_dword v71, v[4:5], off offset:64
	s_waitcnt vmcnt(1)
	global_store_dword v[4:5], v69, off offset:64
	s_waitcnt vmcnt(1)
	global_store_dword v[72:73], v71, off
.LBB118_278:
	s_or_b64 exec, exec, s[12:13]
	v_mov_b32_e32 v69, v68
	v_mov_b32_e32 v71, v68
.LBB118_279:
	s_or_b64 exec, exec, s[2:3]
.LBB118_280:
	s_andn2_saveexec_b64 s[0:1], s[0:1]
	s_cbranch_execz .LBB118_282
; %bb.281:
	v_pk_mov_b32 v[72:73], v[54:55], v[48:49] op_sel:[1,0]
	ds_write2_b32 v65, v72, v73 offset0:17 offset1:18
	v_pk_mov_b32 v[72:73], v[48:49], v[40:41] op_sel:[1,0]
	ds_write2_b32 v65, v72, v73 offset0:19 offset1:20
	;; [unrolled: 2-line block ×20, first 2 shown]
	v_pk_mov_b32 v[72:73], v[12:13], v[8:9] op_sel:[1,0]
	v_mov_b32_e32 v71, 16
	ds_write2_b32 v65, v72, v73 offset0:57 offset1:58
	ds_write_b32 v65, v9 offset:236
.LBB118_282:
	s_or_b64 exec, exec, s[0:1]
	v_cmp_lt_i32_e32 vcc, 16, v71
	s_waitcnt lgkmcnt(0)
	s_barrier
	s_and_saveexec_b64 s[0:1], vcc
	s_cbranch_execz .LBB118_284
; %bb.283:
	ds_read_b32 v68, v65 offset:68
	ds_read2_b32 v[72:73], v65 offset0:18 offset1:19
	ds_read2_b32 v[74:75], v65 offset0:20 offset1:21
	v_mul_f32_e32 v54, v70, v54
	ds_read2_b32 v[76:77], v65 offset0:22 offset1:23
	s_waitcnt lgkmcnt(3)
	v_fma_f32 v55, -v54, v68, v55
	s_waitcnt lgkmcnt(2)
	v_pk_fma_f32 v[48:49], v[54:55], v[72:73], v[48:49] op_sel_hi:[0,1,1] neg_lo:[1,0,0] neg_hi:[1,0,0]
	s_waitcnt lgkmcnt(1)
	v_pk_fma_f32 v[40:41], v[54:55], v[74:75], v[40:41] op_sel_hi:[0,1,1] neg_lo:[1,0,0] neg_hi:[1,0,0]
	ds_read2_b32 v[72:73], v65 offset0:24 offset1:25
	ds_read2_b32 v[74:75], v65 offset0:26 offset1:27
	ds_read2_b32 v[78:79], v65 offset0:28 offset1:29
	s_waitcnt lgkmcnt(3)
	v_pk_fma_f32 v[30:31], v[54:55], v[76:77], v[30:31] op_sel_hi:[0,1,1] neg_lo:[1,0,0] neg_hi:[1,0,0]
	ds_read2_b32 v[76:77], v65 offset0:30 offset1:31
	s_waitcnt lgkmcnt(3)
	v_pk_fma_f32 v[50:51], v[54:55], v[72:73], v[50:51] op_sel_hi:[0,1,1] neg_lo:[1,0,0] neg_hi:[1,0,0]
	s_waitcnt lgkmcnt(2)
	v_pk_fma_f32 v[42:43], v[54:55], v[74:75], v[42:43] op_sel_hi:[0,1,1] neg_lo:[1,0,0] neg_hi:[1,0,0]
	s_waitcnt lgkmcnt(1)
	v_pk_fma_f32 v[32:33], v[54:55], v[78:79], v[32:33] op_sel_hi:[0,1,1] neg_lo:[1,0,0] neg_hi:[1,0,0]
	ds_read2_b32 v[72:73], v65 offset0:32 offset1:33
	ds_read2_b32 v[74:75], v65 offset0:34 offset1:35
	ds_read2_b32 v[78:79], v65 offset0:36 offset1:37
	s_waitcnt lgkmcnt(3)
	v_pk_fma_f32 v[22:23], v[54:55], v[76:77], v[22:23] op_sel_hi:[0,1,1] neg_lo:[1,0,0] neg_hi:[1,0,0]
	ds_read2_b32 v[76:77], v65 offset0:38 offset1:39
	s_waitcnt lgkmcnt(3)
	v_pk_fma_f32 v[44:45], v[54:55], v[72:73], v[44:45] op_sel_hi:[0,1,1] neg_lo:[1,0,0] neg_hi:[1,0,0]
	;; [unrolled: 12-line block ×3, first 2 shown]
	ds_read2_b32 v[72:73], v65 offset0:48 offset1:49
	s_waitcnt lgkmcnt(3)
	v_pk_fma_f32 v[26:27], v[54:55], v[74:75], v[26:27] op_sel_hi:[0,1,1] neg_lo:[1,0,0] neg_hi:[1,0,0]
	s_waitcnt lgkmcnt(2)
	v_pk_fma_f32 v[18:19], v[54:55], v[78:79], v[18:19] op_sel_hi:[0,1,1] neg_lo:[1,0,0] neg_hi:[1,0,0]
	;; [unrolled: 2-line block ×3, first 2 shown]
	ds_read2_b32 v[74:75], v65 offset0:50 offset1:51
	ds_read2_b32 v[76:77], v65 offset0:52 offset1:53
	;; [unrolled: 1-line block ×3, first 2 shown]
	s_waitcnt lgkmcnt(3)
	v_pk_fma_f32 v[28:29], v[54:55], v[72:73], v[28:29] op_sel_hi:[0,1,1] neg_lo:[1,0,0] neg_hi:[1,0,0]
	ds_read2_b32 v[72:73], v65 offset0:56 offset1:57
	ds_read2_b32 v[80:81], v65 offset0:58 offset1:59
	s_waitcnt lgkmcnt(4)
	v_pk_fma_f32 v[20:21], v[54:55], v[74:75], v[20:21] op_sel_hi:[0,1,1] neg_lo:[1,0,0] neg_hi:[1,0,0]
	s_waitcnt lgkmcnt(3)
	v_pk_fma_f32 v[14:15], v[54:55], v[76:77], v[14:15] op_sel_hi:[0,1,1] neg_lo:[1,0,0] neg_hi:[1,0,0]
	;; [unrolled: 2-line block ×5, first 2 shown]
.LBB118_284:
	s_or_b64 exec, exec, s[0:1]
	v_lshl_add_u32 v68, v71, 2, v65
	s_barrier
	ds_write_b32 v68, v55
	s_waitcnt lgkmcnt(0)
	s_barrier
	ds_read_b32 v70, v65 offset:68
	s_cmp_lt_i32 s22, 19
	v_mov_b32_e32 v68, 17
	s_cbranch_scc1 .LBB118_287
; %bb.285:
	v_add_u32_e32 v72, 0x48, v65
	v_mov_b32_e32 v68, 17
	s_mov_b32 s0, 18
.LBB118_286:                            ; =>This Inner Loop Header: Depth=1
	ds_read_b32 v73, v72
	v_mov_b32_e32 v74, s0
	s_add_i32 s0, s0, 1
	v_add_u32_e32 v72, 4, v72
	s_cmp_lg_u32 s22, s0
	s_waitcnt lgkmcnt(0)
	v_cmp_lt_f32_e64 vcc, |v70|, |v73|
	s_nop 1
	v_cndmask_b32_e32 v70, v70, v73, vcc
	v_cndmask_b32_e32 v68, v68, v74, vcc
	s_cbranch_scc1 .LBB118_286
.LBB118_287:
	s_waitcnt lgkmcnt(0)
	v_cmp_eq_f32_e32 vcc, 0, v70
	s_and_saveexec_b64 s[0:1], vcc
	s_xor_b64 s[0:1], exec, s[0:1]
; %bb.288:
	v_cmp_ne_u32_e32 vcc, 0, v67
	s_nop 1
	v_cndmask_b32_e32 v67, 18, v67, vcc
; %bb.289:
	s_andn2_saveexec_b64 s[0:1], s[0:1]
	s_cbranch_execz .LBB118_291
; %bb.290:
	v_div_scale_f32 v72, s[2:3], v70, v70, 1.0
	v_rcp_f32_e32 v73, v72
	v_div_scale_f32 v74, vcc, 1.0, v70, 1.0
	v_fma_f32 v75, -v72, v73, 1.0
	v_fmac_f32_e32 v73, v75, v73
	v_mul_f32_e32 v75, v74, v73
	v_fma_f32 v76, -v72, v75, v74
	v_fmac_f32_e32 v75, v76, v73
	v_fma_f32 v72, -v72, v75, v74
	v_div_fmas_f32 v72, v72, v73, v75
	v_div_fixup_f32 v70, v72, v70, 1.0
.LBB118_291:
	s_or_b64 exec, exec, s[0:1]
	v_cmp_ne_u32_e32 vcc, v71, v68
	s_and_saveexec_b64 s[0:1], vcc
	s_xor_b64 s[0:1], exec, s[0:1]
	s_cbranch_execz .LBB118_297
; %bb.292:
	v_cmp_eq_u32_e32 vcc, 17, v71
	s_and_saveexec_b64 s[2:3], vcc
	s_cbranch_execz .LBB118_296
; %bb.293:
	v_cmp_ne_u32_e32 vcc, 17, v68
	s_xor_b64 s[12:13], s[20:21], -1
	s_and_b64 s[14:15], s[12:13], vcc
	s_and_saveexec_b64 s[12:13], s[14:15]
	s_cbranch_execz .LBB118_295
; %bb.294:
	v_ashrrev_i32_e32 v69, 31, v68
	v_lshl_add_u64 v[72:73], v[68:69], 2, v[4:5]
	global_load_dword v69, v[72:73], off
	global_load_dword v71, v[4:5], off offset:68
	s_waitcnt vmcnt(1)
	global_store_dword v[4:5], v69, off offset:68
	s_waitcnt vmcnt(1)
	global_store_dword v[72:73], v71, off
.LBB118_295:
	s_or_b64 exec, exec, s[12:13]
	v_mov_b32_e32 v69, v68
	v_mov_b32_e32 v71, v68
.LBB118_296:
	s_or_b64 exec, exec, s[2:3]
.LBB118_297:
	s_andn2_saveexec_b64 s[0:1], s[0:1]
	s_cbranch_execz .LBB118_299
; %bb.298:
	v_mov_b32_e32 v71, 17
	ds_write2_b32 v65, v48, v49 offset0:18 offset1:19
	ds_write2_b32 v65, v40, v41 offset0:20 offset1:21
	;; [unrolled: 1-line block ×21, first 2 shown]
.LBB118_299:
	s_or_b64 exec, exec, s[0:1]
	v_cmp_lt_i32_e32 vcc, 17, v71
	s_waitcnt lgkmcnt(0)
	s_barrier
	s_and_saveexec_b64 s[0:1], vcc
	s_cbranch_execz .LBB118_301
; %bb.300:
	ds_read2_b32 v[72:73], v65 offset0:18 offset1:19
	ds_read2_b32 v[74:75], v65 offset0:20 offset1:21
	;; [unrolled: 1-line block ×3, first 2 shown]
	v_mul_f32_e32 v68, v70, v55
	ds_read2_b32 v[78:79], v65 offset0:24 offset1:25
	s_waitcnt lgkmcnt(3)
	v_pk_fma_f32 v[48:49], v[68:69], v[72:73], v[48:49] op_sel_hi:[0,1,1] neg_lo:[1,0,0] neg_hi:[1,0,0]
	s_waitcnt lgkmcnt(2)
	v_pk_fma_f32 v[40:41], v[68:69], v[74:75], v[40:41] op_sel_hi:[0,1,1] neg_lo:[1,0,0] neg_hi:[1,0,0]
	;; [unrolled: 2-line block ×3, first 2 shown]
	ds_read2_b32 v[72:73], v65 offset0:26 offset1:27
	ds_read2_b32 v[74:75], v65 offset0:28 offset1:29
	;; [unrolled: 1-line block ×3, first 2 shown]
	s_waitcnt lgkmcnt(3)
	v_pk_fma_f32 v[50:51], v[68:69], v[78:79], v[50:51] op_sel_hi:[0,1,1] neg_lo:[1,0,0] neg_hi:[1,0,0]
	ds_read2_b32 v[78:79], v65 offset0:32 offset1:33
	s_waitcnt lgkmcnt(3)
	v_pk_fma_f32 v[42:43], v[68:69], v[72:73], v[42:43] op_sel_hi:[0,1,1] neg_lo:[1,0,0] neg_hi:[1,0,0]
	s_waitcnt lgkmcnt(2)
	v_pk_fma_f32 v[32:33], v[68:69], v[74:75], v[32:33] op_sel_hi:[0,1,1] neg_lo:[1,0,0] neg_hi:[1,0,0]
	;; [unrolled: 2-line block ×3, first 2 shown]
	ds_read2_b32 v[72:73], v65 offset0:34 offset1:35
	ds_read2_b32 v[74:75], v65 offset0:36 offset1:37
	;; [unrolled: 1-line block ×3, first 2 shown]
	s_waitcnt lgkmcnt(3)
	v_pk_fma_f32 v[44:45], v[68:69], v[78:79], v[44:45] op_sel_hi:[0,1,1] neg_lo:[1,0,0] neg_hi:[1,0,0]
	ds_read2_b32 v[78:79], v65 offset0:40 offset1:41
	s_waitcnt lgkmcnt(3)
	v_pk_fma_f32 v[34:35], v[68:69], v[72:73], v[34:35] op_sel_hi:[0,1,1] neg_lo:[1,0,0] neg_hi:[1,0,0]
	s_waitcnt lgkmcnt(2)
	v_pk_fma_f32 v[24:25], v[68:69], v[74:75], v[24:25] op_sel_hi:[0,1,1] neg_lo:[1,0,0] neg_hi:[1,0,0]
	;; [unrolled: 2-line block ×3, first 2 shown]
	ds_read2_b32 v[72:73], v65 offset0:42 offset1:43
	ds_read2_b32 v[74:75], v65 offset0:44 offset1:45
	;; [unrolled: 1-line block ×4, first 2 shown]
	s_waitcnt lgkmcnt(4)
	v_pk_fma_f32 v[36:37], v[68:69], v[78:79], v[36:37] op_sel_hi:[0,1,1] neg_lo:[1,0,0] neg_hi:[1,0,0]
	s_waitcnt lgkmcnt(3)
	v_pk_fma_f32 v[26:27], v[68:69], v[72:73], v[26:27] op_sel_hi:[0,1,1] neg_lo:[1,0,0] neg_hi:[1,0,0]
	;; [unrolled: 2-line block ×5, first 2 shown]
	ds_read2_b32 v[72:73], v65 offset0:50 offset1:51
	ds_read2_b32 v[74:75], v65 offset0:52 offset1:53
	ds_read2_b32 v[76:77], v65 offset0:54 offset1:55
	ds_read2_b32 v[78:79], v65 offset0:56 offset1:57
	ds_read2_b32 v[80:81], v65 offset0:58 offset1:59
	s_waitcnt lgkmcnt(4)
	v_pk_fma_f32 v[20:21], v[68:69], v[72:73], v[20:21] op_sel_hi:[0,1,1] neg_lo:[1,0,0] neg_hi:[1,0,0]
	s_waitcnt lgkmcnt(3)
	v_pk_fma_f32 v[14:15], v[68:69], v[74:75], v[14:15] op_sel_hi:[0,1,1] neg_lo:[1,0,0] neg_hi:[1,0,0]
	;; [unrolled: 2-line block ×5, first 2 shown]
	v_mov_b32_e32 v55, v68
.LBB118_301:
	s_or_b64 exec, exec, s[0:1]
	v_lshl_add_u32 v68, v71, 2, v65
	s_barrier
	ds_write_b32 v68, v48
	s_waitcnt lgkmcnt(0)
	s_barrier
	ds_read_b32 v70, v65 offset:72
	s_cmp_lt_i32 s22, 20
	v_mov_b32_e32 v68, 18
	s_cbranch_scc1 .LBB118_304
; %bb.302:
	v_add_u32_e32 v72, 0x4c, v65
	v_mov_b32_e32 v68, 18
	s_mov_b32 s0, 19
.LBB118_303:                            ; =>This Inner Loop Header: Depth=1
	ds_read_b32 v73, v72
	v_mov_b32_e32 v74, s0
	s_add_i32 s0, s0, 1
	v_add_u32_e32 v72, 4, v72
	s_cmp_lg_u32 s22, s0
	s_waitcnt lgkmcnt(0)
	v_cmp_lt_f32_e64 vcc, |v70|, |v73|
	s_nop 1
	v_cndmask_b32_e32 v70, v70, v73, vcc
	v_cndmask_b32_e32 v68, v68, v74, vcc
	s_cbranch_scc1 .LBB118_303
.LBB118_304:
	s_waitcnt lgkmcnt(0)
	v_cmp_eq_f32_e32 vcc, 0, v70
	s_and_saveexec_b64 s[0:1], vcc
	s_xor_b64 s[0:1], exec, s[0:1]
; %bb.305:
	v_cmp_ne_u32_e32 vcc, 0, v67
	s_nop 1
	v_cndmask_b32_e32 v67, 19, v67, vcc
; %bb.306:
	s_andn2_saveexec_b64 s[0:1], s[0:1]
	s_cbranch_execz .LBB118_308
; %bb.307:
	v_div_scale_f32 v72, s[2:3], v70, v70, 1.0
	v_rcp_f32_e32 v73, v72
	v_div_scale_f32 v74, vcc, 1.0, v70, 1.0
	v_fma_f32 v75, -v72, v73, 1.0
	v_fmac_f32_e32 v73, v75, v73
	v_mul_f32_e32 v75, v74, v73
	v_fma_f32 v76, -v72, v75, v74
	v_fmac_f32_e32 v75, v76, v73
	v_fma_f32 v72, -v72, v75, v74
	v_div_fmas_f32 v72, v72, v73, v75
	v_div_fixup_f32 v70, v72, v70, 1.0
.LBB118_308:
	s_or_b64 exec, exec, s[0:1]
	v_cmp_ne_u32_e32 vcc, v71, v68
	s_and_saveexec_b64 s[0:1], vcc
	s_xor_b64 s[0:1], exec, s[0:1]
	s_cbranch_execz .LBB118_314
; %bb.309:
	v_cmp_eq_u32_e32 vcc, 18, v71
	s_and_saveexec_b64 s[2:3], vcc
	s_cbranch_execz .LBB118_313
; %bb.310:
	v_cmp_ne_u32_e32 vcc, 18, v68
	s_xor_b64 s[12:13], s[20:21], -1
	s_and_b64 s[14:15], s[12:13], vcc
	s_and_saveexec_b64 s[12:13], s[14:15]
	s_cbranch_execz .LBB118_312
; %bb.311:
	v_ashrrev_i32_e32 v69, 31, v68
	v_lshl_add_u64 v[72:73], v[68:69], 2, v[4:5]
	global_load_dword v69, v[72:73], off
	global_load_dword v71, v[4:5], off offset:72
	s_waitcnt vmcnt(1)
	global_store_dword v[4:5], v69, off offset:72
	s_waitcnt vmcnt(1)
	global_store_dword v[72:73], v71, off
.LBB118_312:
	s_or_b64 exec, exec, s[12:13]
	v_mov_b32_e32 v69, v68
	v_mov_b32_e32 v71, v68
.LBB118_313:
	s_or_b64 exec, exec, s[2:3]
.LBB118_314:
	s_andn2_saveexec_b64 s[0:1], s[0:1]
	s_cbranch_execz .LBB118_316
; %bb.315:
	v_pk_mov_b32 v[72:73], v[48:49], v[40:41] op_sel:[1,0]
	ds_write2_b32 v65, v72, v73 offset0:19 offset1:20
	v_pk_mov_b32 v[72:73], v[40:41], v[30:31] op_sel:[1,0]
	ds_write2_b32 v65, v72, v73 offset0:21 offset1:22
	;; [unrolled: 2-line block ×19, first 2 shown]
	v_pk_mov_b32 v[72:73], v[12:13], v[8:9] op_sel:[1,0]
	v_mov_b32_e32 v71, 18
	ds_write2_b32 v65, v72, v73 offset0:57 offset1:58
	ds_write_b32 v65, v9 offset:236
.LBB118_316:
	s_or_b64 exec, exec, s[0:1]
	v_cmp_lt_i32_e32 vcc, 18, v71
	s_waitcnt lgkmcnt(0)
	s_barrier
	s_and_saveexec_b64 s[0:1], vcc
	s_cbranch_execz .LBB118_318
; %bb.317:
	ds_read_b32 v68, v65 offset:76
	ds_read2_b32 v[72:73], v65 offset0:20 offset1:21
	ds_read2_b32 v[74:75], v65 offset0:22 offset1:23
	v_mul_f32_e32 v48, v70, v48
	ds_read2_b32 v[76:77], v65 offset0:24 offset1:25
	s_waitcnt lgkmcnt(3)
	v_fma_f32 v49, -v48, v68, v49
	s_waitcnt lgkmcnt(2)
	v_pk_fma_f32 v[40:41], v[48:49], v[72:73], v[40:41] op_sel_hi:[0,1,1] neg_lo:[1,0,0] neg_hi:[1,0,0]
	s_waitcnt lgkmcnt(1)
	v_pk_fma_f32 v[30:31], v[48:49], v[74:75], v[30:31] op_sel_hi:[0,1,1] neg_lo:[1,0,0] neg_hi:[1,0,0]
	ds_read2_b32 v[72:73], v65 offset0:26 offset1:27
	ds_read2_b32 v[74:75], v65 offset0:28 offset1:29
	;; [unrolled: 1-line block ×3, first 2 shown]
	s_waitcnt lgkmcnt(3)
	v_pk_fma_f32 v[50:51], v[48:49], v[76:77], v[50:51] op_sel_hi:[0,1,1] neg_lo:[1,0,0] neg_hi:[1,0,0]
	ds_read2_b32 v[76:77], v65 offset0:32 offset1:33
	s_waitcnt lgkmcnt(3)
	v_pk_fma_f32 v[42:43], v[48:49], v[72:73], v[42:43] op_sel_hi:[0,1,1] neg_lo:[1,0,0] neg_hi:[1,0,0]
	s_waitcnt lgkmcnt(2)
	v_pk_fma_f32 v[32:33], v[48:49], v[74:75], v[32:33] op_sel_hi:[0,1,1] neg_lo:[1,0,0] neg_hi:[1,0,0]
	;; [unrolled: 2-line block ×3, first 2 shown]
	ds_read2_b32 v[72:73], v65 offset0:34 offset1:35
	ds_read2_b32 v[74:75], v65 offset0:36 offset1:37
	;; [unrolled: 1-line block ×3, first 2 shown]
	s_waitcnt lgkmcnt(3)
	v_pk_fma_f32 v[44:45], v[48:49], v[76:77], v[44:45] op_sel_hi:[0,1,1] neg_lo:[1,0,0] neg_hi:[1,0,0]
	ds_read2_b32 v[76:77], v65 offset0:40 offset1:41
	s_waitcnt lgkmcnt(3)
	v_pk_fma_f32 v[34:35], v[48:49], v[72:73], v[34:35] op_sel_hi:[0,1,1] neg_lo:[1,0,0] neg_hi:[1,0,0]
	s_waitcnt lgkmcnt(2)
	v_pk_fma_f32 v[24:25], v[48:49], v[74:75], v[24:25] op_sel_hi:[0,1,1] neg_lo:[1,0,0] neg_hi:[1,0,0]
	;; [unrolled: 2-line block ×3, first 2 shown]
	ds_read2_b32 v[72:73], v65 offset0:42 offset1:43
	ds_read2_b32 v[74:75], v65 offset0:44 offset1:45
	;; [unrolled: 1-line block ×4, first 2 shown]
	s_waitcnt lgkmcnt(4)
	v_pk_fma_f32 v[36:37], v[48:49], v[76:77], v[36:37] op_sel_hi:[0,1,1] neg_lo:[1,0,0] neg_hi:[1,0,0]
	s_waitcnt lgkmcnt(3)
	v_pk_fma_f32 v[26:27], v[48:49], v[72:73], v[26:27] op_sel_hi:[0,1,1] neg_lo:[1,0,0] neg_hi:[1,0,0]
	s_waitcnt lgkmcnt(2)
	v_pk_fma_f32 v[18:19], v[48:49], v[74:75], v[18:19] op_sel_hi:[0,1,1] neg_lo:[1,0,0] neg_hi:[1,0,0]
	s_waitcnt lgkmcnt(1)
	v_pk_fma_f32 v[10:11], v[48:49], v[78:79], v[10:11] op_sel_hi:[0,1,1] neg_lo:[1,0,0] neg_hi:[1,0,0]
	s_waitcnt lgkmcnt(0)
	v_pk_fma_f32 v[28:29], v[48:49], v[80:81], v[28:29] op_sel_hi:[0,1,1] neg_lo:[1,0,0] neg_hi:[1,0,0]
	ds_read2_b32 v[72:73], v65 offset0:50 offset1:51
	ds_read2_b32 v[74:75], v65 offset0:52 offset1:53
	;; [unrolled: 1-line block ×5, first 2 shown]
	s_waitcnt lgkmcnt(4)
	v_pk_fma_f32 v[20:21], v[48:49], v[72:73], v[20:21] op_sel_hi:[0,1,1] neg_lo:[1,0,0] neg_hi:[1,0,0]
	s_waitcnt lgkmcnt(3)
	v_pk_fma_f32 v[14:15], v[48:49], v[74:75], v[14:15] op_sel_hi:[0,1,1] neg_lo:[1,0,0] neg_hi:[1,0,0]
	;; [unrolled: 2-line block ×5, first 2 shown]
.LBB118_318:
	s_or_b64 exec, exec, s[0:1]
	v_lshl_add_u32 v68, v71, 2, v65
	s_barrier
	ds_write_b32 v68, v49
	s_waitcnt lgkmcnt(0)
	s_barrier
	ds_read_b32 v70, v65 offset:76
	s_cmp_lt_i32 s22, 21
	v_mov_b32_e32 v68, 19
	s_cbranch_scc1 .LBB118_321
; %bb.319:
	v_add_u32_e32 v72, 0x50, v65
	v_mov_b32_e32 v68, 19
	s_mov_b32 s0, 20
.LBB118_320:                            ; =>This Inner Loop Header: Depth=1
	ds_read_b32 v73, v72
	v_mov_b32_e32 v74, s0
	s_add_i32 s0, s0, 1
	v_add_u32_e32 v72, 4, v72
	s_cmp_lg_u32 s22, s0
	s_waitcnt lgkmcnt(0)
	v_cmp_lt_f32_e64 vcc, |v70|, |v73|
	s_nop 1
	v_cndmask_b32_e32 v70, v70, v73, vcc
	v_cndmask_b32_e32 v68, v68, v74, vcc
	s_cbranch_scc1 .LBB118_320
.LBB118_321:
	s_waitcnt lgkmcnt(0)
	v_cmp_eq_f32_e32 vcc, 0, v70
	s_and_saveexec_b64 s[0:1], vcc
	s_xor_b64 s[0:1], exec, s[0:1]
; %bb.322:
	v_cmp_ne_u32_e32 vcc, 0, v67
	s_nop 1
	v_cndmask_b32_e32 v67, 20, v67, vcc
; %bb.323:
	s_andn2_saveexec_b64 s[0:1], s[0:1]
	s_cbranch_execz .LBB118_325
; %bb.324:
	v_div_scale_f32 v72, s[2:3], v70, v70, 1.0
	v_rcp_f32_e32 v73, v72
	v_div_scale_f32 v74, vcc, 1.0, v70, 1.0
	v_fma_f32 v75, -v72, v73, 1.0
	v_fmac_f32_e32 v73, v75, v73
	v_mul_f32_e32 v75, v74, v73
	v_fma_f32 v76, -v72, v75, v74
	v_fmac_f32_e32 v75, v76, v73
	v_fma_f32 v72, -v72, v75, v74
	v_div_fmas_f32 v72, v72, v73, v75
	v_div_fixup_f32 v70, v72, v70, 1.0
.LBB118_325:
	s_or_b64 exec, exec, s[0:1]
	v_cmp_ne_u32_e32 vcc, v71, v68
	s_and_saveexec_b64 s[0:1], vcc
	s_xor_b64 s[0:1], exec, s[0:1]
	s_cbranch_execz .LBB118_331
; %bb.326:
	v_cmp_eq_u32_e32 vcc, 19, v71
	s_and_saveexec_b64 s[2:3], vcc
	s_cbranch_execz .LBB118_330
; %bb.327:
	v_cmp_ne_u32_e32 vcc, 19, v68
	s_xor_b64 s[12:13], s[20:21], -1
	s_and_b64 s[14:15], s[12:13], vcc
	s_and_saveexec_b64 s[12:13], s[14:15]
	s_cbranch_execz .LBB118_329
; %bb.328:
	v_ashrrev_i32_e32 v69, 31, v68
	v_lshl_add_u64 v[72:73], v[68:69], 2, v[4:5]
	global_load_dword v69, v[72:73], off
	global_load_dword v71, v[4:5], off offset:76
	s_waitcnt vmcnt(1)
	global_store_dword v[4:5], v69, off offset:76
	s_waitcnt vmcnt(1)
	global_store_dword v[72:73], v71, off
.LBB118_329:
	s_or_b64 exec, exec, s[12:13]
	v_mov_b32_e32 v69, v68
	v_mov_b32_e32 v71, v68
.LBB118_330:
	s_or_b64 exec, exec, s[2:3]
.LBB118_331:
	s_andn2_saveexec_b64 s[0:1], s[0:1]
	s_cbranch_execz .LBB118_333
; %bb.332:
	v_mov_b32_e32 v71, 19
	ds_write2_b32 v65, v40, v41 offset0:20 offset1:21
	ds_write2_b32 v65, v30, v31 offset0:22 offset1:23
	;; [unrolled: 1-line block ×20, first 2 shown]
.LBB118_333:
	s_or_b64 exec, exec, s[0:1]
	v_cmp_lt_i32_e32 vcc, 19, v71
	s_waitcnt lgkmcnt(0)
	s_barrier
	s_and_saveexec_b64 s[0:1], vcc
	s_cbranch_execz .LBB118_335
; %bb.334:
	ds_read2_b32 v[72:73], v65 offset0:20 offset1:21
	ds_read2_b32 v[74:75], v65 offset0:22 offset1:23
	;; [unrolled: 1-line block ×3, first 2 shown]
	v_mul_f32_e32 v68, v70, v49
	ds_read2_b32 v[78:79], v65 offset0:26 offset1:27
	s_waitcnt lgkmcnt(3)
	v_pk_fma_f32 v[40:41], v[68:69], v[72:73], v[40:41] op_sel_hi:[0,1,1] neg_lo:[1,0,0] neg_hi:[1,0,0]
	s_waitcnt lgkmcnt(2)
	v_pk_fma_f32 v[30:31], v[68:69], v[74:75], v[30:31] op_sel_hi:[0,1,1] neg_lo:[1,0,0] neg_hi:[1,0,0]
	s_waitcnt lgkmcnt(1)
	v_pk_fma_f32 v[50:51], v[68:69], v[76:77], v[50:51] op_sel_hi:[0,1,1] neg_lo:[1,0,0] neg_hi:[1,0,0]
	ds_read2_b32 v[72:73], v65 offset0:28 offset1:29
	ds_read2_b32 v[74:75], v65 offset0:30 offset1:31
	ds_read2_b32 v[76:77], v65 offset0:32 offset1:33
	s_waitcnt lgkmcnt(3)
	v_pk_fma_f32 v[42:43], v[68:69], v[78:79], v[42:43] op_sel_hi:[0,1,1] neg_lo:[1,0,0] neg_hi:[1,0,0]
	ds_read2_b32 v[78:79], v65 offset0:34 offset1:35
	s_waitcnt lgkmcnt(3)
	v_pk_fma_f32 v[32:33], v[68:69], v[72:73], v[32:33] op_sel_hi:[0,1,1] neg_lo:[1,0,0] neg_hi:[1,0,0]
	s_waitcnt lgkmcnt(2)
	v_pk_fma_f32 v[22:23], v[68:69], v[74:75], v[22:23] op_sel_hi:[0,1,1] neg_lo:[1,0,0] neg_hi:[1,0,0]
	s_waitcnt lgkmcnt(1)
	v_pk_fma_f32 v[44:45], v[68:69], v[76:77], v[44:45] op_sel_hi:[0,1,1] neg_lo:[1,0,0] neg_hi:[1,0,0]
	ds_read2_b32 v[72:73], v65 offset0:36 offset1:37
	ds_read2_b32 v[74:75], v65 offset0:38 offset1:39
	ds_read2_b32 v[76:77], v65 offset0:40 offset1:41
	s_waitcnt lgkmcnt(3)
	v_pk_fma_f32 v[34:35], v[68:69], v[78:79], v[34:35] op_sel_hi:[0,1,1] neg_lo:[1,0,0] neg_hi:[1,0,0]
	;; [unrolled: 12-line block ×3, first 2 shown]
	ds_read2_b32 v[78:79], v65 offset0:50 offset1:51
	s_waitcnt lgkmcnt(3)
	v_pk_fma_f32 v[18:19], v[68:69], v[72:73], v[18:19] op_sel_hi:[0,1,1] neg_lo:[1,0,0] neg_hi:[1,0,0]
	s_waitcnt lgkmcnt(2)
	v_pk_fma_f32 v[10:11], v[68:69], v[74:75], v[10:11] op_sel_hi:[0,1,1] neg_lo:[1,0,0] neg_hi:[1,0,0]
	;; [unrolled: 2-line block ×3, first 2 shown]
	ds_read2_b32 v[72:73], v65 offset0:52 offset1:53
	ds_read2_b32 v[74:75], v65 offset0:54 offset1:55
	ds_read2_b32 v[76:77], v65 offset0:56 offset1:57
	ds_read2_b32 v[80:81], v65 offset0:58 offset1:59
	s_waitcnt lgkmcnt(4)
	v_pk_fma_f32 v[20:21], v[68:69], v[78:79], v[20:21] op_sel_hi:[0,1,1] neg_lo:[1,0,0] neg_hi:[1,0,0]
	s_waitcnt lgkmcnt(3)
	v_pk_fma_f32 v[14:15], v[68:69], v[72:73], v[14:15] op_sel_hi:[0,1,1] neg_lo:[1,0,0] neg_hi:[1,0,0]
	;; [unrolled: 2-line block ×5, first 2 shown]
	v_mov_b32_e32 v49, v68
.LBB118_335:
	s_or_b64 exec, exec, s[0:1]
	v_lshl_add_u32 v68, v71, 2, v65
	s_barrier
	ds_write_b32 v68, v40
	s_waitcnt lgkmcnt(0)
	s_barrier
	ds_read_b32 v70, v65 offset:80
	s_cmp_lt_i32 s22, 22
	v_mov_b32_e32 v68, 20
	s_cbranch_scc1 .LBB118_338
; %bb.336:
	v_add_u32_e32 v72, 0x54, v65
	v_mov_b32_e32 v68, 20
	s_mov_b32 s0, 21
.LBB118_337:                            ; =>This Inner Loop Header: Depth=1
	ds_read_b32 v73, v72
	v_mov_b32_e32 v74, s0
	s_add_i32 s0, s0, 1
	v_add_u32_e32 v72, 4, v72
	s_cmp_lg_u32 s22, s0
	s_waitcnt lgkmcnt(0)
	v_cmp_lt_f32_e64 vcc, |v70|, |v73|
	s_nop 1
	v_cndmask_b32_e32 v70, v70, v73, vcc
	v_cndmask_b32_e32 v68, v68, v74, vcc
	s_cbranch_scc1 .LBB118_337
.LBB118_338:
	s_waitcnt lgkmcnt(0)
	v_cmp_eq_f32_e32 vcc, 0, v70
	s_and_saveexec_b64 s[0:1], vcc
	s_xor_b64 s[0:1], exec, s[0:1]
; %bb.339:
	v_cmp_ne_u32_e32 vcc, 0, v67
	s_nop 1
	v_cndmask_b32_e32 v67, 21, v67, vcc
; %bb.340:
	s_andn2_saveexec_b64 s[0:1], s[0:1]
	s_cbranch_execz .LBB118_342
; %bb.341:
	v_div_scale_f32 v72, s[2:3], v70, v70, 1.0
	v_rcp_f32_e32 v73, v72
	v_div_scale_f32 v74, vcc, 1.0, v70, 1.0
	v_fma_f32 v75, -v72, v73, 1.0
	v_fmac_f32_e32 v73, v75, v73
	v_mul_f32_e32 v75, v74, v73
	v_fma_f32 v76, -v72, v75, v74
	v_fmac_f32_e32 v75, v76, v73
	v_fma_f32 v72, -v72, v75, v74
	v_div_fmas_f32 v72, v72, v73, v75
	v_div_fixup_f32 v70, v72, v70, 1.0
.LBB118_342:
	s_or_b64 exec, exec, s[0:1]
	v_cmp_ne_u32_e32 vcc, v71, v68
	s_and_saveexec_b64 s[0:1], vcc
	s_xor_b64 s[0:1], exec, s[0:1]
	s_cbranch_execz .LBB118_348
; %bb.343:
	v_cmp_eq_u32_e32 vcc, 20, v71
	s_and_saveexec_b64 s[2:3], vcc
	s_cbranch_execz .LBB118_347
; %bb.344:
	v_cmp_ne_u32_e32 vcc, 20, v68
	s_xor_b64 s[12:13], s[20:21], -1
	s_and_b64 s[14:15], s[12:13], vcc
	s_and_saveexec_b64 s[12:13], s[14:15]
	s_cbranch_execz .LBB118_346
; %bb.345:
	v_ashrrev_i32_e32 v69, 31, v68
	v_lshl_add_u64 v[72:73], v[68:69], 2, v[4:5]
	global_load_dword v69, v[72:73], off
	global_load_dword v71, v[4:5], off offset:80
	s_waitcnt vmcnt(1)
	global_store_dword v[4:5], v69, off offset:80
	s_waitcnt vmcnt(1)
	global_store_dword v[72:73], v71, off
.LBB118_346:
	s_or_b64 exec, exec, s[12:13]
	v_mov_b32_e32 v69, v68
	v_mov_b32_e32 v71, v68
.LBB118_347:
	s_or_b64 exec, exec, s[2:3]
.LBB118_348:
	s_andn2_saveexec_b64 s[0:1], s[0:1]
	s_cbranch_execz .LBB118_350
; %bb.349:
	v_pk_mov_b32 v[72:73], v[40:41], v[30:31] op_sel:[1,0]
	ds_write2_b32 v65, v72, v73 offset0:21 offset1:22
	v_pk_mov_b32 v[72:73], v[30:31], v[50:51] op_sel:[1,0]
	ds_write2_b32 v65, v72, v73 offset0:23 offset1:24
	;; [unrolled: 2-line block ×18, first 2 shown]
	v_pk_mov_b32 v[72:73], v[12:13], v[8:9] op_sel:[1,0]
	v_mov_b32_e32 v71, 20
	ds_write2_b32 v65, v72, v73 offset0:57 offset1:58
	ds_write_b32 v65, v9 offset:236
.LBB118_350:
	s_or_b64 exec, exec, s[0:1]
	v_cmp_lt_i32_e32 vcc, 20, v71
	s_waitcnt lgkmcnt(0)
	s_barrier
	s_and_saveexec_b64 s[0:1], vcc
	s_cbranch_execz .LBB118_352
; %bb.351:
	ds_read_b32 v68, v65 offset:84
	ds_read2_b32 v[72:73], v65 offset0:22 offset1:23
	ds_read2_b32 v[74:75], v65 offset0:24 offset1:25
	v_mul_f32_e32 v40, v70, v40
	ds_read2_b32 v[76:77], v65 offset0:26 offset1:27
	s_waitcnt lgkmcnt(3)
	v_fma_f32 v41, -v40, v68, v41
	s_waitcnt lgkmcnt(2)
	v_pk_fma_f32 v[30:31], v[40:41], v[72:73], v[30:31] op_sel_hi:[0,1,1] neg_lo:[1,0,0] neg_hi:[1,0,0]
	s_waitcnt lgkmcnt(1)
	v_pk_fma_f32 v[50:51], v[40:41], v[74:75], v[50:51] op_sel_hi:[0,1,1] neg_lo:[1,0,0] neg_hi:[1,0,0]
	ds_read2_b32 v[72:73], v65 offset0:28 offset1:29
	ds_read2_b32 v[74:75], v65 offset0:30 offset1:31
	ds_read2_b32 v[78:79], v65 offset0:32 offset1:33
	s_waitcnt lgkmcnt(3)
	v_pk_fma_f32 v[42:43], v[40:41], v[76:77], v[42:43] op_sel_hi:[0,1,1] neg_lo:[1,0,0] neg_hi:[1,0,0]
	ds_read2_b32 v[76:77], v65 offset0:34 offset1:35
	s_waitcnt lgkmcnt(3)
	v_pk_fma_f32 v[32:33], v[40:41], v[72:73], v[32:33] op_sel_hi:[0,1,1] neg_lo:[1,0,0] neg_hi:[1,0,0]
	s_waitcnt lgkmcnt(2)
	v_pk_fma_f32 v[22:23], v[40:41], v[74:75], v[22:23] op_sel_hi:[0,1,1] neg_lo:[1,0,0] neg_hi:[1,0,0]
	s_waitcnt lgkmcnt(1)
	v_pk_fma_f32 v[44:45], v[40:41], v[78:79], v[44:45] op_sel_hi:[0,1,1] neg_lo:[1,0,0] neg_hi:[1,0,0]
	ds_read2_b32 v[72:73], v65 offset0:36 offset1:37
	ds_read2_b32 v[74:75], v65 offset0:38 offset1:39
	ds_read2_b32 v[78:79], v65 offset0:40 offset1:41
	s_waitcnt lgkmcnt(3)
	v_pk_fma_f32 v[34:35], v[40:41], v[76:77], v[34:35] op_sel_hi:[0,1,1] neg_lo:[1,0,0] neg_hi:[1,0,0]
	ds_read2_b32 v[76:77], v65 offset0:42 offset1:43
	s_waitcnt lgkmcnt(3)
	v_pk_fma_f32 v[24:25], v[40:41], v[72:73], v[24:25] op_sel_hi:[0,1,1] neg_lo:[1,0,0] neg_hi:[1,0,0]
	;; [unrolled: 12-line block ×3, first 2 shown]
	s_waitcnt lgkmcnt(2)
	v_pk_fma_f32 v[10:11], v[40:41], v[74:75], v[10:11] op_sel_hi:[0,1,1] neg_lo:[1,0,0] neg_hi:[1,0,0]
	s_waitcnt lgkmcnt(1)
	v_pk_fma_f32 v[28:29], v[40:41], v[78:79], v[28:29] op_sel_hi:[0,1,1] neg_lo:[1,0,0] neg_hi:[1,0,0]
	ds_read2_b32 v[72:73], v65 offset0:52 offset1:53
	ds_read2_b32 v[74:75], v65 offset0:54 offset1:55
	;; [unrolled: 1-line block ×4, first 2 shown]
	s_waitcnt lgkmcnt(4)
	v_pk_fma_f32 v[20:21], v[40:41], v[76:77], v[20:21] op_sel_hi:[0,1,1] neg_lo:[1,0,0] neg_hi:[1,0,0]
	s_waitcnt lgkmcnt(3)
	v_pk_fma_f32 v[14:15], v[40:41], v[72:73], v[14:15] op_sel_hi:[0,1,1] neg_lo:[1,0,0] neg_hi:[1,0,0]
	;; [unrolled: 2-line block ×5, first 2 shown]
.LBB118_352:
	s_or_b64 exec, exec, s[0:1]
	v_lshl_add_u32 v68, v71, 2, v65
	s_barrier
	ds_write_b32 v68, v41
	s_waitcnt lgkmcnt(0)
	s_barrier
	ds_read_b32 v70, v65 offset:84
	s_cmp_lt_i32 s22, 23
	v_mov_b32_e32 v68, 21
	s_cbranch_scc1 .LBB118_355
; %bb.353:
	v_add_u32_e32 v72, 0x58, v65
	v_mov_b32_e32 v68, 21
	s_mov_b32 s0, 22
.LBB118_354:                            ; =>This Inner Loop Header: Depth=1
	ds_read_b32 v73, v72
	v_mov_b32_e32 v74, s0
	s_add_i32 s0, s0, 1
	v_add_u32_e32 v72, 4, v72
	s_cmp_lg_u32 s22, s0
	s_waitcnt lgkmcnt(0)
	v_cmp_lt_f32_e64 vcc, |v70|, |v73|
	s_nop 1
	v_cndmask_b32_e32 v70, v70, v73, vcc
	v_cndmask_b32_e32 v68, v68, v74, vcc
	s_cbranch_scc1 .LBB118_354
.LBB118_355:
	s_waitcnt lgkmcnt(0)
	v_cmp_eq_f32_e32 vcc, 0, v70
	s_and_saveexec_b64 s[0:1], vcc
	s_xor_b64 s[0:1], exec, s[0:1]
; %bb.356:
	v_cmp_ne_u32_e32 vcc, 0, v67
	s_nop 1
	v_cndmask_b32_e32 v67, 22, v67, vcc
; %bb.357:
	s_andn2_saveexec_b64 s[0:1], s[0:1]
	s_cbranch_execz .LBB118_359
; %bb.358:
	v_div_scale_f32 v72, s[2:3], v70, v70, 1.0
	v_rcp_f32_e32 v73, v72
	v_div_scale_f32 v74, vcc, 1.0, v70, 1.0
	v_fma_f32 v75, -v72, v73, 1.0
	v_fmac_f32_e32 v73, v75, v73
	v_mul_f32_e32 v75, v74, v73
	v_fma_f32 v76, -v72, v75, v74
	v_fmac_f32_e32 v75, v76, v73
	v_fma_f32 v72, -v72, v75, v74
	v_div_fmas_f32 v72, v72, v73, v75
	v_div_fixup_f32 v70, v72, v70, 1.0
.LBB118_359:
	s_or_b64 exec, exec, s[0:1]
	v_cmp_ne_u32_e32 vcc, v71, v68
	s_and_saveexec_b64 s[0:1], vcc
	s_xor_b64 s[0:1], exec, s[0:1]
	s_cbranch_execz .LBB118_365
; %bb.360:
	v_cmp_eq_u32_e32 vcc, 21, v71
	s_and_saveexec_b64 s[2:3], vcc
	s_cbranch_execz .LBB118_364
; %bb.361:
	v_cmp_ne_u32_e32 vcc, 21, v68
	s_xor_b64 s[12:13], s[20:21], -1
	s_and_b64 s[14:15], s[12:13], vcc
	s_and_saveexec_b64 s[12:13], s[14:15]
	s_cbranch_execz .LBB118_363
; %bb.362:
	v_ashrrev_i32_e32 v69, 31, v68
	v_lshl_add_u64 v[72:73], v[68:69], 2, v[4:5]
	global_load_dword v69, v[72:73], off
	global_load_dword v71, v[4:5], off offset:84
	s_waitcnt vmcnt(1)
	global_store_dword v[4:5], v69, off offset:84
	s_waitcnt vmcnt(1)
	global_store_dword v[72:73], v71, off
.LBB118_363:
	s_or_b64 exec, exec, s[12:13]
	v_mov_b32_e32 v69, v68
	v_mov_b32_e32 v71, v68
.LBB118_364:
	s_or_b64 exec, exec, s[2:3]
.LBB118_365:
	s_andn2_saveexec_b64 s[0:1], s[0:1]
	s_cbranch_execz .LBB118_367
; %bb.366:
	v_mov_b32_e32 v71, 21
	ds_write2_b32 v65, v30, v31 offset0:22 offset1:23
	ds_write2_b32 v65, v50, v51 offset0:24 offset1:25
	;; [unrolled: 1-line block ×19, first 2 shown]
.LBB118_367:
	s_or_b64 exec, exec, s[0:1]
	v_cmp_lt_i32_e32 vcc, 21, v71
	s_waitcnt lgkmcnt(0)
	s_barrier
	s_and_saveexec_b64 s[0:1], vcc
	s_cbranch_execz .LBB118_369
; %bb.368:
	ds_read2_b32 v[72:73], v65 offset0:22 offset1:23
	ds_read2_b32 v[74:75], v65 offset0:24 offset1:25
	;; [unrolled: 1-line block ×3, first 2 shown]
	v_mul_f32_e32 v68, v70, v41
	ds_read2_b32 v[78:79], v65 offset0:28 offset1:29
	s_waitcnt lgkmcnt(3)
	v_pk_fma_f32 v[30:31], v[68:69], v[72:73], v[30:31] op_sel_hi:[0,1,1] neg_lo:[1,0,0] neg_hi:[1,0,0]
	s_waitcnt lgkmcnt(2)
	v_pk_fma_f32 v[50:51], v[68:69], v[74:75], v[50:51] op_sel_hi:[0,1,1] neg_lo:[1,0,0] neg_hi:[1,0,0]
	;; [unrolled: 2-line block ×3, first 2 shown]
	ds_read2_b32 v[72:73], v65 offset0:30 offset1:31
	ds_read2_b32 v[74:75], v65 offset0:32 offset1:33
	;; [unrolled: 1-line block ×3, first 2 shown]
	s_waitcnt lgkmcnt(3)
	v_pk_fma_f32 v[32:33], v[68:69], v[78:79], v[32:33] op_sel_hi:[0,1,1] neg_lo:[1,0,0] neg_hi:[1,0,0]
	ds_read2_b32 v[78:79], v65 offset0:36 offset1:37
	s_waitcnt lgkmcnt(3)
	v_pk_fma_f32 v[22:23], v[68:69], v[72:73], v[22:23] op_sel_hi:[0,1,1] neg_lo:[1,0,0] neg_hi:[1,0,0]
	s_waitcnt lgkmcnt(2)
	v_pk_fma_f32 v[44:45], v[68:69], v[74:75], v[44:45] op_sel_hi:[0,1,1] neg_lo:[1,0,0] neg_hi:[1,0,0]
	;; [unrolled: 2-line block ×3, first 2 shown]
	ds_read2_b32 v[72:73], v65 offset0:38 offset1:39
	ds_read2_b32 v[74:75], v65 offset0:40 offset1:41
	ds_read2_b32 v[76:77], v65 offset0:42 offset1:43
	s_waitcnt lgkmcnt(3)
	v_pk_fma_f32 v[24:25], v[68:69], v[78:79], v[24:25] op_sel_hi:[0,1,1] neg_lo:[1,0,0] neg_hi:[1,0,0]
	ds_read2_b32 v[78:79], v65 offset0:44 offset1:45
	s_waitcnt lgkmcnt(3)
	v_pk_fma_f32 v[16:17], v[68:69], v[72:73], v[16:17] op_sel_hi:[0,1,1] neg_lo:[1,0,0] neg_hi:[1,0,0]
	s_waitcnt lgkmcnt(2)
	v_pk_fma_f32 v[36:37], v[68:69], v[74:75], v[36:37] op_sel_hi:[0,1,1] neg_lo:[1,0,0] neg_hi:[1,0,0]
	ds_read2_b32 v[72:73], v65 offset0:46 offset1:47
	ds_read2_b32 v[74:75], v65 offset0:48 offset1:49
	s_waitcnt lgkmcnt(3)
	v_pk_fma_f32 v[26:27], v[68:69], v[76:77], v[26:27] op_sel_hi:[0,1,1] neg_lo:[1,0,0] neg_hi:[1,0,0]
	s_waitcnt lgkmcnt(2)
	v_pk_fma_f32 v[18:19], v[68:69], v[78:79], v[18:19] op_sel_hi:[0,1,1] neg_lo:[1,0,0] neg_hi:[1,0,0]
	ds_read2_b32 v[76:77], v65 offset0:50 offset1:51
	;; [unrolled: 6-line block ×3, first 2 shown]
	ds_read2_b32 v[74:75], v65 offset0:56 offset1:57
	ds_read2_b32 v[80:81], v65 offset0:58 offset1:59
	s_waitcnt lgkmcnt(4)
	v_pk_fma_f32 v[20:21], v[68:69], v[76:77], v[20:21] op_sel_hi:[0,1,1] neg_lo:[1,0,0] neg_hi:[1,0,0]
	s_waitcnt lgkmcnt(3)
	v_pk_fma_f32 v[14:15], v[68:69], v[78:79], v[14:15] op_sel_hi:[0,1,1] neg_lo:[1,0,0] neg_hi:[1,0,0]
	;; [unrolled: 2-line block ×5, first 2 shown]
	v_mov_b32_e32 v41, v68
.LBB118_369:
	s_or_b64 exec, exec, s[0:1]
	v_lshl_add_u32 v68, v71, 2, v65
	s_barrier
	ds_write_b32 v68, v30
	s_waitcnt lgkmcnt(0)
	s_barrier
	ds_read_b32 v70, v65 offset:88
	s_cmp_lt_i32 s22, 24
	v_mov_b32_e32 v68, 22
	s_cbranch_scc1 .LBB118_372
; %bb.370:
	v_add_u32_e32 v72, 0x5c, v65
	v_mov_b32_e32 v68, 22
	s_mov_b32 s0, 23
.LBB118_371:                            ; =>This Inner Loop Header: Depth=1
	ds_read_b32 v73, v72
	v_mov_b32_e32 v74, s0
	s_add_i32 s0, s0, 1
	v_add_u32_e32 v72, 4, v72
	s_cmp_lg_u32 s22, s0
	s_waitcnt lgkmcnt(0)
	v_cmp_lt_f32_e64 vcc, |v70|, |v73|
	s_nop 1
	v_cndmask_b32_e32 v70, v70, v73, vcc
	v_cndmask_b32_e32 v68, v68, v74, vcc
	s_cbranch_scc1 .LBB118_371
.LBB118_372:
	s_waitcnt lgkmcnt(0)
	v_cmp_eq_f32_e32 vcc, 0, v70
	s_and_saveexec_b64 s[0:1], vcc
	s_xor_b64 s[0:1], exec, s[0:1]
; %bb.373:
	v_cmp_ne_u32_e32 vcc, 0, v67
	s_nop 1
	v_cndmask_b32_e32 v67, 23, v67, vcc
; %bb.374:
	s_andn2_saveexec_b64 s[0:1], s[0:1]
	s_cbranch_execz .LBB118_376
; %bb.375:
	v_div_scale_f32 v72, s[2:3], v70, v70, 1.0
	v_rcp_f32_e32 v73, v72
	v_div_scale_f32 v74, vcc, 1.0, v70, 1.0
	v_fma_f32 v75, -v72, v73, 1.0
	v_fmac_f32_e32 v73, v75, v73
	v_mul_f32_e32 v75, v74, v73
	v_fma_f32 v76, -v72, v75, v74
	v_fmac_f32_e32 v75, v76, v73
	v_fma_f32 v72, -v72, v75, v74
	v_div_fmas_f32 v72, v72, v73, v75
	v_div_fixup_f32 v70, v72, v70, 1.0
.LBB118_376:
	s_or_b64 exec, exec, s[0:1]
	v_cmp_ne_u32_e32 vcc, v71, v68
	s_and_saveexec_b64 s[0:1], vcc
	s_xor_b64 s[0:1], exec, s[0:1]
	s_cbranch_execz .LBB118_382
; %bb.377:
	v_cmp_eq_u32_e32 vcc, 22, v71
	s_and_saveexec_b64 s[2:3], vcc
	s_cbranch_execz .LBB118_381
; %bb.378:
	v_cmp_ne_u32_e32 vcc, 22, v68
	s_xor_b64 s[12:13], s[20:21], -1
	s_and_b64 s[14:15], s[12:13], vcc
	s_and_saveexec_b64 s[12:13], s[14:15]
	s_cbranch_execz .LBB118_380
; %bb.379:
	v_ashrrev_i32_e32 v69, 31, v68
	v_lshl_add_u64 v[72:73], v[68:69], 2, v[4:5]
	global_load_dword v69, v[72:73], off
	global_load_dword v71, v[4:5], off offset:88
	s_waitcnt vmcnt(1)
	global_store_dword v[4:5], v69, off offset:88
	s_waitcnt vmcnt(1)
	global_store_dword v[72:73], v71, off
.LBB118_380:
	s_or_b64 exec, exec, s[12:13]
	v_mov_b32_e32 v69, v68
	v_mov_b32_e32 v71, v68
.LBB118_381:
	s_or_b64 exec, exec, s[2:3]
.LBB118_382:
	s_andn2_saveexec_b64 s[0:1], s[0:1]
	s_cbranch_execz .LBB118_384
; %bb.383:
	v_pk_mov_b32 v[72:73], v[30:31], v[50:51] op_sel:[1,0]
	ds_write2_b32 v65, v72, v73 offset0:23 offset1:24
	v_pk_mov_b32 v[72:73], v[50:51], v[42:43] op_sel:[1,0]
	ds_write2_b32 v65, v72, v73 offset0:25 offset1:26
	;; [unrolled: 2-line block ×17, first 2 shown]
	v_pk_mov_b32 v[72:73], v[12:13], v[8:9] op_sel:[1,0]
	v_mov_b32_e32 v71, 22
	ds_write2_b32 v65, v72, v73 offset0:57 offset1:58
	ds_write_b32 v65, v9 offset:236
.LBB118_384:
	s_or_b64 exec, exec, s[0:1]
	v_cmp_lt_i32_e32 vcc, 22, v71
	s_waitcnt lgkmcnt(0)
	s_barrier
	s_and_saveexec_b64 s[0:1], vcc
	s_cbranch_execz .LBB118_386
; %bb.385:
	ds_read_b32 v68, v65 offset:92
	ds_read2_b32 v[72:73], v65 offset0:24 offset1:25
	ds_read2_b32 v[74:75], v65 offset0:26 offset1:27
	v_mul_f32_e32 v30, v70, v30
	ds_read2_b32 v[76:77], v65 offset0:28 offset1:29
	s_waitcnt lgkmcnt(3)
	v_fma_f32 v31, -v30, v68, v31
	s_waitcnt lgkmcnt(2)
	v_pk_fma_f32 v[50:51], v[30:31], v[72:73], v[50:51] op_sel_hi:[0,1,1] neg_lo:[1,0,0] neg_hi:[1,0,0]
	s_waitcnt lgkmcnt(1)
	v_pk_fma_f32 v[42:43], v[30:31], v[74:75], v[42:43] op_sel_hi:[0,1,1] neg_lo:[1,0,0] neg_hi:[1,0,0]
	ds_read2_b32 v[72:73], v65 offset0:30 offset1:31
	ds_read2_b32 v[74:75], v65 offset0:32 offset1:33
	;; [unrolled: 1-line block ×3, first 2 shown]
	s_waitcnt lgkmcnt(3)
	v_pk_fma_f32 v[32:33], v[30:31], v[76:77], v[32:33] op_sel_hi:[0,1,1] neg_lo:[1,0,0] neg_hi:[1,0,0]
	ds_read2_b32 v[76:77], v65 offset0:36 offset1:37
	s_waitcnt lgkmcnt(3)
	v_pk_fma_f32 v[22:23], v[30:31], v[72:73], v[22:23] op_sel_hi:[0,1,1] neg_lo:[1,0,0] neg_hi:[1,0,0]
	s_waitcnt lgkmcnt(2)
	v_pk_fma_f32 v[44:45], v[30:31], v[74:75], v[44:45] op_sel_hi:[0,1,1] neg_lo:[1,0,0] neg_hi:[1,0,0]
	;; [unrolled: 2-line block ×3, first 2 shown]
	ds_read2_b32 v[72:73], v65 offset0:38 offset1:39
	ds_read2_b32 v[74:75], v65 offset0:40 offset1:41
	;; [unrolled: 1-line block ×3, first 2 shown]
	s_waitcnt lgkmcnt(3)
	v_pk_fma_f32 v[24:25], v[30:31], v[76:77], v[24:25] op_sel_hi:[0,1,1] neg_lo:[1,0,0] neg_hi:[1,0,0]
	ds_read2_b32 v[76:77], v65 offset0:44 offset1:45
	s_waitcnt lgkmcnt(3)
	v_pk_fma_f32 v[16:17], v[30:31], v[72:73], v[16:17] op_sel_hi:[0,1,1] neg_lo:[1,0,0] neg_hi:[1,0,0]
	s_waitcnt lgkmcnt(2)
	v_pk_fma_f32 v[36:37], v[30:31], v[74:75], v[36:37] op_sel_hi:[0,1,1] neg_lo:[1,0,0] neg_hi:[1,0,0]
	ds_read2_b32 v[72:73], v65 offset0:46 offset1:47
	ds_read2_b32 v[74:75], v65 offset0:48 offset1:49
	s_waitcnt lgkmcnt(3)
	v_pk_fma_f32 v[26:27], v[30:31], v[78:79], v[26:27] op_sel_hi:[0,1,1] neg_lo:[1,0,0] neg_hi:[1,0,0]
	s_waitcnt lgkmcnt(2)
	v_pk_fma_f32 v[18:19], v[30:31], v[76:77], v[18:19] op_sel_hi:[0,1,1] neg_lo:[1,0,0] neg_hi:[1,0,0]
	ds_read2_b32 v[76:77], v65 offset0:50 offset1:51
	;; [unrolled: 6-line block ×3, first 2 shown]
	ds_read2_b32 v[74:75], v65 offset0:56 offset1:57
	ds_read2_b32 v[80:81], v65 offset0:58 offset1:59
	s_waitcnt lgkmcnt(4)
	v_pk_fma_f32 v[20:21], v[30:31], v[76:77], v[20:21] op_sel_hi:[0,1,1] neg_lo:[1,0,0] neg_hi:[1,0,0]
	s_waitcnt lgkmcnt(3)
	v_pk_fma_f32 v[14:15], v[30:31], v[78:79], v[14:15] op_sel_hi:[0,1,1] neg_lo:[1,0,0] neg_hi:[1,0,0]
	;; [unrolled: 2-line block ×5, first 2 shown]
.LBB118_386:
	s_or_b64 exec, exec, s[0:1]
	v_lshl_add_u32 v68, v71, 2, v65
	s_barrier
	ds_write_b32 v68, v31
	s_waitcnt lgkmcnt(0)
	s_barrier
	ds_read_b32 v70, v65 offset:92
	s_cmp_lt_i32 s22, 25
	v_mov_b32_e32 v68, 23
	s_cbranch_scc1 .LBB118_389
; %bb.387:
	v_add_u32_e32 v72, 0x60, v65
	v_mov_b32_e32 v68, 23
	s_mov_b32 s0, 24
.LBB118_388:                            ; =>This Inner Loop Header: Depth=1
	ds_read_b32 v73, v72
	v_mov_b32_e32 v74, s0
	s_add_i32 s0, s0, 1
	v_add_u32_e32 v72, 4, v72
	s_cmp_lg_u32 s22, s0
	s_waitcnt lgkmcnt(0)
	v_cmp_lt_f32_e64 vcc, |v70|, |v73|
	s_nop 1
	v_cndmask_b32_e32 v70, v70, v73, vcc
	v_cndmask_b32_e32 v68, v68, v74, vcc
	s_cbranch_scc1 .LBB118_388
.LBB118_389:
	s_waitcnt lgkmcnt(0)
	v_cmp_eq_f32_e32 vcc, 0, v70
	s_and_saveexec_b64 s[0:1], vcc
	s_xor_b64 s[0:1], exec, s[0:1]
; %bb.390:
	v_cmp_ne_u32_e32 vcc, 0, v67
	s_nop 1
	v_cndmask_b32_e32 v67, 24, v67, vcc
; %bb.391:
	s_andn2_saveexec_b64 s[0:1], s[0:1]
	s_cbranch_execz .LBB118_393
; %bb.392:
	v_div_scale_f32 v72, s[2:3], v70, v70, 1.0
	v_rcp_f32_e32 v73, v72
	v_div_scale_f32 v74, vcc, 1.0, v70, 1.0
	v_fma_f32 v75, -v72, v73, 1.0
	v_fmac_f32_e32 v73, v75, v73
	v_mul_f32_e32 v75, v74, v73
	v_fma_f32 v76, -v72, v75, v74
	v_fmac_f32_e32 v75, v76, v73
	v_fma_f32 v72, -v72, v75, v74
	v_div_fmas_f32 v72, v72, v73, v75
	v_div_fixup_f32 v70, v72, v70, 1.0
.LBB118_393:
	s_or_b64 exec, exec, s[0:1]
	v_cmp_ne_u32_e32 vcc, v71, v68
	s_and_saveexec_b64 s[0:1], vcc
	s_xor_b64 s[0:1], exec, s[0:1]
	s_cbranch_execz .LBB118_399
; %bb.394:
	v_cmp_eq_u32_e32 vcc, 23, v71
	s_and_saveexec_b64 s[2:3], vcc
	s_cbranch_execz .LBB118_398
; %bb.395:
	v_cmp_ne_u32_e32 vcc, 23, v68
	s_xor_b64 s[12:13], s[20:21], -1
	s_and_b64 s[14:15], s[12:13], vcc
	s_and_saveexec_b64 s[12:13], s[14:15]
	s_cbranch_execz .LBB118_397
; %bb.396:
	v_ashrrev_i32_e32 v69, 31, v68
	v_lshl_add_u64 v[72:73], v[68:69], 2, v[4:5]
	global_load_dword v69, v[72:73], off
	global_load_dword v71, v[4:5], off offset:92
	s_waitcnt vmcnt(1)
	global_store_dword v[4:5], v69, off offset:92
	s_waitcnt vmcnt(1)
	global_store_dword v[72:73], v71, off
.LBB118_397:
	s_or_b64 exec, exec, s[12:13]
	v_mov_b32_e32 v69, v68
	v_mov_b32_e32 v71, v68
.LBB118_398:
	s_or_b64 exec, exec, s[2:3]
.LBB118_399:
	s_andn2_saveexec_b64 s[0:1], s[0:1]
	s_cbranch_execz .LBB118_401
; %bb.400:
	v_mov_b32_e32 v71, 23
	ds_write2_b32 v65, v50, v51 offset0:24 offset1:25
	ds_write2_b32 v65, v42, v43 offset0:26 offset1:27
	;; [unrolled: 1-line block ×18, first 2 shown]
.LBB118_401:
	s_or_b64 exec, exec, s[0:1]
	v_cmp_lt_i32_e32 vcc, 23, v71
	s_waitcnt lgkmcnt(0)
	s_barrier
	s_and_saveexec_b64 s[0:1], vcc
	s_cbranch_execz .LBB118_403
; %bb.402:
	ds_read2_b32 v[72:73], v65 offset0:24 offset1:25
	ds_read2_b32 v[74:75], v65 offset0:26 offset1:27
	;; [unrolled: 1-line block ×4, first 2 shown]
	v_mul_f32_e32 v68, v70, v31
	s_waitcnt lgkmcnt(3)
	v_pk_fma_f32 v[50:51], v[68:69], v[72:73], v[50:51] op_sel_hi:[0,1,1] neg_lo:[1,0,0] neg_hi:[1,0,0]
	s_waitcnt lgkmcnt(2)
	v_pk_fma_f32 v[42:43], v[68:69], v[74:75], v[42:43] op_sel_hi:[0,1,1] neg_lo:[1,0,0] neg_hi:[1,0,0]
	s_waitcnt lgkmcnt(1)
	v_pk_fma_f32 v[32:33], v[68:69], v[76:77], v[32:33] op_sel_hi:[0,1,1] neg_lo:[1,0,0] neg_hi:[1,0,0]
	ds_read2_b32 v[72:73], v65 offset0:32 offset1:33
	ds_read2_b32 v[74:75], v65 offset0:34 offset1:35
	;; [unrolled: 1-line block ×3, first 2 shown]
	s_waitcnt lgkmcnt(3)
	v_pk_fma_f32 v[22:23], v[68:69], v[78:79], v[22:23] op_sel_hi:[0,1,1] neg_lo:[1,0,0] neg_hi:[1,0,0]
	ds_read2_b32 v[78:79], v65 offset0:38 offset1:39
	s_waitcnt lgkmcnt(3)
	v_pk_fma_f32 v[44:45], v[68:69], v[72:73], v[44:45] op_sel_hi:[0,1,1] neg_lo:[1,0,0] neg_hi:[1,0,0]
	s_waitcnt lgkmcnt(2)
	v_pk_fma_f32 v[34:35], v[68:69], v[74:75], v[34:35] op_sel_hi:[0,1,1] neg_lo:[1,0,0] neg_hi:[1,0,0]
	;; [unrolled: 2-line block ×3, first 2 shown]
	ds_read2_b32 v[72:73], v65 offset0:40 offset1:41
	ds_read2_b32 v[74:75], v65 offset0:42 offset1:43
	;; [unrolled: 1-line block ×3, first 2 shown]
	s_waitcnt lgkmcnt(3)
	v_pk_fma_f32 v[16:17], v[68:69], v[78:79], v[16:17] op_sel_hi:[0,1,1] neg_lo:[1,0,0] neg_hi:[1,0,0]
	ds_read2_b32 v[78:79], v65 offset0:46 offset1:47
	s_waitcnt lgkmcnt(3)
	v_pk_fma_f32 v[36:37], v[68:69], v[72:73], v[36:37] op_sel_hi:[0,1,1] neg_lo:[1,0,0] neg_hi:[1,0,0]
	ds_read2_b32 v[72:73], v65 offset0:48 offset1:49
	s_waitcnt lgkmcnt(3)
	v_pk_fma_f32 v[26:27], v[68:69], v[74:75], v[26:27] op_sel_hi:[0,1,1] neg_lo:[1,0,0] neg_hi:[1,0,0]
	s_waitcnt lgkmcnt(2)
	v_pk_fma_f32 v[18:19], v[68:69], v[76:77], v[18:19] op_sel_hi:[0,1,1] neg_lo:[1,0,0] neg_hi:[1,0,0]
	;; [unrolled: 2-line block ×3, first 2 shown]
	ds_read2_b32 v[74:75], v65 offset0:50 offset1:51
	ds_read2_b32 v[76:77], v65 offset0:52 offset1:53
	;; [unrolled: 1-line block ×3, first 2 shown]
	s_waitcnt lgkmcnt(3)
	v_pk_fma_f32 v[28:29], v[68:69], v[72:73], v[28:29] op_sel_hi:[0,1,1] neg_lo:[1,0,0] neg_hi:[1,0,0]
	ds_read2_b32 v[72:73], v65 offset0:56 offset1:57
	ds_read2_b32 v[80:81], v65 offset0:58 offset1:59
	s_waitcnt lgkmcnt(4)
	v_pk_fma_f32 v[20:21], v[68:69], v[74:75], v[20:21] op_sel_hi:[0,1,1] neg_lo:[1,0,0] neg_hi:[1,0,0]
	s_waitcnt lgkmcnt(3)
	v_pk_fma_f32 v[14:15], v[68:69], v[76:77], v[14:15] op_sel_hi:[0,1,1] neg_lo:[1,0,0] neg_hi:[1,0,0]
	;; [unrolled: 2-line block ×5, first 2 shown]
	v_mov_b32_e32 v31, v68
.LBB118_403:
	s_or_b64 exec, exec, s[0:1]
	v_lshl_add_u32 v68, v71, 2, v65
	s_barrier
	ds_write_b32 v68, v50
	s_waitcnt lgkmcnt(0)
	s_barrier
	ds_read_b32 v70, v65 offset:96
	s_cmp_lt_i32 s22, 26
	v_mov_b32_e32 v68, 24
	s_cbranch_scc1 .LBB118_406
; %bb.404:
	v_add_u32_e32 v72, 0x64, v65
	v_mov_b32_e32 v68, 24
	s_mov_b32 s0, 25
.LBB118_405:                            ; =>This Inner Loop Header: Depth=1
	ds_read_b32 v73, v72
	v_mov_b32_e32 v74, s0
	s_add_i32 s0, s0, 1
	v_add_u32_e32 v72, 4, v72
	s_cmp_lg_u32 s22, s0
	s_waitcnt lgkmcnt(0)
	v_cmp_lt_f32_e64 vcc, |v70|, |v73|
	s_nop 1
	v_cndmask_b32_e32 v70, v70, v73, vcc
	v_cndmask_b32_e32 v68, v68, v74, vcc
	s_cbranch_scc1 .LBB118_405
.LBB118_406:
	s_waitcnt lgkmcnt(0)
	v_cmp_eq_f32_e32 vcc, 0, v70
	s_and_saveexec_b64 s[0:1], vcc
	s_xor_b64 s[0:1], exec, s[0:1]
; %bb.407:
	v_cmp_ne_u32_e32 vcc, 0, v67
	s_nop 1
	v_cndmask_b32_e32 v67, 25, v67, vcc
; %bb.408:
	s_andn2_saveexec_b64 s[0:1], s[0:1]
	s_cbranch_execz .LBB118_410
; %bb.409:
	v_div_scale_f32 v72, s[2:3], v70, v70, 1.0
	v_rcp_f32_e32 v73, v72
	v_div_scale_f32 v74, vcc, 1.0, v70, 1.0
	v_fma_f32 v75, -v72, v73, 1.0
	v_fmac_f32_e32 v73, v75, v73
	v_mul_f32_e32 v75, v74, v73
	v_fma_f32 v76, -v72, v75, v74
	v_fmac_f32_e32 v75, v76, v73
	v_fma_f32 v72, -v72, v75, v74
	v_div_fmas_f32 v72, v72, v73, v75
	v_div_fixup_f32 v70, v72, v70, 1.0
.LBB118_410:
	s_or_b64 exec, exec, s[0:1]
	v_cmp_ne_u32_e32 vcc, v71, v68
	s_and_saveexec_b64 s[0:1], vcc
	s_xor_b64 s[0:1], exec, s[0:1]
	s_cbranch_execz .LBB118_416
; %bb.411:
	v_cmp_eq_u32_e32 vcc, 24, v71
	s_and_saveexec_b64 s[2:3], vcc
	s_cbranch_execz .LBB118_415
; %bb.412:
	v_cmp_ne_u32_e32 vcc, 24, v68
	s_xor_b64 s[12:13], s[20:21], -1
	s_and_b64 s[14:15], s[12:13], vcc
	s_and_saveexec_b64 s[12:13], s[14:15]
	s_cbranch_execz .LBB118_414
; %bb.413:
	v_ashrrev_i32_e32 v69, 31, v68
	v_lshl_add_u64 v[72:73], v[68:69], 2, v[4:5]
	global_load_dword v69, v[72:73], off
	global_load_dword v71, v[4:5], off offset:96
	s_waitcnt vmcnt(1)
	global_store_dword v[4:5], v69, off offset:96
	s_waitcnt vmcnt(1)
	global_store_dword v[72:73], v71, off
.LBB118_414:
	s_or_b64 exec, exec, s[12:13]
	v_mov_b32_e32 v69, v68
	v_mov_b32_e32 v71, v68
.LBB118_415:
	s_or_b64 exec, exec, s[2:3]
.LBB118_416:
	s_andn2_saveexec_b64 s[0:1], s[0:1]
	s_cbranch_execz .LBB118_418
; %bb.417:
	v_pk_mov_b32 v[72:73], v[50:51], v[42:43] op_sel:[1,0]
	ds_write2_b32 v65, v72, v73 offset0:25 offset1:26
	v_pk_mov_b32 v[72:73], v[42:43], v[32:33] op_sel:[1,0]
	ds_write2_b32 v65, v72, v73 offset0:27 offset1:28
	;; [unrolled: 2-line block ×16, first 2 shown]
	v_pk_mov_b32 v[72:73], v[12:13], v[8:9] op_sel:[1,0]
	v_mov_b32_e32 v71, 24
	ds_write2_b32 v65, v72, v73 offset0:57 offset1:58
	ds_write_b32 v65, v9 offset:236
.LBB118_418:
	s_or_b64 exec, exec, s[0:1]
	v_cmp_lt_i32_e32 vcc, 24, v71
	s_waitcnt lgkmcnt(0)
	s_barrier
	s_and_saveexec_b64 s[0:1], vcc
	s_cbranch_execz .LBB118_420
; %bb.419:
	ds_read_b32 v68, v65 offset:100
	ds_read2_b32 v[72:73], v65 offset0:26 offset1:27
	ds_read2_b32 v[74:75], v65 offset0:28 offset1:29
	v_mul_f32_e32 v50, v70, v50
	ds_read2_b32 v[76:77], v65 offset0:30 offset1:31
	s_waitcnt lgkmcnt(3)
	v_fma_f32 v51, -v50, v68, v51
	s_waitcnt lgkmcnt(2)
	v_pk_fma_f32 v[42:43], v[50:51], v[72:73], v[42:43] op_sel_hi:[0,1,1] neg_lo:[1,0,0] neg_hi:[1,0,0]
	s_waitcnt lgkmcnt(1)
	v_pk_fma_f32 v[32:33], v[50:51], v[74:75], v[32:33] op_sel_hi:[0,1,1] neg_lo:[1,0,0] neg_hi:[1,0,0]
	ds_read2_b32 v[72:73], v65 offset0:32 offset1:33
	ds_read2_b32 v[74:75], v65 offset0:34 offset1:35
	;; [unrolled: 1-line block ×3, first 2 shown]
	s_waitcnt lgkmcnt(3)
	v_pk_fma_f32 v[22:23], v[50:51], v[76:77], v[22:23] op_sel_hi:[0,1,1] neg_lo:[1,0,0] neg_hi:[1,0,0]
	ds_read2_b32 v[76:77], v65 offset0:38 offset1:39
	s_waitcnt lgkmcnt(3)
	v_pk_fma_f32 v[44:45], v[50:51], v[72:73], v[44:45] op_sel_hi:[0,1,1] neg_lo:[1,0,0] neg_hi:[1,0,0]
	s_waitcnt lgkmcnt(2)
	v_pk_fma_f32 v[34:35], v[50:51], v[74:75], v[34:35] op_sel_hi:[0,1,1] neg_lo:[1,0,0] neg_hi:[1,0,0]
	s_waitcnt lgkmcnt(1)
	v_pk_fma_f32 v[24:25], v[50:51], v[78:79], v[24:25] op_sel_hi:[0,1,1] neg_lo:[1,0,0] neg_hi:[1,0,0]
	ds_read2_b32 v[72:73], v65 offset0:40 offset1:41
	ds_read2_b32 v[74:75], v65 offset0:42 offset1:43
	;; [unrolled: 1-line block ×3, first 2 shown]
	s_waitcnt lgkmcnt(3)
	v_pk_fma_f32 v[16:17], v[50:51], v[76:77], v[16:17] op_sel_hi:[0,1,1] neg_lo:[1,0,0] neg_hi:[1,0,0]
	ds_read2_b32 v[76:77], v65 offset0:46 offset1:47
	s_waitcnt lgkmcnt(3)
	v_pk_fma_f32 v[36:37], v[50:51], v[72:73], v[36:37] op_sel_hi:[0,1,1] neg_lo:[1,0,0] neg_hi:[1,0,0]
	ds_read2_b32 v[72:73], v65 offset0:48 offset1:49
	s_waitcnt lgkmcnt(3)
	v_pk_fma_f32 v[26:27], v[50:51], v[74:75], v[26:27] op_sel_hi:[0,1,1] neg_lo:[1,0,0] neg_hi:[1,0,0]
	s_waitcnt lgkmcnt(2)
	v_pk_fma_f32 v[18:19], v[50:51], v[78:79], v[18:19] op_sel_hi:[0,1,1] neg_lo:[1,0,0] neg_hi:[1,0,0]
	;; [unrolled: 2-line block ×3, first 2 shown]
	ds_read2_b32 v[74:75], v65 offset0:50 offset1:51
	ds_read2_b32 v[76:77], v65 offset0:52 offset1:53
	;; [unrolled: 1-line block ×3, first 2 shown]
	s_waitcnt lgkmcnt(3)
	v_pk_fma_f32 v[28:29], v[50:51], v[72:73], v[28:29] op_sel_hi:[0,1,1] neg_lo:[1,0,0] neg_hi:[1,0,0]
	ds_read2_b32 v[72:73], v65 offset0:56 offset1:57
	ds_read2_b32 v[80:81], v65 offset0:58 offset1:59
	s_waitcnt lgkmcnt(4)
	v_pk_fma_f32 v[20:21], v[50:51], v[74:75], v[20:21] op_sel_hi:[0,1,1] neg_lo:[1,0,0] neg_hi:[1,0,0]
	s_waitcnt lgkmcnt(3)
	v_pk_fma_f32 v[14:15], v[50:51], v[76:77], v[14:15] op_sel_hi:[0,1,1] neg_lo:[1,0,0] neg_hi:[1,0,0]
	;; [unrolled: 2-line block ×5, first 2 shown]
.LBB118_420:
	s_or_b64 exec, exec, s[0:1]
	v_lshl_add_u32 v68, v71, 2, v65
	s_barrier
	ds_write_b32 v68, v51
	s_waitcnt lgkmcnt(0)
	s_barrier
	ds_read_b32 v70, v65 offset:100
	s_cmp_lt_i32 s22, 27
	v_mov_b32_e32 v68, 25
	s_cbranch_scc1 .LBB118_423
; %bb.421:
	v_add_u32_e32 v72, 0x68, v65
	v_mov_b32_e32 v68, 25
	s_mov_b32 s0, 26
.LBB118_422:                            ; =>This Inner Loop Header: Depth=1
	ds_read_b32 v73, v72
	v_mov_b32_e32 v74, s0
	s_add_i32 s0, s0, 1
	v_add_u32_e32 v72, 4, v72
	s_cmp_lg_u32 s22, s0
	s_waitcnt lgkmcnt(0)
	v_cmp_lt_f32_e64 vcc, |v70|, |v73|
	s_nop 1
	v_cndmask_b32_e32 v70, v70, v73, vcc
	v_cndmask_b32_e32 v68, v68, v74, vcc
	s_cbranch_scc1 .LBB118_422
.LBB118_423:
	s_waitcnt lgkmcnt(0)
	v_cmp_eq_f32_e32 vcc, 0, v70
	s_and_saveexec_b64 s[0:1], vcc
	s_xor_b64 s[0:1], exec, s[0:1]
; %bb.424:
	v_cmp_ne_u32_e32 vcc, 0, v67
	s_nop 1
	v_cndmask_b32_e32 v67, 26, v67, vcc
; %bb.425:
	s_andn2_saveexec_b64 s[0:1], s[0:1]
	s_cbranch_execz .LBB118_427
; %bb.426:
	v_div_scale_f32 v72, s[2:3], v70, v70, 1.0
	v_rcp_f32_e32 v73, v72
	v_div_scale_f32 v74, vcc, 1.0, v70, 1.0
	v_fma_f32 v75, -v72, v73, 1.0
	v_fmac_f32_e32 v73, v75, v73
	v_mul_f32_e32 v75, v74, v73
	v_fma_f32 v76, -v72, v75, v74
	v_fmac_f32_e32 v75, v76, v73
	v_fma_f32 v72, -v72, v75, v74
	v_div_fmas_f32 v72, v72, v73, v75
	v_div_fixup_f32 v70, v72, v70, 1.0
.LBB118_427:
	s_or_b64 exec, exec, s[0:1]
	v_cmp_ne_u32_e32 vcc, v71, v68
	s_and_saveexec_b64 s[0:1], vcc
	s_xor_b64 s[0:1], exec, s[0:1]
	s_cbranch_execz .LBB118_433
; %bb.428:
	v_cmp_eq_u32_e32 vcc, 25, v71
	s_and_saveexec_b64 s[2:3], vcc
	s_cbranch_execz .LBB118_432
; %bb.429:
	v_cmp_ne_u32_e32 vcc, 25, v68
	s_xor_b64 s[12:13], s[20:21], -1
	s_and_b64 s[14:15], s[12:13], vcc
	s_and_saveexec_b64 s[12:13], s[14:15]
	s_cbranch_execz .LBB118_431
; %bb.430:
	v_ashrrev_i32_e32 v69, 31, v68
	v_lshl_add_u64 v[72:73], v[68:69], 2, v[4:5]
	global_load_dword v69, v[72:73], off
	global_load_dword v71, v[4:5], off offset:100
	s_waitcnt vmcnt(1)
	global_store_dword v[4:5], v69, off offset:100
	s_waitcnt vmcnt(1)
	global_store_dword v[72:73], v71, off
.LBB118_431:
	s_or_b64 exec, exec, s[12:13]
	v_mov_b32_e32 v69, v68
	v_mov_b32_e32 v71, v68
.LBB118_432:
	s_or_b64 exec, exec, s[2:3]
.LBB118_433:
	s_andn2_saveexec_b64 s[0:1], s[0:1]
	s_cbranch_execz .LBB118_435
; %bb.434:
	v_mov_b32_e32 v71, 25
	ds_write2_b32 v65, v42, v43 offset0:26 offset1:27
	ds_write2_b32 v65, v32, v33 offset0:28 offset1:29
	;; [unrolled: 1-line block ×17, first 2 shown]
.LBB118_435:
	s_or_b64 exec, exec, s[0:1]
	v_cmp_lt_i32_e32 vcc, 25, v71
	s_waitcnt lgkmcnt(0)
	s_barrier
	s_and_saveexec_b64 s[0:1], vcc
	s_cbranch_execz .LBB118_437
; %bb.436:
	ds_read2_b32 v[72:73], v65 offset0:26 offset1:27
	ds_read2_b32 v[74:75], v65 offset0:28 offset1:29
	;; [unrolled: 1-line block ×3, first 2 shown]
	v_mul_f32_e32 v68, v70, v51
	ds_read2_b32 v[78:79], v65 offset0:32 offset1:33
	s_waitcnt lgkmcnt(3)
	v_pk_fma_f32 v[42:43], v[68:69], v[72:73], v[42:43] op_sel_hi:[0,1,1] neg_lo:[1,0,0] neg_hi:[1,0,0]
	s_waitcnt lgkmcnt(2)
	v_pk_fma_f32 v[32:33], v[68:69], v[74:75], v[32:33] op_sel_hi:[0,1,1] neg_lo:[1,0,0] neg_hi:[1,0,0]
	;; [unrolled: 2-line block ×3, first 2 shown]
	ds_read2_b32 v[72:73], v65 offset0:34 offset1:35
	ds_read2_b32 v[74:75], v65 offset0:36 offset1:37
	;; [unrolled: 1-line block ×3, first 2 shown]
	s_waitcnt lgkmcnt(3)
	v_pk_fma_f32 v[44:45], v[68:69], v[78:79], v[44:45] op_sel_hi:[0,1,1] neg_lo:[1,0,0] neg_hi:[1,0,0]
	ds_read2_b32 v[78:79], v65 offset0:40 offset1:41
	s_waitcnt lgkmcnt(3)
	v_pk_fma_f32 v[34:35], v[68:69], v[72:73], v[34:35] op_sel_hi:[0,1,1] neg_lo:[1,0,0] neg_hi:[1,0,0]
	s_waitcnt lgkmcnt(2)
	v_pk_fma_f32 v[24:25], v[68:69], v[74:75], v[24:25] op_sel_hi:[0,1,1] neg_lo:[1,0,0] neg_hi:[1,0,0]
	;; [unrolled: 2-line block ×3, first 2 shown]
	ds_read2_b32 v[72:73], v65 offset0:42 offset1:43
	ds_read2_b32 v[74:75], v65 offset0:44 offset1:45
	;; [unrolled: 1-line block ×4, first 2 shown]
	s_waitcnt lgkmcnt(4)
	v_pk_fma_f32 v[36:37], v[68:69], v[78:79], v[36:37] op_sel_hi:[0,1,1] neg_lo:[1,0,0] neg_hi:[1,0,0]
	s_waitcnt lgkmcnt(3)
	v_pk_fma_f32 v[26:27], v[68:69], v[72:73], v[26:27] op_sel_hi:[0,1,1] neg_lo:[1,0,0] neg_hi:[1,0,0]
	;; [unrolled: 2-line block ×5, first 2 shown]
	ds_read2_b32 v[72:73], v65 offset0:50 offset1:51
	ds_read2_b32 v[74:75], v65 offset0:52 offset1:53
	;; [unrolled: 1-line block ×5, first 2 shown]
	s_waitcnt lgkmcnt(4)
	v_pk_fma_f32 v[20:21], v[68:69], v[72:73], v[20:21] op_sel_hi:[0,1,1] neg_lo:[1,0,0] neg_hi:[1,0,0]
	s_waitcnt lgkmcnt(3)
	v_pk_fma_f32 v[14:15], v[68:69], v[74:75], v[14:15] op_sel_hi:[0,1,1] neg_lo:[1,0,0] neg_hi:[1,0,0]
	;; [unrolled: 2-line block ×5, first 2 shown]
	v_mov_b32_e32 v51, v68
.LBB118_437:
	s_or_b64 exec, exec, s[0:1]
	v_lshl_add_u32 v68, v71, 2, v65
	s_barrier
	ds_write_b32 v68, v42
	s_waitcnt lgkmcnt(0)
	s_barrier
	ds_read_b32 v70, v65 offset:104
	s_cmp_lt_i32 s22, 28
	v_mov_b32_e32 v68, 26
	s_cbranch_scc1 .LBB118_440
; %bb.438:
	v_add_u32_e32 v72, 0x6c, v65
	v_mov_b32_e32 v68, 26
	s_mov_b32 s0, 27
.LBB118_439:                            ; =>This Inner Loop Header: Depth=1
	ds_read_b32 v73, v72
	v_mov_b32_e32 v74, s0
	s_add_i32 s0, s0, 1
	v_add_u32_e32 v72, 4, v72
	s_cmp_lg_u32 s22, s0
	s_waitcnt lgkmcnt(0)
	v_cmp_lt_f32_e64 vcc, |v70|, |v73|
	s_nop 1
	v_cndmask_b32_e32 v70, v70, v73, vcc
	v_cndmask_b32_e32 v68, v68, v74, vcc
	s_cbranch_scc1 .LBB118_439
.LBB118_440:
	s_waitcnt lgkmcnt(0)
	v_cmp_eq_f32_e32 vcc, 0, v70
	s_and_saveexec_b64 s[0:1], vcc
	s_xor_b64 s[0:1], exec, s[0:1]
; %bb.441:
	v_cmp_ne_u32_e32 vcc, 0, v67
	s_nop 1
	v_cndmask_b32_e32 v67, 27, v67, vcc
; %bb.442:
	s_andn2_saveexec_b64 s[0:1], s[0:1]
	s_cbranch_execz .LBB118_444
; %bb.443:
	v_div_scale_f32 v72, s[2:3], v70, v70, 1.0
	v_rcp_f32_e32 v73, v72
	v_div_scale_f32 v74, vcc, 1.0, v70, 1.0
	v_fma_f32 v75, -v72, v73, 1.0
	v_fmac_f32_e32 v73, v75, v73
	v_mul_f32_e32 v75, v74, v73
	v_fma_f32 v76, -v72, v75, v74
	v_fmac_f32_e32 v75, v76, v73
	v_fma_f32 v72, -v72, v75, v74
	v_div_fmas_f32 v72, v72, v73, v75
	v_div_fixup_f32 v70, v72, v70, 1.0
.LBB118_444:
	s_or_b64 exec, exec, s[0:1]
	v_cmp_ne_u32_e32 vcc, v71, v68
	s_and_saveexec_b64 s[0:1], vcc
	s_xor_b64 s[0:1], exec, s[0:1]
	s_cbranch_execz .LBB118_450
; %bb.445:
	v_cmp_eq_u32_e32 vcc, 26, v71
	s_and_saveexec_b64 s[2:3], vcc
	s_cbranch_execz .LBB118_449
; %bb.446:
	v_cmp_ne_u32_e32 vcc, 26, v68
	s_xor_b64 s[12:13], s[20:21], -1
	s_and_b64 s[14:15], s[12:13], vcc
	s_and_saveexec_b64 s[12:13], s[14:15]
	s_cbranch_execz .LBB118_448
; %bb.447:
	v_ashrrev_i32_e32 v69, 31, v68
	v_lshl_add_u64 v[72:73], v[68:69], 2, v[4:5]
	global_load_dword v69, v[72:73], off
	global_load_dword v71, v[4:5], off offset:104
	s_waitcnt vmcnt(1)
	global_store_dword v[4:5], v69, off offset:104
	s_waitcnt vmcnt(1)
	global_store_dword v[72:73], v71, off
.LBB118_448:
	s_or_b64 exec, exec, s[12:13]
	v_mov_b32_e32 v69, v68
	v_mov_b32_e32 v71, v68
.LBB118_449:
	s_or_b64 exec, exec, s[2:3]
.LBB118_450:
	s_andn2_saveexec_b64 s[0:1], s[0:1]
	s_cbranch_execz .LBB118_452
; %bb.451:
	v_pk_mov_b32 v[72:73], v[42:43], v[32:33] op_sel:[1,0]
	ds_write2_b32 v65, v72, v73 offset0:27 offset1:28
	v_pk_mov_b32 v[72:73], v[32:33], v[22:23] op_sel:[1,0]
	ds_write2_b32 v65, v72, v73 offset0:29 offset1:30
	;; [unrolled: 2-line block ×15, first 2 shown]
	v_pk_mov_b32 v[72:73], v[12:13], v[8:9] op_sel:[1,0]
	v_mov_b32_e32 v71, 26
	ds_write2_b32 v65, v72, v73 offset0:57 offset1:58
	ds_write_b32 v65, v9 offset:236
.LBB118_452:
	s_or_b64 exec, exec, s[0:1]
	v_cmp_lt_i32_e32 vcc, 26, v71
	s_waitcnt lgkmcnt(0)
	s_barrier
	s_and_saveexec_b64 s[0:1], vcc
	s_cbranch_execz .LBB118_454
; %bb.453:
	ds_read_b32 v68, v65 offset:108
	ds_read2_b32 v[72:73], v65 offset0:28 offset1:29
	ds_read2_b32 v[74:75], v65 offset0:30 offset1:31
	v_mul_f32_e32 v42, v70, v42
	ds_read2_b32 v[76:77], v65 offset0:32 offset1:33
	s_waitcnt lgkmcnt(3)
	v_fma_f32 v43, -v42, v68, v43
	s_waitcnt lgkmcnt(2)
	v_pk_fma_f32 v[32:33], v[42:43], v[72:73], v[32:33] op_sel_hi:[0,1,1] neg_lo:[1,0,0] neg_hi:[1,0,0]
	s_waitcnt lgkmcnt(1)
	v_pk_fma_f32 v[22:23], v[42:43], v[74:75], v[22:23] op_sel_hi:[0,1,1] neg_lo:[1,0,0] neg_hi:[1,0,0]
	ds_read2_b32 v[72:73], v65 offset0:34 offset1:35
	ds_read2_b32 v[74:75], v65 offset0:36 offset1:37
	;; [unrolled: 1-line block ×3, first 2 shown]
	s_waitcnt lgkmcnt(3)
	v_pk_fma_f32 v[44:45], v[42:43], v[76:77], v[44:45] op_sel_hi:[0,1,1] neg_lo:[1,0,0] neg_hi:[1,0,0]
	ds_read2_b32 v[76:77], v65 offset0:40 offset1:41
	s_waitcnt lgkmcnt(3)
	v_pk_fma_f32 v[34:35], v[42:43], v[72:73], v[34:35] op_sel_hi:[0,1,1] neg_lo:[1,0,0] neg_hi:[1,0,0]
	s_waitcnt lgkmcnt(2)
	v_pk_fma_f32 v[24:25], v[42:43], v[74:75], v[24:25] op_sel_hi:[0,1,1] neg_lo:[1,0,0] neg_hi:[1,0,0]
	;; [unrolled: 2-line block ×3, first 2 shown]
	ds_read2_b32 v[72:73], v65 offset0:42 offset1:43
	ds_read2_b32 v[74:75], v65 offset0:44 offset1:45
	;; [unrolled: 1-line block ×4, first 2 shown]
	s_waitcnt lgkmcnt(4)
	v_pk_fma_f32 v[36:37], v[42:43], v[76:77], v[36:37] op_sel_hi:[0,1,1] neg_lo:[1,0,0] neg_hi:[1,0,0]
	s_waitcnt lgkmcnt(3)
	v_pk_fma_f32 v[26:27], v[42:43], v[72:73], v[26:27] op_sel_hi:[0,1,1] neg_lo:[1,0,0] neg_hi:[1,0,0]
	;; [unrolled: 2-line block ×5, first 2 shown]
	ds_read2_b32 v[72:73], v65 offset0:50 offset1:51
	ds_read2_b32 v[74:75], v65 offset0:52 offset1:53
	;; [unrolled: 1-line block ×5, first 2 shown]
	s_waitcnt lgkmcnt(4)
	v_pk_fma_f32 v[20:21], v[42:43], v[72:73], v[20:21] op_sel_hi:[0,1,1] neg_lo:[1,0,0] neg_hi:[1,0,0]
	s_waitcnt lgkmcnt(3)
	v_pk_fma_f32 v[14:15], v[42:43], v[74:75], v[14:15] op_sel_hi:[0,1,1] neg_lo:[1,0,0] neg_hi:[1,0,0]
	;; [unrolled: 2-line block ×5, first 2 shown]
.LBB118_454:
	s_or_b64 exec, exec, s[0:1]
	v_lshl_add_u32 v68, v71, 2, v65
	s_barrier
	ds_write_b32 v68, v43
	s_waitcnt lgkmcnt(0)
	s_barrier
	ds_read_b32 v70, v65 offset:108
	s_cmp_lt_i32 s22, 29
	v_mov_b32_e32 v68, 27
	s_cbranch_scc1 .LBB118_457
; %bb.455:
	v_add_u32_e32 v72, 0x70, v65
	v_mov_b32_e32 v68, 27
	s_mov_b32 s0, 28
.LBB118_456:                            ; =>This Inner Loop Header: Depth=1
	ds_read_b32 v73, v72
	v_mov_b32_e32 v74, s0
	s_add_i32 s0, s0, 1
	v_add_u32_e32 v72, 4, v72
	s_cmp_lg_u32 s22, s0
	s_waitcnt lgkmcnt(0)
	v_cmp_lt_f32_e64 vcc, |v70|, |v73|
	s_nop 1
	v_cndmask_b32_e32 v70, v70, v73, vcc
	v_cndmask_b32_e32 v68, v68, v74, vcc
	s_cbranch_scc1 .LBB118_456
.LBB118_457:
	s_waitcnt lgkmcnt(0)
	v_cmp_eq_f32_e32 vcc, 0, v70
	s_and_saveexec_b64 s[0:1], vcc
	s_xor_b64 s[0:1], exec, s[0:1]
; %bb.458:
	v_cmp_ne_u32_e32 vcc, 0, v67
	s_nop 1
	v_cndmask_b32_e32 v67, 28, v67, vcc
; %bb.459:
	s_andn2_saveexec_b64 s[0:1], s[0:1]
	s_cbranch_execz .LBB118_461
; %bb.460:
	v_div_scale_f32 v72, s[2:3], v70, v70, 1.0
	v_rcp_f32_e32 v73, v72
	v_div_scale_f32 v74, vcc, 1.0, v70, 1.0
	v_fma_f32 v75, -v72, v73, 1.0
	v_fmac_f32_e32 v73, v75, v73
	v_mul_f32_e32 v75, v74, v73
	v_fma_f32 v76, -v72, v75, v74
	v_fmac_f32_e32 v75, v76, v73
	v_fma_f32 v72, -v72, v75, v74
	v_div_fmas_f32 v72, v72, v73, v75
	v_div_fixup_f32 v70, v72, v70, 1.0
.LBB118_461:
	s_or_b64 exec, exec, s[0:1]
	v_cmp_ne_u32_e32 vcc, v71, v68
	s_and_saveexec_b64 s[0:1], vcc
	s_xor_b64 s[0:1], exec, s[0:1]
	s_cbranch_execz .LBB118_467
; %bb.462:
	v_cmp_eq_u32_e32 vcc, 27, v71
	s_and_saveexec_b64 s[2:3], vcc
	s_cbranch_execz .LBB118_466
; %bb.463:
	v_cmp_ne_u32_e32 vcc, 27, v68
	s_xor_b64 s[12:13], s[20:21], -1
	s_and_b64 s[14:15], s[12:13], vcc
	s_and_saveexec_b64 s[12:13], s[14:15]
	s_cbranch_execz .LBB118_465
; %bb.464:
	v_ashrrev_i32_e32 v69, 31, v68
	v_lshl_add_u64 v[72:73], v[68:69], 2, v[4:5]
	global_load_dword v69, v[72:73], off
	global_load_dword v71, v[4:5], off offset:108
	s_waitcnt vmcnt(1)
	global_store_dword v[4:5], v69, off offset:108
	s_waitcnt vmcnt(1)
	global_store_dword v[72:73], v71, off
.LBB118_465:
	s_or_b64 exec, exec, s[12:13]
	v_mov_b32_e32 v69, v68
	v_mov_b32_e32 v71, v68
.LBB118_466:
	s_or_b64 exec, exec, s[2:3]
.LBB118_467:
	s_andn2_saveexec_b64 s[0:1], s[0:1]
	s_cbranch_execz .LBB118_469
; %bb.468:
	v_mov_b32_e32 v71, 27
	ds_write2_b32 v65, v32, v33 offset0:28 offset1:29
	ds_write2_b32 v65, v22, v23 offset0:30 offset1:31
	;; [unrolled: 1-line block ×16, first 2 shown]
.LBB118_469:
	s_or_b64 exec, exec, s[0:1]
	v_cmp_lt_i32_e32 vcc, 27, v71
	s_waitcnt lgkmcnt(0)
	s_barrier
	s_and_saveexec_b64 s[0:1], vcc
	s_cbranch_execz .LBB118_471
; %bb.470:
	ds_read2_b32 v[72:73], v65 offset0:28 offset1:29
	ds_read2_b32 v[74:75], v65 offset0:30 offset1:31
	;; [unrolled: 1-line block ×3, first 2 shown]
	v_mul_f32_e32 v68, v70, v43
	ds_read2_b32 v[78:79], v65 offset0:34 offset1:35
	s_waitcnt lgkmcnt(3)
	v_pk_fma_f32 v[32:33], v[68:69], v[72:73], v[32:33] op_sel_hi:[0,1,1] neg_lo:[1,0,0] neg_hi:[1,0,0]
	s_waitcnt lgkmcnt(2)
	v_pk_fma_f32 v[22:23], v[68:69], v[74:75], v[22:23] op_sel_hi:[0,1,1] neg_lo:[1,0,0] neg_hi:[1,0,0]
	;; [unrolled: 2-line block ×3, first 2 shown]
	ds_read2_b32 v[72:73], v65 offset0:36 offset1:37
	ds_read2_b32 v[74:75], v65 offset0:38 offset1:39
	;; [unrolled: 1-line block ×3, first 2 shown]
	s_waitcnt lgkmcnt(3)
	v_pk_fma_f32 v[34:35], v[68:69], v[78:79], v[34:35] op_sel_hi:[0,1,1] neg_lo:[1,0,0] neg_hi:[1,0,0]
	ds_read2_b32 v[78:79], v65 offset0:42 offset1:43
	s_waitcnt lgkmcnt(3)
	v_pk_fma_f32 v[24:25], v[68:69], v[72:73], v[24:25] op_sel_hi:[0,1,1] neg_lo:[1,0,0] neg_hi:[1,0,0]
	s_waitcnt lgkmcnt(2)
	v_pk_fma_f32 v[16:17], v[68:69], v[74:75], v[16:17] op_sel_hi:[0,1,1] neg_lo:[1,0,0] neg_hi:[1,0,0]
	;; [unrolled: 2-line block ×3, first 2 shown]
	ds_read2_b32 v[72:73], v65 offset0:44 offset1:45
	ds_read2_b32 v[74:75], v65 offset0:46 offset1:47
	;; [unrolled: 1-line block ×3, first 2 shown]
	s_waitcnt lgkmcnt(3)
	v_pk_fma_f32 v[26:27], v[68:69], v[78:79], v[26:27] op_sel_hi:[0,1,1] neg_lo:[1,0,0] neg_hi:[1,0,0]
	ds_read2_b32 v[78:79], v65 offset0:50 offset1:51
	s_waitcnt lgkmcnt(3)
	v_pk_fma_f32 v[18:19], v[68:69], v[72:73], v[18:19] op_sel_hi:[0,1,1] neg_lo:[1,0,0] neg_hi:[1,0,0]
	s_waitcnt lgkmcnt(2)
	v_pk_fma_f32 v[10:11], v[68:69], v[74:75], v[10:11] op_sel_hi:[0,1,1] neg_lo:[1,0,0] neg_hi:[1,0,0]
	;; [unrolled: 2-line block ×3, first 2 shown]
	ds_read2_b32 v[72:73], v65 offset0:52 offset1:53
	ds_read2_b32 v[74:75], v65 offset0:54 offset1:55
	;; [unrolled: 1-line block ×4, first 2 shown]
	s_waitcnt lgkmcnt(4)
	v_pk_fma_f32 v[20:21], v[68:69], v[78:79], v[20:21] op_sel_hi:[0,1,1] neg_lo:[1,0,0] neg_hi:[1,0,0]
	s_waitcnt lgkmcnt(3)
	v_pk_fma_f32 v[14:15], v[68:69], v[72:73], v[14:15] op_sel_hi:[0,1,1] neg_lo:[1,0,0] neg_hi:[1,0,0]
	;; [unrolled: 2-line block ×5, first 2 shown]
	v_mov_b32_e32 v43, v68
.LBB118_471:
	s_or_b64 exec, exec, s[0:1]
	v_lshl_add_u32 v68, v71, 2, v65
	s_barrier
	ds_write_b32 v68, v32
	s_waitcnt lgkmcnt(0)
	s_barrier
	ds_read_b32 v70, v65 offset:112
	s_cmp_lt_i32 s22, 30
	v_mov_b32_e32 v68, 28
	s_cbranch_scc1 .LBB118_474
; %bb.472:
	v_add_u32_e32 v72, 0x74, v65
	v_mov_b32_e32 v68, 28
	s_mov_b32 s0, 29
.LBB118_473:                            ; =>This Inner Loop Header: Depth=1
	ds_read_b32 v73, v72
	v_mov_b32_e32 v74, s0
	s_add_i32 s0, s0, 1
	v_add_u32_e32 v72, 4, v72
	s_cmp_lg_u32 s22, s0
	s_waitcnt lgkmcnt(0)
	v_cmp_lt_f32_e64 vcc, |v70|, |v73|
	s_nop 1
	v_cndmask_b32_e32 v70, v70, v73, vcc
	v_cndmask_b32_e32 v68, v68, v74, vcc
	s_cbranch_scc1 .LBB118_473
.LBB118_474:
	s_waitcnt lgkmcnt(0)
	v_cmp_eq_f32_e32 vcc, 0, v70
	s_and_saveexec_b64 s[0:1], vcc
	s_xor_b64 s[0:1], exec, s[0:1]
; %bb.475:
	v_cmp_ne_u32_e32 vcc, 0, v67
	s_nop 1
	v_cndmask_b32_e32 v67, 29, v67, vcc
; %bb.476:
	s_andn2_saveexec_b64 s[0:1], s[0:1]
	s_cbranch_execz .LBB118_478
; %bb.477:
	v_div_scale_f32 v72, s[2:3], v70, v70, 1.0
	v_rcp_f32_e32 v73, v72
	v_div_scale_f32 v74, vcc, 1.0, v70, 1.0
	v_fma_f32 v75, -v72, v73, 1.0
	v_fmac_f32_e32 v73, v75, v73
	v_mul_f32_e32 v75, v74, v73
	v_fma_f32 v76, -v72, v75, v74
	v_fmac_f32_e32 v75, v76, v73
	v_fma_f32 v72, -v72, v75, v74
	v_div_fmas_f32 v72, v72, v73, v75
	v_div_fixup_f32 v70, v72, v70, 1.0
.LBB118_478:
	s_or_b64 exec, exec, s[0:1]
	v_cmp_ne_u32_e32 vcc, v71, v68
	s_and_saveexec_b64 s[0:1], vcc
	s_xor_b64 s[0:1], exec, s[0:1]
	s_cbranch_execz .LBB118_484
; %bb.479:
	v_cmp_eq_u32_e32 vcc, 28, v71
	s_and_saveexec_b64 s[2:3], vcc
	s_cbranch_execz .LBB118_483
; %bb.480:
	v_cmp_ne_u32_e32 vcc, 28, v68
	s_xor_b64 s[12:13], s[20:21], -1
	s_and_b64 s[14:15], s[12:13], vcc
	s_and_saveexec_b64 s[12:13], s[14:15]
	s_cbranch_execz .LBB118_482
; %bb.481:
	v_ashrrev_i32_e32 v69, 31, v68
	v_lshl_add_u64 v[72:73], v[68:69], 2, v[4:5]
	global_load_dword v69, v[72:73], off
	global_load_dword v71, v[4:5], off offset:112
	s_waitcnt vmcnt(1)
	global_store_dword v[4:5], v69, off offset:112
	s_waitcnt vmcnt(1)
	global_store_dword v[72:73], v71, off
.LBB118_482:
	s_or_b64 exec, exec, s[12:13]
	v_mov_b32_e32 v69, v68
	v_mov_b32_e32 v71, v68
.LBB118_483:
	s_or_b64 exec, exec, s[2:3]
.LBB118_484:
	s_andn2_saveexec_b64 s[0:1], s[0:1]
	s_cbranch_execz .LBB118_486
; %bb.485:
	v_pk_mov_b32 v[72:73], v[32:33], v[22:23] op_sel:[1,0]
	ds_write2_b32 v65, v72, v73 offset0:29 offset1:30
	v_pk_mov_b32 v[72:73], v[22:23], v[44:45] op_sel:[1,0]
	ds_write2_b32 v65, v72, v73 offset0:31 offset1:32
	;; [unrolled: 2-line block ×14, first 2 shown]
	v_pk_mov_b32 v[72:73], v[12:13], v[8:9] op_sel:[1,0]
	v_mov_b32_e32 v71, 28
	ds_write2_b32 v65, v72, v73 offset0:57 offset1:58
	ds_write_b32 v65, v9 offset:236
.LBB118_486:
	s_or_b64 exec, exec, s[0:1]
	v_cmp_lt_i32_e32 vcc, 28, v71
	s_waitcnt lgkmcnt(0)
	s_barrier
	s_and_saveexec_b64 s[0:1], vcc
	s_cbranch_execz .LBB118_488
; %bb.487:
	ds_read_b32 v68, v65 offset:116
	ds_read2_b32 v[72:73], v65 offset0:30 offset1:31
	ds_read2_b32 v[74:75], v65 offset0:32 offset1:33
	v_mul_f32_e32 v32, v70, v32
	ds_read2_b32 v[76:77], v65 offset0:34 offset1:35
	s_waitcnt lgkmcnt(3)
	v_fma_f32 v33, -v32, v68, v33
	s_waitcnt lgkmcnt(2)
	v_pk_fma_f32 v[22:23], v[32:33], v[72:73], v[22:23] op_sel_hi:[0,1,1] neg_lo:[1,0,0] neg_hi:[1,0,0]
	s_waitcnt lgkmcnt(1)
	v_pk_fma_f32 v[44:45], v[32:33], v[74:75], v[44:45] op_sel_hi:[0,1,1] neg_lo:[1,0,0] neg_hi:[1,0,0]
	ds_read2_b32 v[72:73], v65 offset0:36 offset1:37
	ds_read2_b32 v[74:75], v65 offset0:38 offset1:39
	;; [unrolled: 1-line block ×3, first 2 shown]
	s_waitcnt lgkmcnt(3)
	v_pk_fma_f32 v[34:35], v[32:33], v[76:77], v[34:35] op_sel_hi:[0,1,1] neg_lo:[1,0,0] neg_hi:[1,0,0]
	ds_read2_b32 v[76:77], v65 offset0:42 offset1:43
	s_waitcnt lgkmcnt(3)
	v_pk_fma_f32 v[24:25], v[32:33], v[72:73], v[24:25] op_sel_hi:[0,1,1] neg_lo:[1,0,0] neg_hi:[1,0,0]
	s_waitcnt lgkmcnt(2)
	v_pk_fma_f32 v[16:17], v[32:33], v[74:75], v[16:17] op_sel_hi:[0,1,1] neg_lo:[1,0,0] neg_hi:[1,0,0]
	;; [unrolled: 2-line block ×3, first 2 shown]
	ds_read2_b32 v[72:73], v65 offset0:44 offset1:45
	ds_read2_b32 v[74:75], v65 offset0:46 offset1:47
	;; [unrolled: 1-line block ×3, first 2 shown]
	s_waitcnt lgkmcnt(3)
	v_pk_fma_f32 v[26:27], v[32:33], v[76:77], v[26:27] op_sel_hi:[0,1,1] neg_lo:[1,0,0] neg_hi:[1,0,0]
	ds_read2_b32 v[76:77], v65 offset0:50 offset1:51
	s_waitcnt lgkmcnt(3)
	v_pk_fma_f32 v[18:19], v[32:33], v[72:73], v[18:19] op_sel_hi:[0,1,1] neg_lo:[1,0,0] neg_hi:[1,0,0]
	s_waitcnt lgkmcnt(2)
	v_pk_fma_f32 v[10:11], v[32:33], v[74:75], v[10:11] op_sel_hi:[0,1,1] neg_lo:[1,0,0] neg_hi:[1,0,0]
	;; [unrolled: 2-line block ×3, first 2 shown]
	ds_read2_b32 v[72:73], v65 offset0:52 offset1:53
	ds_read2_b32 v[74:75], v65 offset0:54 offset1:55
	;; [unrolled: 1-line block ×4, first 2 shown]
	s_waitcnt lgkmcnt(4)
	v_pk_fma_f32 v[20:21], v[32:33], v[76:77], v[20:21] op_sel_hi:[0,1,1] neg_lo:[1,0,0] neg_hi:[1,0,0]
	s_waitcnt lgkmcnt(3)
	v_pk_fma_f32 v[14:15], v[32:33], v[72:73], v[14:15] op_sel_hi:[0,1,1] neg_lo:[1,0,0] neg_hi:[1,0,0]
	;; [unrolled: 2-line block ×5, first 2 shown]
.LBB118_488:
	s_or_b64 exec, exec, s[0:1]
	v_lshl_add_u32 v68, v71, 2, v65
	s_barrier
	ds_write_b32 v68, v33
	s_waitcnt lgkmcnt(0)
	s_barrier
	ds_read_b32 v70, v65 offset:116
	s_cmp_lt_i32 s22, 31
	v_mov_b32_e32 v68, 29
	s_cbranch_scc1 .LBB118_491
; %bb.489:
	v_add_u32_e32 v72, 0x78, v65
	v_mov_b32_e32 v68, 29
	s_mov_b32 s0, 30
.LBB118_490:                            ; =>This Inner Loop Header: Depth=1
	ds_read_b32 v73, v72
	v_mov_b32_e32 v74, s0
	s_add_i32 s0, s0, 1
	v_add_u32_e32 v72, 4, v72
	s_cmp_lg_u32 s22, s0
	s_waitcnt lgkmcnt(0)
	v_cmp_lt_f32_e64 vcc, |v70|, |v73|
	s_nop 1
	v_cndmask_b32_e32 v70, v70, v73, vcc
	v_cndmask_b32_e32 v68, v68, v74, vcc
	s_cbranch_scc1 .LBB118_490
.LBB118_491:
	s_waitcnt lgkmcnt(0)
	v_cmp_eq_f32_e32 vcc, 0, v70
	s_and_saveexec_b64 s[0:1], vcc
	s_xor_b64 s[0:1], exec, s[0:1]
; %bb.492:
	v_cmp_ne_u32_e32 vcc, 0, v67
	s_nop 1
	v_cndmask_b32_e32 v67, 30, v67, vcc
; %bb.493:
	s_andn2_saveexec_b64 s[0:1], s[0:1]
	s_cbranch_execz .LBB118_495
; %bb.494:
	v_div_scale_f32 v72, s[2:3], v70, v70, 1.0
	v_rcp_f32_e32 v73, v72
	v_div_scale_f32 v74, vcc, 1.0, v70, 1.0
	v_fma_f32 v75, -v72, v73, 1.0
	v_fmac_f32_e32 v73, v75, v73
	v_mul_f32_e32 v75, v74, v73
	v_fma_f32 v76, -v72, v75, v74
	v_fmac_f32_e32 v75, v76, v73
	v_fma_f32 v72, -v72, v75, v74
	v_div_fmas_f32 v72, v72, v73, v75
	v_div_fixup_f32 v70, v72, v70, 1.0
.LBB118_495:
	s_or_b64 exec, exec, s[0:1]
	v_cmp_ne_u32_e32 vcc, v71, v68
	s_and_saveexec_b64 s[0:1], vcc
	s_xor_b64 s[0:1], exec, s[0:1]
	s_cbranch_execz .LBB118_501
; %bb.496:
	v_cmp_eq_u32_e32 vcc, 29, v71
	s_and_saveexec_b64 s[2:3], vcc
	s_cbranch_execz .LBB118_500
; %bb.497:
	v_cmp_ne_u32_e32 vcc, 29, v68
	s_xor_b64 s[12:13], s[20:21], -1
	s_and_b64 s[14:15], s[12:13], vcc
	s_and_saveexec_b64 s[12:13], s[14:15]
	s_cbranch_execz .LBB118_499
; %bb.498:
	v_ashrrev_i32_e32 v69, 31, v68
	v_lshl_add_u64 v[72:73], v[68:69], 2, v[4:5]
	global_load_dword v69, v[72:73], off
	global_load_dword v71, v[4:5], off offset:116
	s_waitcnt vmcnt(1)
	global_store_dword v[4:5], v69, off offset:116
	s_waitcnt vmcnt(1)
	global_store_dword v[72:73], v71, off
.LBB118_499:
	s_or_b64 exec, exec, s[12:13]
	v_mov_b32_e32 v69, v68
	v_mov_b32_e32 v71, v68
.LBB118_500:
	s_or_b64 exec, exec, s[2:3]
.LBB118_501:
	s_andn2_saveexec_b64 s[0:1], s[0:1]
	s_cbranch_execz .LBB118_503
; %bb.502:
	v_mov_b32_e32 v71, 29
	ds_write2_b32 v65, v22, v23 offset0:30 offset1:31
	ds_write2_b32 v65, v44, v45 offset0:32 offset1:33
	;; [unrolled: 1-line block ×15, first 2 shown]
.LBB118_503:
	s_or_b64 exec, exec, s[0:1]
	v_cmp_lt_i32_e32 vcc, 29, v71
	s_waitcnt lgkmcnt(0)
	s_barrier
	s_and_saveexec_b64 s[0:1], vcc
	s_cbranch_execz .LBB118_505
; %bb.504:
	ds_read2_b32 v[72:73], v65 offset0:30 offset1:31
	ds_read2_b32 v[74:75], v65 offset0:32 offset1:33
	;; [unrolled: 1-line block ×3, first 2 shown]
	v_mul_f32_e32 v68, v70, v33
	ds_read2_b32 v[78:79], v65 offset0:36 offset1:37
	s_waitcnt lgkmcnt(3)
	v_pk_fma_f32 v[22:23], v[68:69], v[72:73], v[22:23] op_sel_hi:[0,1,1] neg_lo:[1,0,0] neg_hi:[1,0,0]
	s_waitcnt lgkmcnt(2)
	v_pk_fma_f32 v[44:45], v[68:69], v[74:75], v[44:45] op_sel_hi:[0,1,1] neg_lo:[1,0,0] neg_hi:[1,0,0]
	;; [unrolled: 2-line block ×3, first 2 shown]
	ds_read2_b32 v[72:73], v65 offset0:38 offset1:39
	ds_read2_b32 v[74:75], v65 offset0:40 offset1:41
	;; [unrolled: 1-line block ×3, first 2 shown]
	s_waitcnt lgkmcnt(3)
	v_pk_fma_f32 v[24:25], v[68:69], v[78:79], v[24:25] op_sel_hi:[0,1,1] neg_lo:[1,0,0] neg_hi:[1,0,0]
	ds_read2_b32 v[78:79], v65 offset0:44 offset1:45
	s_waitcnt lgkmcnt(3)
	v_pk_fma_f32 v[16:17], v[68:69], v[72:73], v[16:17] op_sel_hi:[0,1,1] neg_lo:[1,0,0] neg_hi:[1,0,0]
	s_waitcnt lgkmcnt(2)
	v_pk_fma_f32 v[36:37], v[68:69], v[74:75], v[36:37] op_sel_hi:[0,1,1] neg_lo:[1,0,0] neg_hi:[1,0,0]
	ds_read2_b32 v[72:73], v65 offset0:46 offset1:47
	ds_read2_b32 v[74:75], v65 offset0:48 offset1:49
	s_waitcnt lgkmcnt(3)
	v_pk_fma_f32 v[26:27], v[68:69], v[76:77], v[26:27] op_sel_hi:[0,1,1] neg_lo:[1,0,0] neg_hi:[1,0,0]
	s_waitcnt lgkmcnt(2)
	v_pk_fma_f32 v[18:19], v[68:69], v[78:79], v[18:19] op_sel_hi:[0,1,1] neg_lo:[1,0,0] neg_hi:[1,0,0]
	ds_read2_b32 v[76:77], v65 offset0:50 offset1:51
	;; [unrolled: 6-line block ×3, first 2 shown]
	ds_read2_b32 v[74:75], v65 offset0:56 offset1:57
	ds_read2_b32 v[80:81], v65 offset0:58 offset1:59
	s_waitcnt lgkmcnt(4)
	v_pk_fma_f32 v[20:21], v[68:69], v[76:77], v[20:21] op_sel_hi:[0,1,1] neg_lo:[1,0,0] neg_hi:[1,0,0]
	s_waitcnt lgkmcnt(3)
	v_pk_fma_f32 v[14:15], v[68:69], v[78:79], v[14:15] op_sel_hi:[0,1,1] neg_lo:[1,0,0] neg_hi:[1,0,0]
	;; [unrolled: 2-line block ×5, first 2 shown]
	v_mov_b32_e32 v33, v68
.LBB118_505:
	s_or_b64 exec, exec, s[0:1]
	v_lshl_add_u32 v68, v71, 2, v65
	s_barrier
	ds_write_b32 v68, v22
	s_waitcnt lgkmcnt(0)
	s_barrier
	ds_read_b32 v70, v65 offset:120
	s_cmp_lt_i32 s22, 32
	v_mov_b32_e32 v68, 30
	s_cbranch_scc1 .LBB118_508
; %bb.506:
	v_add_u32_e32 v72, 0x7c, v65
	v_mov_b32_e32 v68, 30
	s_mov_b32 s0, 31
.LBB118_507:                            ; =>This Inner Loop Header: Depth=1
	ds_read_b32 v73, v72
	v_mov_b32_e32 v74, s0
	s_add_i32 s0, s0, 1
	v_add_u32_e32 v72, 4, v72
	s_cmp_lg_u32 s22, s0
	s_waitcnt lgkmcnt(0)
	v_cmp_lt_f32_e64 vcc, |v70|, |v73|
	s_nop 1
	v_cndmask_b32_e32 v70, v70, v73, vcc
	v_cndmask_b32_e32 v68, v68, v74, vcc
	s_cbranch_scc1 .LBB118_507
.LBB118_508:
	s_waitcnt lgkmcnt(0)
	v_cmp_eq_f32_e32 vcc, 0, v70
	s_and_saveexec_b64 s[0:1], vcc
	s_xor_b64 s[0:1], exec, s[0:1]
; %bb.509:
	v_cmp_ne_u32_e32 vcc, 0, v67
	s_nop 1
	v_cndmask_b32_e32 v67, 31, v67, vcc
; %bb.510:
	s_andn2_saveexec_b64 s[0:1], s[0:1]
	s_cbranch_execz .LBB118_512
; %bb.511:
	v_div_scale_f32 v72, s[2:3], v70, v70, 1.0
	v_rcp_f32_e32 v73, v72
	v_div_scale_f32 v74, vcc, 1.0, v70, 1.0
	v_fma_f32 v75, -v72, v73, 1.0
	v_fmac_f32_e32 v73, v75, v73
	v_mul_f32_e32 v75, v74, v73
	v_fma_f32 v76, -v72, v75, v74
	v_fmac_f32_e32 v75, v76, v73
	v_fma_f32 v72, -v72, v75, v74
	v_div_fmas_f32 v72, v72, v73, v75
	v_div_fixup_f32 v70, v72, v70, 1.0
.LBB118_512:
	s_or_b64 exec, exec, s[0:1]
	v_cmp_ne_u32_e32 vcc, v71, v68
	s_and_saveexec_b64 s[0:1], vcc
	s_xor_b64 s[0:1], exec, s[0:1]
	s_cbranch_execz .LBB118_518
; %bb.513:
	v_cmp_eq_u32_e32 vcc, 30, v71
	s_and_saveexec_b64 s[2:3], vcc
	s_cbranch_execz .LBB118_517
; %bb.514:
	v_cmp_ne_u32_e32 vcc, 30, v68
	s_xor_b64 s[12:13], s[20:21], -1
	s_and_b64 s[14:15], s[12:13], vcc
	s_and_saveexec_b64 s[12:13], s[14:15]
	s_cbranch_execz .LBB118_516
; %bb.515:
	v_ashrrev_i32_e32 v69, 31, v68
	v_lshl_add_u64 v[72:73], v[68:69], 2, v[4:5]
	global_load_dword v69, v[72:73], off
	global_load_dword v71, v[4:5], off offset:120
	s_waitcnt vmcnt(1)
	global_store_dword v[4:5], v69, off offset:120
	s_waitcnt vmcnt(1)
	global_store_dword v[72:73], v71, off
.LBB118_516:
	s_or_b64 exec, exec, s[12:13]
	v_mov_b32_e32 v69, v68
	v_mov_b32_e32 v71, v68
.LBB118_517:
	s_or_b64 exec, exec, s[2:3]
.LBB118_518:
	s_andn2_saveexec_b64 s[0:1], s[0:1]
	s_cbranch_execz .LBB118_520
; %bb.519:
	v_pk_mov_b32 v[72:73], v[22:23], v[44:45] op_sel:[1,0]
	ds_write2_b32 v65, v72, v73 offset0:31 offset1:32
	v_pk_mov_b32 v[72:73], v[44:45], v[34:35] op_sel:[1,0]
	ds_write2_b32 v65, v72, v73 offset0:33 offset1:34
	;; [unrolled: 2-line block ×13, first 2 shown]
	v_pk_mov_b32 v[72:73], v[12:13], v[8:9] op_sel:[1,0]
	v_mov_b32_e32 v71, 30
	ds_write2_b32 v65, v72, v73 offset0:57 offset1:58
	ds_write_b32 v65, v9 offset:236
.LBB118_520:
	s_or_b64 exec, exec, s[0:1]
	v_cmp_lt_i32_e32 vcc, 30, v71
	s_waitcnt lgkmcnt(0)
	s_barrier
	s_and_saveexec_b64 s[0:1], vcc
	s_cbranch_execz .LBB118_522
; %bb.521:
	ds_read_b32 v68, v65 offset:124
	ds_read2_b32 v[72:73], v65 offset0:32 offset1:33
	ds_read2_b32 v[74:75], v65 offset0:34 offset1:35
	v_mul_f32_e32 v22, v70, v22
	ds_read2_b32 v[76:77], v65 offset0:36 offset1:37
	s_waitcnt lgkmcnt(3)
	v_fma_f32 v23, -v22, v68, v23
	s_waitcnt lgkmcnt(2)
	v_pk_fma_f32 v[44:45], v[22:23], v[72:73], v[44:45] op_sel_hi:[0,1,1] neg_lo:[1,0,0] neg_hi:[1,0,0]
	s_waitcnt lgkmcnt(1)
	v_pk_fma_f32 v[34:35], v[22:23], v[74:75], v[34:35] op_sel_hi:[0,1,1] neg_lo:[1,0,0] neg_hi:[1,0,0]
	ds_read2_b32 v[72:73], v65 offset0:38 offset1:39
	ds_read2_b32 v[74:75], v65 offset0:40 offset1:41
	;; [unrolled: 1-line block ×3, first 2 shown]
	s_waitcnt lgkmcnt(3)
	v_pk_fma_f32 v[24:25], v[22:23], v[76:77], v[24:25] op_sel_hi:[0,1,1] neg_lo:[1,0,0] neg_hi:[1,0,0]
	ds_read2_b32 v[76:77], v65 offset0:44 offset1:45
	s_waitcnt lgkmcnt(3)
	v_pk_fma_f32 v[16:17], v[22:23], v[72:73], v[16:17] op_sel_hi:[0,1,1] neg_lo:[1,0,0] neg_hi:[1,0,0]
	s_waitcnt lgkmcnt(2)
	v_pk_fma_f32 v[36:37], v[22:23], v[74:75], v[36:37] op_sel_hi:[0,1,1] neg_lo:[1,0,0] neg_hi:[1,0,0]
	ds_read2_b32 v[72:73], v65 offset0:46 offset1:47
	ds_read2_b32 v[74:75], v65 offset0:48 offset1:49
	s_waitcnt lgkmcnt(3)
	v_pk_fma_f32 v[26:27], v[22:23], v[78:79], v[26:27] op_sel_hi:[0,1,1] neg_lo:[1,0,0] neg_hi:[1,0,0]
	s_waitcnt lgkmcnt(2)
	v_pk_fma_f32 v[18:19], v[22:23], v[76:77], v[18:19] op_sel_hi:[0,1,1] neg_lo:[1,0,0] neg_hi:[1,0,0]
	ds_read2_b32 v[76:77], v65 offset0:50 offset1:51
	;; [unrolled: 6-line block ×3, first 2 shown]
	ds_read2_b32 v[74:75], v65 offset0:56 offset1:57
	ds_read2_b32 v[80:81], v65 offset0:58 offset1:59
	s_waitcnt lgkmcnt(4)
	v_pk_fma_f32 v[20:21], v[22:23], v[76:77], v[20:21] op_sel_hi:[0,1,1] neg_lo:[1,0,0] neg_hi:[1,0,0]
	s_waitcnt lgkmcnt(3)
	v_pk_fma_f32 v[14:15], v[22:23], v[78:79], v[14:15] op_sel_hi:[0,1,1] neg_lo:[1,0,0] neg_hi:[1,0,0]
	;; [unrolled: 2-line block ×5, first 2 shown]
.LBB118_522:
	s_or_b64 exec, exec, s[0:1]
	v_lshl_add_u32 v68, v71, 2, v65
	s_barrier
	ds_write_b32 v68, v23
	s_waitcnt lgkmcnt(0)
	s_barrier
	ds_read_b32 v70, v65 offset:124
	s_cmp_lt_i32 s22, 33
	v_mov_b32_e32 v68, 31
	s_cbranch_scc1 .LBB118_525
; %bb.523:
	v_add_u32_e32 v72, 0x80, v65
	v_mov_b32_e32 v68, 31
	s_mov_b32 s0, 32
.LBB118_524:                            ; =>This Inner Loop Header: Depth=1
	ds_read_b32 v73, v72
	v_mov_b32_e32 v74, s0
	s_add_i32 s0, s0, 1
	v_add_u32_e32 v72, 4, v72
	s_cmp_lg_u32 s22, s0
	s_waitcnt lgkmcnt(0)
	v_cmp_lt_f32_e64 vcc, |v70|, |v73|
	s_nop 1
	v_cndmask_b32_e32 v70, v70, v73, vcc
	v_cndmask_b32_e32 v68, v68, v74, vcc
	s_cbranch_scc1 .LBB118_524
.LBB118_525:
	s_waitcnt lgkmcnt(0)
	v_cmp_eq_f32_e32 vcc, 0, v70
	s_and_saveexec_b64 s[0:1], vcc
	s_xor_b64 s[0:1], exec, s[0:1]
; %bb.526:
	v_cmp_ne_u32_e32 vcc, 0, v67
	s_nop 1
	v_cndmask_b32_e32 v67, 32, v67, vcc
; %bb.527:
	s_andn2_saveexec_b64 s[0:1], s[0:1]
	s_cbranch_execz .LBB118_529
; %bb.528:
	v_div_scale_f32 v72, s[2:3], v70, v70, 1.0
	v_rcp_f32_e32 v73, v72
	v_div_scale_f32 v74, vcc, 1.0, v70, 1.0
	v_fma_f32 v75, -v72, v73, 1.0
	v_fmac_f32_e32 v73, v75, v73
	v_mul_f32_e32 v75, v74, v73
	v_fma_f32 v76, -v72, v75, v74
	v_fmac_f32_e32 v75, v76, v73
	v_fma_f32 v72, -v72, v75, v74
	v_div_fmas_f32 v72, v72, v73, v75
	v_div_fixup_f32 v70, v72, v70, 1.0
.LBB118_529:
	s_or_b64 exec, exec, s[0:1]
	v_cmp_ne_u32_e32 vcc, v71, v68
	s_and_saveexec_b64 s[0:1], vcc
	s_xor_b64 s[0:1], exec, s[0:1]
	s_cbranch_execz .LBB118_535
; %bb.530:
	v_cmp_eq_u32_e32 vcc, 31, v71
	s_and_saveexec_b64 s[2:3], vcc
	s_cbranch_execz .LBB118_534
; %bb.531:
	v_cmp_ne_u32_e32 vcc, 31, v68
	s_xor_b64 s[12:13], s[20:21], -1
	s_and_b64 s[14:15], s[12:13], vcc
	s_and_saveexec_b64 s[12:13], s[14:15]
	s_cbranch_execz .LBB118_533
; %bb.532:
	v_ashrrev_i32_e32 v69, 31, v68
	v_lshl_add_u64 v[72:73], v[68:69], 2, v[4:5]
	global_load_dword v69, v[72:73], off
	global_load_dword v71, v[4:5], off offset:124
	s_waitcnt vmcnt(1)
	global_store_dword v[4:5], v69, off offset:124
	s_waitcnt vmcnt(1)
	global_store_dword v[72:73], v71, off
.LBB118_533:
	s_or_b64 exec, exec, s[12:13]
	v_mov_b32_e32 v69, v68
	v_mov_b32_e32 v71, v68
.LBB118_534:
	s_or_b64 exec, exec, s[2:3]
.LBB118_535:
	s_andn2_saveexec_b64 s[0:1], s[0:1]
	s_cbranch_execz .LBB118_537
; %bb.536:
	v_mov_b32_e32 v71, 31
	ds_write2_b32 v65, v44, v45 offset0:32 offset1:33
	ds_write2_b32 v65, v34, v35 offset0:34 offset1:35
	;; [unrolled: 1-line block ×14, first 2 shown]
.LBB118_537:
	s_or_b64 exec, exec, s[0:1]
	v_cmp_lt_i32_e32 vcc, 31, v71
	s_waitcnt lgkmcnt(0)
	s_barrier
	s_and_saveexec_b64 s[0:1], vcc
	s_cbranch_execz .LBB118_539
; %bb.538:
	ds_read2_b32 v[72:73], v65 offset0:32 offset1:33
	ds_read2_b32 v[74:75], v65 offset0:34 offset1:35
	;; [unrolled: 1-line block ×4, first 2 shown]
	v_mul_f32_e32 v68, v70, v23
	s_waitcnt lgkmcnt(3)
	v_pk_fma_f32 v[44:45], v[68:69], v[72:73], v[44:45] op_sel_hi:[0,1,1] neg_lo:[1,0,0] neg_hi:[1,0,0]
	s_waitcnt lgkmcnt(2)
	v_pk_fma_f32 v[34:35], v[68:69], v[74:75], v[34:35] op_sel_hi:[0,1,1] neg_lo:[1,0,0] neg_hi:[1,0,0]
	;; [unrolled: 2-line block ×3, first 2 shown]
	ds_read2_b32 v[72:73], v65 offset0:40 offset1:41
	ds_read2_b32 v[74:75], v65 offset0:42 offset1:43
	;; [unrolled: 1-line block ×3, first 2 shown]
	s_waitcnt lgkmcnt(3)
	v_pk_fma_f32 v[16:17], v[68:69], v[78:79], v[16:17] op_sel_hi:[0,1,1] neg_lo:[1,0,0] neg_hi:[1,0,0]
	ds_read2_b32 v[78:79], v65 offset0:46 offset1:47
	s_waitcnt lgkmcnt(3)
	v_pk_fma_f32 v[36:37], v[68:69], v[72:73], v[36:37] op_sel_hi:[0,1,1] neg_lo:[1,0,0] neg_hi:[1,0,0]
	ds_read2_b32 v[72:73], v65 offset0:48 offset1:49
	s_waitcnt lgkmcnt(3)
	v_pk_fma_f32 v[26:27], v[68:69], v[74:75], v[26:27] op_sel_hi:[0,1,1] neg_lo:[1,0,0] neg_hi:[1,0,0]
	s_waitcnt lgkmcnt(2)
	v_pk_fma_f32 v[18:19], v[68:69], v[76:77], v[18:19] op_sel_hi:[0,1,1] neg_lo:[1,0,0] neg_hi:[1,0,0]
	;; [unrolled: 2-line block ×3, first 2 shown]
	ds_read2_b32 v[74:75], v65 offset0:50 offset1:51
	ds_read2_b32 v[76:77], v65 offset0:52 offset1:53
	;; [unrolled: 1-line block ×3, first 2 shown]
	s_waitcnt lgkmcnt(3)
	v_pk_fma_f32 v[28:29], v[68:69], v[72:73], v[28:29] op_sel_hi:[0,1,1] neg_lo:[1,0,0] neg_hi:[1,0,0]
	ds_read2_b32 v[72:73], v65 offset0:56 offset1:57
	ds_read2_b32 v[80:81], v65 offset0:58 offset1:59
	s_waitcnt lgkmcnt(4)
	v_pk_fma_f32 v[20:21], v[68:69], v[74:75], v[20:21] op_sel_hi:[0,1,1] neg_lo:[1,0,0] neg_hi:[1,0,0]
	s_waitcnt lgkmcnt(3)
	v_pk_fma_f32 v[14:15], v[68:69], v[76:77], v[14:15] op_sel_hi:[0,1,1] neg_lo:[1,0,0] neg_hi:[1,0,0]
	;; [unrolled: 2-line block ×5, first 2 shown]
	v_mov_b32_e32 v23, v68
.LBB118_539:
	s_or_b64 exec, exec, s[0:1]
	v_lshl_add_u32 v68, v71, 2, v65
	s_barrier
	ds_write_b32 v68, v44
	s_waitcnt lgkmcnt(0)
	s_barrier
	ds_read_b32 v70, v65 offset:128
	s_cmp_lt_i32 s22, 34
	v_mov_b32_e32 v68, 32
	s_cbranch_scc1 .LBB118_542
; %bb.540:
	v_add_u32_e32 v72, 0x84, v65
	v_mov_b32_e32 v68, 32
	s_mov_b32 s0, 33
.LBB118_541:                            ; =>This Inner Loop Header: Depth=1
	ds_read_b32 v73, v72
	v_mov_b32_e32 v74, s0
	s_add_i32 s0, s0, 1
	v_add_u32_e32 v72, 4, v72
	s_cmp_lg_u32 s22, s0
	s_waitcnt lgkmcnt(0)
	v_cmp_lt_f32_e64 vcc, |v70|, |v73|
	s_nop 1
	v_cndmask_b32_e32 v70, v70, v73, vcc
	v_cndmask_b32_e32 v68, v68, v74, vcc
	s_cbranch_scc1 .LBB118_541
.LBB118_542:
	s_waitcnt lgkmcnt(0)
	v_cmp_eq_f32_e32 vcc, 0, v70
	s_and_saveexec_b64 s[0:1], vcc
	s_xor_b64 s[0:1], exec, s[0:1]
; %bb.543:
	v_cmp_ne_u32_e32 vcc, 0, v67
	s_nop 1
	v_cndmask_b32_e32 v67, 33, v67, vcc
; %bb.544:
	s_andn2_saveexec_b64 s[0:1], s[0:1]
	s_cbranch_execz .LBB118_546
; %bb.545:
	v_div_scale_f32 v72, s[2:3], v70, v70, 1.0
	v_rcp_f32_e32 v73, v72
	v_div_scale_f32 v74, vcc, 1.0, v70, 1.0
	v_fma_f32 v75, -v72, v73, 1.0
	v_fmac_f32_e32 v73, v75, v73
	v_mul_f32_e32 v75, v74, v73
	v_fma_f32 v76, -v72, v75, v74
	v_fmac_f32_e32 v75, v76, v73
	v_fma_f32 v72, -v72, v75, v74
	v_div_fmas_f32 v72, v72, v73, v75
	v_div_fixup_f32 v70, v72, v70, 1.0
.LBB118_546:
	s_or_b64 exec, exec, s[0:1]
	v_cmp_ne_u32_e32 vcc, v71, v68
	s_and_saveexec_b64 s[0:1], vcc
	s_xor_b64 s[0:1], exec, s[0:1]
	s_cbranch_execz .LBB118_552
; %bb.547:
	v_cmp_eq_u32_e32 vcc, 32, v71
	s_and_saveexec_b64 s[2:3], vcc
	s_cbranch_execz .LBB118_551
; %bb.548:
	v_cmp_ne_u32_e32 vcc, 32, v68
	s_xor_b64 s[12:13], s[20:21], -1
	s_and_b64 s[14:15], s[12:13], vcc
	s_and_saveexec_b64 s[12:13], s[14:15]
	s_cbranch_execz .LBB118_550
; %bb.549:
	v_ashrrev_i32_e32 v69, 31, v68
	v_lshl_add_u64 v[72:73], v[68:69], 2, v[4:5]
	global_load_dword v69, v[72:73], off
	global_load_dword v71, v[4:5], off offset:128
	s_waitcnt vmcnt(1)
	global_store_dword v[4:5], v69, off offset:128
	s_waitcnt vmcnt(1)
	global_store_dword v[72:73], v71, off
.LBB118_550:
	s_or_b64 exec, exec, s[12:13]
	v_mov_b32_e32 v69, v68
	v_mov_b32_e32 v71, v68
.LBB118_551:
	s_or_b64 exec, exec, s[2:3]
.LBB118_552:
	s_andn2_saveexec_b64 s[0:1], s[0:1]
	s_cbranch_execz .LBB118_554
; %bb.553:
	v_pk_mov_b32 v[72:73], v[44:45], v[34:35] op_sel:[1,0]
	ds_write2_b32 v65, v72, v73 offset0:33 offset1:34
	v_pk_mov_b32 v[72:73], v[34:35], v[24:25] op_sel:[1,0]
	ds_write2_b32 v65, v72, v73 offset0:35 offset1:36
	v_pk_mov_b32 v[72:73], v[24:25], v[16:17] op_sel:[1,0]
	ds_write2_b32 v65, v72, v73 offset0:37 offset1:38
	v_pk_mov_b32 v[72:73], v[16:17], v[36:37] op_sel:[1,0]
	ds_write2_b32 v65, v72, v73 offset0:39 offset1:40
	v_pk_mov_b32 v[72:73], v[36:37], v[26:27] op_sel:[1,0]
	ds_write2_b32 v65, v72, v73 offset0:41 offset1:42
	v_pk_mov_b32 v[72:73], v[26:27], v[18:19] op_sel:[1,0]
	ds_write2_b32 v65, v72, v73 offset0:43 offset1:44
	v_pk_mov_b32 v[72:73], v[18:19], v[10:11] op_sel:[1,0]
	ds_write2_b32 v65, v72, v73 offset0:45 offset1:46
	v_pk_mov_b32 v[72:73], v[10:11], v[28:29] op_sel:[1,0]
	ds_write2_b32 v65, v72, v73 offset0:47 offset1:48
	v_pk_mov_b32 v[72:73], v[28:29], v[20:21] op_sel:[1,0]
	ds_write2_b32 v65, v72, v73 offset0:49 offset1:50
	v_pk_mov_b32 v[72:73], v[20:21], v[14:15] op_sel:[1,0]
	ds_write2_b32 v65, v72, v73 offset0:51 offset1:52
	v_pk_mov_b32 v[72:73], v[14:15], v[0:1] op_sel:[1,0]
	ds_write2_b32 v65, v72, v73 offset0:53 offset1:54
	v_pk_mov_b32 v[72:73], v[0:1], v[12:13] op_sel:[1,0]
	ds_write2_b32 v65, v72, v73 offset0:55 offset1:56
	v_pk_mov_b32 v[72:73], v[12:13], v[8:9] op_sel:[1,0]
	v_mov_b32_e32 v71, 32
	ds_write2_b32 v65, v72, v73 offset0:57 offset1:58
	ds_write_b32 v65, v9 offset:236
.LBB118_554:
	s_or_b64 exec, exec, s[0:1]
	v_cmp_lt_i32_e32 vcc, 32, v71
	s_waitcnt lgkmcnt(0)
	s_barrier
	s_and_saveexec_b64 s[0:1], vcc
	s_cbranch_execz .LBB118_556
; %bb.555:
	ds_read_b32 v68, v65 offset:132
	ds_read2_b32 v[72:73], v65 offset0:34 offset1:35
	ds_read2_b32 v[74:75], v65 offset0:36 offset1:37
	v_mul_f32_e32 v44, v70, v44
	ds_read2_b32 v[76:77], v65 offset0:38 offset1:39
	s_waitcnt lgkmcnt(3)
	v_fma_f32 v45, -v44, v68, v45
	s_waitcnt lgkmcnt(2)
	v_pk_fma_f32 v[34:35], v[44:45], v[72:73], v[34:35] op_sel_hi:[0,1,1] neg_lo:[1,0,0] neg_hi:[1,0,0]
	s_waitcnt lgkmcnt(1)
	v_pk_fma_f32 v[24:25], v[44:45], v[74:75], v[24:25] op_sel_hi:[0,1,1] neg_lo:[1,0,0] neg_hi:[1,0,0]
	ds_read2_b32 v[72:73], v65 offset0:40 offset1:41
	ds_read2_b32 v[74:75], v65 offset0:42 offset1:43
	;; [unrolled: 1-line block ×3, first 2 shown]
	s_waitcnt lgkmcnt(3)
	v_pk_fma_f32 v[16:17], v[44:45], v[76:77], v[16:17] op_sel_hi:[0,1,1] neg_lo:[1,0,0] neg_hi:[1,0,0]
	ds_read2_b32 v[76:77], v65 offset0:46 offset1:47
	s_waitcnt lgkmcnt(3)
	v_pk_fma_f32 v[36:37], v[44:45], v[72:73], v[36:37] op_sel_hi:[0,1,1] neg_lo:[1,0,0] neg_hi:[1,0,0]
	ds_read2_b32 v[72:73], v65 offset0:48 offset1:49
	s_waitcnt lgkmcnt(3)
	v_pk_fma_f32 v[26:27], v[44:45], v[74:75], v[26:27] op_sel_hi:[0,1,1] neg_lo:[1,0,0] neg_hi:[1,0,0]
	s_waitcnt lgkmcnt(2)
	v_pk_fma_f32 v[18:19], v[44:45], v[78:79], v[18:19] op_sel_hi:[0,1,1] neg_lo:[1,0,0] neg_hi:[1,0,0]
	;; [unrolled: 2-line block ×3, first 2 shown]
	ds_read2_b32 v[74:75], v65 offset0:50 offset1:51
	ds_read2_b32 v[76:77], v65 offset0:52 offset1:53
	;; [unrolled: 1-line block ×3, first 2 shown]
	s_waitcnt lgkmcnt(3)
	v_pk_fma_f32 v[28:29], v[44:45], v[72:73], v[28:29] op_sel_hi:[0,1,1] neg_lo:[1,0,0] neg_hi:[1,0,0]
	ds_read2_b32 v[72:73], v65 offset0:56 offset1:57
	ds_read2_b32 v[80:81], v65 offset0:58 offset1:59
	s_waitcnt lgkmcnt(4)
	v_pk_fma_f32 v[20:21], v[44:45], v[74:75], v[20:21] op_sel_hi:[0,1,1] neg_lo:[1,0,0] neg_hi:[1,0,0]
	s_waitcnt lgkmcnt(3)
	v_pk_fma_f32 v[14:15], v[44:45], v[76:77], v[14:15] op_sel_hi:[0,1,1] neg_lo:[1,0,0] neg_hi:[1,0,0]
	;; [unrolled: 2-line block ×5, first 2 shown]
.LBB118_556:
	s_or_b64 exec, exec, s[0:1]
	v_lshl_add_u32 v68, v71, 2, v65
	s_barrier
	ds_write_b32 v68, v45
	s_waitcnt lgkmcnt(0)
	s_barrier
	ds_read_b32 v70, v65 offset:132
	s_cmp_lt_i32 s22, 35
	v_mov_b32_e32 v68, 33
	s_cbranch_scc1 .LBB118_559
; %bb.557:
	v_add_u32_e32 v72, 0x88, v65
	v_mov_b32_e32 v68, 33
	s_mov_b32 s0, 34
.LBB118_558:                            ; =>This Inner Loop Header: Depth=1
	ds_read_b32 v73, v72
	v_mov_b32_e32 v74, s0
	s_add_i32 s0, s0, 1
	v_add_u32_e32 v72, 4, v72
	s_cmp_lg_u32 s22, s0
	s_waitcnt lgkmcnt(0)
	v_cmp_lt_f32_e64 vcc, |v70|, |v73|
	s_nop 1
	v_cndmask_b32_e32 v70, v70, v73, vcc
	v_cndmask_b32_e32 v68, v68, v74, vcc
	s_cbranch_scc1 .LBB118_558
.LBB118_559:
	s_waitcnt lgkmcnt(0)
	v_cmp_eq_f32_e32 vcc, 0, v70
	s_and_saveexec_b64 s[0:1], vcc
	s_xor_b64 s[0:1], exec, s[0:1]
; %bb.560:
	v_cmp_ne_u32_e32 vcc, 0, v67
	s_nop 1
	v_cndmask_b32_e32 v67, 34, v67, vcc
; %bb.561:
	s_andn2_saveexec_b64 s[0:1], s[0:1]
	s_cbranch_execz .LBB118_563
; %bb.562:
	v_div_scale_f32 v72, s[2:3], v70, v70, 1.0
	v_rcp_f32_e32 v73, v72
	v_div_scale_f32 v74, vcc, 1.0, v70, 1.0
	v_fma_f32 v75, -v72, v73, 1.0
	v_fmac_f32_e32 v73, v75, v73
	v_mul_f32_e32 v75, v74, v73
	v_fma_f32 v76, -v72, v75, v74
	v_fmac_f32_e32 v75, v76, v73
	v_fma_f32 v72, -v72, v75, v74
	v_div_fmas_f32 v72, v72, v73, v75
	v_div_fixup_f32 v70, v72, v70, 1.0
.LBB118_563:
	s_or_b64 exec, exec, s[0:1]
	v_cmp_ne_u32_e32 vcc, v71, v68
	s_and_saveexec_b64 s[0:1], vcc
	s_xor_b64 s[0:1], exec, s[0:1]
	s_cbranch_execz .LBB118_569
; %bb.564:
	v_cmp_eq_u32_e32 vcc, 33, v71
	s_and_saveexec_b64 s[2:3], vcc
	s_cbranch_execz .LBB118_568
; %bb.565:
	v_cmp_ne_u32_e32 vcc, 33, v68
	s_xor_b64 s[12:13], s[20:21], -1
	s_and_b64 s[14:15], s[12:13], vcc
	s_and_saveexec_b64 s[12:13], s[14:15]
	s_cbranch_execz .LBB118_567
; %bb.566:
	v_ashrrev_i32_e32 v69, 31, v68
	v_lshl_add_u64 v[72:73], v[68:69], 2, v[4:5]
	global_load_dword v69, v[72:73], off
	global_load_dword v71, v[4:5], off offset:132
	s_waitcnt vmcnt(1)
	global_store_dword v[4:5], v69, off offset:132
	s_waitcnt vmcnt(1)
	global_store_dword v[72:73], v71, off
.LBB118_567:
	s_or_b64 exec, exec, s[12:13]
	v_mov_b32_e32 v69, v68
	v_mov_b32_e32 v71, v68
.LBB118_568:
	s_or_b64 exec, exec, s[2:3]
.LBB118_569:
	s_andn2_saveexec_b64 s[0:1], s[0:1]
	s_cbranch_execz .LBB118_571
; %bb.570:
	v_mov_b32_e32 v71, 33
	ds_write2_b32 v65, v34, v35 offset0:34 offset1:35
	ds_write2_b32 v65, v24, v25 offset0:36 offset1:37
	;; [unrolled: 1-line block ×13, first 2 shown]
.LBB118_571:
	s_or_b64 exec, exec, s[0:1]
	v_cmp_lt_i32_e32 vcc, 33, v71
	s_waitcnt lgkmcnt(0)
	s_barrier
	s_and_saveexec_b64 s[0:1], vcc
	s_cbranch_execz .LBB118_573
; %bb.572:
	ds_read2_b32 v[72:73], v65 offset0:34 offset1:35
	ds_read2_b32 v[74:75], v65 offset0:36 offset1:37
	;; [unrolled: 1-line block ×3, first 2 shown]
	v_mul_f32_e32 v68, v70, v45
	ds_read2_b32 v[78:79], v65 offset0:40 offset1:41
	s_waitcnt lgkmcnt(3)
	v_pk_fma_f32 v[34:35], v[68:69], v[72:73], v[34:35] op_sel_hi:[0,1,1] neg_lo:[1,0,0] neg_hi:[1,0,0]
	s_waitcnt lgkmcnt(2)
	v_pk_fma_f32 v[24:25], v[68:69], v[74:75], v[24:25] op_sel_hi:[0,1,1] neg_lo:[1,0,0] neg_hi:[1,0,0]
	;; [unrolled: 2-line block ×3, first 2 shown]
	ds_read2_b32 v[72:73], v65 offset0:42 offset1:43
	ds_read2_b32 v[74:75], v65 offset0:44 offset1:45
	;; [unrolled: 1-line block ×4, first 2 shown]
	s_waitcnt lgkmcnt(4)
	v_pk_fma_f32 v[36:37], v[68:69], v[78:79], v[36:37] op_sel_hi:[0,1,1] neg_lo:[1,0,0] neg_hi:[1,0,0]
	s_waitcnt lgkmcnt(3)
	v_pk_fma_f32 v[26:27], v[68:69], v[72:73], v[26:27] op_sel_hi:[0,1,1] neg_lo:[1,0,0] neg_hi:[1,0,0]
	;; [unrolled: 2-line block ×5, first 2 shown]
	ds_read2_b32 v[72:73], v65 offset0:50 offset1:51
	ds_read2_b32 v[74:75], v65 offset0:52 offset1:53
	;; [unrolled: 1-line block ×5, first 2 shown]
	s_waitcnt lgkmcnt(4)
	v_pk_fma_f32 v[20:21], v[68:69], v[72:73], v[20:21] op_sel_hi:[0,1,1] neg_lo:[1,0,0] neg_hi:[1,0,0]
	s_waitcnt lgkmcnt(3)
	v_pk_fma_f32 v[14:15], v[68:69], v[74:75], v[14:15] op_sel_hi:[0,1,1] neg_lo:[1,0,0] neg_hi:[1,0,0]
	s_waitcnt lgkmcnt(2)
	v_pk_fma_f32 v[0:1], v[68:69], v[76:77], v[0:1] op_sel_hi:[0,1,1] neg_lo:[1,0,0] neg_hi:[1,0,0]
	s_waitcnt lgkmcnt(1)
	v_pk_fma_f32 v[12:13], v[68:69], v[78:79], v[12:13] op_sel_hi:[0,1,1] neg_lo:[1,0,0] neg_hi:[1,0,0]
	s_waitcnt lgkmcnt(0)
	v_pk_fma_f32 v[8:9], v[68:69], v[80:81], v[8:9] op_sel_hi:[0,1,1] neg_lo:[1,0,0] neg_hi:[1,0,0]
	v_mov_b32_e32 v45, v68
.LBB118_573:
	s_or_b64 exec, exec, s[0:1]
	v_lshl_add_u32 v68, v71, 2, v65
	s_barrier
	ds_write_b32 v68, v34
	s_waitcnt lgkmcnt(0)
	s_barrier
	ds_read_b32 v70, v65 offset:136
	s_cmp_lt_i32 s22, 36
	v_mov_b32_e32 v68, 34
	s_cbranch_scc1 .LBB118_576
; %bb.574:
	v_add_u32_e32 v72, 0x8c, v65
	v_mov_b32_e32 v68, 34
	s_mov_b32 s0, 35
.LBB118_575:                            ; =>This Inner Loop Header: Depth=1
	ds_read_b32 v73, v72
	v_mov_b32_e32 v74, s0
	s_add_i32 s0, s0, 1
	v_add_u32_e32 v72, 4, v72
	s_cmp_lg_u32 s22, s0
	s_waitcnt lgkmcnt(0)
	v_cmp_lt_f32_e64 vcc, |v70|, |v73|
	s_nop 1
	v_cndmask_b32_e32 v70, v70, v73, vcc
	v_cndmask_b32_e32 v68, v68, v74, vcc
	s_cbranch_scc1 .LBB118_575
.LBB118_576:
	s_waitcnt lgkmcnt(0)
	v_cmp_eq_f32_e32 vcc, 0, v70
	s_and_saveexec_b64 s[0:1], vcc
	s_xor_b64 s[0:1], exec, s[0:1]
; %bb.577:
	v_cmp_ne_u32_e32 vcc, 0, v67
	s_nop 1
	v_cndmask_b32_e32 v67, 35, v67, vcc
; %bb.578:
	s_andn2_saveexec_b64 s[0:1], s[0:1]
	s_cbranch_execz .LBB118_580
; %bb.579:
	v_div_scale_f32 v72, s[2:3], v70, v70, 1.0
	v_rcp_f32_e32 v73, v72
	v_div_scale_f32 v74, vcc, 1.0, v70, 1.0
	v_fma_f32 v75, -v72, v73, 1.0
	v_fmac_f32_e32 v73, v75, v73
	v_mul_f32_e32 v75, v74, v73
	v_fma_f32 v76, -v72, v75, v74
	v_fmac_f32_e32 v75, v76, v73
	v_fma_f32 v72, -v72, v75, v74
	v_div_fmas_f32 v72, v72, v73, v75
	v_div_fixup_f32 v70, v72, v70, 1.0
.LBB118_580:
	s_or_b64 exec, exec, s[0:1]
	v_cmp_ne_u32_e32 vcc, v71, v68
	s_and_saveexec_b64 s[0:1], vcc
	s_xor_b64 s[0:1], exec, s[0:1]
	s_cbranch_execz .LBB118_586
; %bb.581:
	v_cmp_eq_u32_e32 vcc, 34, v71
	s_and_saveexec_b64 s[2:3], vcc
	s_cbranch_execz .LBB118_585
; %bb.582:
	v_cmp_ne_u32_e32 vcc, 34, v68
	s_xor_b64 s[12:13], s[20:21], -1
	s_and_b64 s[14:15], s[12:13], vcc
	s_and_saveexec_b64 s[12:13], s[14:15]
	s_cbranch_execz .LBB118_584
; %bb.583:
	v_ashrrev_i32_e32 v69, 31, v68
	v_lshl_add_u64 v[72:73], v[68:69], 2, v[4:5]
	global_load_dword v69, v[72:73], off
	global_load_dword v71, v[4:5], off offset:136
	s_waitcnt vmcnt(1)
	global_store_dword v[4:5], v69, off offset:136
	s_waitcnt vmcnt(1)
	global_store_dword v[72:73], v71, off
.LBB118_584:
	s_or_b64 exec, exec, s[12:13]
	v_mov_b32_e32 v69, v68
	v_mov_b32_e32 v71, v68
.LBB118_585:
	s_or_b64 exec, exec, s[2:3]
.LBB118_586:
	s_andn2_saveexec_b64 s[0:1], s[0:1]
	s_cbranch_execz .LBB118_588
; %bb.587:
	v_pk_mov_b32 v[72:73], v[34:35], v[24:25] op_sel:[1,0]
	ds_write2_b32 v65, v72, v73 offset0:35 offset1:36
	v_pk_mov_b32 v[72:73], v[24:25], v[16:17] op_sel:[1,0]
	ds_write2_b32 v65, v72, v73 offset0:37 offset1:38
	;; [unrolled: 2-line block ×11, first 2 shown]
	v_pk_mov_b32 v[72:73], v[12:13], v[8:9] op_sel:[1,0]
	v_mov_b32_e32 v71, 34
	ds_write2_b32 v65, v72, v73 offset0:57 offset1:58
	ds_write_b32 v65, v9 offset:236
.LBB118_588:
	s_or_b64 exec, exec, s[0:1]
	v_cmp_lt_i32_e32 vcc, 34, v71
	s_waitcnt lgkmcnt(0)
	s_barrier
	s_and_saveexec_b64 s[0:1], vcc
	s_cbranch_execz .LBB118_590
; %bb.589:
	ds_read_b32 v68, v65 offset:140
	ds_read2_b32 v[72:73], v65 offset0:36 offset1:37
	ds_read2_b32 v[74:75], v65 offset0:38 offset1:39
	v_mul_f32_e32 v34, v70, v34
	ds_read2_b32 v[76:77], v65 offset0:40 offset1:41
	s_waitcnt lgkmcnt(3)
	v_fma_f32 v35, -v34, v68, v35
	s_waitcnt lgkmcnt(2)
	v_pk_fma_f32 v[24:25], v[34:35], v[72:73], v[24:25] op_sel_hi:[0,1,1] neg_lo:[1,0,0] neg_hi:[1,0,0]
	s_waitcnt lgkmcnt(1)
	v_pk_fma_f32 v[16:17], v[34:35], v[74:75], v[16:17] op_sel_hi:[0,1,1] neg_lo:[1,0,0] neg_hi:[1,0,0]
	ds_read2_b32 v[72:73], v65 offset0:42 offset1:43
	ds_read2_b32 v[74:75], v65 offset0:44 offset1:45
	;; [unrolled: 1-line block ×4, first 2 shown]
	s_waitcnt lgkmcnt(4)
	v_pk_fma_f32 v[36:37], v[34:35], v[76:77], v[36:37] op_sel_hi:[0,1,1] neg_lo:[1,0,0] neg_hi:[1,0,0]
	s_waitcnt lgkmcnt(3)
	v_pk_fma_f32 v[26:27], v[34:35], v[72:73], v[26:27] op_sel_hi:[0,1,1] neg_lo:[1,0,0] neg_hi:[1,0,0]
	;; [unrolled: 2-line block ×5, first 2 shown]
	ds_read2_b32 v[72:73], v65 offset0:50 offset1:51
	ds_read2_b32 v[74:75], v65 offset0:52 offset1:53
	;; [unrolled: 1-line block ×5, first 2 shown]
	s_waitcnt lgkmcnt(4)
	v_pk_fma_f32 v[20:21], v[34:35], v[72:73], v[20:21] op_sel_hi:[0,1,1] neg_lo:[1,0,0] neg_hi:[1,0,0]
	s_waitcnt lgkmcnt(3)
	v_pk_fma_f32 v[14:15], v[34:35], v[74:75], v[14:15] op_sel_hi:[0,1,1] neg_lo:[1,0,0] neg_hi:[1,0,0]
	;; [unrolled: 2-line block ×5, first 2 shown]
.LBB118_590:
	s_or_b64 exec, exec, s[0:1]
	v_lshl_add_u32 v68, v71, 2, v65
	s_barrier
	ds_write_b32 v68, v35
	s_waitcnt lgkmcnt(0)
	s_barrier
	ds_read_b32 v70, v65 offset:140
	s_cmp_lt_i32 s22, 37
	v_mov_b32_e32 v68, 35
	s_cbranch_scc1 .LBB118_593
; %bb.591:
	v_add_u32_e32 v72, 0x90, v65
	v_mov_b32_e32 v68, 35
	s_mov_b32 s0, 36
.LBB118_592:                            ; =>This Inner Loop Header: Depth=1
	ds_read_b32 v73, v72
	v_mov_b32_e32 v74, s0
	s_add_i32 s0, s0, 1
	v_add_u32_e32 v72, 4, v72
	s_cmp_lg_u32 s22, s0
	s_waitcnt lgkmcnt(0)
	v_cmp_lt_f32_e64 vcc, |v70|, |v73|
	s_nop 1
	v_cndmask_b32_e32 v70, v70, v73, vcc
	v_cndmask_b32_e32 v68, v68, v74, vcc
	s_cbranch_scc1 .LBB118_592
.LBB118_593:
	s_waitcnt lgkmcnt(0)
	v_cmp_eq_f32_e32 vcc, 0, v70
	s_and_saveexec_b64 s[0:1], vcc
	s_xor_b64 s[0:1], exec, s[0:1]
; %bb.594:
	v_cmp_ne_u32_e32 vcc, 0, v67
	s_nop 1
	v_cndmask_b32_e32 v67, 36, v67, vcc
; %bb.595:
	s_andn2_saveexec_b64 s[0:1], s[0:1]
	s_cbranch_execz .LBB118_597
; %bb.596:
	v_div_scale_f32 v72, s[2:3], v70, v70, 1.0
	v_rcp_f32_e32 v73, v72
	v_div_scale_f32 v74, vcc, 1.0, v70, 1.0
	v_fma_f32 v75, -v72, v73, 1.0
	v_fmac_f32_e32 v73, v75, v73
	v_mul_f32_e32 v75, v74, v73
	v_fma_f32 v76, -v72, v75, v74
	v_fmac_f32_e32 v75, v76, v73
	v_fma_f32 v72, -v72, v75, v74
	v_div_fmas_f32 v72, v72, v73, v75
	v_div_fixup_f32 v70, v72, v70, 1.0
.LBB118_597:
	s_or_b64 exec, exec, s[0:1]
	v_cmp_ne_u32_e32 vcc, v71, v68
	s_and_saveexec_b64 s[0:1], vcc
	s_xor_b64 s[0:1], exec, s[0:1]
	s_cbranch_execz .LBB118_603
; %bb.598:
	v_cmp_eq_u32_e32 vcc, 35, v71
	s_and_saveexec_b64 s[2:3], vcc
	s_cbranch_execz .LBB118_602
; %bb.599:
	v_cmp_ne_u32_e32 vcc, 35, v68
	s_xor_b64 s[12:13], s[20:21], -1
	s_and_b64 s[14:15], s[12:13], vcc
	s_and_saveexec_b64 s[12:13], s[14:15]
	s_cbranch_execz .LBB118_601
; %bb.600:
	v_ashrrev_i32_e32 v69, 31, v68
	v_lshl_add_u64 v[72:73], v[68:69], 2, v[4:5]
	global_load_dword v69, v[72:73], off
	global_load_dword v71, v[4:5], off offset:140
	s_waitcnt vmcnt(1)
	global_store_dword v[4:5], v69, off offset:140
	s_waitcnt vmcnt(1)
	global_store_dword v[72:73], v71, off
.LBB118_601:
	s_or_b64 exec, exec, s[12:13]
	v_mov_b32_e32 v69, v68
	v_mov_b32_e32 v71, v68
.LBB118_602:
	s_or_b64 exec, exec, s[2:3]
.LBB118_603:
	s_andn2_saveexec_b64 s[0:1], s[0:1]
	s_cbranch_execz .LBB118_605
; %bb.604:
	v_mov_b32_e32 v71, 35
	ds_write2_b32 v65, v24, v25 offset0:36 offset1:37
	ds_write2_b32 v65, v16, v17 offset0:38 offset1:39
	ds_write2_b32 v65, v36, v37 offset0:40 offset1:41
	ds_write2_b32 v65, v26, v27 offset0:42 offset1:43
	ds_write2_b32 v65, v18, v19 offset0:44 offset1:45
	ds_write2_b32 v65, v10, v11 offset0:46 offset1:47
	ds_write2_b32 v65, v28, v29 offset0:48 offset1:49
	ds_write2_b32 v65, v20, v21 offset0:50 offset1:51
	ds_write2_b32 v65, v14, v15 offset0:52 offset1:53
	ds_write2_b32 v65, v0, v1 offset0:54 offset1:55
	ds_write2_b32 v65, v12, v13 offset0:56 offset1:57
	ds_write2_b32 v65, v8, v9 offset0:58 offset1:59
.LBB118_605:
	s_or_b64 exec, exec, s[0:1]
	v_cmp_lt_i32_e32 vcc, 35, v71
	s_waitcnt lgkmcnt(0)
	s_barrier
	s_and_saveexec_b64 s[0:1], vcc
	s_cbranch_execz .LBB118_607
; %bb.606:
	ds_read2_b32 v[72:73], v65 offset0:36 offset1:37
	ds_read2_b32 v[74:75], v65 offset0:38 offset1:39
	;; [unrolled: 1-line block ×3, first 2 shown]
	v_mul_f32_e32 v68, v70, v35
	ds_read2_b32 v[78:79], v65 offset0:42 offset1:43
	s_waitcnt lgkmcnt(3)
	v_pk_fma_f32 v[24:25], v[68:69], v[72:73], v[24:25] op_sel_hi:[0,1,1] neg_lo:[1,0,0] neg_hi:[1,0,0]
	s_waitcnt lgkmcnt(2)
	v_pk_fma_f32 v[16:17], v[68:69], v[74:75], v[16:17] op_sel_hi:[0,1,1] neg_lo:[1,0,0] neg_hi:[1,0,0]
	;; [unrolled: 2-line block ×3, first 2 shown]
	ds_read2_b32 v[72:73], v65 offset0:44 offset1:45
	ds_read2_b32 v[74:75], v65 offset0:46 offset1:47
	;; [unrolled: 1-line block ×3, first 2 shown]
	s_waitcnt lgkmcnt(3)
	v_pk_fma_f32 v[26:27], v[68:69], v[78:79], v[26:27] op_sel_hi:[0,1,1] neg_lo:[1,0,0] neg_hi:[1,0,0]
	ds_read2_b32 v[78:79], v65 offset0:50 offset1:51
	s_waitcnt lgkmcnt(3)
	v_pk_fma_f32 v[18:19], v[68:69], v[72:73], v[18:19] op_sel_hi:[0,1,1] neg_lo:[1,0,0] neg_hi:[1,0,0]
	s_waitcnt lgkmcnt(2)
	v_pk_fma_f32 v[10:11], v[68:69], v[74:75], v[10:11] op_sel_hi:[0,1,1] neg_lo:[1,0,0] neg_hi:[1,0,0]
	;; [unrolled: 2-line block ×3, first 2 shown]
	ds_read2_b32 v[72:73], v65 offset0:52 offset1:53
	ds_read2_b32 v[74:75], v65 offset0:54 offset1:55
	;; [unrolled: 1-line block ×4, first 2 shown]
	s_waitcnt lgkmcnt(4)
	v_pk_fma_f32 v[20:21], v[68:69], v[78:79], v[20:21] op_sel_hi:[0,1,1] neg_lo:[1,0,0] neg_hi:[1,0,0]
	s_waitcnt lgkmcnt(3)
	v_pk_fma_f32 v[14:15], v[68:69], v[72:73], v[14:15] op_sel_hi:[0,1,1] neg_lo:[1,0,0] neg_hi:[1,0,0]
	;; [unrolled: 2-line block ×5, first 2 shown]
	v_mov_b32_e32 v35, v68
.LBB118_607:
	s_or_b64 exec, exec, s[0:1]
	v_lshl_add_u32 v68, v71, 2, v65
	s_barrier
	ds_write_b32 v68, v24
	s_waitcnt lgkmcnt(0)
	s_barrier
	ds_read_b32 v70, v65 offset:144
	s_cmp_lt_i32 s22, 38
	v_mov_b32_e32 v68, 36
	s_cbranch_scc1 .LBB118_610
; %bb.608:
	v_add_u32_e32 v72, 0x94, v65
	v_mov_b32_e32 v68, 36
	s_mov_b32 s0, 37
.LBB118_609:                            ; =>This Inner Loop Header: Depth=1
	ds_read_b32 v73, v72
	v_mov_b32_e32 v74, s0
	s_add_i32 s0, s0, 1
	v_add_u32_e32 v72, 4, v72
	s_cmp_lg_u32 s22, s0
	s_waitcnt lgkmcnt(0)
	v_cmp_lt_f32_e64 vcc, |v70|, |v73|
	s_nop 1
	v_cndmask_b32_e32 v70, v70, v73, vcc
	v_cndmask_b32_e32 v68, v68, v74, vcc
	s_cbranch_scc1 .LBB118_609
.LBB118_610:
	s_waitcnt lgkmcnt(0)
	v_cmp_eq_f32_e32 vcc, 0, v70
	s_and_saveexec_b64 s[0:1], vcc
	s_xor_b64 s[0:1], exec, s[0:1]
; %bb.611:
	v_cmp_ne_u32_e32 vcc, 0, v67
	s_nop 1
	v_cndmask_b32_e32 v67, 37, v67, vcc
; %bb.612:
	s_andn2_saveexec_b64 s[0:1], s[0:1]
	s_cbranch_execz .LBB118_614
; %bb.613:
	v_div_scale_f32 v72, s[2:3], v70, v70, 1.0
	v_rcp_f32_e32 v73, v72
	v_div_scale_f32 v74, vcc, 1.0, v70, 1.0
	v_fma_f32 v75, -v72, v73, 1.0
	v_fmac_f32_e32 v73, v75, v73
	v_mul_f32_e32 v75, v74, v73
	v_fma_f32 v76, -v72, v75, v74
	v_fmac_f32_e32 v75, v76, v73
	v_fma_f32 v72, -v72, v75, v74
	v_div_fmas_f32 v72, v72, v73, v75
	v_div_fixup_f32 v70, v72, v70, 1.0
.LBB118_614:
	s_or_b64 exec, exec, s[0:1]
	v_cmp_ne_u32_e32 vcc, v71, v68
	s_and_saveexec_b64 s[0:1], vcc
	s_xor_b64 s[0:1], exec, s[0:1]
	s_cbranch_execz .LBB118_620
; %bb.615:
	v_cmp_eq_u32_e32 vcc, 36, v71
	s_and_saveexec_b64 s[2:3], vcc
	s_cbranch_execz .LBB118_619
; %bb.616:
	v_cmp_ne_u32_e32 vcc, 36, v68
	s_xor_b64 s[12:13], s[20:21], -1
	s_and_b64 s[14:15], s[12:13], vcc
	s_and_saveexec_b64 s[12:13], s[14:15]
	s_cbranch_execz .LBB118_618
; %bb.617:
	v_ashrrev_i32_e32 v69, 31, v68
	v_lshl_add_u64 v[72:73], v[68:69], 2, v[4:5]
	global_load_dword v69, v[72:73], off
	global_load_dword v71, v[4:5], off offset:144
	s_waitcnt vmcnt(1)
	global_store_dword v[4:5], v69, off offset:144
	s_waitcnt vmcnt(1)
	global_store_dword v[72:73], v71, off
.LBB118_618:
	s_or_b64 exec, exec, s[12:13]
	v_mov_b32_e32 v69, v68
	v_mov_b32_e32 v71, v68
.LBB118_619:
	s_or_b64 exec, exec, s[2:3]
.LBB118_620:
	s_andn2_saveexec_b64 s[0:1], s[0:1]
	s_cbranch_execz .LBB118_622
; %bb.621:
	v_pk_mov_b32 v[72:73], v[24:25], v[16:17] op_sel:[1,0]
	ds_write2_b32 v65, v72, v73 offset0:37 offset1:38
	v_pk_mov_b32 v[72:73], v[16:17], v[36:37] op_sel:[1,0]
	ds_write2_b32 v65, v72, v73 offset0:39 offset1:40
	;; [unrolled: 2-line block ×10, first 2 shown]
	v_pk_mov_b32 v[72:73], v[12:13], v[8:9] op_sel:[1,0]
	v_mov_b32_e32 v71, 36
	ds_write2_b32 v65, v72, v73 offset0:57 offset1:58
	ds_write_b32 v65, v9 offset:236
.LBB118_622:
	s_or_b64 exec, exec, s[0:1]
	v_cmp_lt_i32_e32 vcc, 36, v71
	s_waitcnt lgkmcnt(0)
	s_barrier
	s_and_saveexec_b64 s[0:1], vcc
	s_cbranch_execz .LBB118_624
; %bb.623:
	ds_read_b32 v68, v65 offset:148
	ds_read2_b32 v[72:73], v65 offset0:38 offset1:39
	ds_read2_b32 v[74:75], v65 offset0:40 offset1:41
	v_mul_f32_e32 v24, v70, v24
	ds_read2_b32 v[76:77], v65 offset0:42 offset1:43
	s_waitcnt lgkmcnt(3)
	v_fma_f32 v25, -v24, v68, v25
	s_waitcnt lgkmcnt(2)
	v_pk_fma_f32 v[16:17], v[24:25], v[72:73], v[16:17] op_sel_hi:[0,1,1] neg_lo:[1,0,0] neg_hi:[1,0,0]
	s_waitcnt lgkmcnt(1)
	v_pk_fma_f32 v[36:37], v[24:25], v[74:75], v[36:37] op_sel_hi:[0,1,1] neg_lo:[1,0,0] neg_hi:[1,0,0]
	ds_read2_b32 v[72:73], v65 offset0:44 offset1:45
	ds_read2_b32 v[74:75], v65 offset0:46 offset1:47
	;; [unrolled: 1-line block ×3, first 2 shown]
	s_waitcnt lgkmcnt(3)
	v_pk_fma_f32 v[26:27], v[24:25], v[76:77], v[26:27] op_sel_hi:[0,1,1] neg_lo:[1,0,0] neg_hi:[1,0,0]
	ds_read2_b32 v[76:77], v65 offset0:50 offset1:51
	s_waitcnt lgkmcnt(3)
	v_pk_fma_f32 v[18:19], v[24:25], v[72:73], v[18:19] op_sel_hi:[0,1,1] neg_lo:[1,0,0] neg_hi:[1,0,0]
	s_waitcnt lgkmcnt(2)
	v_pk_fma_f32 v[10:11], v[24:25], v[74:75], v[10:11] op_sel_hi:[0,1,1] neg_lo:[1,0,0] neg_hi:[1,0,0]
	;; [unrolled: 2-line block ×3, first 2 shown]
	ds_read2_b32 v[72:73], v65 offset0:52 offset1:53
	ds_read2_b32 v[74:75], v65 offset0:54 offset1:55
	;; [unrolled: 1-line block ×4, first 2 shown]
	s_waitcnt lgkmcnt(4)
	v_pk_fma_f32 v[20:21], v[24:25], v[76:77], v[20:21] op_sel_hi:[0,1,1] neg_lo:[1,0,0] neg_hi:[1,0,0]
	s_waitcnt lgkmcnt(3)
	v_pk_fma_f32 v[14:15], v[24:25], v[72:73], v[14:15] op_sel_hi:[0,1,1] neg_lo:[1,0,0] neg_hi:[1,0,0]
	;; [unrolled: 2-line block ×5, first 2 shown]
.LBB118_624:
	s_or_b64 exec, exec, s[0:1]
	v_lshl_add_u32 v68, v71, 2, v65
	s_barrier
	ds_write_b32 v68, v25
	s_waitcnt lgkmcnt(0)
	s_barrier
	ds_read_b32 v70, v65 offset:148
	s_cmp_lt_i32 s22, 39
	v_mov_b32_e32 v68, 37
	s_cbranch_scc1 .LBB118_627
; %bb.625:
	v_add_u32_e32 v72, 0x98, v65
	v_mov_b32_e32 v68, 37
	s_mov_b32 s0, 38
.LBB118_626:                            ; =>This Inner Loop Header: Depth=1
	ds_read_b32 v73, v72
	v_mov_b32_e32 v74, s0
	s_add_i32 s0, s0, 1
	v_add_u32_e32 v72, 4, v72
	s_cmp_lg_u32 s22, s0
	s_waitcnt lgkmcnt(0)
	v_cmp_lt_f32_e64 vcc, |v70|, |v73|
	s_nop 1
	v_cndmask_b32_e32 v70, v70, v73, vcc
	v_cndmask_b32_e32 v68, v68, v74, vcc
	s_cbranch_scc1 .LBB118_626
.LBB118_627:
	s_waitcnt lgkmcnt(0)
	v_cmp_eq_f32_e32 vcc, 0, v70
	s_and_saveexec_b64 s[0:1], vcc
	s_xor_b64 s[0:1], exec, s[0:1]
; %bb.628:
	v_cmp_ne_u32_e32 vcc, 0, v67
	s_nop 1
	v_cndmask_b32_e32 v67, 38, v67, vcc
; %bb.629:
	s_andn2_saveexec_b64 s[0:1], s[0:1]
	s_cbranch_execz .LBB118_631
; %bb.630:
	v_div_scale_f32 v72, s[2:3], v70, v70, 1.0
	v_rcp_f32_e32 v73, v72
	v_div_scale_f32 v74, vcc, 1.0, v70, 1.0
	v_fma_f32 v75, -v72, v73, 1.0
	v_fmac_f32_e32 v73, v75, v73
	v_mul_f32_e32 v75, v74, v73
	v_fma_f32 v76, -v72, v75, v74
	v_fmac_f32_e32 v75, v76, v73
	v_fma_f32 v72, -v72, v75, v74
	v_div_fmas_f32 v72, v72, v73, v75
	v_div_fixup_f32 v70, v72, v70, 1.0
.LBB118_631:
	s_or_b64 exec, exec, s[0:1]
	v_cmp_ne_u32_e32 vcc, v71, v68
	s_and_saveexec_b64 s[0:1], vcc
	s_xor_b64 s[0:1], exec, s[0:1]
	s_cbranch_execz .LBB118_637
; %bb.632:
	v_cmp_eq_u32_e32 vcc, 37, v71
	s_and_saveexec_b64 s[2:3], vcc
	s_cbranch_execz .LBB118_636
; %bb.633:
	v_cmp_ne_u32_e32 vcc, 37, v68
	s_xor_b64 s[12:13], s[20:21], -1
	s_and_b64 s[14:15], s[12:13], vcc
	s_and_saveexec_b64 s[12:13], s[14:15]
	s_cbranch_execz .LBB118_635
; %bb.634:
	v_ashrrev_i32_e32 v69, 31, v68
	v_lshl_add_u64 v[72:73], v[68:69], 2, v[4:5]
	global_load_dword v69, v[72:73], off
	global_load_dword v71, v[4:5], off offset:148
	s_waitcnt vmcnt(1)
	global_store_dword v[4:5], v69, off offset:148
	s_waitcnt vmcnt(1)
	global_store_dword v[72:73], v71, off
.LBB118_635:
	s_or_b64 exec, exec, s[12:13]
	v_mov_b32_e32 v69, v68
	v_mov_b32_e32 v71, v68
.LBB118_636:
	s_or_b64 exec, exec, s[2:3]
.LBB118_637:
	s_andn2_saveexec_b64 s[0:1], s[0:1]
	s_cbranch_execz .LBB118_639
; %bb.638:
	v_mov_b32_e32 v71, 37
	ds_write2_b32 v65, v16, v17 offset0:38 offset1:39
	ds_write2_b32 v65, v36, v37 offset0:40 offset1:41
	;; [unrolled: 1-line block ×11, first 2 shown]
.LBB118_639:
	s_or_b64 exec, exec, s[0:1]
	v_cmp_lt_i32_e32 vcc, 37, v71
	s_waitcnt lgkmcnt(0)
	s_barrier
	s_and_saveexec_b64 s[0:1], vcc
	s_cbranch_execz .LBB118_641
; %bb.640:
	ds_read2_b32 v[72:73], v65 offset0:38 offset1:39
	ds_read2_b32 v[74:75], v65 offset0:40 offset1:41
	;; [unrolled: 1-line block ×3, first 2 shown]
	v_mul_f32_e32 v68, v70, v25
	ds_read2_b32 v[78:79], v65 offset0:44 offset1:45
	s_waitcnt lgkmcnt(3)
	v_pk_fma_f32 v[16:17], v[68:69], v[72:73], v[16:17] op_sel_hi:[0,1,1] neg_lo:[1,0,0] neg_hi:[1,0,0]
	s_waitcnt lgkmcnt(2)
	v_pk_fma_f32 v[36:37], v[68:69], v[74:75], v[36:37] op_sel_hi:[0,1,1] neg_lo:[1,0,0] neg_hi:[1,0,0]
	ds_read2_b32 v[72:73], v65 offset0:46 offset1:47
	ds_read2_b32 v[74:75], v65 offset0:48 offset1:49
	s_waitcnt lgkmcnt(3)
	v_pk_fma_f32 v[26:27], v[68:69], v[76:77], v[26:27] op_sel_hi:[0,1,1] neg_lo:[1,0,0] neg_hi:[1,0,0]
	s_waitcnt lgkmcnt(2)
	v_pk_fma_f32 v[18:19], v[68:69], v[78:79], v[18:19] op_sel_hi:[0,1,1] neg_lo:[1,0,0] neg_hi:[1,0,0]
	ds_read2_b32 v[76:77], v65 offset0:50 offset1:51
	ds_read2_b32 v[78:79], v65 offset0:52 offset1:53
	s_waitcnt lgkmcnt(3)
	v_pk_fma_f32 v[10:11], v[68:69], v[72:73], v[10:11] op_sel_hi:[0,1,1] neg_lo:[1,0,0] neg_hi:[1,0,0]
	s_waitcnt lgkmcnt(2)
	v_pk_fma_f32 v[28:29], v[68:69], v[74:75], v[28:29] op_sel_hi:[0,1,1] neg_lo:[1,0,0] neg_hi:[1,0,0]
	ds_read2_b32 v[72:73], v65 offset0:54 offset1:55
	ds_read2_b32 v[74:75], v65 offset0:56 offset1:57
	ds_read2_b32 v[80:81], v65 offset0:58 offset1:59
	s_waitcnt lgkmcnt(4)
	v_pk_fma_f32 v[20:21], v[68:69], v[76:77], v[20:21] op_sel_hi:[0,1,1] neg_lo:[1,0,0] neg_hi:[1,0,0]
	s_waitcnt lgkmcnt(3)
	v_pk_fma_f32 v[14:15], v[68:69], v[78:79], v[14:15] op_sel_hi:[0,1,1] neg_lo:[1,0,0] neg_hi:[1,0,0]
	;; [unrolled: 2-line block ×5, first 2 shown]
	v_mov_b32_e32 v25, v68
.LBB118_641:
	s_or_b64 exec, exec, s[0:1]
	v_lshl_add_u32 v68, v71, 2, v65
	s_barrier
	ds_write_b32 v68, v16
	s_waitcnt lgkmcnt(0)
	s_barrier
	ds_read_b32 v70, v65 offset:152
	s_cmp_lt_i32 s22, 40
	v_mov_b32_e32 v68, 38
	s_cbranch_scc1 .LBB118_644
; %bb.642:
	v_add_u32_e32 v72, 0x9c, v65
	v_mov_b32_e32 v68, 38
	s_mov_b32 s0, 39
.LBB118_643:                            ; =>This Inner Loop Header: Depth=1
	ds_read_b32 v73, v72
	v_mov_b32_e32 v74, s0
	s_add_i32 s0, s0, 1
	v_add_u32_e32 v72, 4, v72
	s_cmp_lg_u32 s22, s0
	s_waitcnt lgkmcnt(0)
	v_cmp_lt_f32_e64 vcc, |v70|, |v73|
	s_nop 1
	v_cndmask_b32_e32 v70, v70, v73, vcc
	v_cndmask_b32_e32 v68, v68, v74, vcc
	s_cbranch_scc1 .LBB118_643
.LBB118_644:
	s_waitcnt lgkmcnt(0)
	v_cmp_eq_f32_e32 vcc, 0, v70
	s_and_saveexec_b64 s[0:1], vcc
	s_xor_b64 s[0:1], exec, s[0:1]
; %bb.645:
	v_cmp_ne_u32_e32 vcc, 0, v67
	s_nop 1
	v_cndmask_b32_e32 v67, 39, v67, vcc
; %bb.646:
	s_andn2_saveexec_b64 s[0:1], s[0:1]
	s_cbranch_execz .LBB118_648
; %bb.647:
	v_div_scale_f32 v72, s[2:3], v70, v70, 1.0
	v_rcp_f32_e32 v73, v72
	v_div_scale_f32 v74, vcc, 1.0, v70, 1.0
	v_fma_f32 v75, -v72, v73, 1.0
	v_fmac_f32_e32 v73, v75, v73
	v_mul_f32_e32 v75, v74, v73
	v_fma_f32 v76, -v72, v75, v74
	v_fmac_f32_e32 v75, v76, v73
	v_fma_f32 v72, -v72, v75, v74
	v_div_fmas_f32 v72, v72, v73, v75
	v_div_fixup_f32 v70, v72, v70, 1.0
.LBB118_648:
	s_or_b64 exec, exec, s[0:1]
	v_cmp_ne_u32_e32 vcc, v71, v68
	s_and_saveexec_b64 s[0:1], vcc
	s_xor_b64 s[0:1], exec, s[0:1]
	s_cbranch_execz .LBB118_654
; %bb.649:
	v_cmp_eq_u32_e32 vcc, 38, v71
	s_and_saveexec_b64 s[2:3], vcc
	s_cbranch_execz .LBB118_653
; %bb.650:
	v_cmp_ne_u32_e32 vcc, 38, v68
	s_xor_b64 s[12:13], s[20:21], -1
	s_and_b64 s[14:15], s[12:13], vcc
	s_and_saveexec_b64 s[12:13], s[14:15]
	s_cbranch_execz .LBB118_652
; %bb.651:
	v_ashrrev_i32_e32 v69, 31, v68
	v_lshl_add_u64 v[72:73], v[68:69], 2, v[4:5]
	global_load_dword v69, v[72:73], off
	global_load_dword v71, v[4:5], off offset:152
	s_waitcnt vmcnt(1)
	global_store_dword v[4:5], v69, off offset:152
	s_waitcnt vmcnt(1)
	global_store_dword v[72:73], v71, off
.LBB118_652:
	s_or_b64 exec, exec, s[12:13]
	v_mov_b32_e32 v69, v68
	v_mov_b32_e32 v71, v68
.LBB118_653:
	s_or_b64 exec, exec, s[2:3]
.LBB118_654:
	s_andn2_saveexec_b64 s[0:1], s[0:1]
	s_cbranch_execz .LBB118_656
; %bb.655:
	v_pk_mov_b32 v[72:73], v[16:17], v[36:37] op_sel:[1,0]
	ds_write2_b32 v65, v72, v73 offset0:39 offset1:40
	v_pk_mov_b32 v[72:73], v[36:37], v[26:27] op_sel:[1,0]
	ds_write2_b32 v65, v72, v73 offset0:41 offset1:42
	;; [unrolled: 2-line block ×9, first 2 shown]
	v_pk_mov_b32 v[72:73], v[12:13], v[8:9] op_sel:[1,0]
	v_mov_b32_e32 v71, 38
	ds_write2_b32 v65, v72, v73 offset0:57 offset1:58
	ds_write_b32 v65, v9 offset:236
.LBB118_656:
	s_or_b64 exec, exec, s[0:1]
	v_cmp_lt_i32_e32 vcc, 38, v71
	s_waitcnt lgkmcnt(0)
	s_barrier
	s_and_saveexec_b64 s[0:1], vcc
	s_cbranch_execz .LBB118_658
; %bb.657:
	ds_read_b32 v68, v65 offset:156
	ds_read2_b32 v[72:73], v65 offset0:40 offset1:41
	ds_read2_b32 v[74:75], v65 offset0:42 offset1:43
	v_mul_f32_e32 v16, v70, v16
	ds_read2_b32 v[76:77], v65 offset0:44 offset1:45
	s_waitcnt lgkmcnt(3)
	v_fma_f32 v17, -v16, v68, v17
	s_waitcnt lgkmcnt(2)
	v_pk_fma_f32 v[36:37], v[16:17], v[72:73], v[36:37] op_sel_hi:[0,1,1] neg_lo:[1,0,0] neg_hi:[1,0,0]
	s_waitcnt lgkmcnt(1)
	v_pk_fma_f32 v[26:27], v[16:17], v[74:75], v[26:27] op_sel_hi:[0,1,1] neg_lo:[1,0,0] neg_hi:[1,0,0]
	ds_read2_b32 v[72:73], v65 offset0:46 offset1:47
	ds_read2_b32 v[74:75], v65 offset0:48 offset1:49
	s_waitcnt lgkmcnt(2)
	v_pk_fma_f32 v[18:19], v[16:17], v[76:77], v[18:19] op_sel_hi:[0,1,1] neg_lo:[1,0,0] neg_hi:[1,0,0]
	ds_read2_b32 v[76:77], v65 offset0:50 offset1:51
	ds_read2_b32 v[78:79], v65 offset0:52 offset1:53
	s_waitcnt lgkmcnt(3)
	v_pk_fma_f32 v[10:11], v[16:17], v[72:73], v[10:11] op_sel_hi:[0,1,1] neg_lo:[1,0,0] neg_hi:[1,0,0]
	s_waitcnt lgkmcnt(2)
	v_pk_fma_f32 v[28:29], v[16:17], v[74:75], v[28:29] op_sel_hi:[0,1,1] neg_lo:[1,0,0] neg_hi:[1,0,0]
	ds_read2_b32 v[72:73], v65 offset0:54 offset1:55
	ds_read2_b32 v[74:75], v65 offset0:56 offset1:57
	ds_read2_b32 v[80:81], v65 offset0:58 offset1:59
	s_waitcnt lgkmcnt(4)
	v_pk_fma_f32 v[20:21], v[16:17], v[76:77], v[20:21] op_sel_hi:[0,1,1] neg_lo:[1,0,0] neg_hi:[1,0,0]
	s_waitcnt lgkmcnt(3)
	v_pk_fma_f32 v[14:15], v[16:17], v[78:79], v[14:15] op_sel_hi:[0,1,1] neg_lo:[1,0,0] neg_hi:[1,0,0]
	s_waitcnt lgkmcnt(2)
	v_pk_fma_f32 v[0:1], v[16:17], v[72:73], v[0:1] op_sel_hi:[0,1,1] neg_lo:[1,0,0] neg_hi:[1,0,0]
	s_waitcnt lgkmcnt(1)
	v_pk_fma_f32 v[12:13], v[16:17], v[74:75], v[12:13] op_sel_hi:[0,1,1] neg_lo:[1,0,0] neg_hi:[1,0,0]
	s_waitcnt lgkmcnt(0)
	v_pk_fma_f32 v[8:9], v[16:17], v[80:81], v[8:9] op_sel_hi:[0,1,1] neg_lo:[1,0,0] neg_hi:[1,0,0]
.LBB118_658:
	s_or_b64 exec, exec, s[0:1]
	v_lshl_add_u32 v68, v71, 2, v65
	s_barrier
	ds_write_b32 v68, v17
	s_waitcnt lgkmcnt(0)
	s_barrier
	ds_read_b32 v70, v65 offset:156
	s_cmp_lt_i32 s22, 41
	v_mov_b32_e32 v68, 39
	s_cbranch_scc1 .LBB118_661
; %bb.659:
	v_add_u32_e32 v72, 0xa0, v65
	v_mov_b32_e32 v68, 39
	s_mov_b32 s0, 40
.LBB118_660:                            ; =>This Inner Loop Header: Depth=1
	ds_read_b32 v73, v72
	v_mov_b32_e32 v74, s0
	s_add_i32 s0, s0, 1
	v_add_u32_e32 v72, 4, v72
	s_cmp_lg_u32 s22, s0
	s_waitcnt lgkmcnt(0)
	v_cmp_lt_f32_e64 vcc, |v70|, |v73|
	s_nop 1
	v_cndmask_b32_e32 v70, v70, v73, vcc
	v_cndmask_b32_e32 v68, v68, v74, vcc
	s_cbranch_scc1 .LBB118_660
.LBB118_661:
	s_waitcnt lgkmcnt(0)
	v_cmp_eq_f32_e32 vcc, 0, v70
	s_and_saveexec_b64 s[0:1], vcc
	s_xor_b64 s[0:1], exec, s[0:1]
; %bb.662:
	v_cmp_ne_u32_e32 vcc, 0, v67
	s_nop 1
	v_cndmask_b32_e32 v67, 40, v67, vcc
; %bb.663:
	s_andn2_saveexec_b64 s[0:1], s[0:1]
	s_cbranch_execz .LBB118_665
; %bb.664:
	v_div_scale_f32 v72, s[2:3], v70, v70, 1.0
	v_rcp_f32_e32 v73, v72
	v_div_scale_f32 v74, vcc, 1.0, v70, 1.0
	v_fma_f32 v75, -v72, v73, 1.0
	v_fmac_f32_e32 v73, v75, v73
	v_mul_f32_e32 v75, v74, v73
	v_fma_f32 v76, -v72, v75, v74
	v_fmac_f32_e32 v75, v76, v73
	v_fma_f32 v72, -v72, v75, v74
	v_div_fmas_f32 v72, v72, v73, v75
	v_div_fixup_f32 v70, v72, v70, 1.0
.LBB118_665:
	s_or_b64 exec, exec, s[0:1]
	v_cmp_ne_u32_e32 vcc, v71, v68
	s_and_saveexec_b64 s[0:1], vcc
	s_xor_b64 s[0:1], exec, s[0:1]
	s_cbranch_execz .LBB118_671
; %bb.666:
	v_cmp_eq_u32_e32 vcc, 39, v71
	s_and_saveexec_b64 s[2:3], vcc
	s_cbranch_execz .LBB118_670
; %bb.667:
	v_cmp_ne_u32_e32 vcc, 39, v68
	s_xor_b64 s[12:13], s[20:21], -1
	s_and_b64 s[14:15], s[12:13], vcc
	s_and_saveexec_b64 s[12:13], s[14:15]
	s_cbranch_execz .LBB118_669
; %bb.668:
	v_ashrrev_i32_e32 v69, 31, v68
	v_lshl_add_u64 v[72:73], v[68:69], 2, v[4:5]
	global_load_dword v69, v[72:73], off
	global_load_dword v71, v[4:5], off offset:156
	s_waitcnt vmcnt(1)
	global_store_dword v[4:5], v69, off offset:156
	s_waitcnt vmcnt(1)
	global_store_dword v[72:73], v71, off
.LBB118_669:
	s_or_b64 exec, exec, s[12:13]
	v_mov_b32_e32 v69, v68
	v_mov_b32_e32 v71, v68
.LBB118_670:
	s_or_b64 exec, exec, s[2:3]
.LBB118_671:
	s_andn2_saveexec_b64 s[0:1], s[0:1]
	s_cbranch_execz .LBB118_673
; %bb.672:
	v_mov_b32_e32 v71, 39
	ds_write2_b32 v65, v36, v37 offset0:40 offset1:41
	ds_write2_b32 v65, v26, v27 offset0:42 offset1:43
	;; [unrolled: 1-line block ×10, first 2 shown]
.LBB118_673:
	s_or_b64 exec, exec, s[0:1]
	v_cmp_lt_i32_e32 vcc, 39, v71
	s_waitcnt lgkmcnt(0)
	s_barrier
	s_and_saveexec_b64 s[0:1], vcc
	s_cbranch_execz .LBB118_675
; %bb.674:
	ds_read2_b32 v[72:73], v65 offset0:40 offset1:41
	ds_read2_b32 v[74:75], v65 offset0:42 offset1:43
	;; [unrolled: 1-line block ×3, first 2 shown]
	v_mul_f32_e32 v68, v70, v17
	ds_read2_b32 v[78:79], v65 offset0:46 offset1:47
	s_waitcnt lgkmcnt(3)
	v_pk_fma_f32 v[36:37], v[68:69], v[72:73], v[36:37] op_sel_hi:[0,1,1] neg_lo:[1,0,0] neg_hi:[1,0,0]
	ds_read2_b32 v[72:73], v65 offset0:48 offset1:49
	s_waitcnt lgkmcnt(3)
	v_pk_fma_f32 v[26:27], v[68:69], v[74:75], v[26:27] op_sel_hi:[0,1,1] neg_lo:[1,0,0] neg_hi:[1,0,0]
	s_waitcnt lgkmcnt(2)
	v_pk_fma_f32 v[18:19], v[68:69], v[76:77], v[18:19] op_sel_hi:[0,1,1] neg_lo:[1,0,0] neg_hi:[1,0,0]
	;; [unrolled: 2-line block ×3, first 2 shown]
	ds_read2_b32 v[74:75], v65 offset0:50 offset1:51
	ds_read2_b32 v[76:77], v65 offset0:52 offset1:53
	;; [unrolled: 1-line block ×3, first 2 shown]
	s_waitcnt lgkmcnt(3)
	v_pk_fma_f32 v[28:29], v[68:69], v[72:73], v[28:29] op_sel_hi:[0,1,1] neg_lo:[1,0,0] neg_hi:[1,0,0]
	ds_read2_b32 v[72:73], v65 offset0:56 offset1:57
	ds_read2_b32 v[80:81], v65 offset0:58 offset1:59
	s_waitcnt lgkmcnt(4)
	v_pk_fma_f32 v[20:21], v[68:69], v[74:75], v[20:21] op_sel_hi:[0,1,1] neg_lo:[1,0,0] neg_hi:[1,0,0]
	s_waitcnt lgkmcnt(3)
	v_pk_fma_f32 v[14:15], v[68:69], v[76:77], v[14:15] op_sel_hi:[0,1,1] neg_lo:[1,0,0] neg_hi:[1,0,0]
	;; [unrolled: 2-line block ×5, first 2 shown]
	v_mov_b32_e32 v17, v68
.LBB118_675:
	s_or_b64 exec, exec, s[0:1]
	v_lshl_add_u32 v68, v71, 2, v65
	s_barrier
	ds_write_b32 v68, v36
	s_waitcnt lgkmcnt(0)
	s_barrier
	ds_read_b32 v70, v65 offset:160
	s_cmp_lt_i32 s22, 42
	v_mov_b32_e32 v68, 40
	s_cbranch_scc1 .LBB118_678
; %bb.676:
	v_add_u32_e32 v72, 0xa4, v65
	v_mov_b32_e32 v68, 40
	s_mov_b32 s0, 41
.LBB118_677:                            ; =>This Inner Loop Header: Depth=1
	ds_read_b32 v73, v72
	v_mov_b32_e32 v74, s0
	s_add_i32 s0, s0, 1
	v_add_u32_e32 v72, 4, v72
	s_cmp_lg_u32 s22, s0
	s_waitcnt lgkmcnt(0)
	v_cmp_lt_f32_e64 vcc, |v70|, |v73|
	s_nop 1
	v_cndmask_b32_e32 v70, v70, v73, vcc
	v_cndmask_b32_e32 v68, v68, v74, vcc
	s_cbranch_scc1 .LBB118_677
.LBB118_678:
	s_waitcnt lgkmcnt(0)
	v_cmp_eq_f32_e32 vcc, 0, v70
	s_and_saveexec_b64 s[0:1], vcc
	s_xor_b64 s[0:1], exec, s[0:1]
; %bb.679:
	v_cmp_ne_u32_e32 vcc, 0, v67
	s_nop 1
	v_cndmask_b32_e32 v67, 41, v67, vcc
; %bb.680:
	s_andn2_saveexec_b64 s[0:1], s[0:1]
	s_cbranch_execz .LBB118_682
; %bb.681:
	v_div_scale_f32 v72, s[2:3], v70, v70, 1.0
	v_rcp_f32_e32 v73, v72
	v_div_scale_f32 v74, vcc, 1.0, v70, 1.0
	v_fma_f32 v75, -v72, v73, 1.0
	v_fmac_f32_e32 v73, v75, v73
	v_mul_f32_e32 v75, v74, v73
	v_fma_f32 v76, -v72, v75, v74
	v_fmac_f32_e32 v75, v76, v73
	v_fma_f32 v72, -v72, v75, v74
	v_div_fmas_f32 v72, v72, v73, v75
	v_div_fixup_f32 v70, v72, v70, 1.0
.LBB118_682:
	s_or_b64 exec, exec, s[0:1]
	v_cmp_ne_u32_e32 vcc, v71, v68
	s_and_saveexec_b64 s[0:1], vcc
	s_xor_b64 s[0:1], exec, s[0:1]
	s_cbranch_execz .LBB118_688
; %bb.683:
	v_cmp_eq_u32_e32 vcc, 40, v71
	s_and_saveexec_b64 s[2:3], vcc
	s_cbranch_execz .LBB118_687
; %bb.684:
	v_cmp_ne_u32_e32 vcc, 40, v68
	s_xor_b64 s[12:13], s[20:21], -1
	s_and_b64 s[14:15], s[12:13], vcc
	s_and_saveexec_b64 s[12:13], s[14:15]
	s_cbranch_execz .LBB118_686
; %bb.685:
	v_ashrrev_i32_e32 v69, 31, v68
	v_lshl_add_u64 v[72:73], v[68:69], 2, v[4:5]
	global_load_dword v69, v[72:73], off
	global_load_dword v71, v[4:5], off offset:160
	s_waitcnt vmcnt(1)
	global_store_dword v[4:5], v69, off offset:160
	s_waitcnt vmcnt(1)
	global_store_dword v[72:73], v71, off
.LBB118_686:
	s_or_b64 exec, exec, s[12:13]
	v_mov_b32_e32 v69, v68
	v_mov_b32_e32 v71, v68
.LBB118_687:
	s_or_b64 exec, exec, s[2:3]
.LBB118_688:
	s_andn2_saveexec_b64 s[0:1], s[0:1]
	s_cbranch_execz .LBB118_690
; %bb.689:
	v_pk_mov_b32 v[72:73], v[36:37], v[26:27] op_sel:[1,0]
	ds_write2_b32 v65, v72, v73 offset0:41 offset1:42
	v_pk_mov_b32 v[72:73], v[26:27], v[18:19] op_sel:[1,0]
	ds_write2_b32 v65, v72, v73 offset0:43 offset1:44
	;; [unrolled: 2-line block ×8, first 2 shown]
	v_pk_mov_b32 v[72:73], v[12:13], v[8:9] op_sel:[1,0]
	v_mov_b32_e32 v71, 40
	ds_write2_b32 v65, v72, v73 offset0:57 offset1:58
	ds_write_b32 v65, v9 offset:236
.LBB118_690:
	s_or_b64 exec, exec, s[0:1]
	v_cmp_lt_i32_e32 vcc, 40, v71
	s_waitcnt lgkmcnt(0)
	s_barrier
	s_and_saveexec_b64 s[0:1], vcc
	s_cbranch_execz .LBB118_692
; %bb.691:
	ds_read_b32 v68, v65 offset:164
	ds_read2_b32 v[72:73], v65 offset0:42 offset1:43
	ds_read2_b32 v[74:75], v65 offset0:44 offset1:45
	v_mul_f32_e32 v36, v70, v36
	ds_read2_b32 v[76:77], v65 offset0:46 offset1:47
	s_waitcnt lgkmcnt(3)
	v_fma_f32 v37, -v36, v68, v37
	s_waitcnt lgkmcnt(2)
	v_pk_fma_f32 v[26:27], v[36:37], v[72:73], v[26:27] op_sel_hi:[0,1,1] neg_lo:[1,0,0] neg_hi:[1,0,0]
	ds_read2_b32 v[72:73], v65 offset0:48 offset1:49
	s_waitcnt lgkmcnt(2)
	v_pk_fma_f32 v[18:19], v[36:37], v[74:75], v[18:19] op_sel_hi:[0,1,1] neg_lo:[1,0,0] neg_hi:[1,0,0]
	s_waitcnt lgkmcnt(1)
	v_pk_fma_f32 v[10:11], v[36:37], v[76:77], v[10:11] op_sel_hi:[0,1,1] neg_lo:[1,0,0] neg_hi:[1,0,0]
	ds_read2_b32 v[74:75], v65 offset0:50 offset1:51
	ds_read2_b32 v[76:77], v65 offset0:52 offset1:53
	;; [unrolled: 1-line block ×3, first 2 shown]
	s_waitcnt lgkmcnt(3)
	v_pk_fma_f32 v[28:29], v[36:37], v[72:73], v[28:29] op_sel_hi:[0,1,1] neg_lo:[1,0,0] neg_hi:[1,0,0]
	ds_read2_b32 v[72:73], v65 offset0:56 offset1:57
	ds_read2_b32 v[80:81], v65 offset0:58 offset1:59
	s_waitcnt lgkmcnt(4)
	v_pk_fma_f32 v[20:21], v[36:37], v[74:75], v[20:21] op_sel_hi:[0,1,1] neg_lo:[1,0,0] neg_hi:[1,0,0]
	s_waitcnt lgkmcnt(3)
	v_pk_fma_f32 v[14:15], v[36:37], v[76:77], v[14:15] op_sel_hi:[0,1,1] neg_lo:[1,0,0] neg_hi:[1,0,0]
	;; [unrolled: 2-line block ×5, first 2 shown]
.LBB118_692:
	s_or_b64 exec, exec, s[0:1]
	v_lshl_add_u32 v68, v71, 2, v65
	s_barrier
	ds_write_b32 v68, v37
	s_waitcnt lgkmcnt(0)
	s_barrier
	ds_read_b32 v70, v65 offset:164
	s_cmp_lt_i32 s22, 43
	v_mov_b32_e32 v68, 41
	s_cbranch_scc1 .LBB118_695
; %bb.693:
	v_add_u32_e32 v72, 0xa8, v65
	v_mov_b32_e32 v68, 41
	s_mov_b32 s0, 42
.LBB118_694:                            ; =>This Inner Loop Header: Depth=1
	ds_read_b32 v73, v72
	v_mov_b32_e32 v74, s0
	s_add_i32 s0, s0, 1
	v_add_u32_e32 v72, 4, v72
	s_cmp_lg_u32 s22, s0
	s_waitcnt lgkmcnt(0)
	v_cmp_lt_f32_e64 vcc, |v70|, |v73|
	s_nop 1
	v_cndmask_b32_e32 v70, v70, v73, vcc
	v_cndmask_b32_e32 v68, v68, v74, vcc
	s_cbranch_scc1 .LBB118_694
.LBB118_695:
	s_waitcnt lgkmcnt(0)
	v_cmp_eq_f32_e32 vcc, 0, v70
	s_and_saveexec_b64 s[0:1], vcc
	s_xor_b64 s[0:1], exec, s[0:1]
; %bb.696:
	v_cmp_ne_u32_e32 vcc, 0, v67
	s_nop 1
	v_cndmask_b32_e32 v67, 42, v67, vcc
; %bb.697:
	s_andn2_saveexec_b64 s[0:1], s[0:1]
	s_cbranch_execz .LBB118_699
; %bb.698:
	v_div_scale_f32 v72, s[2:3], v70, v70, 1.0
	v_rcp_f32_e32 v73, v72
	v_div_scale_f32 v74, vcc, 1.0, v70, 1.0
	v_fma_f32 v75, -v72, v73, 1.0
	v_fmac_f32_e32 v73, v75, v73
	v_mul_f32_e32 v75, v74, v73
	v_fma_f32 v76, -v72, v75, v74
	v_fmac_f32_e32 v75, v76, v73
	v_fma_f32 v72, -v72, v75, v74
	v_div_fmas_f32 v72, v72, v73, v75
	v_div_fixup_f32 v70, v72, v70, 1.0
.LBB118_699:
	s_or_b64 exec, exec, s[0:1]
	v_cmp_ne_u32_e32 vcc, v71, v68
	s_and_saveexec_b64 s[0:1], vcc
	s_xor_b64 s[0:1], exec, s[0:1]
	s_cbranch_execz .LBB118_705
; %bb.700:
	v_cmp_eq_u32_e32 vcc, 41, v71
	s_and_saveexec_b64 s[2:3], vcc
	s_cbranch_execz .LBB118_704
; %bb.701:
	v_cmp_ne_u32_e32 vcc, 41, v68
	s_xor_b64 s[12:13], s[20:21], -1
	s_and_b64 s[14:15], s[12:13], vcc
	s_and_saveexec_b64 s[12:13], s[14:15]
	s_cbranch_execz .LBB118_703
; %bb.702:
	v_ashrrev_i32_e32 v69, 31, v68
	v_lshl_add_u64 v[72:73], v[68:69], 2, v[4:5]
	global_load_dword v69, v[72:73], off
	global_load_dword v71, v[4:5], off offset:164
	s_waitcnt vmcnt(1)
	global_store_dword v[4:5], v69, off offset:164
	s_waitcnt vmcnt(1)
	global_store_dword v[72:73], v71, off
.LBB118_703:
	s_or_b64 exec, exec, s[12:13]
	v_mov_b32_e32 v69, v68
	v_mov_b32_e32 v71, v68
.LBB118_704:
	s_or_b64 exec, exec, s[2:3]
.LBB118_705:
	s_andn2_saveexec_b64 s[0:1], s[0:1]
	s_cbranch_execz .LBB118_707
; %bb.706:
	v_mov_b32_e32 v71, 41
	ds_write2_b32 v65, v26, v27 offset0:42 offset1:43
	ds_write2_b32 v65, v18, v19 offset0:44 offset1:45
	;; [unrolled: 1-line block ×9, first 2 shown]
.LBB118_707:
	s_or_b64 exec, exec, s[0:1]
	v_cmp_lt_i32_e32 vcc, 41, v71
	s_waitcnt lgkmcnt(0)
	s_barrier
	s_and_saveexec_b64 s[0:1], vcc
	s_cbranch_execz .LBB118_709
; %bb.708:
	ds_read2_b32 v[72:73], v65 offset0:42 offset1:43
	ds_read2_b32 v[74:75], v65 offset0:44 offset1:45
	;; [unrolled: 1-line block ×4, first 2 shown]
	v_mul_f32_e32 v68, v70, v37
	s_waitcnt lgkmcnt(3)
	v_pk_fma_f32 v[26:27], v[68:69], v[72:73], v[26:27] op_sel_hi:[0,1,1] neg_lo:[1,0,0] neg_hi:[1,0,0]
	s_waitcnt lgkmcnt(2)
	v_pk_fma_f32 v[18:19], v[68:69], v[74:75], v[18:19] op_sel_hi:[0,1,1] neg_lo:[1,0,0] neg_hi:[1,0,0]
	;; [unrolled: 2-line block ×4, first 2 shown]
	ds_read2_b32 v[72:73], v65 offset0:50 offset1:51
	ds_read2_b32 v[74:75], v65 offset0:52 offset1:53
	;; [unrolled: 1-line block ×5, first 2 shown]
	s_waitcnt lgkmcnt(4)
	v_pk_fma_f32 v[20:21], v[68:69], v[72:73], v[20:21] op_sel_hi:[0,1,1] neg_lo:[1,0,0] neg_hi:[1,0,0]
	s_waitcnt lgkmcnt(3)
	v_pk_fma_f32 v[14:15], v[68:69], v[74:75], v[14:15] op_sel_hi:[0,1,1] neg_lo:[1,0,0] neg_hi:[1,0,0]
	;; [unrolled: 2-line block ×5, first 2 shown]
	v_mov_b32_e32 v37, v68
.LBB118_709:
	s_or_b64 exec, exec, s[0:1]
	v_lshl_add_u32 v68, v71, 2, v65
	s_barrier
	ds_write_b32 v68, v26
	s_waitcnt lgkmcnt(0)
	s_barrier
	ds_read_b32 v70, v65 offset:168
	s_cmp_lt_i32 s22, 44
	v_mov_b32_e32 v68, 42
	s_cbranch_scc1 .LBB118_712
; %bb.710:
	v_add_u32_e32 v72, 0xac, v65
	v_mov_b32_e32 v68, 42
	s_mov_b32 s0, 43
.LBB118_711:                            ; =>This Inner Loop Header: Depth=1
	ds_read_b32 v73, v72
	v_mov_b32_e32 v74, s0
	s_add_i32 s0, s0, 1
	v_add_u32_e32 v72, 4, v72
	s_cmp_lg_u32 s22, s0
	s_waitcnt lgkmcnt(0)
	v_cmp_lt_f32_e64 vcc, |v70|, |v73|
	s_nop 1
	v_cndmask_b32_e32 v70, v70, v73, vcc
	v_cndmask_b32_e32 v68, v68, v74, vcc
	s_cbranch_scc1 .LBB118_711
.LBB118_712:
	s_waitcnt lgkmcnt(0)
	v_cmp_eq_f32_e32 vcc, 0, v70
	s_and_saveexec_b64 s[0:1], vcc
	s_xor_b64 s[0:1], exec, s[0:1]
; %bb.713:
	v_cmp_ne_u32_e32 vcc, 0, v67
	s_nop 1
	v_cndmask_b32_e32 v67, 43, v67, vcc
; %bb.714:
	s_andn2_saveexec_b64 s[0:1], s[0:1]
	s_cbranch_execz .LBB118_716
; %bb.715:
	v_div_scale_f32 v72, s[2:3], v70, v70, 1.0
	v_rcp_f32_e32 v73, v72
	v_div_scale_f32 v74, vcc, 1.0, v70, 1.0
	v_fma_f32 v75, -v72, v73, 1.0
	v_fmac_f32_e32 v73, v75, v73
	v_mul_f32_e32 v75, v74, v73
	v_fma_f32 v76, -v72, v75, v74
	v_fmac_f32_e32 v75, v76, v73
	v_fma_f32 v72, -v72, v75, v74
	v_div_fmas_f32 v72, v72, v73, v75
	v_div_fixup_f32 v70, v72, v70, 1.0
.LBB118_716:
	s_or_b64 exec, exec, s[0:1]
	v_cmp_ne_u32_e32 vcc, v71, v68
	s_and_saveexec_b64 s[0:1], vcc
	s_xor_b64 s[0:1], exec, s[0:1]
	s_cbranch_execz .LBB118_722
; %bb.717:
	v_cmp_eq_u32_e32 vcc, 42, v71
	s_and_saveexec_b64 s[2:3], vcc
	s_cbranch_execz .LBB118_721
; %bb.718:
	v_cmp_ne_u32_e32 vcc, 42, v68
	s_xor_b64 s[12:13], s[20:21], -1
	s_and_b64 s[14:15], s[12:13], vcc
	s_and_saveexec_b64 s[12:13], s[14:15]
	s_cbranch_execz .LBB118_720
; %bb.719:
	v_ashrrev_i32_e32 v69, 31, v68
	v_lshl_add_u64 v[72:73], v[68:69], 2, v[4:5]
	global_load_dword v69, v[72:73], off
	global_load_dword v71, v[4:5], off offset:168
	s_waitcnt vmcnt(1)
	global_store_dword v[4:5], v69, off offset:168
	s_waitcnt vmcnt(1)
	global_store_dword v[72:73], v71, off
.LBB118_720:
	s_or_b64 exec, exec, s[12:13]
	v_mov_b32_e32 v69, v68
	v_mov_b32_e32 v71, v68
.LBB118_721:
	s_or_b64 exec, exec, s[2:3]
.LBB118_722:
	s_andn2_saveexec_b64 s[0:1], s[0:1]
	s_cbranch_execz .LBB118_724
; %bb.723:
	v_pk_mov_b32 v[72:73], v[26:27], v[18:19] op_sel:[1,0]
	ds_write2_b32 v65, v72, v73 offset0:43 offset1:44
	v_pk_mov_b32 v[72:73], v[18:19], v[10:11] op_sel:[1,0]
	ds_write2_b32 v65, v72, v73 offset0:45 offset1:46
	;; [unrolled: 2-line block ×7, first 2 shown]
	v_pk_mov_b32 v[72:73], v[12:13], v[8:9] op_sel:[1,0]
	v_mov_b32_e32 v71, 42
	ds_write2_b32 v65, v72, v73 offset0:57 offset1:58
	ds_write_b32 v65, v9 offset:236
.LBB118_724:
	s_or_b64 exec, exec, s[0:1]
	v_cmp_lt_i32_e32 vcc, 42, v71
	s_waitcnt lgkmcnt(0)
	s_barrier
	s_and_saveexec_b64 s[0:1], vcc
	s_cbranch_execz .LBB118_726
; %bb.725:
	ds_read_b32 v68, v65 offset:172
	ds_read2_b32 v[72:73], v65 offset0:44 offset1:45
	ds_read2_b32 v[74:75], v65 offset0:46 offset1:47
	;; [unrolled: 1-line block ×3, first 2 shown]
	v_mul_f32_e32 v26, v70, v26
	s_waitcnt lgkmcnt(3)
	v_fma_f32 v27, -v26, v68, v27
	s_waitcnt lgkmcnt(2)
	v_pk_fma_f32 v[18:19], v[26:27], v[72:73], v[18:19] op_sel_hi:[0,1,1] neg_lo:[1,0,0] neg_hi:[1,0,0]
	s_waitcnt lgkmcnt(1)
	v_pk_fma_f32 v[10:11], v[26:27], v[74:75], v[10:11] op_sel_hi:[0,1,1] neg_lo:[1,0,0] neg_hi:[1,0,0]
	;; [unrolled: 2-line block ×3, first 2 shown]
	ds_read2_b32 v[72:73], v65 offset0:50 offset1:51
	ds_read2_b32 v[74:75], v65 offset0:52 offset1:53
	;; [unrolled: 1-line block ×5, first 2 shown]
	s_waitcnt lgkmcnt(4)
	v_pk_fma_f32 v[20:21], v[26:27], v[72:73], v[20:21] op_sel_hi:[0,1,1] neg_lo:[1,0,0] neg_hi:[1,0,0]
	s_waitcnt lgkmcnt(3)
	v_pk_fma_f32 v[14:15], v[26:27], v[74:75], v[14:15] op_sel_hi:[0,1,1] neg_lo:[1,0,0] neg_hi:[1,0,0]
	s_waitcnt lgkmcnt(2)
	v_pk_fma_f32 v[0:1], v[26:27], v[76:77], v[0:1] op_sel_hi:[0,1,1] neg_lo:[1,0,0] neg_hi:[1,0,0]
	s_waitcnt lgkmcnt(1)
	v_pk_fma_f32 v[12:13], v[26:27], v[78:79], v[12:13] op_sel_hi:[0,1,1] neg_lo:[1,0,0] neg_hi:[1,0,0]
	s_waitcnt lgkmcnt(0)
	v_pk_fma_f32 v[8:9], v[26:27], v[80:81], v[8:9] op_sel_hi:[0,1,1] neg_lo:[1,0,0] neg_hi:[1,0,0]
.LBB118_726:
	s_or_b64 exec, exec, s[0:1]
	v_lshl_add_u32 v68, v71, 2, v65
	s_barrier
	ds_write_b32 v68, v27
	s_waitcnt lgkmcnt(0)
	s_barrier
	ds_read_b32 v70, v65 offset:172
	s_cmp_lt_i32 s22, 45
	v_mov_b32_e32 v68, 43
	s_cbranch_scc1 .LBB118_729
; %bb.727:
	v_add_u32_e32 v72, 0xb0, v65
	v_mov_b32_e32 v68, 43
	s_mov_b32 s0, 44
.LBB118_728:                            ; =>This Inner Loop Header: Depth=1
	ds_read_b32 v73, v72
	v_mov_b32_e32 v74, s0
	s_add_i32 s0, s0, 1
	v_add_u32_e32 v72, 4, v72
	s_cmp_lg_u32 s22, s0
	s_waitcnt lgkmcnt(0)
	v_cmp_lt_f32_e64 vcc, |v70|, |v73|
	s_nop 1
	v_cndmask_b32_e32 v70, v70, v73, vcc
	v_cndmask_b32_e32 v68, v68, v74, vcc
	s_cbranch_scc1 .LBB118_728
.LBB118_729:
	s_waitcnt lgkmcnt(0)
	v_cmp_eq_f32_e32 vcc, 0, v70
	s_and_saveexec_b64 s[0:1], vcc
	s_xor_b64 s[0:1], exec, s[0:1]
; %bb.730:
	v_cmp_ne_u32_e32 vcc, 0, v67
	s_nop 1
	v_cndmask_b32_e32 v67, 44, v67, vcc
; %bb.731:
	s_andn2_saveexec_b64 s[0:1], s[0:1]
	s_cbranch_execz .LBB118_733
; %bb.732:
	v_div_scale_f32 v72, s[2:3], v70, v70, 1.0
	v_rcp_f32_e32 v73, v72
	v_div_scale_f32 v74, vcc, 1.0, v70, 1.0
	v_fma_f32 v75, -v72, v73, 1.0
	v_fmac_f32_e32 v73, v75, v73
	v_mul_f32_e32 v75, v74, v73
	v_fma_f32 v76, -v72, v75, v74
	v_fmac_f32_e32 v75, v76, v73
	v_fma_f32 v72, -v72, v75, v74
	v_div_fmas_f32 v72, v72, v73, v75
	v_div_fixup_f32 v70, v72, v70, 1.0
.LBB118_733:
	s_or_b64 exec, exec, s[0:1]
	v_cmp_ne_u32_e32 vcc, v71, v68
	s_and_saveexec_b64 s[0:1], vcc
	s_xor_b64 s[0:1], exec, s[0:1]
	s_cbranch_execz .LBB118_739
; %bb.734:
	v_cmp_eq_u32_e32 vcc, 43, v71
	s_and_saveexec_b64 s[2:3], vcc
	s_cbranch_execz .LBB118_738
; %bb.735:
	v_cmp_ne_u32_e32 vcc, 43, v68
	s_xor_b64 s[12:13], s[20:21], -1
	s_and_b64 s[14:15], s[12:13], vcc
	s_and_saveexec_b64 s[12:13], s[14:15]
	s_cbranch_execz .LBB118_737
; %bb.736:
	v_ashrrev_i32_e32 v69, 31, v68
	v_lshl_add_u64 v[72:73], v[68:69], 2, v[4:5]
	global_load_dword v69, v[72:73], off
	global_load_dword v71, v[4:5], off offset:172
	s_waitcnt vmcnt(1)
	global_store_dword v[4:5], v69, off offset:172
	s_waitcnt vmcnt(1)
	global_store_dword v[72:73], v71, off
.LBB118_737:
	s_or_b64 exec, exec, s[12:13]
	v_mov_b32_e32 v69, v68
	v_mov_b32_e32 v71, v68
.LBB118_738:
	s_or_b64 exec, exec, s[2:3]
.LBB118_739:
	s_andn2_saveexec_b64 s[0:1], s[0:1]
	s_cbranch_execz .LBB118_741
; %bb.740:
	v_mov_b32_e32 v71, 43
	ds_write2_b32 v65, v18, v19 offset0:44 offset1:45
	ds_write2_b32 v65, v10, v11 offset0:46 offset1:47
	;; [unrolled: 1-line block ×8, first 2 shown]
.LBB118_741:
	s_or_b64 exec, exec, s[0:1]
	v_cmp_lt_i32_e32 vcc, 43, v71
	s_waitcnt lgkmcnt(0)
	s_barrier
	s_and_saveexec_b64 s[0:1], vcc
	s_cbranch_execz .LBB118_743
; %bb.742:
	ds_read2_b32 v[72:73], v65 offset0:44 offset1:45
	ds_read2_b32 v[74:75], v65 offset0:46 offset1:47
	;; [unrolled: 1-line block ×3, first 2 shown]
	v_mul_f32_e32 v68, v70, v27
	ds_read2_b32 v[78:79], v65 offset0:50 offset1:51
	s_waitcnt lgkmcnt(3)
	v_pk_fma_f32 v[18:19], v[68:69], v[72:73], v[18:19] op_sel_hi:[0,1,1] neg_lo:[1,0,0] neg_hi:[1,0,0]
	s_waitcnt lgkmcnt(2)
	v_pk_fma_f32 v[10:11], v[68:69], v[74:75], v[10:11] op_sel_hi:[0,1,1] neg_lo:[1,0,0] neg_hi:[1,0,0]
	;; [unrolled: 2-line block ×3, first 2 shown]
	ds_read2_b32 v[72:73], v65 offset0:52 offset1:53
	ds_read2_b32 v[74:75], v65 offset0:54 offset1:55
	;; [unrolled: 1-line block ×4, first 2 shown]
	s_waitcnt lgkmcnt(4)
	v_pk_fma_f32 v[20:21], v[68:69], v[78:79], v[20:21] op_sel_hi:[0,1,1] neg_lo:[1,0,0] neg_hi:[1,0,0]
	s_waitcnt lgkmcnt(3)
	v_pk_fma_f32 v[14:15], v[68:69], v[72:73], v[14:15] op_sel_hi:[0,1,1] neg_lo:[1,0,0] neg_hi:[1,0,0]
	;; [unrolled: 2-line block ×5, first 2 shown]
	v_mov_b32_e32 v27, v68
.LBB118_743:
	s_or_b64 exec, exec, s[0:1]
	v_lshl_add_u32 v68, v71, 2, v65
	s_barrier
	ds_write_b32 v68, v18
	s_waitcnt lgkmcnt(0)
	s_barrier
	ds_read_b32 v70, v65 offset:176
	s_cmp_lt_i32 s22, 46
	v_mov_b32_e32 v68, 44
	s_cbranch_scc1 .LBB118_746
; %bb.744:
	v_add_u32_e32 v72, 0xb4, v65
	v_mov_b32_e32 v68, 44
	s_mov_b32 s0, 45
.LBB118_745:                            ; =>This Inner Loop Header: Depth=1
	ds_read_b32 v73, v72
	v_mov_b32_e32 v74, s0
	s_add_i32 s0, s0, 1
	v_add_u32_e32 v72, 4, v72
	s_cmp_lg_u32 s22, s0
	s_waitcnt lgkmcnt(0)
	v_cmp_lt_f32_e64 vcc, |v70|, |v73|
	s_nop 1
	v_cndmask_b32_e32 v70, v70, v73, vcc
	v_cndmask_b32_e32 v68, v68, v74, vcc
	s_cbranch_scc1 .LBB118_745
.LBB118_746:
	s_waitcnt lgkmcnt(0)
	v_cmp_eq_f32_e32 vcc, 0, v70
	s_and_saveexec_b64 s[0:1], vcc
	s_xor_b64 s[0:1], exec, s[0:1]
; %bb.747:
	v_cmp_ne_u32_e32 vcc, 0, v67
	s_nop 1
	v_cndmask_b32_e32 v67, 45, v67, vcc
; %bb.748:
	s_andn2_saveexec_b64 s[0:1], s[0:1]
	s_cbranch_execz .LBB118_750
; %bb.749:
	v_div_scale_f32 v72, s[2:3], v70, v70, 1.0
	v_rcp_f32_e32 v73, v72
	v_div_scale_f32 v74, vcc, 1.0, v70, 1.0
	v_fma_f32 v75, -v72, v73, 1.0
	v_fmac_f32_e32 v73, v75, v73
	v_mul_f32_e32 v75, v74, v73
	v_fma_f32 v76, -v72, v75, v74
	v_fmac_f32_e32 v75, v76, v73
	v_fma_f32 v72, -v72, v75, v74
	v_div_fmas_f32 v72, v72, v73, v75
	v_div_fixup_f32 v70, v72, v70, 1.0
.LBB118_750:
	s_or_b64 exec, exec, s[0:1]
	v_cmp_ne_u32_e32 vcc, v71, v68
	s_and_saveexec_b64 s[0:1], vcc
	s_xor_b64 s[0:1], exec, s[0:1]
	s_cbranch_execz .LBB118_756
; %bb.751:
	v_cmp_eq_u32_e32 vcc, 44, v71
	s_and_saveexec_b64 s[2:3], vcc
	s_cbranch_execz .LBB118_755
; %bb.752:
	v_cmp_ne_u32_e32 vcc, 44, v68
	s_xor_b64 s[12:13], s[20:21], -1
	s_and_b64 s[14:15], s[12:13], vcc
	s_and_saveexec_b64 s[12:13], s[14:15]
	s_cbranch_execz .LBB118_754
; %bb.753:
	v_ashrrev_i32_e32 v69, 31, v68
	v_lshl_add_u64 v[72:73], v[68:69], 2, v[4:5]
	global_load_dword v69, v[72:73], off
	global_load_dword v71, v[4:5], off offset:176
	s_waitcnt vmcnt(1)
	global_store_dword v[4:5], v69, off offset:176
	s_waitcnt vmcnt(1)
	global_store_dword v[72:73], v71, off
.LBB118_754:
	s_or_b64 exec, exec, s[12:13]
	v_mov_b32_e32 v69, v68
	v_mov_b32_e32 v71, v68
.LBB118_755:
	s_or_b64 exec, exec, s[2:3]
.LBB118_756:
	s_andn2_saveexec_b64 s[0:1], s[0:1]
	s_cbranch_execz .LBB118_758
; %bb.757:
	v_pk_mov_b32 v[72:73], v[18:19], v[10:11] op_sel:[1,0]
	ds_write2_b32 v65, v72, v73 offset0:45 offset1:46
	v_pk_mov_b32 v[72:73], v[10:11], v[28:29] op_sel:[1,0]
	ds_write2_b32 v65, v72, v73 offset0:47 offset1:48
	;; [unrolled: 2-line block ×6, first 2 shown]
	v_pk_mov_b32 v[72:73], v[12:13], v[8:9] op_sel:[1,0]
	v_mov_b32_e32 v71, 44
	ds_write2_b32 v65, v72, v73 offset0:57 offset1:58
	ds_write_b32 v65, v9 offset:236
.LBB118_758:
	s_or_b64 exec, exec, s[0:1]
	v_cmp_lt_i32_e32 vcc, 44, v71
	s_waitcnt lgkmcnt(0)
	s_barrier
	s_and_saveexec_b64 s[0:1], vcc
	s_cbranch_execz .LBB118_760
; %bb.759:
	ds_read_b32 v68, v65 offset:180
	ds_read2_b32 v[72:73], v65 offset0:46 offset1:47
	ds_read2_b32 v[74:75], v65 offset0:48 offset1:49
	v_mul_f32_e32 v18, v70, v18
	ds_read2_b32 v[76:77], v65 offset0:50 offset1:51
	s_waitcnt lgkmcnt(3)
	v_fma_f32 v19, -v18, v68, v19
	s_waitcnt lgkmcnt(2)
	v_pk_fma_f32 v[10:11], v[18:19], v[72:73], v[10:11] op_sel_hi:[0,1,1] neg_lo:[1,0,0] neg_hi:[1,0,0]
	s_waitcnt lgkmcnt(1)
	v_pk_fma_f32 v[28:29], v[18:19], v[74:75], v[28:29] op_sel_hi:[0,1,1] neg_lo:[1,0,0] neg_hi:[1,0,0]
	ds_read2_b32 v[72:73], v65 offset0:52 offset1:53
	ds_read2_b32 v[74:75], v65 offset0:54 offset1:55
	;; [unrolled: 1-line block ×4, first 2 shown]
	s_waitcnt lgkmcnt(4)
	v_pk_fma_f32 v[20:21], v[18:19], v[76:77], v[20:21] op_sel_hi:[0,1,1] neg_lo:[1,0,0] neg_hi:[1,0,0]
	s_waitcnt lgkmcnt(3)
	v_pk_fma_f32 v[14:15], v[18:19], v[72:73], v[14:15] op_sel_hi:[0,1,1] neg_lo:[1,0,0] neg_hi:[1,0,0]
	s_waitcnt lgkmcnt(2)
	v_pk_fma_f32 v[0:1], v[18:19], v[74:75], v[0:1] op_sel_hi:[0,1,1] neg_lo:[1,0,0] neg_hi:[1,0,0]
	s_waitcnt lgkmcnt(1)
	v_pk_fma_f32 v[12:13], v[18:19], v[78:79], v[12:13] op_sel_hi:[0,1,1] neg_lo:[1,0,0] neg_hi:[1,0,0]
	s_waitcnt lgkmcnt(0)
	v_pk_fma_f32 v[8:9], v[18:19], v[80:81], v[8:9] op_sel_hi:[0,1,1] neg_lo:[1,0,0] neg_hi:[1,0,0]
.LBB118_760:
	s_or_b64 exec, exec, s[0:1]
	v_lshl_add_u32 v68, v71, 2, v65
	s_barrier
	ds_write_b32 v68, v19
	s_waitcnt lgkmcnt(0)
	s_barrier
	ds_read_b32 v70, v65 offset:180
	s_cmp_lt_i32 s22, 47
	v_mov_b32_e32 v68, 45
	s_cbranch_scc1 .LBB118_763
; %bb.761:
	v_add_u32_e32 v72, 0xb8, v65
	v_mov_b32_e32 v68, 45
	s_mov_b32 s0, 46
.LBB118_762:                            ; =>This Inner Loop Header: Depth=1
	ds_read_b32 v73, v72
	v_mov_b32_e32 v74, s0
	s_add_i32 s0, s0, 1
	v_add_u32_e32 v72, 4, v72
	s_cmp_lg_u32 s22, s0
	s_waitcnt lgkmcnt(0)
	v_cmp_lt_f32_e64 vcc, |v70|, |v73|
	s_nop 1
	v_cndmask_b32_e32 v70, v70, v73, vcc
	v_cndmask_b32_e32 v68, v68, v74, vcc
	s_cbranch_scc1 .LBB118_762
.LBB118_763:
	s_waitcnt lgkmcnt(0)
	v_cmp_eq_f32_e32 vcc, 0, v70
	s_and_saveexec_b64 s[0:1], vcc
	s_xor_b64 s[0:1], exec, s[0:1]
; %bb.764:
	v_cmp_ne_u32_e32 vcc, 0, v67
	s_nop 1
	v_cndmask_b32_e32 v67, 46, v67, vcc
; %bb.765:
	s_andn2_saveexec_b64 s[0:1], s[0:1]
	s_cbranch_execz .LBB118_767
; %bb.766:
	v_div_scale_f32 v72, s[2:3], v70, v70, 1.0
	v_rcp_f32_e32 v73, v72
	v_div_scale_f32 v74, vcc, 1.0, v70, 1.0
	v_fma_f32 v75, -v72, v73, 1.0
	v_fmac_f32_e32 v73, v75, v73
	v_mul_f32_e32 v75, v74, v73
	v_fma_f32 v76, -v72, v75, v74
	v_fmac_f32_e32 v75, v76, v73
	v_fma_f32 v72, -v72, v75, v74
	v_div_fmas_f32 v72, v72, v73, v75
	v_div_fixup_f32 v70, v72, v70, 1.0
.LBB118_767:
	s_or_b64 exec, exec, s[0:1]
	v_cmp_ne_u32_e32 vcc, v71, v68
	s_and_saveexec_b64 s[0:1], vcc
	s_xor_b64 s[0:1], exec, s[0:1]
	s_cbranch_execz .LBB118_773
; %bb.768:
	v_cmp_eq_u32_e32 vcc, 45, v71
	s_and_saveexec_b64 s[2:3], vcc
	s_cbranch_execz .LBB118_772
; %bb.769:
	v_cmp_ne_u32_e32 vcc, 45, v68
	s_xor_b64 s[12:13], s[20:21], -1
	s_and_b64 s[14:15], s[12:13], vcc
	s_and_saveexec_b64 s[12:13], s[14:15]
	s_cbranch_execz .LBB118_771
; %bb.770:
	v_ashrrev_i32_e32 v69, 31, v68
	v_lshl_add_u64 v[72:73], v[68:69], 2, v[4:5]
	global_load_dword v69, v[72:73], off
	global_load_dword v71, v[4:5], off offset:180
	s_waitcnt vmcnt(1)
	global_store_dword v[4:5], v69, off offset:180
	s_waitcnt vmcnt(1)
	global_store_dword v[72:73], v71, off
.LBB118_771:
	s_or_b64 exec, exec, s[12:13]
	v_mov_b32_e32 v69, v68
	v_mov_b32_e32 v71, v68
.LBB118_772:
	s_or_b64 exec, exec, s[2:3]
.LBB118_773:
	s_andn2_saveexec_b64 s[0:1], s[0:1]
	s_cbranch_execz .LBB118_775
; %bb.774:
	v_mov_b32_e32 v71, 45
	ds_write2_b32 v65, v10, v11 offset0:46 offset1:47
	ds_write2_b32 v65, v28, v29 offset0:48 offset1:49
	ds_write2_b32 v65, v20, v21 offset0:50 offset1:51
	ds_write2_b32 v65, v14, v15 offset0:52 offset1:53
	ds_write2_b32 v65, v0, v1 offset0:54 offset1:55
	ds_write2_b32 v65, v12, v13 offset0:56 offset1:57
	ds_write2_b32 v65, v8, v9 offset0:58 offset1:59
.LBB118_775:
	s_or_b64 exec, exec, s[0:1]
	v_cmp_lt_i32_e32 vcc, 45, v71
	s_waitcnt lgkmcnt(0)
	s_barrier
	s_and_saveexec_b64 s[0:1], vcc
	s_cbranch_execz .LBB118_777
; %bb.776:
	ds_read2_b32 v[72:73], v65 offset0:46 offset1:47
	ds_read2_b32 v[74:75], v65 offset0:48 offset1:49
	v_mul_f32_e32 v68, v70, v19
	ds_read2_b32 v[76:77], v65 offset0:50 offset1:51
	ds_read2_b32 v[78:79], v65 offset0:52 offset1:53
	v_mov_b32_e32 v19, v68
	s_waitcnt lgkmcnt(3)
	v_pk_fma_f32 v[10:11], v[68:69], v[72:73], v[10:11] op_sel_hi:[0,1,1] neg_lo:[1,0,0] neg_hi:[1,0,0]
	s_waitcnt lgkmcnt(2)
	v_pk_fma_f32 v[28:29], v[68:69], v[74:75], v[28:29] op_sel_hi:[0,1,1] neg_lo:[1,0,0] neg_hi:[1,0,0]
	ds_read2_b32 v[72:73], v65 offset0:54 offset1:55
	ds_read2_b32 v[74:75], v65 offset0:56 offset1:57
	;; [unrolled: 1-line block ×3, first 2 shown]
	s_waitcnt lgkmcnt(4)
	v_pk_fma_f32 v[20:21], v[68:69], v[76:77], v[20:21] op_sel_hi:[0,1,1] neg_lo:[1,0,0] neg_hi:[1,0,0]
	s_waitcnt lgkmcnt(3)
	v_pk_fma_f32 v[14:15], v[68:69], v[78:79], v[14:15] op_sel_hi:[0,1,1] neg_lo:[1,0,0] neg_hi:[1,0,0]
	;; [unrolled: 2-line block ×5, first 2 shown]
.LBB118_777:
	s_or_b64 exec, exec, s[0:1]
	v_lshl_add_u32 v68, v71, 2, v65
	s_barrier
	ds_write_b32 v68, v10
	s_waitcnt lgkmcnt(0)
	s_barrier
	ds_read_b32 v70, v65 offset:184
	s_cmp_lt_i32 s22, 48
	v_mov_b32_e32 v68, 46
	s_cbranch_scc1 .LBB118_780
; %bb.778:
	v_add_u32_e32 v72, 0xbc, v65
	v_mov_b32_e32 v68, 46
	s_mov_b32 s0, 47
.LBB118_779:                            ; =>This Inner Loop Header: Depth=1
	ds_read_b32 v73, v72
	v_mov_b32_e32 v74, s0
	s_add_i32 s0, s0, 1
	v_add_u32_e32 v72, 4, v72
	s_cmp_lg_u32 s22, s0
	s_waitcnt lgkmcnt(0)
	v_cmp_lt_f32_e64 vcc, |v70|, |v73|
	s_nop 1
	v_cndmask_b32_e32 v70, v70, v73, vcc
	v_cndmask_b32_e32 v68, v68, v74, vcc
	s_cbranch_scc1 .LBB118_779
.LBB118_780:
	s_waitcnt lgkmcnt(0)
	v_cmp_eq_f32_e32 vcc, 0, v70
	s_and_saveexec_b64 s[0:1], vcc
	s_xor_b64 s[0:1], exec, s[0:1]
; %bb.781:
	v_cmp_ne_u32_e32 vcc, 0, v67
	s_nop 1
	v_cndmask_b32_e32 v67, 47, v67, vcc
; %bb.782:
	s_andn2_saveexec_b64 s[0:1], s[0:1]
	s_cbranch_execz .LBB118_784
; %bb.783:
	v_div_scale_f32 v72, s[2:3], v70, v70, 1.0
	v_rcp_f32_e32 v73, v72
	v_div_scale_f32 v74, vcc, 1.0, v70, 1.0
	v_fma_f32 v75, -v72, v73, 1.0
	v_fmac_f32_e32 v73, v75, v73
	v_mul_f32_e32 v75, v74, v73
	v_fma_f32 v76, -v72, v75, v74
	v_fmac_f32_e32 v75, v76, v73
	v_fma_f32 v72, -v72, v75, v74
	v_div_fmas_f32 v72, v72, v73, v75
	v_div_fixup_f32 v70, v72, v70, 1.0
.LBB118_784:
	s_or_b64 exec, exec, s[0:1]
	v_cmp_ne_u32_e32 vcc, v71, v68
	s_and_saveexec_b64 s[0:1], vcc
	s_xor_b64 s[0:1], exec, s[0:1]
	s_cbranch_execz .LBB118_790
; %bb.785:
	v_cmp_eq_u32_e32 vcc, 46, v71
	s_and_saveexec_b64 s[2:3], vcc
	s_cbranch_execz .LBB118_789
; %bb.786:
	v_cmp_ne_u32_e32 vcc, 46, v68
	s_xor_b64 s[12:13], s[20:21], -1
	s_and_b64 s[14:15], s[12:13], vcc
	s_and_saveexec_b64 s[12:13], s[14:15]
	s_cbranch_execz .LBB118_788
; %bb.787:
	v_ashrrev_i32_e32 v69, 31, v68
	v_lshl_add_u64 v[72:73], v[68:69], 2, v[4:5]
	global_load_dword v69, v[72:73], off
	global_load_dword v71, v[4:5], off offset:184
	s_waitcnt vmcnt(1)
	global_store_dword v[4:5], v69, off offset:184
	s_waitcnt vmcnt(1)
	global_store_dword v[72:73], v71, off
.LBB118_788:
	s_or_b64 exec, exec, s[12:13]
	v_mov_b32_e32 v69, v68
	v_mov_b32_e32 v71, v68
.LBB118_789:
	s_or_b64 exec, exec, s[2:3]
.LBB118_790:
	s_andn2_saveexec_b64 s[0:1], s[0:1]
	s_cbranch_execz .LBB118_792
; %bb.791:
	v_pk_mov_b32 v[72:73], v[10:11], v[28:29] op_sel:[1,0]
	ds_write2_b32 v65, v72, v73 offset0:47 offset1:48
	v_pk_mov_b32 v[72:73], v[28:29], v[20:21] op_sel:[1,0]
	ds_write2_b32 v65, v72, v73 offset0:49 offset1:50
	;; [unrolled: 2-line block ×5, first 2 shown]
	v_pk_mov_b32 v[72:73], v[12:13], v[8:9] op_sel:[1,0]
	v_mov_b32_e32 v71, 46
	ds_write2_b32 v65, v72, v73 offset0:57 offset1:58
	ds_write_b32 v65, v9 offset:236
.LBB118_792:
	s_or_b64 exec, exec, s[0:1]
	v_cmp_lt_i32_e32 vcc, 46, v71
	s_waitcnt lgkmcnt(0)
	s_barrier
	s_and_saveexec_b64 s[0:1], vcc
	s_cbranch_execz .LBB118_794
; %bb.793:
	ds_read_b32 v68, v65 offset:188
	ds_read2_b32 v[72:73], v65 offset0:48 offset1:49
	v_mul_f32_e32 v10, v70, v10
	ds_read2_b32 v[74:75], v65 offset0:50 offset1:51
	ds_read2_b32 v[76:77], v65 offset0:52 offset1:53
	s_waitcnt lgkmcnt(3)
	v_fma_f32 v11, -v10, v68, v11
	s_waitcnt lgkmcnt(2)
	v_pk_fma_f32 v[28:29], v[10:11], v[72:73], v[28:29] op_sel_hi:[0,1,1] neg_lo:[1,0,0] neg_hi:[1,0,0]
	ds_read2_b32 v[72:73], v65 offset0:54 offset1:55
	ds_read2_b32 v[78:79], v65 offset0:56 offset1:57
	;; [unrolled: 1-line block ×3, first 2 shown]
	s_waitcnt lgkmcnt(4)
	v_pk_fma_f32 v[20:21], v[10:11], v[74:75], v[20:21] op_sel_hi:[0,1,1] neg_lo:[1,0,0] neg_hi:[1,0,0]
	s_waitcnt lgkmcnt(3)
	v_pk_fma_f32 v[14:15], v[10:11], v[76:77], v[14:15] op_sel_hi:[0,1,1] neg_lo:[1,0,0] neg_hi:[1,0,0]
	;; [unrolled: 2-line block ×5, first 2 shown]
.LBB118_794:
	s_or_b64 exec, exec, s[0:1]
	v_lshl_add_u32 v68, v71, 2, v65
	s_barrier
	ds_write_b32 v68, v11
	s_waitcnt lgkmcnt(0)
	s_barrier
	ds_read_b32 v70, v65 offset:188
	s_cmp_lt_i32 s22, 49
	v_mov_b32_e32 v68, 47
	s_cbranch_scc1 .LBB118_797
; %bb.795:
	v_add_u32_e32 v72, 0xc0, v65
	v_mov_b32_e32 v68, 47
	s_mov_b32 s0, 48
.LBB118_796:                            ; =>This Inner Loop Header: Depth=1
	ds_read_b32 v73, v72
	v_mov_b32_e32 v74, s0
	s_add_i32 s0, s0, 1
	v_add_u32_e32 v72, 4, v72
	s_cmp_lg_u32 s22, s0
	s_waitcnt lgkmcnt(0)
	v_cmp_lt_f32_e64 vcc, |v70|, |v73|
	s_nop 1
	v_cndmask_b32_e32 v70, v70, v73, vcc
	v_cndmask_b32_e32 v68, v68, v74, vcc
	s_cbranch_scc1 .LBB118_796
.LBB118_797:
	s_waitcnt lgkmcnt(0)
	v_cmp_eq_f32_e32 vcc, 0, v70
	s_and_saveexec_b64 s[0:1], vcc
	s_xor_b64 s[0:1], exec, s[0:1]
; %bb.798:
	v_cmp_ne_u32_e32 vcc, 0, v67
	s_nop 1
	v_cndmask_b32_e32 v67, 48, v67, vcc
; %bb.799:
	s_andn2_saveexec_b64 s[0:1], s[0:1]
	s_cbranch_execz .LBB118_801
; %bb.800:
	v_div_scale_f32 v72, s[2:3], v70, v70, 1.0
	v_rcp_f32_e32 v73, v72
	v_div_scale_f32 v74, vcc, 1.0, v70, 1.0
	v_fma_f32 v75, -v72, v73, 1.0
	v_fmac_f32_e32 v73, v75, v73
	v_mul_f32_e32 v75, v74, v73
	v_fma_f32 v76, -v72, v75, v74
	v_fmac_f32_e32 v75, v76, v73
	v_fma_f32 v72, -v72, v75, v74
	v_div_fmas_f32 v72, v72, v73, v75
	v_div_fixup_f32 v70, v72, v70, 1.0
.LBB118_801:
	s_or_b64 exec, exec, s[0:1]
	v_cmp_ne_u32_e32 vcc, v71, v68
	s_and_saveexec_b64 s[0:1], vcc
	s_xor_b64 s[0:1], exec, s[0:1]
	s_cbranch_execz .LBB118_807
; %bb.802:
	v_cmp_eq_u32_e32 vcc, 47, v71
	s_and_saveexec_b64 s[2:3], vcc
	s_cbranch_execz .LBB118_806
; %bb.803:
	v_cmp_ne_u32_e32 vcc, 47, v68
	s_xor_b64 s[12:13], s[20:21], -1
	s_and_b64 s[14:15], s[12:13], vcc
	s_and_saveexec_b64 s[12:13], s[14:15]
	s_cbranch_execz .LBB118_805
; %bb.804:
	v_ashrrev_i32_e32 v69, 31, v68
	v_lshl_add_u64 v[72:73], v[68:69], 2, v[4:5]
	global_load_dword v69, v[72:73], off
	global_load_dword v71, v[4:5], off offset:188
	s_waitcnt vmcnt(1)
	global_store_dword v[4:5], v69, off offset:188
	s_waitcnt vmcnt(1)
	global_store_dword v[72:73], v71, off
.LBB118_805:
	s_or_b64 exec, exec, s[12:13]
	v_mov_b32_e32 v69, v68
	v_mov_b32_e32 v71, v68
.LBB118_806:
	s_or_b64 exec, exec, s[2:3]
.LBB118_807:
	s_andn2_saveexec_b64 s[0:1], s[0:1]
	s_cbranch_execz .LBB118_809
; %bb.808:
	v_mov_b32_e32 v71, 47
	ds_write2_b32 v65, v28, v29 offset0:48 offset1:49
	ds_write2_b32 v65, v20, v21 offset0:50 offset1:51
	;; [unrolled: 1-line block ×6, first 2 shown]
.LBB118_809:
	s_or_b64 exec, exec, s[0:1]
	v_cmp_lt_i32_e32 vcc, 47, v71
	s_waitcnt lgkmcnt(0)
	s_barrier
	s_and_saveexec_b64 s[0:1], vcc
	s_cbranch_execz .LBB118_811
; %bb.810:
	ds_read2_b32 v[72:73], v65 offset0:48 offset1:49
	v_mul_f32_e32 v68, v70, v11
	ds_read2_b32 v[74:75], v65 offset0:50 offset1:51
	ds_read2_b32 v[76:77], v65 offset0:52 offset1:53
	;; [unrolled: 1-line block ×3, first 2 shown]
	v_mov_b32_e32 v11, v68
	s_waitcnt lgkmcnt(2)
	v_pk_fma_f32 v[20:21], v[68:69], v[74:75], v[20:21] op_sel_hi:[0,1,1] neg_lo:[1,0,0] neg_hi:[1,0,0]
	v_pk_fma_f32 v[28:29], v[68:69], v[72:73], v[28:29] op_sel_hi:[0,1,1] neg_lo:[1,0,0] neg_hi:[1,0,0]
	ds_read2_b32 v[72:73], v65 offset0:56 offset1:57
	ds_read2_b32 v[80:81], v65 offset0:58 offset1:59
	s_waitcnt lgkmcnt(3)
	v_pk_fma_f32 v[14:15], v[68:69], v[76:77], v[14:15] op_sel_hi:[0,1,1] neg_lo:[1,0,0] neg_hi:[1,0,0]
	s_waitcnt lgkmcnt(2)
	v_pk_fma_f32 v[0:1], v[68:69], v[78:79], v[0:1] op_sel_hi:[0,1,1] neg_lo:[1,0,0] neg_hi:[1,0,0]
	;; [unrolled: 2-line block ×4, first 2 shown]
.LBB118_811:
	s_or_b64 exec, exec, s[0:1]
	v_lshl_add_u32 v68, v71, 2, v65
	s_barrier
	ds_write_b32 v68, v28
	s_waitcnt lgkmcnt(0)
	s_barrier
	ds_read_b32 v70, v65 offset:192
	s_cmp_lt_i32 s22, 50
	v_mov_b32_e32 v68, 48
	s_cbranch_scc1 .LBB118_814
; %bb.812:
	v_add_u32_e32 v72, 0xc4, v65
	v_mov_b32_e32 v68, 48
	s_mov_b32 s0, 49
.LBB118_813:                            ; =>This Inner Loop Header: Depth=1
	ds_read_b32 v73, v72
	v_mov_b32_e32 v74, s0
	s_add_i32 s0, s0, 1
	v_add_u32_e32 v72, 4, v72
	s_cmp_lg_u32 s22, s0
	s_waitcnt lgkmcnt(0)
	v_cmp_lt_f32_e64 vcc, |v70|, |v73|
	s_nop 1
	v_cndmask_b32_e32 v70, v70, v73, vcc
	v_cndmask_b32_e32 v68, v68, v74, vcc
	s_cbranch_scc1 .LBB118_813
.LBB118_814:
	s_waitcnt lgkmcnt(0)
	v_cmp_eq_f32_e32 vcc, 0, v70
	s_and_saveexec_b64 s[0:1], vcc
	s_xor_b64 s[0:1], exec, s[0:1]
; %bb.815:
	v_cmp_ne_u32_e32 vcc, 0, v67
	s_nop 1
	v_cndmask_b32_e32 v67, 49, v67, vcc
; %bb.816:
	s_andn2_saveexec_b64 s[0:1], s[0:1]
	s_cbranch_execz .LBB118_818
; %bb.817:
	v_div_scale_f32 v72, s[2:3], v70, v70, 1.0
	v_rcp_f32_e32 v73, v72
	v_div_scale_f32 v74, vcc, 1.0, v70, 1.0
	v_fma_f32 v75, -v72, v73, 1.0
	v_fmac_f32_e32 v73, v75, v73
	v_mul_f32_e32 v75, v74, v73
	v_fma_f32 v76, -v72, v75, v74
	v_fmac_f32_e32 v75, v76, v73
	v_fma_f32 v72, -v72, v75, v74
	v_div_fmas_f32 v72, v72, v73, v75
	v_div_fixup_f32 v70, v72, v70, 1.0
.LBB118_818:
	s_or_b64 exec, exec, s[0:1]
	v_cmp_ne_u32_e32 vcc, v71, v68
	s_and_saveexec_b64 s[0:1], vcc
	s_xor_b64 s[0:1], exec, s[0:1]
	s_cbranch_execz .LBB118_824
; %bb.819:
	v_cmp_eq_u32_e32 vcc, 48, v71
	s_and_saveexec_b64 s[2:3], vcc
	s_cbranch_execz .LBB118_823
; %bb.820:
	v_cmp_ne_u32_e32 vcc, 48, v68
	s_xor_b64 s[12:13], s[20:21], -1
	s_and_b64 s[14:15], s[12:13], vcc
	s_and_saveexec_b64 s[12:13], s[14:15]
	s_cbranch_execz .LBB118_822
; %bb.821:
	v_ashrrev_i32_e32 v69, 31, v68
	v_lshl_add_u64 v[72:73], v[68:69], 2, v[4:5]
	global_load_dword v69, v[72:73], off
	global_load_dword v71, v[4:5], off offset:192
	s_waitcnt vmcnt(1)
	global_store_dword v[4:5], v69, off offset:192
	s_waitcnt vmcnt(1)
	global_store_dword v[72:73], v71, off
.LBB118_822:
	s_or_b64 exec, exec, s[12:13]
	v_mov_b32_e32 v69, v68
	v_mov_b32_e32 v71, v68
.LBB118_823:
	s_or_b64 exec, exec, s[2:3]
.LBB118_824:
	s_andn2_saveexec_b64 s[0:1], s[0:1]
	s_cbranch_execz .LBB118_826
; %bb.825:
	v_pk_mov_b32 v[72:73], v[28:29], v[20:21] op_sel:[1,0]
	ds_write2_b32 v65, v72, v73 offset0:49 offset1:50
	v_pk_mov_b32 v[72:73], v[20:21], v[14:15] op_sel:[1,0]
	ds_write2_b32 v65, v72, v73 offset0:51 offset1:52
	;; [unrolled: 2-line block ×4, first 2 shown]
	v_pk_mov_b32 v[72:73], v[12:13], v[8:9] op_sel:[1,0]
	v_mov_b32_e32 v71, 48
	ds_write2_b32 v65, v72, v73 offset0:57 offset1:58
	ds_write_b32 v65, v9 offset:236
.LBB118_826:
	s_or_b64 exec, exec, s[0:1]
	v_cmp_lt_i32_e32 vcc, 48, v71
	s_waitcnt lgkmcnt(0)
	s_barrier
	s_and_saveexec_b64 s[0:1], vcc
	s_cbranch_execz .LBB118_828
; %bb.827:
	ds_read_b32 v68, v65 offset:196
	ds_read2_b32 v[72:73], v65 offset0:50 offset1:51
	ds_read2_b32 v[74:75], v65 offset0:52 offset1:53
	;; [unrolled: 1-line block ×5, first 2 shown]
	v_mul_f32_e32 v28, v70, v28
	s_waitcnt lgkmcnt(5)
	v_fma_f32 v29, -v28, v68, v29
	s_waitcnt lgkmcnt(4)
	v_pk_fma_f32 v[20:21], v[28:29], v[72:73], v[20:21] op_sel_hi:[0,1,1] neg_lo:[1,0,0] neg_hi:[1,0,0]
	s_waitcnt lgkmcnt(3)
	v_pk_fma_f32 v[14:15], v[28:29], v[74:75], v[14:15] op_sel_hi:[0,1,1] neg_lo:[1,0,0] neg_hi:[1,0,0]
	;; [unrolled: 2-line block ×5, first 2 shown]
.LBB118_828:
	s_or_b64 exec, exec, s[0:1]
	v_lshl_add_u32 v68, v71, 2, v65
	s_barrier
	ds_write_b32 v68, v29
	s_waitcnt lgkmcnt(0)
	s_barrier
	ds_read_b32 v70, v65 offset:196
	s_cmp_lt_i32 s22, 51
	v_mov_b32_e32 v68, 49
	s_cbranch_scc1 .LBB118_831
; %bb.829:
	v_add_u32_e32 v72, 0xc8, v65
	v_mov_b32_e32 v68, 49
	s_mov_b32 s0, 50
.LBB118_830:                            ; =>This Inner Loop Header: Depth=1
	ds_read_b32 v73, v72
	v_mov_b32_e32 v74, s0
	s_add_i32 s0, s0, 1
	v_add_u32_e32 v72, 4, v72
	s_cmp_lg_u32 s22, s0
	s_waitcnt lgkmcnt(0)
	v_cmp_lt_f32_e64 vcc, |v70|, |v73|
	s_nop 1
	v_cndmask_b32_e32 v70, v70, v73, vcc
	v_cndmask_b32_e32 v68, v68, v74, vcc
	s_cbranch_scc1 .LBB118_830
.LBB118_831:
	s_waitcnt lgkmcnt(0)
	v_cmp_eq_f32_e32 vcc, 0, v70
	s_and_saveexec_b64 s[0:1], vcc
	s_xor_b64 s[0:1], exec, s[0:1]
; %bb.832:
	v_cmp_ne_u32_e32 vcc, 0, v67
	s_nop 1
	v_cndmask_b32_e32 v67, 50, v67, vcc
; %bb.833:
	s_andn2_saveexec_b64 s[0:1], s[0:1]
	s_cbranch_execz .LBB118_835
; %bb.834:
	v_div_scale_f32 v72, s[2:3], v70, v70, 1.0
	v_rcp_f32_e32 v73, v72
	v_div_scale_f32 v74, vcc, 1.0, v70, 1.0
	v_fma_f32 v75, -v72, v73, 1.0
	v_fmac_f32_e32 v73, v75, v73
	v_mul_f32_e32 v75, v74, v73
	v_fma_f32 v76, -v72, v75, v74
	v_fmac_f32_e32 v75, v76, v73
	v_fma_f32 v72, -v72, v75, v74
	v_div_fmas_f32 v72, v72, v73, v75
	v_div_fixup_f32 v70, v72, v70, 1.0
.LBB118_835:
	s_or_b64 exec, exec, s[0:1]
	v_cmp_ne_u32_e32 vcc, v71, v68
	s_and_saveexec_b64 s[0:1], vcc
	s_xor_b64 s[0:1], exec, s[0:1]
	s_cbranch_execz .LBB118_841
; %bb.836:
	v_cmp_eq_u32_e32 vcc, 49, v71
	s_and_saveexec_b64 s[2:3], vcc
	s_cbranch_execz .LBB118_840
; %bb.837:
	v_cmp_ne_u32_e32 vcc, 49, v68
	s_xor_b64 s[12:13], s[20:21], -1
	s_and_b64 s[14:15], s[12:13], vcc
	s_and_saveexec_b64 s[12:13], s[14:15]
	s_cbranch_execz .LBB118_839
; %bb.838:
	v_ashrrev_i32_e32 v69, 31, v68
	v_lshl_add_u64 v[72:73], v[68:69], 2, v[4:5]
	global_load_dword v69, v[72:73], off
	global_load_dword v71, v[4:5], off offset:196
	s_waitcnt vmcnt(1)
	global_store_dword v[4:5], v69, off offset:196
	s_waitcnt vmcnt(1)
	global_store_dword v[72:73], v71, off
.LBB118_839:
	s_or_b64 exec, exec, s[12:13]
	v_mov_b32_e32 v69, v68
	v_mov_b32_e32 v71, v68
.LBB118_840:
	s_or_b64 exec, exec, s[2:3]
.LBB118_841:
	s_andn2_saveexec_b64 s[0:1], s[0:1]
	s_cbranch_execz .LBB118_843
; %bb.842:
	v_mov_b32_e32 v71, 49
	ds_write2_b32 v65, v20, v21 offset0:50 offset1:51
	ds_write2_b32 v65, v14, v15 offset0:52 offset1:53
	;; [unrolled: 1-line block ×5, first 2 shown]
.LBB118_843:
	s_or_b64 exec, exec, s[0:1]
	v_cmp_lt_i32_e32 vcc, 49, v71
	s_waitcnt lgkmcnt(0)
	s_barrier
	s_and_saveexec_b64 s[0:1], vcc
	s_cbranch_execz .LBB118_845
; %bb.844:
	ds_read2_b32 v[72:73], v65 offset0:50 offset1:51
	ds_read2_b32 v[74:75], v65 offset0:52 offset1:53
	ds_read2_b32 v[76:77], v65 offset0:54 offset1:55
	ds_read2_b32 v[78:79], v65 offset0:56 offset1:57
	ds_read2_b32 v[80:81], v65 offset0:58 offset1:59
	v_mul_f32_e32 v68, v70, v29
	s_waitcnt lgkmcnt(4)
	v_pk_fma_f32 v[20:21], v[68:69], v[72:73], v[20:21] op_sel_hi:[0,1,1] neg_lo:[1,0,0] neg_hi:[1,0,0]
	s_waitcnt lgkmcnt(3)
	v_pk_fma_f32 v[14:15], v[68:69], v[74:75], v[14:15] op_sel_hi:[0,1,1] neg_lo:[1,0,0] neg_hi:[1,0,0]
	;; [unrolled: 2-line block ×5, first 2 shown]
	v_mov_b32_e32 v29, v68
.LBB118_845:
	s_or_b64 exec, exec, s[0:1]
	v_lshl_add_u32 v68, v71, 2, v65
	s_barrier
	ds_write_b32 v68, v20
	s_waitcnt lgkmcnt(0)
	s_barrier
	ds_read_b32 v70, v65 offset:200
	s_cmp_lt_i32 s22, 52
	v_mov_b32_e32 v68, 50
	s_cbranch_scc1 .LBB118_848
; %bb.846:
	v_add_u32_e32 v72, 0xcc, v65
	v_mov_b32_e32 v68, 50
	s_mov_b32 s0, 51
.LBB118_847:                            ; =>This Inner Loop Header: Depth=1
	ds_read_b32 v73, v72
	v_mov_b32_e32 v74, s0
	s_add_i32 s0, s0, 1
	v_add_u32_e32 v72, 4, v72
	s_cmp_lg_u32 s22, s0
	s_waitcnt lgkmcnt(0)
	v_cmp_lt_f32_e64 vcc, |v70|, |v73|
	s_nop 1
	v_cndmask_b32_e32 v70, v70, v73, vcc
	v_cndmask_b32_e32 v68, v68, v74, vcc
	s_cbranch_scc1 .LBB118_847
.LBB118_848:
	s_waitcnt lgkmcnt(0)
	v_cmp_eq_f32_e32 vcc, 0, v70
	s_and_saveexec_b64 s[0:1], vcc
	s_xor_b64 s[0:1], exec, s[0:1]
; %bb.849:
	v_cmp_ne_u32_e32 vcc, 0, v67
	s_nop 1
	v_cndmask_b32_e32 v67, 51, v67, vcc
; %bb.850:
	s_andn2_saveexec_b64 s[0:1], s[0:1]
	s_cbranch_execz .LBB118_852
; %bb.851:
	v_div_scale_f32 v72, s[2:3], v70, v70, 1.0
	v_rcp_f32_e32 v73, v72
	v_div_scale_f32 v74, vcc, 1.0, v70, 1.0
	v_fma_f32 v75, -v72, v73, 1.0
	v_fmac_f32_e32 v73, v75, v73
	v_mul_f32_e32 v75, v74, v73
	v_fma_f32 v76, -v72, v75, v74
	v_fmac_f32_e32 v75, v76, v73
	v_fma_f32 v72, -v72, v75, v74
	v_div_fmas_f32 v72, v72, v73, v75
	v_div_fixup_f32 v70, v72, v70, 1.0
.LBB118_852:
	s_or_b64 exec, exec, s[0:1]
	v_cmp_ne_u32_e32 vcc, v71, v68
	s_and_saveexec_b64 s[0:1], vcc
	s_xor_b64 s[0:1], exec, s[0:1]
	s_cbranch_execz .LBB118_858
; %bb.853:
	v_cmp_eq_u32_e32 vcc, 50, v71
	s_and_saveexec_b64 s[2:3], vcc
	s_cbranch_execz .LBB118_857
; %bb.854:
	v_cmp_ne_u32_e32 vcc, 50, v68
	s_xor_b64 s[12:13], s[20:21], -1
	s_and_b64 s[14:15], s[12:13], vcc
	s_and_saveexec_b64 s[12:13], s[14:15]
	s_cbranch_execz .LBB118_856
; %bb.855:
	v_ashrrev_i32_e32 v69, 31, v68
	v_lshl_add_u64 v[72:73], v[68:69], 2, v[4:5]
	global_load_dword v69, v[72:73], off
	global_load_dword v71, v[4:5], off offset:200
	s_waitcnt vmcnt(1)
	global_store_dword v[4:5], v69, off offset:200
	s_waitcnt vmcnt(1)
	global_store_dword v[72:73], v71, off
.LBB118_856:
	s_or_b64 exec, exec, s[12:13]
	v_mov_b32_e32 v69, v68
	v_mov_b32_e32 v71, v68
.LBB118_857:
	s_or_b64 exec, exec, s[2:3]
.LBB118_858:
	s_andn2_saveexec_b64 s[0:1], s[0:1]
	s_cbranch_execz .LBB118_860
; %bb.859:
	v_pk_mov_b32 v[72:73], v[20:21], v[14:15] op_sel:[1,0]
	ds_write2_b32 v65, v72, v73 offset0:51 offset1:52
	v_pk_mov_b32 v[72:73], v[14:15], v[0:1] op_sel:[1,0]
	ds_write2_b32 v65, v72, v73 offset0:53 offset1:54
	;; [unrolled: 2-line block ×3, first 2 shown]
	v_pk_mov_b32 v[72:73], v[12:13], v[8:9] op_sel:[1,0]
	v_mov_b32_e32 v71, 50
	ds_write2_b32 v65, v72, v73 offset0:57 offset1:58
	ds_write_b32 v65, v9 offset:236
.LBB118_860:
	s_or_b64 exec, exec, s[0:1]
	v_cmp_lt_i32_e32 vcc, 50, v71
	s_waitcnt lgkmcnt(0)
	s_barrier
	s_and_saveexec_b64 s[0:1], vcc
	s_cbranch_execz .LBB118_862
; %bb.861:
	ds_read_b32 v68, v65 offset:204
	ds_read2_b32 v[72:73], v65 offset0:52 offset1:53
	ds_read2_b32 v[74:75], v65 offset0:54 offset1:55
	ds_read2_b32 v[76:77], v65 offset0:56 offset1:57
	ds_read2_b32 v[78:79], v65 offset0:58 offset1:59
	v_mul_f32_e32 v20, v70, v20
	s_waitcnt lgkmcnt(4)
	v_fma_f32 v21, -v20, v68, v21
	s_waitcnt lgkmcnt(3)
	v_pk_fma_f32 v[14:15], v[20:21], v[72:73], v[14:15] op_sel_hi:[0,1,1] neg_lo:[1,0,0] neg_hi:[1,0,0]
	s_waitcnt lgkmcnt(2)
	v_pk_fma_f32 v[0:1], v[20:21], v[74:75], v[0:1] op_sel_hi:[0,1,1] neg_lo:[1,0,0] neg_hi:[1,0,0]
	;; [unrolled: 2-line block ×4, first 2 shown]
.LBB118_862:
	s_or_b64 exec, exec, s[0:1]
	v_lshl_add_u32 v68, v71, 2, v65
	s_barrier
	ds_write_b32 v68, v21
	s_waitcnt lgkmcnt(0)
	s_barrier
	ds_read_b32 v70, v65 offset:204
	s_cmp_lt_i32 s22, 53
	v_mov_b32_e32 v68, 51
	s_cbranch_scc1 .LBB118_865
; %bb.863:
	v_add_u32_e32 v72, 0xd0, v65
	v_mov_b32_e32 v68, 51
	s_mov_b32 s0, 52
.LBB118_864:                            ; =>This Inner Loop Header: Depth=1
	ds_read_b32 v73, v72
	v_mov_b32_e32 v74, s0
	s_add_i32 s0, s0, 1
	v_add_u32_e32 v72, 4, v72
	s_cmp_lg_u32 s22, s0
	s_waitcnt lgkmcnt(0)
	v_cmp_lt_f32_e64 vcc, |v70|, |v73|
	s_nop 1
	v_cndmask_b32_e32 v70, v70, v73, vcc
	v_cndmask_b32_e32 v68, v68, v74, vcc
	s_cbranch_scc1 .LBB118_864
.LBB118_865:
	s_waitcnt lgkmcnt(0)
	v_cmp_eq_f32_e32 vcc, 0, v70
	s_and_saveexec_b64 s[0:1], vcc
	s_xor_b64 s[0:1], exec, s[0:1]
; %bb.866:
	v_cmp_ne_u32_e32 vcc, 0, v67
	s_nop 1
	v_cndmask_b32_e32 v67, 52, v67, vcc
; %bb.867:
	s_andn2_saveexec_b64 s[0:1], s[0:1]
	s_cbranch_execz .LBB118_869
; %bb.868:
	v_div_scale_f32 v72, s[2:3], v70, v70, 1.0
	v_rcp_f32_e32 v73, v72
	v_div_scale_f32 v74, vcc, 1.0, v70, 1.0
	v_fma_f32 v75, -v72, v73, 1.0
	v_fmac_f32_e32 v73, v75, v73
	v_mul_f32_e32 v75, v74, v73
	v_fma_f32 v76, -v72, v75, v74
	v_fmac_f32_e32 v75, v76, v73
	v_fma_f32 v72, -v72, v75, v74
	v_div_fmas_f32 v72, v72, v73, v75
	v_div_fixup_f32 v70, v72, v70, 1.0
.LBB118_869:
	s_or_b64 exec, exec, s[0:1]
	v_cmp_ne_u32_e32 vcc, v71, v68
	s_and_saveexec_b64 s[0:1], vcc
	s_xor_b64 s[0:1], exec, s[0:1]
	s_cbranch_execz .LBB118_875
; %bb.870:
	v_cmp_eq_u32_e32 vcc, 51, v71
	s_and_saveexec_b64 s[2:3], vcc
	s_cbranch_execz .LBB118_874
; %bb.871:
	v_cmp_ne_u32_e32 vcc, 51, v68
	s_xor_b64 s[12:13], s[20:21], -1
	s_and_b64 s[14:15], s[12:13], vcc
	s_and_saveexec_b64 s[12:13], s[14:15]
	s_cbranch_execz .LBB118_873
; %bb.872:
	v_ashrrev_i32_e32 v69, 31, v68
	v_lshl_add_u64 v[72:73], v[68:69], 2, v[4:5]
	global_load_dword v69, v[72:73], off
	global_load_dword v71, v[4:5], off offset:204
	s_waitcnt vmcnt(1)
	global_store_dword v[4:5], v69, off offset:204
	s_waitcnt vmcnt(1)
	global_store_dword v[72:73], v71, off
.LBB118_873:
	s_or_b64 exec, exec, s[12:13]
	v_mov_b32_e32 v69, v68
	v_mov_b32_e32 v71, v68
.LBB118_874:
	s_or_b64 exec, exec, s[2:3]
.LBB118_875:
	s_andn2_saveexec_b64 s[0:1], s[0:1]
	s_cbranch_execz .LBB118_877
; %bb.876:
	v_mov_b32_e32 v71, 51
	ds_write2_b32 v65, v14, v15 offset0:52 offset1:53
	ds_write2_b32 v65, v0, v1 offset0:54 offset1:55
	ds_write2_b32 v65, v12, v13 offset0:56 offset1:57
	ds_write2_b32 v65, v8, v9 offset0:58 offset1:59
.LBB118_877:
	s_or_b64 exec, exec, s[0:1]
	v_cmp_lt_i32_e32 vcc, 51, v71
	s_waitcnt lgkmcnt(0)
	s_barrier
	s_and_saveexec_b64 s[0:1], vcc
	s_cbranch_execz .LBB118_879
; %bb.878:
	ds_read2_b32 v[72:73], v65 offset0:52 offset1:53
	ds_read2_b32 v[74:75], v65 offset0:54 offset1:55
	;; [unrolled: 1-line block ×4, first 2 shown]
	v_mul_f32_e32 v68, v70, v21
	s_waitcnt lgkmcnt(3)
	v_pk_fma_f32 v[14:15], v[68:69], v[72:73], v[14:15] op_sel_hi:[0,1,1] neg_lo:[1,0,0] neg_hi:[1,0,0]
	s_waitcnt lgkmcnt(2)
	v_pk_fma_f32 v[0:1], v[68:69], v[74:75], v[0:1] op_sel_hi:[0,1,1] neg_lo:[1,0,0] neg_hi:[1,0,0]
	;; [unrolled: 2-line block ×4, first 2 shown]
	v_mov_b32_e32 v21, v68
.LBB118_879:
	s_or_b64 exec, exec, s[0:1]
	v_lshl_add_u32 v68, v71, 2, v65
	s_barrier
	ds_write_b32 v68, v14
	s_waitcnt lgkmcnt(0)
	s_barrier
	ds_read_b32 v70, v65 offset:208
	s_cmp_lt_i32 s22, 54
	v_mov_b32_e32 v68, 52
	s_cbranch_scc1 .LBB118_882
; %bb.880:
	v_add_u32_e32 v72, 0xd4, v65
	v_mov_b32_e32 v68, 52
	s_mov_b32 s0, 53
.LBB118_881:                            ; =>This Inner Loop Header: Depth=1
	ds_read_b32 v73, v72
	v_mov_b32_e32 v74, s0
	s_add_i32 s0, s0, 1
	v_add_u32_e32 v72, 4, v72
	s_cmp_lg_u32 s22, s0
	s_waitcnt lgkmcnt(0)
	v_cmp_lt_f32_e64 vcc, |v70|, |v73|
	s_nop 1
	v_cndmask_b32_e32 v70, v70, v73, vcc
	v_cndmask_b32_e32 v68, v68, v74, vcc
	s_cbranch_scc1 .LBB118_881
.LBB118_882:
	s_waitcnt lgkmcnt(0)
	v_cmp_eq_f32_e32 vcc, 0, v70
	s_and_saveexec_b64 s[0:1], vcc
	s_xor_b64 s[0:1], exec, s[0:1]
; %bb.883:
	v_cmp_ne_u32_e32 vcc, 0, v67
	s_nop 1
	v_cndmask_b32_e32 v67, 53, v67, vcc
; %bb.884:
	s_andn2_saveexec_b64 s[0:1], s[0:1]
	s_cbranch_execz .LBB118_886
; %bb.885:
	v_div_scale_f32 v72, s[2:3], v70, v70, 1.0
	v_rcp_f32_e32 v73, v72
	v_div_scale_f32 v74, vcc, 1.0, v70, 1.0
	v_fma_f32 v75, -v72, v73, 1.0
	v_fmac_f32_e32 v73, v75, v73
	v_mul_f32_e32 v75, v74, v73
	v_fma_f32 v76, -v72, v75, v74
	v_fmac_f32_e32 v75, v76, v73
	v_fma_f32 v72, -v72, v75, v74
	v_div_fmas_f32 v72, v72, v73, v75
	v_div_fixup_f32 v70, v72, v70, 1.0
.LBB118_886:
	s_or_b64 exec, exec, s[0:1]
	v_cmp_ne_u32_e32 vcc, v71, v68
	s_and_saveexec_b64 s[0:1], vcc
	s_xor_b64 s[0:1], exec, s[0:1]
	s_cbranch_execz .LBB118_892
; %bb.887:
	v_cmp_eq_u32_e32 vcc, 52, v71
	s_and_saveexec_b64 s[2:3], vcc
	s_cbranch_execz .LBB118_891
; %bb.888:
	v_cmp_ne_u32_e32 vcc, 52, v68
	s_xor_b64 s[12:13], s[20:21], -1
	s_and_b64 s[14:15], s[12:13], vcc
	s_and_saveexec_b64 s[12:13], s[14:15]
	s_cbranch_execz .LBB118_890
; %bb.889:
	v_ashrrev_i32_e32 v69, 31, v68
	v_lshl_add_u64 v[72:73], v[68:69], 2, v[4:5]
	global_load_dword v69, v[72:73], off
	global_load_dword v71, v[4:5], off offset:208
	s_waitcnt vmcnt(1)
	global_store_dword v[4:5], v69, off offset:208
	s_waitcnt vmcnt(1)
	global_store_dword v[72:73], v71, off
.LBB118_890:
	s_or_b64 exec, exec, s[12:13]
	v_mov_b32_e32 v69, v68
	v_mov_b32_e32 v71, v68
.LBB118_891:
	s_or_b64 exec, exec, s[2:3]
.LBB118_892:
	s_andn2_saveexec_b64 s[0:1], s[0:1]
	s_cbranch_execz .LBB118_894
; %bb.893:
	v_pk_mov_b32 v[72:73], v[14:15], v[0:1] op_sel:[1,0]
	ds_write2_b32 v65, v72, v73 offset0:53 offset1:54
	v_pk_mov_b32 v[72:73], v[0:1], v[12:13] op_sel:[1,0]
	ds_write2_b32 v65, v72, v73 offset0:55 offset1:56
	v_pk_mov_b32 v[72:73], v[12:13], v[8:9] op_sel:[1,0]
	v_mov_b32_e32 v71, 52
	ds_write2_b32 v65, v72, v73 offset0:57 offset1:58
	ds_write_b32 v65, v9 offset:236
.LBB118_894:
	s_or_b64 exec, exec, s[0:1]
	v_cmp_lt_i32_e32 vcc, 52, v71
	s_waitcnt lgkmcnt(0)
	s_barrier
	s_and_saveexec_b64 s[0:1], vcc
	s_cbranch_execz .LBB118_896
; %bb.895:
	ds_read_b32 v68, v65 offset:212
	ds_read2_b32 v[72:73], v65 offset0:54 offset1:55
	ds_read2_b32 v[74:75], v65 offset0:56 offset1:57
	;; [unrolled: 1-line block ×3, first 2 shown]
	v_mul_f32_e32 v14, v70, v14
	s_waitcnt lgkmcnt(3)
	v_fma_f32 v15, -v14, v68, v15
	s_waitcnt lgkmcnt(2)
	v_pk_fma_f32 v[0:1], v[14:15], v[72:73], v[0:1] op_sel_hi:[0,1,1] neg_lo:[1,0,0] neg_hi:[1,0,0]
	s_waitcnt lgkmcnt(1)
	v_pk_fma_f32 v[12:13], v[14:15], v[74:75], v[12:13] op_sel_hi:[0,1,1] neg_lo:[1,0,0] neg_hi:[1,0,0]
	;; [unrolled: 2-line block ×3, first 2 shown]
.LBB118_896:
	s_or_b64 exec, exec, s[0:1]
	v_lshl_add_u32 v68, v71, 2, v65
	s_barrier
	ds_write_b32 v68, v15
	s_waitcnt lgkmcnt(0)
	s_barrier
	ds_read_b32 v70, v65 offset:212
	s_cmp_lt_i32 s22, 55
	v_mov_b32_e32 v68, 53
	s_cbranch_scc1 .LBB118_899
; %bb.897:
	v_add_u32_e32 v72, 0xd8, v65
	v_mov_b32_e32 v68, 53
	s_mov_b32 s0, 54
.LBB118_898:                            ; =>This Inner Loop Header: Depth=1
	ds_read_b32 v73, v72
	v_mov_b32_e32 v74, s0
	s_add_i32 s0, s0, 1
	v_add_u32_e32 v72, 4, v72
	s_cmp_lg_u32 s22, s0
	s_waitcnt lgkmcnt(0)
	v_cmp_lt_f32_e64 vcc, |v70|, |v73|
	s_nop 1
	v_cndmask_b32_e32 v70, v70, v73, vcc
	v_cndmask_b32_e32 v68, v68, v74, vcc
	s_cbranch_scc1 .LBB118_898
.LBB118_899:
	s_waitcnt lgkmcnt(0)
	v_cmp_eq_f32_e32 vcc, 0, v70
	s_and_saveexec_b64 s[0:1], vcc
	s_xor_b64 s[0:1], exec, s[0:1]
; %bb.900:
	v_cmp_ne_u32_e32 vcc, 0, v67
	s_nop 1
	v_cndmask_b32_e32 v67, 54, v67, vcc
; %bb.901:
	s_andn2_saveexec_b64 s[0:1], s[0:1]
	s_cbranch_execz .LBB118_903
; %bb.902:
	v_div_scale_f32 v72, s[2:3], v70, v70, 1.0
	v_rcp_f32_e32 v73, v72
	v_div_scale_f32 v74, vcc, 1.0, v70, 1.0
	v_fma_f32 v75, -v72, v73, 1.0
	v_fmac_f32_e32 v73, v75, v73
	v_mul_f32_e32 v75, v74, v73
	v_fma_f32 v76, -v72, v75, v74
	v_fmac_f32_e32 v75, v76, v73
	v_fma_f32 v72, -v72, v75, v74
	v_div_fmas_f32 v72, v72, v73, v75
	v_div_fixup_f32 v70, v72, v70, 1.0
.LBB118_903:
	s_or_b64 exec, exec, s[0:1]
	v_cmp_ne_u32_e32 vcc, v71, v68
	s_and_saveexec_b64 s[0:1], vcc
	s_xor_b64 s[0:1], exec, s[0:1]
	s_cbranch_execz .LBB118_909
; %bb.904:
	v_cmp_eq_u32_e32 vcc, 53, v71
	s_and_saveexec_b64 s[2:3], vcc
	s_cbranch_execz .LBB118_908
; %bb.905:
	v_cmp_ne_u32_e32 vcc, 53, v68
	s_xor_b64 s[12:13], s[20:21], -1
	s_and_b64 s[14:15], s[12:13], vcc
	s_and_saveexec_b64 s[12:13], s[14:15]
	s_cbranch_execz .LBB118_907
; %bb.906:
	v_ashrrev_i32_e32 v69, 31, v68
	v_lshl_add_u64 v[72:73], v[68:69], 2, v[4:5]
	global_load_dword v69, v[72:73], off
	global_load_dword v71, v[4:5], off offset:212
	s_waitcnt vmcnt(1)
	global_store_dword v[4:5], v69, off offset:212
	s_waitcnt vmcnt(1)
	global_store_dword v[72:73], v71, off
.LBB118_907:
	s_or_b64 exec, exec, s[12:13]
	v_mov_b32_e32 v69, v68
	v_mov_b32_e32 v71, v68
.LBB118_908:
	s_or_b64 exec, exec, s[2:3]
.LBB118_909:
	s_andn2_saveexec_b64 s[0:1], s[0:1]
	s_cbranch_execz .LBB118_911
; %bb.910:
	v_mov_b32_e32 v71, 53
	ds_write2_b32 v65, v0, v1 offset0:54 offset1:55
	ds_write2_b32 v65, v12, v13 offset0:56 offset1:57
	;; [unrolled: 1-line block ×3, first 2 shown]
.LBB118_911:
	s_or_b64 exec, exec, s[0:1]
	v_cmp_lt_i32_e32 vcc, 53, v71
	s_waitcnt lgkmcnt(0)
	s_barrier
	s_and_saveexec_b64 s[0:1], vcc
	s_cbranch_execz .LBB118_913
; %bb.912:
	ds_read2_b32 v[72:73], v65 offset0:54 offset1:55
	ds_read2_b32 v[74:75], v65 offset0:56 offset1:57
	;; [unrolled: 1-line block ×3, first 2 shown]
	v_mul_f32_e32 v68, v70, v15
	v_mov_b32_e32 v15, v68
	s_waitcnt lgkmcnt(2)
	v_pk_fma_f32 v[0:1], v[68:69], v[72:73], v[0:1] op_sel_hi:[0,1,1] neg_lo:[1,0,0] neg_hi:[1,0,0]
	s_waitcnt lgkmcnt(1)
	v_pk_fma_f32 v[12:13], v[68:69], v[74:75], v[12:13] op_sel_hi:[0,1,1] neg_lo:[1,0,0] neg_hi:[1,0,0]
	;; [unrolled: 2-line block ×3, first 2 shown]
.LBB118_913:
	s_or_b64 exec, exec, s[0:1]
	v_lshl_add_u32 v68, v71, 2, v65
	s_barrier
	ds_write_b32 v68, v0
	s_waitcnt lgkmcnt(0)
	s_barrier
	ds_read_b32 v70, v65 offset:216
	s_cmp_lt_i32 s22, 56
	v_mov_b32_e32 v68, 54
	s_cbranch_scc1 .LBB118_916
; %bb.914:
	v_add_u32_e32 v72, 0xdc, v65
	v_mov_b32_e32 v68, 54
	s_mov_b32 s0, 55
.LBB118_915:                            ; =>This Inner Loop Header: Depth=1
	ds_read_b32 v73, v72
	v_mov_b32_e32 v74, s0
	s_add_i32 s0, s0, 1
	v_add_u32_e32 v72, 4, v72
	s_cmp_lg_u32 s22, s0
	s_waitcnt lgkmcnt(0)
	v_cmp_lt_f32_e64 vcc, |v70|, |v73|
	s_nop 1
	v_cndmask_b32_e32 v70, v70, v73, vcc
	v_cndmask_b32_e32 v68, v68, v74, vcc
	s_cbranch_scc1 .LBB118_915
.LBB118_916:
	s_waitcnt lgkmcnt(0)
	v_cmp_eq_f32_e32 vcc, 0, v70
	s_and_saveexec_b64 s[0:1], vcc
	s_xor_b64 s[0:1], exec, s[0:1]
; %bb.917:
	v_cmp_ne_u32_e32 vcc, 0, v67
	s_nop 1
	v_cndmask_b32_e32 v67, 55, v67, vcc
; %bb.918:
	s_andn2_saveexec_b64 s[0:1], s[0:1]
	s_cbranch_execz .LBB118_920
; %bb.919:
	v_div_scale_f32 v72, s[2:3], v70, v70, 1.0
	v_rcp_f32_e32 v73, v72
	v_div_scale_f32 v74, vcc, 1.0, v70, 1.0
	v_fma_f32 v75, -v72, v73, 1.0
	v_fmac_f32_e32 v73, v75, v73
	v_mul_f32_e32 v75, v74, v73
	v_fma_f32 v76, -v72, v75, v74
	v_fmac_f32_e32 v75, v76, v73
	v_fma_f32 v72, -v72, v75, v74
	v_div_fmas_f32 v72, v72, v73, v75
	v_div_fixup_f32 v70, v72, v70, 1.0
.LBB118_920:
	s_or_b64 exec, exec, s[0:1]
	v_cmp_ne_u32_e32 vcc, v71, v68
	s_and_saveexec_b64 s[0:1], vcc
	s_xor_b64 s[0:1], exec, s[0:1]
	s_cbranch_execz .LBB118_926
; %bb.921:
	v_cmp_eq_u32_e32 vcc, 54, v71
	s_and_saveexec_b64 s[2:3], vcc
	s_cbranch_execz .LBB118_925
; %bb.922:
	v_cmp_ne_u32_e32 vcc, 54, v68
	s_xor_b64 s[12:13], s[20:21], -1
	s_and_b64 s[14:15], s[12:13], vcc
	s_and_saveexec_b64 s[12:13], s[14:15]
	s_cbranch_execz .LBB118_924
; %bb.923:
	v_ashrrev_i32_e32 v69, 31, v68
	v_lshl_add_u64 v[72:73], v[68:69], 2, v[4:5]
	global_load_dword v69, v[72:73], off
	global_load_dword v71, v[4:5], off offset:216
	s_waitcnt vmcnt(1)
	global_store_dword v[4:5], v69, off offset:216
	s_waitcnt vmcnt(1)
	global_store_dword v[72:73], v71, off
.LBB118_924:
	s_or_b64 exec, exec, s[12:13]
	v_mov_b32_e32 v69, v68
	v_mov_b32_e32 v71, v68
.LBB118_925:
	s_or_b64 exec, exec, s[2:3]
.LBB118_926:
	s_andn2_saveexec_b64 s[0:1], s[0:1]
	s_cbranch_execz .LBB118_928
; %bb.927:
	v_pk_mov_b32 v[72:73], v[0:1], v[12:13] op_sel:[1,0]
	ds_write2_b32 v65, v72, v73 offset0:55 offset1:56
	v_pk_mov_b32 v[72:73], v[12:13], v[8:9] op_sel:[1,0]
	v_mov_b32_e32 v71, 54
	ds_write2_b32 v65, v72, v73 offset0:57 offset1:58
	ds_write_b32 v65, v9 offset:236
.LBB118_928:
	s_or_b64 exec, exec, s[0:1]
	v_cmp_lt_i32_e32 vcc, 54, v71
	s_waitcnt lgkmcnt(0)
	s_barrier
	s_and_saveexec_b64 s[0:1], vcc
	s_cbranch_execz .LBB118_930
; %bb.929:
	ds_read_b32 v68, v65 offset:220
	ds_read2_b32 v[72:73], v65 offset0:56 offset1:57
	ds_read2_b32 v[74:75], v65 offset0:58 offset1:59
	v_mul_f32_e32 v0, v70, v0
	s_waitcnt lgkmcnt(2)
	v_fma_f32 v1, -v0, v68, v1
	s_waitcnt lgkmcnt(1)
	v_pk_fma_f32 v[12:13], v[0:1], v[72:73], v[12:13] op_sel_hi:[0,1,1] neg_lo:[1,0,0] neg_hi:[1,0,0]
	s_waitcnt lgkmcnt(0)
	v_pk_fma_f32 v[8:9], v[0:1], v[74:75], v[8:9] op_sel_hi:[0,1,1] neg_lo:[1,0,0] neg_hi:[1,0,0]
.LBB118_930:
	s_or_b64 exec, exec, s[0:1]
	v_lshl_add_u32 v68, v71, 2, v65
	s_barrier
	ds_write_b32 v68, v1
	s_waitcnt lgkmcnt(0)
	s_barrier
	ds_read_b32 v70, v65 offset:220
	s_cmp_lt_i32 s22, 57
	v_mov_b32_e32 v68, 55
	s_cbranch_scc1 .LBB118_933
; %bb.931:
	v_add_u32_e32 v72, 0xe0, v65
	v_mov_b32_e32 v68, 55
	s_mov_b32 s0, 56
.LBB118_932:                            ; =>This Inner Loop Header: Depth=1
	ds_read_b32 v73, v72
	v_mov_b32_e32 v74, s0
	s_add_i32 s0, s0, 1
	v_add_u32_e32 v72, 4, v72
	s_cmp_lg_u32 s22, s0
	s_waitcnt lgkmcnt(0)
	v_cmp_lt_f32_e64 vcc, |v70|, |v73|
	s_nop 1
	v_cndmask_b32_e32 v70, v70, v73, vcc
	v_cndmask_b32_e32 v68, v68, v74, vcc
	s_cbranch_scc1 .LBB118_932
.LBB118_933:
	s_waitcnt lgkmcnt(0)
	v_cmp_eq_f32_e32 vcc, 0, v70
	s_and_saveexec_b64 s[0:1], vcc
	s_xor_b64 s[0:1], exec, s[0:1]
; %bb.934:
	v_cmp_ne_u32_e32 vcc, 0, v67
	s_nop 1
	v_cndmask_b32_e32 v67, 56, v67, vcc
; %bb.935:
	s_andn2_saveexec_b64 s[0:1], s[0:1]
	s_cbranch_execz .LBB118_937
; %bb.936:
	v_div_scale_f32 v72, s[2:3], v70, v70, 1.0
	v_rcp_f32_e32 v73, v72
	v_div_scale_f32 v74, vcc, 1.0, v70, 1.0
	v_fma_f32 v75, -v72, v73, 1.0
	v_fmac_f32_e32 v73, v75, v73
	v_mul_f32_e32 v75, v74, v73
	v_fma_f32 v76, -v72, v75, v74
	v_fmac_f32_e32 v75, v76, v73
	v_fma_f32 v72, -v72, v75, v74
	v_div_fmas_f32 v72, v72, v73, v75
	v_div_fixup_f32 v70, v72, v70, 1.0
.LBB118_937:
	s_or_b64 exec, exec, s[0:1]
	v_cmp_ne_u32_e32 vcc, v71, v68
	s_and_saveexec_b64 s[0:1], vcc
	s_xor_b64 s[0:1], exec, s[0:1]
	s_cbranch_execz .LBB118_943
; %bb.938:
	v_cmp_eq_u32_e32 vcc, 55, v71
	s_and_saveexec_b64 s[2:3], vcc
	s_cbranch_execz .LBB118_942
; %bb.939:
	v_cmp_ne_u32_e32 vcc, 55, v68
	s_xor_b64 s[12:13], s[20:21], -1
	s_and_b64 s[14:15], s[12:13], vcc
	s_and_saveexec_b64 s[12:13], s[14:15]
	s_cbranch_execz .LBB118_941
; %bb.940:
	v_ashrrev_i32_e32 v69, 31, v68
	v_lshl_add_u64 v[72:73], v[68:69], 2, v[4:5]
	global_load_dword v69, v[72:73], off
	global_load_dword v71, v[4:5], off offset:220
	s_waitcnt vmcnt(1)
	global_store_dword v[4:5], v69, off offset:220
	s_waitcnt vmcnt(1)
	global_store_dword v[72:73], v71, off
.LBB118_941:
	s_or_b64 exec, exec, s[12:13]
	v_mov_b32_e32 v69, v68
	v_mov_b32_e32 v71, v68
.LBB118_942:
	s_or_b64 exec, exec, s[2:3]
.LBB118_943:
	s_andn2_saveexec_b64 s[0:1], s[0:1]
	s_cbranch_execz .LBB118_945
; %bb.944:
	v_mov_b32_e32 v71, 55
	ds_write2_b32 v65, v12, v13 offset0:56 offset1:57
	ds_write2_b32 v65, v8, v9 offset0:58 offset1:59
.LBB118_945:
	s_or_b64 exec, exec, s[0:1]
	v_cmp_lt_i32_e32 vcc, 55, v71
	s_waitcnt lgkmcnt(0)
	s_barrier
	s_and_saveexec_b64 s[0:1], vcc
	s_cbranch_execz .LBB118_947
; %bb.946:
	ds_read2_b32 v[72:73], v65 offset0:56 offset1:57
	ds_read2_b32 v[74:75], v65 offset0:58 offset1:59
	v_mul_f32_e32 v68, v70, v1
	v_mov_b32_e32 v1, v68
	s_waitcnt lgkmcnt(1)
	v_pk_fma_f32 v[12:13], v[68:69], v[72:73], v[12:13] op_sel_hi:[0,1,1] neg_lo:[1,0,0] neg_hi:[1,0,0]
	s_waitcnt lgkmcnt(0)
	v_pk_fma_f32 v[8:9], v[68:69], v[74:75], v[8:9] op_sel_hi:[0,1,1] neg_lo:[1,0,0] neg_hi:[1,0,0]
.LBB118_947:
	s_or_b64 exec, exec, s[0:1]
	v_lshl_add_u32 v68, v71, 2, v65
	s_barrier
	ds_write_b32 v68, v12
	s_waitcnt lgkmcnt(0)
	s_barrier
	ds_read_b32 v70, v65 offset:224
	s_cmp_lt_i32 s22, 58
	v_mov_b32_e32 v68, 56
	s_cbranch_scc1 .LBB118_950
; %bb.948:
	v_add_u32_e32 v72, 0xe4, v65
	v_mov_b32_e32 v68, 56
	s_mov_b32 s0, 57
.LBB118_949:                            ; =>This Inner Loop Header: Depth=1
	ds_read_b32 v73, v72
	v_mov_b32_e32 v74, s0
	s_add_i32 s0, s0, 1
	v_add_u32_e32 v72, 4, v72
	s_cmp_lg_u32 s22, s0
	s_waitcnt lgkmcnt(0)
	v_cmp_lt_f32_e64 vcc, |v70|, |v73|
	s_nop 1
	v_cndmask_b32_e32 v70, v70, v73, vcc
	v_cndmask_b32_e32 v68, v68, v74, vcc
	s_cbranch_scc1 .LBB118_949
.LBB118_950:
	s_waitcnt lgkmcnt(0)
	v_cmp_eq_f32_e32 vcc, 0, v70
	s_and_saveexec_b64 s[0:1], vcc
	s_xor_b64 s[0:1], exec, s[0:1]
; %bb.951:
	v_cmp_ne_u32_e32 vcc, 0, v67
	s_nop 1
	v_cndmask_b32_e32 v67, 57, v67, vcc
; %bb.952:
	s_andn2_saveexec_b64 s[0:1], s[0:1]
	s_cbranch_execz .LBB118_954
; %bb.953:
	v_div_scale_f32 v72, s[2:3], v70, v70, 1.0
	v_rcp_f32_e32 v73, v72
	v_div_scale_f32 v74, vcc, 1.0, v70, 1.0
	v_fma_f32 v75, -v72, v73, 1.0
	v_fmac_f32_e32 v73, v75, v73
	v_mul_f32_e32 v75, v74, v73
	v_fma_f32 v76, -v72, v75, v74
	v_fmac_f32_e32 v75, v76, v73
	v_fma_f32 v72, -v72, v75, v74
	v_div_fmas_f32 v72, v72, v73, v75
	v_div_fixup_f32 v70, v72, v70, 1.0
.LBB118_954:
	s_or_b64 exec, exec, s[0:1]
	v_cmp_ne_u32_e32 vcc, v71, v68
	s_and_saveexec_b64 s[0:1], vcc
	s_xor_b64 s[0:1], exec, s[0:1]
	s_cbranch_execz .LBB118_960
; %bb.955:
	v_cmp_eq_u32_e32 vcc, 56, v71
	s_and_saveexec_b64 s[2:3], vcc
	s_cbranch_execz .LBB118_959
; %bb.956:
	v_cmp_ne_u32_e32 vcc, 56, v68
	s_xor_b64 s[12:13], s[20:21], -1
	s_and_b64 s[14:15], s[12:13], vcc
	s_and_saveexec_b64 s[12:13], s[14:15]
	s_cbranch_execz .LBB118_958
; %bb.957:
	v_ashrrev_i32_e32 v69, 31, v68
	v_lshl_add_u64 v[72:73], v[68:69], 2, v[4:5]
	global_load_dword v69, v[72:73], off
	global_load_dword v71, v[4:5], off offset:224
	s_waitcnt vmcnt(1)
	global_store_dword v[4:5], v69, off offset:224
	s_waitcnt vmcnt(1)
	global_store_dword v[72:73], v71, off
.LBB118_958:
	s_or_b64 exec, exec, s[12:13]
	v_mov_b32_e32 v69, v68
	v_mov_b32_e32 v71, v68
.LBB118_959:
	s_or_b64 exec, exec, s[2:3]
.LBB118_960:
	s_andn2_saveexec_b64 s[0:1], s[0:1]
	s_cbranch_execz .LBB118_962
; %bb.961:
	v_pk_mov_b32 v[72:73], v[12:13], v[8:9] op_sel:[1,0]
	v_mov_b32_e32 v71, 56
	ds_write2_b32 v65, v72, v73 offset0:57 offset1:58
	ds_write_b32 v65, v9 offset:236
.LBB118_962:
	s_or_b64 exec, exec, s[0:1]
	v_cmp_lt_i32_e32 vcc, 56, v71
	s_waitcnt lgkmcnt(0)
	s_barrier
	s_and_saveexec_b64 s[0:1], vcc
	s_cbranch_execz .LBB118_964
; %bb.963:
	ds_read_b32 v68, v65 offset:228
	ds_read2_b32 v[72:73], v65 offset0:58 offset1:59
	v_mul_f32_e32 v12, v70, v12
	s_waitcnt lgkmcnt(1)
	v_fma_f32 v13, -v12, v68, v13
	s_waitcnt lgkmcnt(0)
	v_pk_fma_f32 v[8:9], v[12:13], v[72:73], v[8:9] op_sel_hi:[0,1,1] neg_lo:[1,0,0] neg_hi:[1,0,0]
.LBB118_964:
	s_or_b64 exec, exec, s[0:1]
	v_lshl_add_u32 v68, v71, 2, v65
	s_barrier
	ds_write_b32 v68, v13
	s_waitcnt lgkmcnt(0)
	s_barrier
	ds_read_b32 v70, v65 offset:228
	s_cmp_lt_i32 s22, 59
	v_mov_b32_e32 v68, 57
	s_cbranch_scc1 .LBB118_967
; %bb.965:
	v_add_u32_e32 v72, 0xe8, v65
	v_mov_b32_e32 v68, 57
	s_mov_b32 s0, 58
.LBB118_966:                            ; =>This Inner Loop Header: Depth=1
	ds_read_b32 v73, v72
	v_mov_b32_e32 v74, s0
	s_add_i32 s0, s0, 1
	v_add_u32_e32 v72, 4, v72
	s_cmp_lg_u32 s22, s0
	s_waitcnt lgkmcnt(0)
	v_cmp_lt_f32_e64 vcc, |v70|, |v73|
	s_nop 1
	v_cndmask_b32_e32 v70, v70, v73, vcc
	v_cndmask_b32_e32 v68, v68, v74, vcc
	s_cbranch_scc1 .LBB118_966
.LBB118_967:
	s_waitcnt lgkmcnt(0)
	v_cmp_eq_f32_e32 vcc, 0, v70
	s_and_saveexec_b64 s[0:1], vcc
	s_xor_b64 s[0:1], exec, s[0:1]
; %bb.968:
	v_cmp_ne_u32_e32 vcc, 0, v67
	s_nop 1
	v_cndmask_b32_e32 v67, 58, v67, vcc
; %bb.969:
	s_andn2_saveexec_b64 s[0:1], s[0:1]
	s_cbranch_execz .LBB118_971
; %bb.970:
	v_div_scale_f32 v72, s[2:3], v70, v70, 1.0
	v_rcp_f32_e32 v73, v72
	v_div_scale_f32 v74, vcc, 1.0, v70, 1.0
	v_fma_f32 v75, -v72, v73, 1.0
	v_fmac_f32_e32 v73, v75, v73
	v_mul_f32_e32 v75, v74, v73
	v_fma_f32 v76, -v72, v75, v74
	v_fmac_f32_e32 v75, v76, v73
	v_fma_f32 v72, -v72, v75, v74
	v_div_fmas_f32 v72, v72, v73, v75
	v_div_fixup_f32 v70, v72, v70, 1.0
.LBB118_971:
	s_or_b64 exec, exec, s[0:1]
	v_cmp_ne_u32_e32 vcc, v71, v68
	s_and_saveexec_b64 s[0:1], vcc
	s_xor_b64 s[0:1], exec, s[0:1]
	s_cbranch_execz .LBB118_977
; %bb.972:
	v_cmp_eq_u32_e32 vcc, 57, v71
	s_and_saveexec_b64 s[2:3], vcc
	s_cbranch_execz .LBB118_976
; %bb.973:
	v_cmp_ne_u32_e32 vcc, 57, v68
	s_xor_b64 s[12:13], s[20:21], -1
	s_and_b64 s[14:15], s[12:13], vcc
	s_and_saveexec_b64 s[12:13], s[14:15]
	s_cbranch_execz .LBB118_975
; %bb.974:
	v_ashrrev_i32_e32 v69, 31, v68
	v_lshl_add_u64 v[72:73], v[68:69], 2, v[4:5]
	global_load_dword v69, v[72:73], off
	global_load_dword v71, v[4:5], off offset:228
	s_waitcnt vmcnt(1)
	global_store_dword v[4:5], v69, off offset:228
	s_waitcnt vmcnt(1)
	global_store_dword v[72:73], v71, off
.LBB118_975:
	s_or_b64 exec, exec, s[12:13]
	v_mov_b32_e32 v69, v68
	v_mov_b32_e32 v71, v68
.LBB118_976:
	s_or_b64 exec, exec, s[2:3]
.LBB118_977:
	s_andn2_saveexec_b64 s[0:1], s[0:1]
; %bb.978:
	v_mov_b32_e32 v71, 57
	ds_write2_b32 v65, v8, v9 offset0:58 offset1:59
; %bb.979:
	s_or_b64 exec, exec, s[0:1]
	v_cmp_lt_i32_e32 vcc, 57, v71
	s_waitcnt lgkmcnt(0)
	s_barrier
	s_and_saveexec_b64 s[0:1], vcc
	s_cbranch_execz .LBB118_981
; %bb.980:
	ds_read2_b32 v[72:73], v65 offset0:58 offset1:59
	v_mul_f32_e32 v68, v70, v13
	v_mov_b32_e32 v13, v68
	s_waitcnt lgkmcnt(0)
	v_pk_fma_f32 v[8:9], v[68:69], v[72:73], v[8:9] op_sel_hi:[0,1,1] neg_lo:[1,0,0] neg_hi:[1,0,0]
.LBB118_981:
	s_or_b64 exec, exec, s[0:1]
	v_lshl_add_u32 v68, v71, 2, v65
	s_barrier
	ds_write_b32 v68, v8
	s_waitcnt lgkmcnt(0)
	s_barrier
	ds_read_b32 v70, v65 offset:232
	s_cmp_lt_i32 s22, 60
	v_mov_b32_e32 v68, 58
	s_cbranch_scc1 .LBB118_984
; %bb.982:
	v_add_u32_e32 v72, 0xec, v65
	v_mov_b32_e32 v68, 58
	s_mov_b32 s0, 59
.LBB118_983:                            ; =>This Inner Loop Header: Depth=1
	ds_read_b32 v73, v72
	v_mov_b32_e32 v74, s0
	s_add_i32 s0, s0, 1
	v_add_u32_e32 v72, 4, v72
	s_cmp_lg_u32 s22, s0
	s_waitcnt lgkmcnt(0)
	v_cmp_lt_f32_e64 vcc, |v70|, |v73|
	s_nop 1
	v_cndmask_b32_e32 v70, v70, v73, vcc
	v_cndmask_b32_e32 v68, v68, v74, vcc
	s_cbranch_scc1 .LBB118_983
.LBB118_984:
	s_waitcnt lgkmcnt(0)
	v_cmp_eq_f32_e32 vcc, 0, v70
	s_and_saveexec_b64 s[0:1], vcc
	s_xor_b64 s[0:1], exec, s[0:1]
; %bb.985:
	v_cmp_ne_u32_e32 vcc, 0, v67
	s_nop 1
	v_cndmask_b32_e32 v67, 59, v67, vcc
; %bb.986:
	s_andn2_saveexec_b64 s[0:1], s[0:1]
	s_cbranch_execz .LBB118_988
; %bb.987:
	v_div_scale_f32 v72, s[2:3], v70, v70, 1.0
	v_rcp_f32_e32 v73, v72
	v_div_scale_f32 v74, vcc, 1.0, v70, 1.0
	v_fma_f32 v75, -v72, v73, 1.0
	v_fmac_f32_e32 v73, v75, v73
	v_mul_f32_e32 v75, v74, v73
	v_fma_f32 v76, -v72, v75, v74
	v_fmac_f32_e32 v75, v76, v73
	v_fma_f32 v72, -v72, v75, v74
	v_div_fmas_f32 v72, v72, v73, v75
	v_div_fixup_f32 v70, v72, v70, 1.0
.LBB118_988:
	s_or_b64 exec, exec, s[0:1]
	v_cmp_ne_u32_e32 vcc, v71, v68
	s_and_saveexec_b64 s[0:1], vcc
	s_xor_b64 s[0:1], exec, s[0:1]
	s_cbranch_execz .LBB118_994
; %bb.989:
	v_cmp_eq_u32_e32 vcc, 58, v71
	s_and_saveexec_b64 s[2:3], vcc
	s_cbranch_execz .LBB118_993
; %bb.990:
	v_cmp_ne_u32_e32 vcc, 58, v68
	s_xor_b64 s[12:13], s[20:21], -1
	s_and_b64 s[14:15], s[12:13], vcc
	s_and_saveexec_b64 s[12:13], s[14:15]
	s_cbranch_execz .LBB118_992
; %bb.991:
	v_ashrrev_i32_e32 v69, 31, v68
	v_lshl_add_u64 v[72:73], v[68:69], 2, v[4:5]
	global_load_dword v69, v[72:73], off
	global_load_dword v71, v[4:5], off offset:232
	s_waitcnt vmcnt(1)
	global_store_dword v[4:5], v69, off offset:232
	s_waitcnt vmcnt(1)
	global_store_dword v[72:73], v71, off
.LBB118_992:
	s_or_b64 exec, exec, s[12:13]
	v_mov_b32_e32 v69, v68
	v_mov_b32_e32 v71, v68
.LBB118_993:
	s_or_b64 exec, exec, s[2:3]
.LBB118_994:
	s_andn2_saveexec_b64 s[0:1], s[0:1]
; %bb.995:
	v_mov_b32_e32 v71, 58
	ds_write_b32 v65, v9 offset:236
; %bb.996:
	s_or_b64 exec, exec, s[0:1]
	v_cmp_lt_i32_e32 vcc, 58, v71
	s_waitcnt lgkmcnt(0)
	s_barrier
	s_and_saveexec_b64 s[0:1], vcc
	s_cbranch_execz .LBB118_998
; %bb.997:
	ds_read_b32 v68, v65 offset:236
	v_mul_f32_e32 v8, v70, v8
	s_waitcnt lgkmcnt(0)
	v_fma_f32 v9, -v8, v68, v9
.LBB118_998:
	s_or_b64 exec, exec, s[0:1]
	v_lshl_add_u32 v68, v71, 2, v65
	s_barrier
	ds_write_b32 v68, v9
	s_waitcnt lgkmcnt(0)
	s_barrier
	ds_read_b32 v72, v65 offset:236
	s_cmp_lt_i32 s22, 61
	v_mov_b32_e32 v68, 59
	s_cbranch_scc1 .LBB118_1001
; %bb.999:
	v_add_u32_e32 v65, 0xf0, v65
	v_mov_b32_e32 v68, 59
	s_mov_b32 s0, 60
.LBB118_1000:                           ; =>This Inner Loop Header: Depth=1
	ds_read_b32 v70, v65
	v_mov_b32_e32 v73, s0
	s_add_i32 s0, s0, 1
	v_add_u32_e32 v65, 4, v65
	s_cmp_lg_u32 s22, s0
	s_waitcnt lgkmcnt(0)
	v_cmp_lt_f32_e64 vcc, |v72|, |v70|
	s_nop 1
	v_cndmask_b32_e32 v72, v72, v70, vcc
	v_cndmask_b32_e32 v68, v68, v73, vcc
	s_cbranch_scc1 .LBB118_1000
.LBB118_1001:
	s_waitcnt lgkmcnt(0)
	v_cmp_eq_f32_e32 vcc, 0, v72
	s_and_saveexec_b64 s[0:1], vcc
	s_xor_b64 s[0:1], exec, s[0:1]
; %bb.1002:
	v_cmp_ne_u32_e32 vcc, 0, v67
	s_nop 1
	v_cndmask_b32_e32 v67, 60, v67, vcc
; %bb.1003:
	s_andn2_saveexec_b64 s[0:1], s[0:1]
	s_cbranch_execz .LBB118_1005
; %bb.1004:
	v_div_scale_f32 v65, s[2:3], v72, v72, 1.0
	v_rcp_f32_e32 v70, v65
	v_div_scale_f32 v73, vcc, 1.0, v72, 1.0
	v_fma_f32 v74, -v65, v70, 1.0
	v_fmac_f32_e32 v70, v74, v70
	v_mul_f32_e32 v74, v73, v70
	v_fma_f32 v75, -v65, v74, v73
	v_fmac_f32_e32 v74, v75, v70
	v_fma_f32 v65, -v65, v74, v73
	v_div_fmas_f32 v65, v65, v70, v74
	v_div_fixup_f32 v72, v65, v72, 1.0
.LBB118_1005:
	s_or_b64 exec, exec, s[0:1]
	v_cmp_ne_u32_e32 vcc, v71, v68
	v_mov_b32_e32 v70, 59
	s_and_saveexec_b64 s[0:1], vcc
	s_cbranch_execz .LBB118_1011
; %bb.1006:
	v_cmp_eq_u32_e32 vcc, 59, v71
	s_and_saveexec_b64 s[2:3], vcc
	s_cbranch_execz .LBB118_1010
; %bb.1007:
	v_cmp_ne_u32_e32 vcc, 59, v68
	s_xor_b64 s[12:13], s[20:21], -1
	s_and_b64 s[14:15], s[12:13], vcc
	s_and_saveexec_b64 s[12:13], s[14:15]
	s_cbranch_execz .LBB118_1009
; %bb.1008:
	v_ashrrev_i32_e32 v69, 31, v68
	v_lshl_add_u64 v[70:71], v[68:69], 2, v[4:5]
	global_load_dword v65, v[70:71], off
	global_load_dword v69, v[4:5], off offset:236
	s_waitcnt vmcnt(1)
	global_store_dword v[4:5], v65, off offset:236
	s_waitcnt vmcnt(1)
	global_store_dword v[70:71], v69, off
.LBB118_1009:
	s_or_b64 exec, exec, s[12:13]
	v_mov_b32_e32 v69, v68
	v_mov_b32_e32 v71, v68
.LBB118_1010:
	s_or_b64 exec, exec, s[2:3]
	v_mov_b32_e32 v70, v71
.LBB118_1011:
	s_or_b64 exec, exec, s[0:1]
	v_cmp_gt_i32_e32 vcc, 60, v70
	v_ashrrev_i32_e32 v71, 31, v70
	s_barrier
	s_barrier
	s_and_saveexec_b64 s[0:1], vcc
	s_cbranch_execz .LBB118_1013
; %bb.1012:
	v_mul_lo_u32 v65, s11, v2
	v_mul_lo_u32 v68, s10, v3
	v_mad_u64_u32 v[74:75], s[2:3], s10, v2, 0
	v_mov_b32_e32 v4, s6
	v_mov_b32_e32 v5, s7
	v_add3_u32 v75, v75, v68, v65
	v_lshl_add_u64 v[4:5], v[74:75], 2, v[4:5]
	v_lshl_add_u64 v[4:5], s[8:9], 2, v[4:5]
	;; [unrolled: 1-line block ×3, first 2 shown]
	v_add3_u32 v65, v69, s19, 1
	global_store_dword v[4:5], v65, off
.LBB118_1013:
	s_or_b64 exec, exec, s[0:1]
	v_cmp_eq_u32_e32 vcc, 0, v70
	s_and_saveexec_b64 s[2:3], vcc
	s_cbranch_execz .LBB118_1016
; %bb.1014:
	v_mov_b32_e32 v4, s4
	v_mov_b32_e32 v5, s5
	v_lshl_add_u64 v[2:3], v[2:3], 2, v[4:5]
	global_load_dword v4, v[2:3], off
	v_cmp_ne_u32_e64 s[0:1], 0, v67
	s_waitcnt vmcnt(0)
	v_cmp_eq_u32_e32 vcc, 0, v4
	s_and_b64 s[0:1], vcc, s[0:1]
	s_and_b64 exec, exec, s[0:1]
	s_cbranch_execz .LBB118_1016
; %bb.1015:
	v_add_u32_e32 v4, s19, v67
	global_store_dword v[2:3], v4, off
.LBB118_1016:
	s_or_b64 exec, exec, s[2:3]
	v_mul_f32_e32 v2, v72, v9
	v_cmp_lt_i32_e32 vcc, 59, v70
	s_nop 1
	v_cndmask_b32_e32 v9, v9, v2, vcc
	v_lshl_add_u64 v[2:3], v[70:71], 2, v[6:7]
	global_store_dword v[2:3], v64, off
	v_lshl_add_u64 v[2:3], s[16:17], 2, v[2:3]
	global_store_dword v[2:3], v66, off
	v_add_u32_e32 v2, s18, v70
	v_ashrrev_i32_e32 v3, 31, v2
	v_lshl_add_u64 v[4:5], v[2:3], 2, v[6:7]
	v_add_u32_e32 v2, s16, v2
	v_ashrrev_i32_e32 v3, 31, v2
	global_store_dword v[4:5], v62, off
	v_lshl_add_u64 v[4:5], v[2:3], 2, v[6:7]
	v_add_u32_e32 v2, s16, v2
	v_ashrrev_i32_e32 v3, 31, v2
	global_store_dword v[4:5], v63, off
	;; [unrolled: 4-line block ×53, first 2 shown]
	v_lshl_add_u64 v[4:5], v[2:3], 2, v[6:7]
	v_add_u32_e32 v0, s16, v2
	global_store_dword v[4:5], v1, off
	v_ashrrev_i32_e32 v1, 31, v0
	v_lshl_add_u64 v[2:3], v[0:1], 2, v[6:7]
	v_add_u32_e32 v0, s16, v0
	v_ashrrev_i32_e32 v1, 31, v0
	global_store_dword v[2:3], v12, off
	v_lshl_add_u64 v[2:3], v[0:1], 2, v[6:7]
	v_add_u32_e32 v0, s16, v0
	v_ashrrev_i32_e32 v1, 31, v0
	global_store_dword v[2:3], v13, off
	v_lshl_add_u64 v[2:3], v[0:1], 2, v[6:7]
	v_add_u32_e32 v0, s16, v0
	v_ashrrev_i32_e32 v1, 31, v0
	v_lshl_add_u64 v[0:1], v[0:1], 2, v[6:7]
	global_store_dword v[2:3], v8, off
	global_store_dword v[0:1], v9, off
.LBB118_1017:
	s_endpgm
	.section	.rodata,"a",@progbits
	.p2align	6, 0x0
	.amdhsa_kernel _ZN9rocsolver6v33100L18getf2_small_kernelILi60EfiiPfEEvT1_T3_lS3_lPS3_llPT2_S3_S3_S5_l
		.amdhsa_group_segment_fixed_size 0
		.amdhsa_private_segment_fixed_size 0
		.amdhsa_kernarg_size 352
		.amdhsa_user_sgpr_count 2
		.amdhsa_user_sgpr_dispatch_ptr 0
		.amdhsa_user_sgpr_queue_ptr 0
		.amdhsa_user_sgpr_kernarg_segment_ptr 1
		.amdhsa_user_sgpr_dispatch_id 0
		.amdhsa_user_sgpr_kernarg_preload_length 0
		.amdhsa_user_sgpr_kernarg_preload_offset 0
		.amdhsa_user_sgpr_private_segment_size 0
		.amdhsa_uses_dynamic_stack 0
		.amdhsa_enable_private_segment 0
		.amdhsa_system_sgpr_workgroup_id_x 1
		.amdhsa_system_sgpr_workgroup_id_y 1
		.amdhsa_system_sgpr_workgroup_id_z 0
		.amdhsa_system_sgpr_workgroup_info 0
		.amdhsa_system_vgpr_workitem_id 1
		.amdhsa_next_free_vgpr 86
		.amdhsa_next_free_sgpr 26
		.amdhsa_accum_offset 88
		.amdhsa_reserve_vcc 1
		.amdhsa_float_round_mode_32 0
		.amdhsa_float_round_mode_16_64 0
		.amdhsa_float_denorm_mode_32 3
		.amdhsa_float_denorm_mode_16_64 3
		.amdhsa_dx10_clamp 1
		.amdhsa_ieee_mode 1
		.amdhsa_fp16_overflow 0
		.amdhsa_tg_split 0
		.amdhsa_exception_fp_ieee_invalid_op 0
		.amdhsa_exception_fp_denorm_src 0
		.amdhsa_exception_fp_ieee_div_zero 0
		.amdhsa_exception_fp_ieee_overflow 0
		.amdhsa_exception_fp_ieee_underflow 0
		.amdhsa_exception_fp_ieee_inexact 0
		.amdhsa_exception_int_div_zero 0
	.end_amdhsa_kernel
	.section	.text._ZN9rocsolver6v33100L18getf2_small_kernelILi60EfiiPfEEvT1_T3_lS3_lPS3_llPT2_S3_S3_S5_l,"axG",@progbits,_ZN9rocsolver6v33100L18getf2_small_kernelILi60EfiiPfEEvT1_T3_lS3_lPS3_llPT2_S3_S3_S5_l,comdat
.Lfunc_end118:
	.size	_ZN9rocsolver6v33100L18getf2_small_kernelILi60EfiiPfEEvT1_T3_lS3_lPS3_llPT2_S3_S3_S5_l, .Lfunc_end118-_ZN9rocsolver6v33100L18getf2_small_kernelILi60EfiiPfEEvT1_T3_lS3_lPS3_llPT2_S3_S3_S5_l
                                        ; -- End function
	.set _ZN9rocsolver6v33100L18getf2_small_kernelILi60EfiiPfEEvT1_T3_lS3_lPS3_llPT2_S3_S3_S5_l.num_vgpr, 86
	.set _ZN9rocsolver6v33100L18getf2_small_kernelILi60EfiiPfEEvT1_T3_lS3_lPS3_llPT2_S3_S3_S5_l.num_agpr, 0
	.set _ZN9rocsolver6v33100L18getf2_small_kernelILi60EfiiPfEEvT1_T3_lS3_lPS3_llPT2_S3_S3_S5_l.numbered_sgpr, 26
	.set _ZN9rocsolver6v33100L18getf2_small_kernelILi60EfiiPfEEvT1_T3_lS3_lPS3_llPT2_S3_S3_S5_l.num_named_barrier, 0
	.set _ZN9rocsolver6v33100L18getf2_small_kernelILi60EfiiPfEEvT1_T3_lS3_lPS3_llPT2_S3_S3_S5_l.private_seg_size, 0
	.set _ZN9rocsolver6v33100L18getf2_small_kernelILi60EfiiPfEEvT1_T3_lS3_lPS3_llPT2_S3_S3_S5_l.uses_vcc, 1
	.set _ZN9rocsolver6v33100L18getf2_small_kernelILi60EfiiPfEEvT1_T3_lS3_lPS3_llPT2_S3_S3_S5_l.uses_flat_scratch, 0
	.set _ZN9rocsolver6v33100L18getf2_small_kernelILi60EfiiPfEEvT1_T3_lS3_lPS3_llPT2_S3_S3_S5_l.has_dyn_sized_stack, 0
	.set _ZN9rocsolver6v33100L18getf2_small_kernelILi60EfiiPfEEvT1_T3_lS3_lPS3_llPT2_S3_S3_S5_l.has_recursion, 0
	.set _ZN9rocsolver6v33100L18getf2_small_kernelILi60EfiiPfEEvT1_T3_lS3_lPS3_llPT2_S3_S3_S5_l.has_indirect_call, 0
	.section	.AMDGPU.csdata,"",@progbits
; Kernel info:
; codeLenInByte = 55124
; TotalNumSgprs: 32
; NumVgprs: 86
; NumAgprs: 0
; TotalNumVgprs: 86
; ScratchSize: 0
; MemoryBound: 0
; FloatMode: 240
; IeeeMode: 1
; LDSByteSize: 0 bytes/workgroup (compile time only)
; SGPRBlocks: 3
; VGPRBlocks: 10
; NumSGPRsForWavesPerEU: 32
; NumVGPRsForWavesPerEU: 86
; AccumOffset: 88
; Occupancy: 5
; WaveLimiterHint : 0
; COMPUTE_PGM_RSRC2:SCRATCH_EN: 0
; COMPUTE_PGM_RSRC2:USER_SGPR: 2
; COMPUTE_PGM_RSRC2:TRAP_HANDLER: 0
; COMPUTE_PGM_RSRC2:TGID_X_EN: 1
; COMPUTE_PGM_RSRC2:TGID_Y_EN: 1
; COMPUTE_PGM_RSRC2:TGID_Z_EN: 0
; COMPUTE_PGM_RSRC2:TIDIG_COMP_CNT: 1
; COMPUTE_PGM_RSRC3_GFX90A:ACCUM_OFFSET: 21
; COMPUTE_PGM_RSRC3_GFX90A:TG_SPLIT: 0
	.section	.text._ZN9rocsolver6v33100L23getf2_npvt_small_kernelILi60EfiiPfEEvT1_T3_lS3_lPT2_S3_S3_,"axG",@progbits,_ZN9rocsolver6v33100L23getf2_npvt_small_kernelILi60EfiiPfEEvT1_T3_lS3_lPT2_S3_S3_,comdat
	.globl	_ZN9rocsolver6v33100L23getf2_npvt_small_kernelILi60EfiiPfEEvT1_T3_lS3_lPT2_S3_S3_ ; -- Begin function _ZN9rocsolver6v33100L23getf2_npvt_small_kernelILi60EfiiPfEEvT1_T3_lS3_lPT2_S3_S3_
	.p2align	8
	.type	_ZN9rocsolver6v33100L23getf2_npvt_small_kernelILi60EfiiPfEEvT1_T3_lS3_lPT2_S3_S3_,@function
_ZN9rocsolver6v33100L23getf2_npvt_small_kernelILi60EfiiPfEEvT1_T3_lS3_lPT2_S3_S3_: ; @_ZN9rocsolver6v33100L23getf2_npvt_small_kernelILi60EfiiPfEEvT1_T3_lS3_lPT2_S3_S3_
; %bb.0:
	s_load_dword s2, s[0:1], 0x44
	s_load_dwordx2 s[8:9], s[0:1], 0x30
	v_bfe_u32 v183, v0, 10, 10
	s_waitcnt lgkmcnt(0)
	s_lshr_b32 s10, s2, 16
	s_mul_i32 s3, s3, s10
	v_add_u32_e32 v24, s3, v183
	v_cmp_gt_i32_e32 vcc, s8, v24
	s_and_saveexec_b64 s[2:3], vcc
	s_cbranch_execz .LBB119_331
; %bb.1:
	s_load_dwordx4 s[12:15], s[0:1], 0x8
	s_load_dword s2, s[0:1], 0x18
	s_load_dwordx4 s[4:7], s[0:1], 0x20
	v_ashrrev_i32_e32 v25, 31, v24
	v_and_b32_e32 v181, 0x3ff, v0
	s_waitcnt lgkmcnt(0)
	v_mov_b32_e32 v0, s12
	v_mov_b32_e32 v1, s13
	v_mad_u64_u32 v[2:3], s[0:1], s4, v24, 0
	v_mul_lo_u32 v4, s5, v24
	v_mul_lo_u32 v5, s4, v25
	s_add_i32 s0, s2, s2
	v_add3_u32 v3, v3, v5, v4
	v_add_u32_e32 v4, s0, v181
	v_add_u32_e32 v6, s2, v4
	;; [unrolled: 1-line block ×56, first 2 shown]
	v_lshl_add_u64 v[0:1], v[2:3], 2, v[0:1]
	v_add_u32_e32 v120, s2, v116
	v_lshl_add_u64 v[118:119], s[14:15], 2, v[0:1]
	v_ashrrev_i32_e32 v5, 31, v4
	v_ashrrev_i32_e32 v7, 31, v6
	;; [unrolled: 1-line block ×57, first 2 shown]
	v_lshl_add_u64 v[2:3], v[4:5], 2, v[118:119]
	v_lshl_add_u64 v[4:5], v[6:7], 2, v[118:119]
	;; [unrolled: 1-line block ×57, first 2 shown]
	v_add_u32_e32 v120, s2, v120
	v_lshlrev_b32_e32 v0, 2, v181
	v_mov_b32_e32 v1, 0
	v_ashrrev_i32_e32 v121, 31, v120
	v_lshl_add_u64 v[0:1], v[118:119], 0, v[0:1]
	v_lshl_add_u64 v[118:119], v[120:121], 2, v[118:119]
	global_load_dword v168, v[14:15], off
	global_load_dword v169, v[16:17], off
	;; [unrolled: 1-line block ×52, first 2 shown]
	s_ashr_i32 s3, s2, 31
	v_lshl_add_u64 v[178:179], s[2:3], 2, v[0:1]
	global_load_dword v174, v[2:3], off
	global_load_dword v175, v[4:5], off
	;; [unrolled: 1-line block ×8, first 2 shown]
	s_mulk_i32 s10, 0xf0
	s_movk_i32 s0, 0xf0
	s_add_i32 s1, s10, 0
	v_mad_u32_u24 v185, v183, s0, 0
	v_lshl_add_u32 v183, v183, 2, s1
	v_cmp_ne_u32_e64 s[2:3], 0, v181
	v_cmp_eq_u32_e64 s[0:1], 0, v181
	s_and_saveexec_b64 s[4:5], s[0:1]
	s_cbranch_execz .LBB119_4
; %bb.2:
	s_waitcnt vmcnt(1)
	ds_write_b32 v183, v180
	s_waitcnt vmcnt(0)
	ds_write2_b32 v185, v182, v174 offset0:1 offset1:2
	ds_write2_b32 v185, v175, v176 offset0:3 offset1:4
	;; [unrolled: 1-line block ×29, first 2 shown]
	ds_write_b32 v185, v171 offset:236
	ds_read_b32 v184, v183
	s_waitcnt lgkmcnt(0)
	v_cmp_neq_f32_e32 vcc, 0, v184
	s_and_b64 exec, exec, vcc
	s_cbranch_execz .LBB119_4
; %bb.3:
	v_div_scale_f32 v186, s[10:11], v184, v184, 1.0
	v_rcp_f32_e32 v187, v186
	v_div_scale_f32 v188, vcc, 1.0, v184, 1.0
	v_fma_f32 v189, -v186, v187, 1.0
	v_fmac_f32_e32 v187, v189, v187
	v_mul_f32_e32 v189, v188, v187
	v_fma_f32 v190, -v186, v189, v188
	v_fmac_f32_e32 v189, v190, v187
	v_fma_f32 v186, -v186, v189, v188
	v_div_fmas_f32 v186, v186, v187, v189
	v_div_fixup_f32 v184, v186, v184, 1.0
	ds_write_b32 v183, v184
.LBB119_4:
	s_or_b64 exec, exec, s[4:5]
	s_waitcnt lgkmcnt(0)
	s_barrier
	ds_read_b32 v184, v183
	s_and_saveexec_b64 s[4:5], s[2:3]
	s_cbranch_execz .LBB119_6
; %bb.5:
	ds_read_b32 v194, v185 offset:4
	ds_read2_b64 v[186:189], v185 offset0:1 offset1:2
	s_waitcnt vmcnt(1) lgkmcnt(2)
	v_mul_f32_e32 v180, v184, v180
	ds_read2_b64 v[190:193], v185 offset0:3 offset1:4
	s_waitcnt vmcnt(0) lgkmcnt(2)
	v_fma_f32 v182, -v180, v194, v182
	ds_read2_b64 v[194:197], v185 offset0:5 offset1:6
	s_waitcnt lgkmcnt(2)
	v_pk_fma_f32 v[174:175], v[180:181], v[186:187], v[174:175] op_sel_hi:[0,1,1] neg_lo:[1,0,0] neg_hi:[1,0,0]
	v_pk_fma_f32 v[176:177], v[180:181], v[188:189], v[176:177] op_sel_hi:[0,1,1] neg_lo:[1,0,0] neg_hi:[1,0,0]
	s_waitcnt lgkmcnt(1)
	v_pk_fma_f32 v[172:173], v[180:181], v[190:191], v[172:173] op_sel_hi:[0,1,1] neg_lo:[1,0,0] neg_hi:[1,0,0]
	ds_read2_b64 v[186:189], v185 offset0:7 offset1:8
	v_pk_fma_f32 v[168:169], v[180:181], v[192:193], v[168:169] op_sel_hi:[0,1,1] neg_lo:[1,0,0] neg_hi:[1,0,0]
	s_waitcnt lgkmcnt(1)
	v_pk_fma_f32 v[142:143], v[180:181], v[194:195], v[142:143] op_sel_hi:[0,1,1] neg_lo:[1,0,0] neg_hi:[1,0,0]
	ds_read2_b64 v[190:193], v185 offset0:9 offset1:10
	v_pk_fma_f32 v[166:167], v[180:181], v[196:197], v[166:167] op_sel_hi:[0,1,1] neg_lo:[1,0,0] neg_hi:[1,0,0]
	ds_read2_b64 v[194:197], v185 offset0:11 offset1:12
	s_waitcnt lgkmcnt(2)
	v_pk_fma_f32 v[140:141], v[180:181], v[186:187], v[140:141] op_sel_hi:[0,1,1] neg_lo:[1,0,0] neg_hi:[1,0,0]
	v_pk_fma_f32 v[164:165], v[180:181], v[188:189], v[164:165] op_sel_hi:[0,1,1] neg_lo:[1,0,0] neg_hi:[1,0,0]
	s_waitcnt lgkmcnt(1)
	v_pk_fma_f32 v[138:139], v[180:181], v[190:191], v[138:139] op_sel_hi:[0,1,1] neg_lo:[1,0,0] neg_hi:[1,0,0]
	ds_read2_b64 v[186:189], v185 offset0:13 offset1:14
	v_pk_fma_f32 v[162:163], v[180:181], v[192:193], v[162:163] op_sel_hi:[0,1,1] neg_lo:[1,0,0] neg_hi:[1,0,0]
	s_waitcnt lgkmcnt(1)
	v_pk_fma_f32 v[136:137], v[180:181], v[194:195], v[136:137] op_sel_hi:[0,1,1] neg_lo:[1,0,0] neg_hi:[1,0,0]
	ds_read2_b64 v[190:193], v185 offset0:15 offset1:16
	v_pk_fma_f32 v[160:161], v[180:181], v[196:197], v[160:161] op_sel_hi:[0,1,1] neg_lo:[1,0,0] neg_hi:[1,0,0]
	;; [unrolled: 12-line block ×3, first 2 shown]
	ds_read2_b64 v[194:197], v185 offset0:23 offset1:24
	s_waitcnt lgkmcnt(2)
	v_pk_fma_f32 v[128:129], v[180:181], v[186:187], v[128:129] op_sel_hi:[0,1,1] neg_lo:[1,0,0] neg_hi:[1,0,0]
	v_pk_fma_f32 v[152:153], v[180:181], v[188:189], v[152:153] op_sel_hi:[0,1,1] neg_lo:[1,0,0] neg_hi:[1,0,0]
	s_waitcnt lgkmcnt(1)
	v_pk_fma_f32 v[126:127], v[180:181], v[190:191], v[126:127] op_sel_hi:[0,1,1] neg_lo:[1,0,0] neg_hi:[1,0,0]
	v_pk_fma_f32 v[150:151], v[180:181], v[192:193], v[150:151] op_sel_hi:[0,1,1] neg_lo:[1,0,0] neg_hi:[1,0,0]
	ds_read2_b64 v[186:189], v185 offset0:25 offset1:26
	s_waitcnt lgkmcnt(1)
	v_pk_fma_f32 v[124:125], v[180:181], v[194:195], v[124:125] op_sel_hi:[0,1,1] neg_lo:[1,0,0] neg_hi:[1,0,0]
	ds_read2_b64 v[190:193], v185 offset0:27 offset1:28
	ds_read_b64 v[194:195], v185 offset:232
	v_pk_fma_f32 v[148:149], v[180:181], v[196:197], v[148:149] op_sel_hi:[0,1,1] neg_lo:[1,0,0] neg_hi:[1,0,0]
	s_waitcnt lgkmcnt(2)
	v_pk_fma_f32 v[122:123], v[180:181], v[186:187], v[122:123] op_sel_hi:[0,1,1] neg_lo:[1,0,0] neg_hi:[1,0,0]
	v_pk_fma_f32 v[146:147], v[180:181], v[188:189], v[146:147] op_sel_hi:[0,1,1] neg_lo:[1,0,0] neg_hi:[1,0,0]
	s_waitcnt lgkmcnt(1)
	v_pk_fma_f32 v[120:121], v[180:181], v[190:191], v[120:121] op_sel_hi:[0,1,1] neg_lo:[1,0,0] neg_hi:[1,0,0]
	;; [unrolled: 3-line block ×3, first 2 shown]
.LBB119_6:
	s_or_b64 exec, exec, s[4:5]
	v_cmp_eq_u32_e32 vcc, 1, v181
	s_waitcnt lgkmcnt(0)
	s_barrier
	s_and_saveexec_b64 s[2:3], vcc
	s_cbranch_execz .LBB119_9
; %bb.7:
	s_waitcnt vmcnt(0)
	ds_write_b32 v183, v182
	ds_write2_b64 v185, v[174:175], v[176:177] offset0:1 offset1:2
	ds_write2_b64 v185, v[172:173], v[168:169] offset0:3 offset1:4
	;; [unrolled: 1-line block ×14, first 2 shown]
	ds_write_b64 v185, v[170:171] offset:232
	ds_read_b32 v186, v183
	s_waitcnt lgkmcnt(0)
	v_cmp_neq_f32_e32 vcc, 0, v186
	s_and_b64 exec, exec, vcc
	s_cbranch_execz .LBB119_9
; %bb.8:
	v_div_scale_f32 v187, s[4:5], v186, v186, 1.0
	v_rcp_f32_e32 v188, v187
	v_div_scale_f32 v189, vcc, 1.0, v186, 1.0
	v_fma_f32 v190, -v187, v188, 1.0
	v_fmac_f32_e32 v188, v190, v188
	v_mul_f32_e32 v190, v189, v188
	v_fma_f32 v191, -v187, v190, v189
	v_fmac_f32_e32 v190, v191, v188
	v_fma_f32 v187, -v187, v190, v189
	v_div_fmas_f32 v187, v187, v188, v190
	v_div_fixup_f32 v186, v187, v186, 1.0
	ds_write_b32 v183, v186
.LBB119_9:
	s_or_b64 exec, exec, s[2:3]
	s_waitcnt lgkmcnt(0)
	s_barrier
	ds_read_b32 v186, v183
	v_cmp_lt_u32_e32 vcc, 1, v181
	s_and_saveexec_b64 s[2:3], vcc
	s_cbranch_execz .LBB119_11
; %bb.10:
	ds_read2_b64 v[188:191], v185 offset0:1 offset1:2
	ds_read2_b64 v[192:195], v185 offset0:3 offset1:4
	;; [unrolled: 1-line block ×3, first 2 shown]
	s_waitcnt vmcnt(0) lgkmcnt(3)
	v_mul_f32_e32 v182, v186, v182
	s_waitcnt lgkmcnt(2)
	v_pk_fma_f32 v[174:175], v[182:183], v[188:189], v[174:175] op_sel_hi:[0,1,1] neg_lo:[1,0,0] neg_hi:[1,0,0]
	v_pk_fma_f32 v[176:177], v[182:183], v[190:191], v[176:177] op_sel_hi:[0,1,1] neg_lo:[1,0,0] neg_hi:[1,0,0]
	s_waitcnt lgkmcnt(1)
	v_pk_fma_f32 v[172:173], v[182:183], v[192:193], v[172:173] op_sel_hi:[0,1,1] neg_lo:[1,0,0] neg_hi:[1,0,0]
	ds_read2_b64 v[188:191], v185 offset0:7 offset1:8
	v_pk_fma_f32 v[168:169], v[182:183], v[194:195], v[168:169] op_sel_hi:[0,1,1] neg_lo:[1,0,0] neg_hi:[1,0,0]
	s_waitcnt lgkmcnt(1)
	v_pk_fma_f32 v[142:143], v[182:183], v[196:197], v[142:143] op_sel_hi:[0,1,1] neg_lo:[1,0,0] neg_hi:[1,0,0]
	ds_read2_b64 v[192:195], v185 offset0:9 offset1:10
	v_pk_fma_f32 v[166:167], v[182:183], v[198:199], v[166:167] op_sel_hi:[0,1,1] neg_lo:[1,0,0] neg_hi:[1,0,0]
	ds_read2_b64 v[196:199], v185 offset0:11 offset1:12
	s_waitcnt lgkmcnt(2)
	v_pk_fma_f32 v[140:141], v[182:183], v[188:189], v[140:141] op_sel_hi:[0,1,1] neg_lo:[1,0,0] neg_hi:[1,0,0]
	v_pk_fma_f32 v[164:165], v[182:183], v[190:191], v[164:165] op_sel_hi:[0,1,1] neg_lo:[1,0,0] neg_hi:[1,0,0]
	s_waitcnt lgkmcnt(1)
	v_pk_fma_f32 v[138:139], v[182:183], v[192:193], v[138:139] op_sel_hi:[0,1,1] neg_lo:[1,0,0] neg_hi:[1,0,0]
	ds_read2_b64 v[188:191], v185 offset0:13 offset1:14
	v_pk_fma_f32 v[162:163], v[182:183], v[194:195], v[162:163] op_sel_hi:[0,1,1] neg_lo:[1,0,0] neg_hi:[1,0,0]
	s_waitcnt lgkmcnt(1)
	v_pk_fma_f32 v[136:137], v[182:183], v[196:197], v[136:137] op_sel_hi:[0,1,1] neg_lo:[1,0,0] neg_hi:[1,0,0]
	ds_read2_b64 v[192:195], v185 offset0:15 offset1:16
	v_pk_fma_f32 v[160:161], v[182:183], v[198:199], v[160:161] op_sel_hi:[0,1,1] neg_lo:[1,0,0] neg_hi:[1,0,0]
	ds_read2_b64 v[196:199], v185 offset0:17 offset1:18
	;; [unrolled: 12-line block ×3, first 2 shown]
	s_waitcnt lgkmcnt(2)
	v_pk_fma_f32 v[128:129], v[182:183], v[188:189], v[128:129] op_sel_hi:[0,1,1] neg_lo:[1,0,0] neg_hi:[1,0,0]
	v_pk_fma_f32 v[152:153], v[182:183], v[190:191], v[152:153] op_sel_hi:[0,1,1] neg_lo:[1,0,0] neg_hi:[1,0,0]
	s_waitcnt lgkmcnt(1)
	v_pk_fma_f32 v[126:127], v[182:183], v[192:193], v[126:127] op_sel_hi:[0,1,1] neg_lo:[1,0,0] neg_hi:[1,0,0]
	v_pk_fma_f32 v[150:151], v[182:183], v[194:195], v[150:151] op_sel_hi:[0,1,1] neg_lo:[1,0,0] neg_hi:[1,0,0]
	ds_read2_b64 v[188:191], v185 offset0:25 offset1:26
	ds_read2_b64 v[192:195], v185 offset0:27 offset1:28
	s_waitcnt lgkmcnt(2)
	v_pk_fma_f32 v[124:125], v[182:183], v[196:197], v[124:125] op_sel_hi:[0,1,1] neg_lo:[1,0,0] neg_hi:[1,0,0]
	ds_read_b64 v[196:197], v185 offset:232
	v_pk_fma_f32 v[148:149], v[182:183], v[198:199], v[148:149] op_sel_hi:[0,1,1] neg_lo:[1,0,0] neg_hi:[1,0,0]
	s_waitcnt lgkmcnt(2)
	v_pk_fma_f32 v[122:123], v[182:183], v[188:189], v[122:123] op_sel_hi:[0,1,1] neg_lo:[1,0,0] neg_hi:[1,0,0]
	v_pk_fma_f32 v[146:147], v[182:183], v[190:191], v[146:147] op_sel_hi:[0,1,1] neg_lo:[1,0,0] neg_hi:[1,0,0]
	s_waitcnt lgkmcnt(1)
	v_pk_fma_f32 v[120:121], v[182:183], v[192:193], v[120:121] op_sel_hi:[0,1,1] neg_lo:[1,0,0] neg_hi:[1,0,0]
	;; [unrolled: 3-line block ×3, first 2 shown]
.LBB119_11:
	s_or_b64 exec, exec, s[2:3]
	v_cmp_eq_u32_e32 vcc, 2, v181
	s_waitcnt lgkmcnt(0)
	s_barrier
	s_and_saveexec_b64 s[2:3], vcc
	s_cbranch_execz .LBB119_14
; %bb.12:
	s_waitcnt vmcnt(4)
	v_pk_mov_b32 v[188:189], v[174:175], v[176:177] op_sel:[1,0]
	ds_write_b32 v183, v174
	ds_write2_b32 v185, v188, v189 offset0:3 offset1:4
	s_waitcnt vmcnt(2)
	v_pk_mov_b32 v[188:189], v[176:177], v[172:173] op_sel:[1,0]
	ds_write2_b32 v185, v188, v189 offset0:5 offset1:6
	v_pk_mov_b32 v[188:189], v[172:173], v[168:169] op_sel:[1,0]
	ds_write2_b32 v185, v188, v189 offset0:7 offset1:8
	;; [unrolled: 2-line block ×27, first 2 shown]
	ds_write_b32 v185, v171 offset:236
	ds_read_b32 v187, v183
	s_waitcnt lgkmcnt(0)
	v_cmp_neq_f32_e32 vcc, 0, v187
	s_and_b64 exec, exec, vcc
	s_cbranch_execz .LBB119_14
; %bb.13:
	v_div_scale_f32 v188, s[4:5], v187, v187, 1.0
	v_rcp_f32_e32 v189, v188
	v_div_scale_f32 v190, vcc, 1.0, v187, 1.0
	v_fma_f32 v191, -v188, v189, 1.0
	v_fmac_f32_e32 v189, v191, v189
	v_mul_f32_e32 v191, v190, v189
	v_fma_f32 v192, -v188, v191, v190
	v_fmac_f32_e32 v191, v192, v189
	v_fma_f32 v188, -v188, v191, v190
	v_div_fmas_f32 v188, v188, v189, v191
	v_div_fixup_f32 v187, v188, v187, 1.0
	ds_write_b32 v183, v187
.LBB119_14:
	s_or_b64 exec, exec, s[2:3]
	s_waitcnt lgkmcnt(0)
	s_barrier
	ds_read_b32 v187, v183
	v_cmp_lt_u32_e32 vcc, 2, v181
	s_and_saveexec_b64 s[2:3], vcc
	s_cbranch_execz .LBB119_16
; %bb.15:
	ds_read_b32 v200, v185 offset:12
	ds_read2_b64 v[188:191], v185 offset0:2 offset1:3
	ds_read2_b64 v[192:195], v185 offset0:4 offset1:5
	;; [unrolled: 1-line block ×3, first 2 shown]
	s_waitcnt vmcnt(7) lgkmcnt(4)
	v_mul_f32_e32 v174, v187, v174
	s_waitcnt vmcnt(6) lgkmcnt(3)
	v_fma_f32 v175, -v174, v200, v175
	s_waitcnt vmcnt(4) lgkmcnt(2)
	v_pk_fma_f32 v[176:177], v[174:175], v[188:189], v[176:177] op_sel_hi:[0,1,1] neg_lo:[1,0,0] neg_hi:[1,0,0]
	s_waitcnt vmcnt(2)
	v_pk_fma_f32 v[172:173], v[174:175], v[190:191], v[172:173] op_sel_hi:[0,1,1] neg_lo:[1,0,0] neg_hi:[1,0,0]
	s_waitcnt lgkmcnt(1)
	v_pk_fma_f32 v[168:169], v[174:175], v[192:193], v[168:169] op_sel_hi:[0,1,1] neg_lo:[1,0,0] neg_hi:[1,0,0]
	ds_read2_b64 v[188:191], v185 offset0:8 offset1:9
	v_pk_fma_f32 v[142:143], v[174:175], v[194:195], v[142:143] op_sel_hi:[0,1,1] neg_lo:[1,0,0] neg_hi:[1,0,0]
	ds_read2_b64 v[192:195], v185 offset0:10 offset1:11
	s_waitcnt lgkmcnt(2)
	v_pk_fma_f32 v[166:167], v[174:175], v[196:197], v[166:167] op_sel_hi:[0,1,1] neg_lo:[1,0,0] neg_hi:[1,0,0]
	v_pk_fma_f32 v[140:141], v[174:175], v[198:199], v[140:141] op_sel_hi:[0,1,1] neg_lo:[1,0,0] neg_hi:[1,0,0]
	s_waitcnt lgkmcnt(1)
	v_pk_fma_f32 v[164:165], v[174:175], v[188:189], v[164:165] op_sel_hi:[0,1,1] neg_lo:[1,0,0] neg_hi:[1,0,0]
	ds_read2_b64 v[196:199], v185 offset0:12 offset1:13
	v_pk_fma_f32 v[138:139], v[174:175], v[190:191], v[138:139] op_sel_hi:[0,1,1] neg_lo:[1,0,0] neg_hi:[1,0,0]
	s_waitcnt lgkmcnt(1)
	v_pk_fma_f32 v[162:163], v[174:175], v[192:193], v[162:163] op_sel_hi:[0,1,1] neg_lo:[1,0,0] neg_hi:[1,0,0]
	ds_read2_b64 v[188:191], v185 offset0:14 offset1:15
	v_pk_fma_f32 v[136:137], v[174:175], v[194:195], v[136:137] op_sel_hi:[0,1,1] neg_lo:[1,0,0] neg_hi:[1,0,0]
	ds_read2_b64 v[192:195], v185 offset0:16 offset1:17
	s_waitcnt lgkmcnt(2)
	v_pk_fma_f32 v[160:161], v[174:175], v[196:197], v[160:161] op_sel_hi:[0,1,1] neg_lo:[1,0,0] neg_hi:[1,0,0]
	v_pk_fma_f32 v[134:135], v[174:175], v[198:199], v[134:135] op_sel_hi:[0,1,1] neg_lo:[1,0,0] neg_hi:[1,0,0]
	s_waitcnt lgkmcnt(1)
	v_pk_fma_f32 v[158:159], v[174:175], v[188:189], v[158:159] op_sel_hi:[0,1,1] neg_lo:[1,0,0] neg_hi:[1,0,0]
	ds_read2_b64 v[196:199], v185 offset0:18 offset1:19
	v_pk_fma_f32 v[132:133], v[174:175], v[190:191], v[132:133] op_sel_hi:[0,1,1] neg_lo:[1,0,0] neg_hi:[1,0,0]
	s_waitcnt lgkmcnt(1)
	v_pk_fma_f32 v[156:157], v[174:175], v[192:193], v[156:157] op_sel_hi:[0,1,1] neg_lo:[1,0,0] neg_hi:[1,0,0]
	ds_read2_b64 v[188:191], v185 offset0:20 offset1:21
	v_pk_fma_f32 v[130:131], v[174:175], v[194:195], v[130:131] op_sel_hi:[0,1,1] neg_lo:[1,0,0] neg_hi:[1,0,0]
	ds_read2_b64 v[192:195], v185 offset0:22 offset1:23
	s_waitcnt lgkmcnt(2)
	v_pk_fma_f32 v[154:155], v[174:175], v[196:197], v[154:155] op_sel_hi:[0,1,1] neg_lo:[1,0,0] neg_hi:[1,0,0]
	v_pk_fma_f32 v[128:129], v[174:175], v[198:199], v[128:129] op_sel_hi:[0,1,1] neg_lo:[1,0,0] neg_hi:[1,0,0]
	s_waitcnt lgkmcnt(1)
	v_pk_fma_f32 v[152:153], v[174:175], v[188:189], v[152:153] op_sel_hi:[0,1,1] neg_lo:[1,0,0] neg_hi:[1,0,0]
	v_pk_fma_f32 v[126:127], v[174:175], v[190:191], v[126:127] op_sel_hi:[0,1,1] neg_lo:[1,0,0] neg_hi:[1,0,0]
	ds_read2_b64 v[188:191], v185 offset0:24 offset1:25
	ds_read2_b64 v[196:199], v185 offset0:26 offset1:27
	s_waitcnt lgkmcnt(2)
	v_pk_fma_f32 v[150:151], v[174:175], v[192:193], v[150:151] op_sel_hi:[0,1,1] neg_lo:[1,0,0] neg_hi:[1,0,0]
	v_pk_fma_f32 v[124:125], v[174:175], v[194:195], v[124:125] op_sel_hi:[0,1,1] neg_lo:[1,0,0] neg_hi:[1,0,0]
	ds_read2_b64 v[192:195], v185 offset0:28 offset1:29
	s_waitcnt lgkmcnt(2)
	v_pk_fma_f32 v[148:149], v[174:175], v[188:189], v[148:149] op_sel_hi:[0,1,1] neg_lo:[1,0,0] neg_hi:[1,0,0]
	v_pk_fma_f32 v[122:123], v[174:175], v[190:191], v[122:123] op_sel_hi:[0,1,1] neg_lo:[1,0,0] neg_hi:[1,0,0]
	s_waitcnt lgkmcnt(1)
	v_pk_fma_f32 v[146:147], v[174:175], v[196:197], v[146:147] op_sel_hi:[0,1,1] neg_lo:[1,0,0] neg_hi:[1,0,0]
	v_pk_fma_f32 v[120:121], v[174:175], v[198:199], v[120:121] op_sel_hi:[0,1,1] neg_lo:[1,0,0] neg_hi:[1,0,0]
	;; [unrolled: 3-line block ×3, first 2 shown]
.LBB119_16:
	s_or_b64 exec, exec, s[2:3]
	v_cmp_eq_u32_e32 vcc, 3, v181
	s_waitcnt lgkmcnt(0)
	s_barrier
	s_and_saveexec_b64 s[2:3], vcc
	s_cbranch_execz .LBB119_19
; %bb.17:
	s_waitcnt vmcnt(5)
	v_mov_b32_e32 v188, v176
	s_waitcnt vmcnt(4)
	v_mov_b32_e32 v189, v177
	;; [unrolled: 2-line block ×4, first 2 shown]
	ds_write_b32 v183, v175
	ds_write2_b64 v185, v[188:189], v[190:191] offset0:2 offset1:3
	v_mov_b32_e32 v188, v168
	v_mov_b32_e32 v189, v169
	v_mov_b32_e32 v190, v142
	v_mov_b32_e32 v191, v143
	ds_write2_b64 v185, v[188:189], v[190:191] offset0:4 offset1:5
	v_mov_b32_e32 v188, v166
	v_mov_b32_e32 v189, v167
	v_mov_b32_e32 v190, v140
	v_mov_b32_e32 v191, v141
	;; [unrolled: 5-line block ×12, first 2 shown]
	ds_write2_b64 v185, v[188:189], v[190:191] offset0:26 offset1:27
	v_mov_b32_e32 v188, v144
	v_mov_b32_e32 v189, v145
	ds_write2_b64 v185, v[188:189], v[170:171] offset0:28 offset1:29
	ds_read_b32 v188, v183
	s_waitcnt lgkmcnt(0)
	v_cmp_neq_f32_e32 vcc, 0, v188
	s_and_b64 exec, exec, vcc
	s_cbranch_execz .LBB119_19
; %bb.18:
	v_div_scale_f32 v189, s[4:5], v188, v188, 1.0
	v_rcp_f32_e32 v190, v189
	v_div_scale_f32 v191, vcc, 1.0, v188, 1.0
	v_fma_f32 v192, -v189, v190, 1.0
	v_fmac_f32_e32 v190, v192, v190
	v_mul_f32_e32 v192, v191, v190
	v_fma_f32 v193, -v189, v192, v191
	v_fmac_f32_e32 v192, v193, v190
	v_fma_f32 v189, -v189, v192, v191
	v_div_fmas_f32 v189, v189, v190, v192
	v_div_fixup_f32 v188, v189, v188, 1.0
	ds_write_b32 v183, v188
.LBB119_19:
	s_or_b64 exec, exec, s[2:3]
	s_waitcnt lgkmcnt(0)
	s_barrier
	ds_read_b32 v188, v183
	v_cmp_lt_u32_e32 vcc, 3, v181
	s_and_saveexec_b64 s[2:3], vcc
	s_cbranch_execz .LBB119_21
; %bb.20:
	ds_read2_b64 v[190:193], v185 offset0:2 offset1:3
	ds_read2_b64 v[194:197], v185 offset0:4 offset1:5
	s_waitcnt vmcnt(6) lgkmcnt(2)
	v_mul_f32_e32 v202, v188, v175
	ds_read2_b64 v[198:201], v185 offset0:6 offset1:7
	v_mov_b32_e32 v175, v202
	s_waitcnt vmcnt(4) lgkmcnt(2)
	v_pk_fma_f32 v[176:177], v[202:203], v[190:191], v[176:177] op_sel_hi:[0,1,1] neg_lo:[1,0,0] neg_hi:[1,0,0]
	s_waitcnt vmcnt(2)
	v_pk_fma_f32 v[172:173], v[202:203], v[192:193], v[172:173] op_sel_hi:[0,1,1] neg_lo:[1,0,0] neg_hi:[1,0,0]
	s_waitcnt lgkmcnt(1)
	v_pk_fma_f32 v[168:169], v[202:203], v[194:195], v[168:169] op_sel_hi:[0,1,1] neg_lo:[1,0,0] neg_hi:[1,0,0]
	ds_read2_b64 v[190:193], v185 offset0:8 offset1:9
	v_pk_fma_f32 v[142:143], v[202:203], v[196:197], v[142:143] op_sel_hi:[0,1,1] neg_lo:[1,0,0] neg_hi:[1,0,0]
	ds_read2_b64 v[194:197], v185 offset0:10 offset1:11
	s_waitcnt lgkmcnt(2)
	v_pk_fma_f32 v[166:167], v[202:203], v[198:199], v[166:167] op_sel_hi:[0,1,1] neg_lo:[1,0,0] neg_hi:[1,0,0]
	v_pk_fma_f32 v[140:141], v[202:203], v[200:201], v[140:141] op_sel_hi:[0,1,1] neg_lo:[1,0,0] neg_hi:[1,0,0]
	s_waitcnt lgkmcnt(1)
	v_pk_fma_f32 v[164:165], v[202:203], v[190:191], v[164:165] op_sel_hi:[0,1,1] neg_lo:[1,0,0] neg_hi:[1,0,0]
	ds_read2_b64 v[198:201], v185 offset0:12 offset1:13
	v_pk_fma_f32 v[138:139], v[202:203], v[192:193], v[138:139] op_sel_hi:[0,1,1] neg_lo:[1,0,0] neg_hi:[1,0,0]
	s_waitcnt lgkmcnt(1)
	v_pk_fma_f32 v[162:163], v[202:203], v[194:195], v[162:163] op_sel_hi:[0,1,1] neg_lo:[1,0,0] neg_hi:[1,0,0]
	ds_read2_b64 v[190:193], v185 offset0:14 offset1:15
	v_pk_fma_f32 v[136:137], v[202:203], v[196:197], v[136:137] op_sel_hi:[0,1,1] neg_lo:[1,0,0] neg_hi:[1,0,0]
	ds_read2_b64 v[194:197], v185 offset0:16 offset1:17
	s_waitcnt lgkmcnt(2)
	v_pk_fma_f32 v[160:161], v[202:203], v[198:199], v[160:161] op_sel_hi:[0,1,1] neg_lo:[1,0,0] neg_hi:[1,0,0]
	v_pk_fma_f32 v[134:135], v[202:203], v[200:201], v[134:135] op_sel_hi:[0,1,1] neg_lo:[1,0,0] neg_hi:[1,0,0]
	s_waitcnt lgkmcnt(1)
	v_pk_fma_f32 v[158:159], v[202:203], v[190:191], v[158:159] op_sel_hi:[0,1,1] neg_lo:[1,0,0] neg_hi:[1,0,0]
	ds_read2_b64 v[198:201], v185 offset0:18 offset1:19
	v_pk_fma_f32 v[132:133], v[202:203], v[192:193], v[132:133] op_sel_hi:[0,1,1] neg_lo:[1,0,0] neg_hi:[1,0,0]
	s_waitcnt lgkmcnt(1)
	v_pk_fma_f32 v[156:157], v[202:203], v[194:195], v[156:157] op_sel_hi:[0,1,1] neg_lo:[1,0,0] neg_hi:[1,0,0]
	ds_read2_b64 v[190:193], v185 offset0:20 offset1:21
	v_pk_fma_f32 v[130:131], v[202:203], v[196:197], v[130:131] op_sel_hi:[0,1,1] neg_lo:[1,0,0] neg_hi:[1,0,0]
	ds_read2_b64 v[194:197], v185 offset0:22 offset1:23
	s_waitcnt lgkmcnt(2)
	v_pk_fma_f32 v[154:155], v[202:203], v[198:199], v[154:155] op_sel_hi:[0,1,1] neg_lo:[1,0,0] neg_hi:[1,0,0]
	v_pk_fma_f32 v[128:129], v[202:203], v[200:201], v[128:129] op_sel_hi:[0,1,1] neg_lo:[1,0,0] neg_hi:[1,0,0]
	s_waitcnt lgkmcnt(1)
	v_pk_fma_f32 v[152:153], v[202:203], v[190:191], v[152:153] op_sel_hi:[0,1,1] neg_lo:[1,0,0] neg_hi:[1,0,0]
	v_pk_fma_f32 v[126:127], v[202:203], v[192:193], v[126:127] op_sel_hi:[0,1,1] neg_lo:[1,0,0] neg_hi:[1,0,0]
	ds_read2_b64 v[190:193], v185 offset0:24 offset1:25
	s_waitcnt lgkmcnt(1)
	v_pk_fma_f32 v[150:151], v[202:203], v[194:195], v[150:151] op_sel_hi:[0,1,1] neg_lo:[1,0,0] neg_hi:[1,0,0]
	ds_read2_b64 v[198:201], v185 offset0:26 offset1:27
	v_pk_fma_f32 v[124:125], v[202:203], v[196:197], v[124:125] op_sel_hi:[0,1,1] neg_lo:[1,0,0] neg_hi:[1,0,0]
	ds_read2_b64 v[194:197], v185 offset0:28 offset1:29
	s_waitcnt lgkmcnt(2)
	v_pk_fma_f32 v[148:149], v[202:203], v[190:191], v[148:149] op_sel_hi:[0,1,1] neg_lo:[1,0,0] neg_hi:[1,0,0]
	v_pk_fma_f32 v[122:123], v[202:203], v[192:193], v[122:123] op_sel_hi:[0,1,1] neg_lo:[1,0,0] neg_hi:[1,0,0]
	s_waitcnt lgkmcnt(1)
	v_pk_fma_f32 v[146:147], v[202:203], v[198:199], v[146:147] op_sel_hi:[0,1,1] neg_lo:[1,0,0] neg_hi:[1,0,0]
	v_pk_fma_f32 v[120:121], v[202:203], v[200:201], v[120:121] op_sel_hi:[0,1,1] neg_lo:[1,0,0] neg_hi:[1,0,0]
	;; [unrolled: 3-line block ×3, first 2 shown]
.LBB119_21:
	s_or_b64 exec, exec, s[2:3]
	v_cmp_eq_u32_e32 vcc, 4, v181
	s_waitcnt lgkmcnt(0)
	s_barrier
	s_and_saveexec_b64 s[2:3], vcc
	s_cbranch_execz .LBB119_24
; %bb.22:
	s_waitcnt vmcnt(2)
	v_pk_mov_b32 v[190:191], v[176:177], v[172:173] op_sel:[1,0]
	ds_write_b32 v183, v176
	ds_write2_b32 v185, v190, v191 offset0:5 offset1:6
	v_pk_mov_b32 v[190:191], v[172:173], v[168:169] op_sel:[1,0]
	ds_write2_b32 v185, v190, v191 offset0:7 offset1:8
	v_pk_mov_b32 v[190:191], v[168:169], v[142:143] op_sel:[1,0]
	;; [unrolled: 2-line block ×26, first 2 shown]
	ds_write2_b32 v185, v190, v191 offset0:57 offset1:58
	ds_write_b32 v185, v171 offset:236
	ds_read_b32 v189, v183
	s_waitcnt lgkmcnt(0)
	v_cmp_neq_f32_e32 vcc, 0, v189
	s_and_b64 exec, exec, vcc
	s_cbranch_execz .LBB119_24
; %bb.23:
	v_div_scale_f32 v190, s[4:5], v189, v189, 1.0
	v_rcp_f32_e32 v191, v190
	v_div_scale_f32 v192, vcc, 1.0, v189, 1.0
	v_fma_f32 v193, -v190, v191, 1.0
	v_fmac_f32_e32 v191, v193, v191
	v_mul_f32_e32 v193, v192, v191
	v_fma_f32 v194, -v190, v193, v192
	v_fmac_f32_e32 v193, v194, v191
	v_fma_f32 v190, -v190, v193, v192
	v_div_fmas_f32 v190, v190, v191, v193
	v_div_fixup_f32 v189, v190, v189, 1.0
	ds_write_b32 v183, v189
.LBB119_24:
	s_or_b64 exec, exec, s[2:3]
	s_waitcnt lgkmcnt(0)
	s_barrier
	ds_read_b32 v189, v183
	v_cmp_lt_u32_e32 vcc, 4, v181
	s_and_saveexec_b64 s[2:3], vcc
	s_cbranch_execz .LBB119_26
; %bb.25:
	ds_read_b32 v202, v185 offset:20
	ds_read2_b64 v[190:193], v185 offset0:3 offset1:4
	ds_read2_b64 v[194:197], v185 offset0:5 offset1:6
	;; [unrolled: 1-line block ×3, first 2 shown]
	s_waitcnt vmcnt(5) lgkmcnt(4)
	v_mul_f32_e32 v176, v189, v176
	s_waitcnt vmcnt(4) lgkmcnt(3)
	v_fma_f32 v177, -v176, v202, v177
	s_waitcnt vmcnt(2) lgkmcnt(2)
	v_pk_fma_f32 v[172:173], v[176:177], v[190:191], v[172:173] op_sel_hi:[0,1,1] neg_lo:[1,0,0] neg_hi:[1,0,0]
	v_pk_fma_f32 v[168:169], v[176:177], v[192:193], v[168:169] op_sel_hi:[0,1,1] neg_lo:[1,0,0] neg_hi:[1,0,0]
	s_waitcnt lgkmcnt(1)
	v_pk_fma_f32 v[142:143], v[176:177], v[194:195], v[142:143] op_sel_hi:[0,1,1] neg_lo:[1,0,0] neg_hi:[1,0,0]
	ds_read2_b64 v[190:193], v185 offset0:9 offset1:10
	v_pk_fma_f32 v[166:167], v[176:177], v[196:197], v[166:167] op_sel_hi:[0,1,1] neg_lo:[1,0,0] neg_hi:[1,0,0]
	ds_read2_b64 v[194:197], v185 offset0:11 offset1:12
	s_waitcnt lgkmcnt(2)
	v_pk_fma_f32 v[140:141], v[176:177], v[198:199], v[140:141] op_sel_hi:[0,1,1] neg_lo:[1,0,0] neg_hi:[1,0,0]
	v_pk_fma_f32 v[164:165], v[176:177], v[200:201], v[164:165] op_sel_hi:[0,1,1] neg_lo:[1,0,0] neg_hi:[1,0,0]
	s_waitcnt lgkmcnt(1)
	v_pk_fma_f32 v[138:139], v[176:177], v[190:191], v[138:139] op_sel_hi:[0,1,1] neg_lo:[1,0,0] neg_hi:[1,0,0]
	ds_read2_b64 v[198:201], v185 offset0:13 offset1:14
	v_pk_fma_f32 v[162:163], v[176:177], v[192:193], v[162:163] op_sel_hi:[0,1,1] neg_lo:[1,0,0] neg_hi:[1,0,0]
	s_waitcnt lgkmcnt(1)
	v_pk_fma_f32 v[136:137], v[176:177], v[194:195], v[136:137] op_sel_hi:[0,1,1] neg_lo:[1,0,0] neg_hi:[1,0,0]
	ds_read2_b64 v[190:193], v185 offset0:15 offset1:16
	v_pk_fma_f32 v[160:161], v[176:177], v[196:197], v[160:161] op_sel_hi:[0,1,1] neg_lo:[1,0,0] neg_hi:[1,0,0]
	ds_read2_b64 v[194:197], v185 offset0:17 offset1:18
	s_waitcnt lgkmcnt(2)
	v_pk_fma_f32 v[134:135], v[176:177], v[198:199], v[134:135] op_sel_hi:[0,1,1] neg_lo:[1,0,0] neg_hi:[1,0,0]
	v_pk_fma_f32 v[158:159], v[176:177], v[200:201], v[158:159] op_sel_hi:[0,1,1] neg_lo:[1,0,0] neg_hi:[1,0,0]
	s_waitcnt lgkmcnt(1)
	v_pk_fma_f32 v[132:133], v[176:177], v[190:191], v[132:133] op_sel_hi:[0,1,1] neg_lo:[1,0,0] neg_hi:[1,0,0]
	ds_read2_b64 v[198:201], v185 offset0:19 offset1:20
	v_pk_fma_f32 v[156:157], v[176:177], v[192:193], v[156:157] op_sel_hi:[0,1,1] neg_lo:[1,0,0] neg_hi:[1,0,0]
	s_waitcnt lgkmcnt(1)
	v_pk_fma_f32 v[130:131], v[176:177], v[194:195], v[130:131] op_sel_hi:[0,1,1] neg_lo:[1,0,0] neg_hi:[1,0,0]
	ds_read2_b64 v[190:193], v185 offset0:21 offset1:22
	v_pk_fma_f32 v[154:155], v[176:177], v[196:197], v[154:155] op_sel_hi:[0,1,1] neg_lo:[1,0,0] neg_hi:[1,0,0]
	ds_read2_b64 v[194:197], v185 offset0:23 offset1:24
	s_waitcnt lgkmcnt(2)
	v_pk_fma_f32 v[128:129], v[176:177], v[198:199], v[128:129] op_sel_hi:[0,1,1] neg_lo:[1,0,0] neg_hi:[1,0,0]
	v_pk_fma_f32 v[152:153], v[176:177], v[200:201], v[152:153] op_sel_hi:[0,1,1] neg_lo:[1,0,0] neg_hi:[1,0,0]
	s_waitcnt lgkmcnt(1)
	v_pk_fma_f32 v[126:127], v[176:177], v[190:191], v[126:127] op_sel_hi:[0,1,1] neg_lo:[1,0,0] neg_hi:[1,0,0]
	v_pk_fma_f32 v[150:151], v[176:177], v[192:193], v[150:151] op_sel_hi:[0,1,1] neg_lo:[1,0,0] neg_hi:[1,0,0]
	ds_read2_b64 v[190:193], v185 offset0:25 offset1:26
	ds_read2_b64 v[198:201], v185 offset0:27 offset1:28
	s_waitcnt lgkmcnt(2)
	v_pk_fma_f32 v[124:125], v[176:177], v[194:195], v[124:125] op_sel_hi:[0,1,1] neg_lo:[1,0,0] neg_hi:[1,0,0]
	ds_read_b64 v[194:195], v185 offset:232
	v_pk_fma_f32 v[148:149], v[176:177], v[196:197], v[148:149] op_sel_hi:[0,1,1] neg_lo:[1,0,0] neg_hi:[1,0,0]
	s_waitcnt lgkmcnt(2)
	v_pk_fma_f32 v[122:123], v[176:177], v[190:191], v[122:123] op_sel_hi:[0,1,1] neg_lo:[1,0,0] neg_hi:[1,0,0]
	v_pk_fma_f32 v[146:147], v[176:177], v[192:193], v[146:147] op_sel_hi:[0,1,1] neg_lo:[1,0,0] neg_hi:[1,0,0]
	s_waitcnt lgkmcnt(1)
	v_pk_fma_f32 v[120:121], v[176:177], v[198:199], v[120:121] op_sel_hi:[0,1,1] neg_lo:[1,0,0] neg_hi:[1,0,0]
	v_pk_fma_f32 v[144:145], v[176:177], v[200:201], v[144:145] op_sel_hi:[0,1,1] neg_lo:[1,0,0] neg_hi:[1,0,0]
	s_waitcnt lgkmcnt(0)
	v_pk_fma_f32 v[170:171], v[176:177], v[194:195], v[170:171] op_sel_hi:[0,1,1] neg_lo:[1,0,0] neg_hi:[1,0,0]
.LBB119_26:
	s_or_b64 exec, exec, s[2:3]
	v_cmp_ne_u32_e32 vcc, 5, v181
	s_waitcnt lgkmcnt(0)
	s_barrier
	s_and_saveexec_b64 s[2:3], vcc
	s_xor_b64 s[2:3], exec, s[2:3]
	s_andn2_saveexec_b64 s[2:3], s[2:3]
	s_cbranch_execz .LBB119_30
; %bb.27:
	s_waitcnt vmcnt(4)
	ds_write_b32 v183, v177
	s_waitcnt vmcnt(2)
	ds_write2_b64 v185, v[172:173], v[168:169] offset0:3 offset1:4
	ds_write2_b64 v185, v[142:143], v[166:167] offset0:5 offset1:6
	;; [unrolled: 1-line block ×13, first 2 shown]
	ds_write_b64 v185, v[170:171] offset:232
	ds_read_b32 v190, v183
	s_waitcnt lgkmcnt(0)
	v_cmp_neq_f32_e32 vcc, 0, v190
	s_and_saveexec_b64 s[4:5], vcc
	s_cbranch_execz .LBB119_29
; %bb.28:
	v_div_scale_f32 v191, s[10:11], v190, v190, 1.0
	v_rcp_f32_e32 v192, v191
	v_div_scale_f32 v193, vcc, 1.0, v190, 1.0
	v_fma_f32 v194, -v191, v192, 1.0
	v_fmac_f32_e32 v192, v194, v192
	v_mul_f32_e32 v194, v193, v192
	v_fma_f32 v195, -v191, v194, v193
	v_fmac_f32_e32 v194, v195, v192
	v_fma_f32 v191, -v191, v194, v193
	v_div_fmas_f32 v191, v191, v192, v194
	v_div_fixup_f32 v190, v191, v190, 1.0
	ds_write_b32 v183, v190
.LBB119_29:
	s_or_b64 exec, exec, s[4:5]
.LBB119_30:
	s_or_b64 exec, exec, s[2:3]
	s_waitcnt lgkmcnt(0)
	s_barrier
	ds_read_b32 v190, v183
	v_cmp_lt_u32_e32 vcc, 5, v181
	s_and_saveexec_b64 s[2:3], vcc
	s_cbranch_execz .LBB119_32
; %bb.31:
	ds_read2_b64 v[192:195], v185 offset0:3 offset1:4
	ds_read2_b64 v[196:199], v185 offset0:5 offset1:6
	s_waitcnt vmcnt(4) lgkmcnt(2)
	v_mul_f32_e32 v204, v190, v177
	ds_read2_b64 v[200:203], v185 offset0:7 offset1:8
	v_mov_b32_e32 v177, v204
	s_waitcnt vmcnt(2) lgkmcnt(2)
	v_pk_fma_f32 v[172:173], v[204:205], v[192:193], v[172:173] op_sel_hi:[0,1,1] neg_lo:[1,0,0] neg_hi:[1,0,0]
	v_pk_fma_f32 v[168:169], v[204:205], v[194:195], v[168:169] op_sel_hi:[0,1,1] neg_lo:[1,0,0] neg_hi:[1,0,0]
	s_waitcnt lgkmcnt(1)
	v_pk_fma_f32 v[142:143], v[204:205], v[196:197], v[142:143] op_sel_hi:[0,1,1] neg_lo:[1,0,0] neg_hi:[1,0,0]
	ds_read2_b64 v[192:195], v185 offset0:9 offset1:10
	v_pk_fma_f32 v[166:167], v[204:205], v[198:199], v[166:167] op_sel_hi:[0,1,1] neg_lo:[1,0,0] neg_hi:[1,0,0]
	ds_read2_b64 v[196:199], v185 offset0:11 offset1:12
	s_waitcnt lgkmcnt(2)
	v_pk_fma_f32 v[140:141], v[204:205], v[200:201], v[140:141] op_sel_hi:[0,1,1] neg_lo:[1,0,0] neg_hi:[1,0,0]
	v_pk_fma_f32 v[164:165], v[204:205], v[202:203], v[164:165] op_sel_hi:[0,1,1] neg_lo:[1,0,0] neg_hi:[1,0,0]
	s_waitcnt lgkmcnt(1)
	v_pk_fma_f32 v[138:139], v[204:205], v[192:193], v[138:139] op_sel_hi:[0,1,1] neg_lo:[1,0,0] neg_hi:[1,0,0]
	ds_read2_b64 v[200:203], v185 offset0:13 offset1:14
	v_pk_fma_f32 v[162:163], v[204:205], v[194:195], v[162:163] op_sel_hi:[0,1,1] neg_lo:[1,0,0] neg_hi:[1,0,0]
	s_waitcnt lgkmcnt(1)
	v_pk_fma_f32 v[136:137], v[204:205], v[196:197], v[136:137] op_sel_hi:[0,1,1] neg_lo:[1,0,0] neg_hi:[1,0,0]
	ds_read2_b64 v[192:195], v185 offset0:15 offset1:16
	v_pk_fma_f32 v[160:161], v[204:205], v[198:199], v[160:161] op_sel_hi:[0,1,1] neg_lo:[1,0,0] neg_hi:[1,0,0]
	ds_read2_b64 v[196:199], v185 offset0:17 offset1:18
	s_waitcnt lgkmcnt(2)
	v_pk_fma_f32 v[134:135], v[204:205], v[200:201], v[134:135] op_sel_hi:[0,1,1] neg_lo:[1,0,0] neg_hi:[1,0,0]
	v_pk_fma_f32 v[158:159], v[204:205], v[202:203], v[158:159] op_sel_hi:[0,1,1] neg_lo:[1,0,0] neg_hi:[1,0,0]
	s_waitcnt lgkmcnt(1)
	v_pk_fma_f32 v[132:133], v[204:205], v[192:193], v[132:133] op_sel_hi:[0,1,1] neg_lo:[1,0,0] neg_hi:[1,0,0]
	ds_read2_b64 v[200:203], v185 offset0:19 offset1:20
	v_pk_fma_f32 v[156:157], v[204:205], v[194:195], v[156:157] op_sel_hi:[0,1,1] neg_lo:[1,0,0] neg_hi:[1,0,0]
	s_waitcnt lgkmcnt(1)
	v_pk_fma_f32 v[130:131], v[204:205], v[196:197], v[130:131] op_sel_hi:[0,1,1] neg_lo:[1,0,0] neg_hi:[1,0,0]
	ds_read2_b64 v[192:195], v185 offset0:21 offset1:22
	v_pk_fma_f32 v[154:155], v[204:205], v[198:199], v[154:155] op_sel_hi:[0,1,1] neg_lo:[1,0,0] neg_hi:[1,0,0]
	ds_read2_b64 v[196:199], v185 offset0:23 offset1:24
	s_waitcnt lgkmcnt(2)
	v_pk_fma_f32 v[128:129], v[204:205], v[200:201], v[128:129] op_sel_hi:[0,1,1] neg_lo:[1,0,0] neg_hi:[1,0,0]
	v_pk_fma_f32 v[152:153], v[204:205], v[202:203], v[152:153] op_sel_hi:[0,1,1] neg_lo:[1,0,0] neg_hi:[1,0,0]
	s_waitcnt lgkmcnt(1)
	v_pk_fma_f32 v[126:127], v[204:205], v[192:193], v[126:127] op_sel_hi:[0,1,1] neg_lo:[1,0,0] neg_hi:[1,0,0]
	v_pk_fma_f32 v[150:151], v[204:205], v[194:195], v[150:151] op_sel_hi:[0,1,1] neg_lo:[1,0,0] neg_hi:[1,0,0]
	ds_read2_b64 v[192:195], v185 offset0:25 offset1:26
	s_waitcnt lgkmcnt(1)
	v_pk_fma_f32 v[124:125], v[204:205], v[196:197], v[124:125] op_sel_hi:[0,1,1] neg_lo:[1,0,0] neg_hi:[1,0,0]
	ds_read2_b64 v[200:203], v185 offset0:27 offset1:28
	ds_read_b64 v[196:197], v185 offset:232
	v_pk_fma_f32 v[148:149], v[204:205], v[198:199], v[148:149] op_sel_hi:[0,1,1] neg_lo:[1,0,0] neg_hi:[1,0,0]
	s_waitcnt lgkmcnt(2)
	v_pk_fma_f32 v[122:123], v[204:205], v[192:193], v[122:123] op_sel_hi:[0,1,1] neg_lo:[1,0,0] neg_hi:[1,0,0]
	v_pk_fma_f32 v[146:147], v[204:205], v[194:195], v[146:147] op_sel_hi:[0,1,1] neg_lo:[1,0,0] neg_hi:[1,0,0]
	s_waitcnt lgkmcnt(1)
	v_pk_fma_f32 v[120:121], v[204:205], v[200:201], v[120:121] op_sel_hi:[0,1,1] neg_lo:[1,0,0] neg_hi:[1,0,0]
	;; [unrolled: 3-line block ×3, first 2 shown]
.LBB119_32:
	s_or_b64 exec, exec, s[2:3]
	v_cmp_eq_u32_e32 vcc, 6, v181
	s_waitcnt lgkmcnt(0)
	s_barrier
	s_and_saveexec_b64 s[2:3], vcc
	s_cbranch_execz .LBB119_35
; %bb.33:
	s_waitcnt vmcnt(2)
	v_pk_mov_b32 v[192:193], v[172:173], v[168:169] op_sel:[1,0]
	ds_write_b32 v183, v172
	ds_write2_b32 v185, v192, v193 offset0:7 offset1:8
	v_pk_mov_b32 v[192:193], v[168:169], v[142:143] op_sel:[1,0]
	ds_write2_b32 v185, v192, v193 offset0:9 offset1:10
	v_pk_mov_b32 v[192:193], v[142:143], v[166:167] op_sel:[1,0]
	;; [unrolled: 2-line block ×25, first 2 shown]
	ds_write2_b32 v185, v192, v193 offset0:57 offset1:58
	ds_write_b32 v185, v171 offset:236
	ds_read_b32 v191, v183
	s_waitcnt lgkmcnt(0)
	v_cmp_neq_f32_e32 vcc, 0, v191
	s_and_b64 exec, exec, vcc
	s_cbranch_execz .LBB119_35
; %bb.34:
	v_div_scale_f32 v192, s[4:5], v191, v191, 1.0
	v_rcp_f32_e32 v193, v192
	v_div_scale_f32 v194, vcc, 1.0, v191, 1.0
	v_fma_f32 v195, -v192, v193, 1.0
	v_fmac_f32_e32 v193, v195, v193
	v_mul_f32_e32 v195, v194, v193
	v_fma_f32 v196, -v192, v195, v194
	v_fmac_f32_e32 v195, v196, v193
	v_fma_f32 v192, -v192, v195, v194
	v_div_fmas_f32 v192, v192, v193, v195
	v_div_fixup_f32 v191, v192, v191, 1.0
	ds_write_b32 v183, v191
.LBB119_35:
	s_or_b64 exec, exec, s[2:3]
	s_waitcnt lgkmcnt(0)
	s_barrier
	ds_read_b32 v191, v183
	v_cmp_lt_u32_e32 vcc, 6, v181
	s_and_saveexec_b64 s[2:3], vcc
	s_cbranch_execz .LBB119_37
; %bb.36:
	ds_read_b32 v204, v185 offset:28
	ds_read2_b64 v[192:195], v185 offset0:4 offset1:5
	s_waitcnt vmcnt(3) lgkmcnt(2)
	v_mul_f32_e32 v172, v191, v172
	ds_read2_b64 v[196:199], v185 offset0:6 offset1:7
	ds_read2_b64 v[200:203], v185 offset0:8 offset1:9
	s_waitcnt vmcnt(2) lgkmcnt(3)
	v_fma_f32 v173, -v172, v204, v173
	s_waitcnt lgkmcnt(2)
	v_pk_fma_f32 v[168:169], v[172:173], v[192:193], v[168:169] op_sel_hi:[0,1,1] neg_lo:[1,0,0] neg_hi:[1,0,0]
	v_pk_fma_f32 v[142:143], v[172:173], v[194:195], v[142:143] op_sel_hi:[0,1,1] neg_lo:[1,0,0] neg_hi:[1,0,0]
	ds_read2_b64 v[192:195], v185 offset0:10 offset1:11
	s_waitcnt lgkmcnt(2)
	v_pk_fma_f32 v[166:167], v[172:173], v[196:197], v[166:167] op_sel_hi:[0,1,1] neg_lo:[1,0,0] neg_hi:[1,0,0]
	v_pk_fma_f32 v[140:141], v[172:173], v[198:199], v[140:141] op_sel_hi:[0,1,1] neg_lo:[1,0,0] neg_hi:[1,0,0]
	s_waitcnt lgkmcnt(1)
	v_pk_fma_f32 v[164:165], v[172:173], v[200:201], v[164:165] op_sel_hi:[0,1,1] neg_lo:[1,0,0] neg_hi:[1,0,0]
	ds_read2_b64 v[196:199], v185 offset0:12 offset1:13
	v_pk_fma_f32 v[138:139], v[172:173], v[202:203], v[138:139] op_sel_hi:[0,1,1] neg_lo:[1,0,0] neg_hi:[1,0,0]
	s_waitcnt lgkmcnt(1)
	v_pk_fma_f32 v[162:163], v[172:173], v[192:193], v[162:163] op_sel_hi:[0,1,1] neg_lo:[1,0,0] neg_hi:[1,0,0]
	ds_read2_b64 v[200:203], v185 offset0:14 offset1:15
	v_pk_fma_f32 v[136:137], v[172:173], v[194:195], v[136:137] op_sel_hi:[0,1,1] neg_lo:[1,0,0] neg_hi:[1,0,0]
	ds_read2_b64 v[192:195], v185 offset0:16 offset1:17
	s_waitcnt lgkmcnt(2)
	v_pk_fma_f32 v[160:161], v[172:173], v[196:197], v[160:161] op_sel_hi:[0,1,1] neg_lo:[1,0,0] neg_hi:[1,0,0]
	v_pk_fma_f32 v[134:135], v[172:173], v[198:199], v[134:135] op_sel_hi:[0,1,1] neg_lo:[1,0,0] neg_hi:[1,0,0]
	s_waitcnt lgkmcnt(1)
	v_pk_fma_f32 v[158:159], v[172:173], v[200:201], v[158:159] op_sel_hi:[0,1,1] neg_lo:[1,0,0] neg_hi:[1,0,0]
	ds_read2_b64 v[196:199], v185 offset0:18 offset1:19
	v_pk_fma_f32 v[132:133], v[172:173], v[202:203], v[132:133] op_sel_hi:[0,1,1] neg_lo:[1,0,0] neg_hi:[1,0,0]
	s_waitcnt lgkmcnt(1)
	v_pk_fma_f32 v[156:157], v[172:173], v[192:193], v[156:157] op_sel_hi:[0,1,1] neg_lo:[1,0,0] neg_hi:[1,0,0]
	ds_read2_b64 v[200:203], v185 offset0:20 offset1:21
	v_pk_fma_f32 v[130:131], v[172:173], v[194:195], v[130:131] op_sel_hi:[0,1,1] neg_lo:[1,0,0] neg_hi:[1,0,0]
	ds_read2_b64 v[192:195], v185 offset0:22 offset1:23
	s_waitcnt lgkmcnt(2)
	v_pk_fma_f32 v[154:155], v[172:173], v[196:197], v[154:155] op_sel_hi:[0,1,1] neg_lo:[1,0,0] neg_hi:[1,0,0]
	v_pk_fma_f32 v[128:129], v[172:173], v[198:199], v[128:129] op_sel_hi:[0,1,1] neg_lo:[1,0,0] neg_hi:[1,0,0]
	s_waitcnt lgkmcnt(1)
	v_pk_fma_f32 v[152:153], v[172:173], v[200:201], v[152:153] op_sel_hi:[0,1,1] neg_lo:[1,0,0] neg_hi:[1,0,0]
	v_pk_fma_f32 v[126:127], v[172:173], v[202:203], v[126:127] op_sel_hi:[0,1,1] neg_lo:[1,0,0] neg_hi:[1,0,0]
	ds_read2_b64 v[196:199], v185 offset0:24 offset1:25
	s_waitcnt lgkmcnt(1)
	v_pk_fma_f32 v[150:151], v[172:173], v[192:193], v[150:151] op_sel_hi:[0,1,1] neg_lo:[1,0,0] neg_hi:[1,0,0]
	ds_read2_b64 v[200:203], v185 offset0:26 offset1:27
	v_pk_fma_f32 v[124:125], v[172:173], v[194:195], v[124:125] op_sel_hi:[0,1,1] neg_lo:[1,0,0] neg_hi:[1,0,0]
	ds_read2_b64 v[192:195], v185 offset0:28 offset1:29
	s_waitcnt lgkmcnt(2)
	v_pk_fma_f32 v[148:149], v[172:173], v[196:197], v[148:149] op_sel_hi:[0,1,1] neg_lo:[1,0,0] neg_hi:[1,0,0]
	v_pk_fma_f32 v[122:123], v[172:173], v[198:199], v[122:123] op_sel_hi:[0,1,1] neg_lo:[1,0,0] neg_hi:[1,0,0]
	s_waitcnt lgkmcnt(1)
	v_pk_fma_f32 v[146:147], v[172:173], v[200:201], v[146:147] op_sel_hi:[0,1,1] neg_lo:[1,0,0] neg_hi:[1,0,0]
	v_pk_fma_f32 v[120:121], v[172:173], v[202:203], v[120:121] op_sel_hi:[0,1,1] neg_lo:[1,0,0] neg_hi:[1,0,0]
	;; [unrolled: 3-line block ×3, first 2 shown]
.LBB119_37:
	s_or_b64 exec, exec, s[2:3]
	v_cmp_ne_u32_e32 vcc, 7, v181
	s_waitcnt lgkmcnt(0)
	s_barrier
	s_and_saveexec_b64 s[2:3], vcc
	s_xor_b64 s[2:3], exec, s[2:3]
	s_andn2_saveexec_b64 s[2:3], s[2:3]
	s_cbranch_execz .LBB119_41
; %bb.38:
	s_waitcnt vmcnt(59)
	v_mov_b32_e32 v192, v168
	s_waitcnt vmcnt(58)
	v_mov_b32_e32 v193, v169
	;; [unrolled: 2-line block ×4, first 2 shown]
	s_waitcnt vmcnt(2)
	ds_write_b32 v183, v173
	ds_write2_b64 v185, v[192:193], v[194:195] offset0:4 offset1:5
	v_mov_b32_e32 v192, v166
	v_mov_b32_e32 v193, v167
	v_mov_b32_e32 v194, v140
	v_mov_b32_e32 v195, v141
	ds_write2_b64 v185, v[192:193], v[194:195] offset0:6 offset1:7
	v_mov_b32_e32 v192, v164
	v_mov_b32_e32 v193, v165
	v_mov_b32_e32 v194, v138
	v_mov_b32_e32 v195, v139
	;; [unrolled: 5-line block ×11, first 2 shown]
	ds_write2_b64 v185, v[192:193], v[194:195] offset0:26 offset1:27
	v_mov_b32_e32 v192, v144
	v_mov_b32_e32 v193, v145
	ds_write2_b64 v185, v[192:193], v[170:171] offset0:28 offset1:29
	ds_read_b32 v192, v183
	s_waitcnt lgkmcnt(0)
	v_cmp_neq_f32_e32 vcc, 0, v192
	s_and_saveexec_b64 s[4:5], vcc
	s_cbranch_execz .LBB119_40
; %bb.39:
	v_div_scale_f32 v193, s[10:11], v192, v192, 1.0
	v_rcp_f32_e32 v194, v193
	v_div_scale_f32 v195, vcc, 1.0, v192, 1.0
	v_fma_f32 v196, -v193, v194, 1.0
	v_fmac_f32_e32 v194, v196, v194
	v_mul_f32_e32 v196, v195, v194
	v_fma_f32 v197, -v193, v196, v195
	v_fmac_f32_e32 v196, v197, v194
	v_fma_f32 v193, -v193, v196, v195
	v_div_fmas_f32 v193, v193, v194, v196
	v_div_fixup_f32 v192, v193, v192, 1.0
	ds_write_b32 v183, v192
.LBB119_40:
	s_or_b64 exec, exec, s[4:5]
.LBB119_41:
	s_or_b64 exec, exec, s[2:3]
	s_waitcnt lgkmcnt(0)
	s_barrier
	ds_read_b32 v192, v183
	v_cmp_lt_u32_e32 vcc, 7, v181
	s_and_saveexec_b64 s[2:3], vcc
	s_cbranch_execz .LBB119_43
; %bb.42:
	ds_read2_b64 v[194:197], v185 offset0:4 offset1:5
	ds_read2_b64 v[198:201], v185 offset0:6 offset1:7
	s_waitcnt vmcnt(2) lgkmcnt(2)
	v_mul_f32_e32 v206, v192, v173
	ds_read2_b64 v[202:205], v185 offset0:8 offset1:9
	v_mov_b32_e32 v173, v206
	s_waitcnt lgkmcnt(2)
	v_pk_fma_f32 v[168:169], v[206:207], v[194:195], v[168:169] op_sel_hi:[0,1,1] neg_lo:[1,0,0] neg_hi:[1,0,0]
	v_pk_fma_f32 v[142:143], v[206:207], v[196:197], v[142:143] op_sel_hi:[0,1,1] neg_lo:[1,0,0] neg_hi:[1,0,0]
	ds_read2_b64 v[194:197], v185 offset0:10 offset1:11
	s_waitcnt lgkmcnt(2)
	v_pk_fma_f32 v[166:167], v[206:207], v[198:199], v[166:167] op_sel_hi:[0,1,1] neg_lo:[1,0,0] neg_hi:[1,0,0]
	v_pk_fma_f32 v[140:141], v[206:207], v[200:201], v[140:141] op_sel_hi:[0,1,1] neg_lo:[1,0,0] neg_hi:[1,0,0]
	s_waitcnt lgkmcnt(1)
	v_pk_fma_f32 v[164:165], v[206:207], v[202:203], v[164:165] op_sel_hi:[0,1,1] neg_lo:[1,0,0] neg_hi:[1,0,0]
	ds_read2_b64 v[198:201], v185 offset0:12 offset1:13
	v_pk_fma_f32 v[138:139], v[206:207], v[204:205], v[138:139] op_sel_hi:[0,1,1] neg_lo:[1,0,0] neg_hi:[1,0,0]
	s_waitcnt lgkmcnt(1)
	v_pk_fma_f32 v[162:163], v[206:207], v[194:195], v[162:163] op_sel_hi:[0,1,1] neg_lo:[1,0,0] neg_hi:[1,0,0]
	ds_read2_b64 v[202:205], v185 offset0:14 offset1:15
	v_pk_fma_f32 v[136:137], v[206:207], v[196:197], v[136:137] op_sel_hi:[0,1,1] neg_lo:[1,0,0] neg_hi:[1,0,0]
	ds_read2_b64 v[194:197], v185 offset0:16 offset1:17
	s_waitcnt lgkmcnt(2)
	v_pk_fma_f32 v[160:161], v[206:207], v[198:199], v[160:161] op_sel_hi:[0,1,1] neg_lo:[1,0,0] neg_hi:[1,0,0]
	v_pk_fma_f32 v[134:135], v[206:207], v[200:201], v[134:135] op_sel_hi:[0,1,1] neg_lo:[1,0,0] neg_hi:[1,0,0]
	s_waitcnt lgkmcnt(1)
	v_pk_fma_f32 v[158:159], v[206:207], v[202:203], v[158:159] op_sel_hi:[0,1,1] neg_lo:[1,0,0] neg_hi:[1,0,0]
	ds_read2_b64 v[198:201], v185 offset0:18 offset1:19
	v_pk_fma_f32 v[132:133], v[206:207], v[204:205], v[132:133] op_sel_hi:[0,1,1] neg_lo:[1,0,0] neg_hi:[1,0,0]
	s_waitcnt lgkmcnt(1)
	v_pk_fma_f32 v[156:157], v[206:207], v[194:195], v[156:157] op_sel_hi:[0,1,1] neg_lo:[1,0,0] neg_hi:[1,0,0]
	ds_read2_b64 v[202:205], v185 offset0:20 offset1:21
	v_pk_fma_f32 v[130:131], v[206:207], v[196:197], v[130:131] op_sel_hi:[0,1,1] neg_lo:[1,0,0] neg_hi:[1,0,0]
	ds_read2_b64 v[194:197], v185 offset0:22 offset1:23
	s_waitcnt lgkmcnt(2)
	v_pk_fma_f32 v[154:155], v[206:207], v[198:199], v[154:155] op_sel_hi:[0,1,1] neg_lo:[1,0,0] neg_hi:[1,0,0]
	v_pk_fma_f32 v[128:129], v[206:207], v[200:201], v[128:129] op_sel_hi:[0,1,1] neg_lo:[1,0,0] neg_hi:[1,0,0]
	s_waitcnt lgkmcnt(1)
	v_pk_fma_f32 v[152:153], v[206:207], v[202:203], v[152:153] op_sel_hi:[0,1,1] neg_lo:[1,0,0] neg_hi:[1,0,0]
	v_pk_fma_f32 v[126:127], v[206:207], v[204:205], v[126:127] op_sel_hi:[0,1,1] neg_lo:[1,0,0] neg_hi:[1,0,0]
	ds_read2_b64 v[198:201], v185 offset0:24 offset1:25
	ds_read2_b64 v[202:205], v185 offset0:26 offset1:27
	s_waitcnt lgkmcnt(2)
	v_pk_fma_f32 v[150:151], v[206:207], v[194:195], v[150:151] op_sel_hi:[0,1,1] neg_lo:[1,0,0] neg_hi:[1,0,0]
	v_pk_fma_f32 v[124:125], v[206:207], v[196:197], v[124:125] op_sel_hi:[0,1,1] neg_lo:[1,0,0] neg_hi:[1,0,0]
	ds_read2_b64 v[194:197], v185 offset0:28 offset1:29
	s_waitcnt lgkmcnt(2)
	v_pk_fma_f32 v[148:149], v[206:207], v[198:199], v[148:149] op_sel_hi:[0,1,1] neg_lo:[1,0,0] neg_hi:[1,0,0]
	v_pk_fma_f32 v[122:123], v[206:207], v[200:201], v[122:123] op_sel_hi:[0,1,1] neg_lo:[1,0,0] neg_hi:[1,0,0]
	s_waitcnt lgkmcnt(1)
	v_pk_fma_f32 v[146:147], v[206:207], v[202:203], v[146:147] op_sel_hi:[0,1,1] neg_lo:[1,0,0] neg_hi:[1,0,0]
	v_pk_fma_f32 v[120:121], v[206:207], v[204:205], v[120:121] op_sel_hi:[0,1,1] neg_lo:[1,0,0] neg_hi:[1,0,0]
	;; [unrolled: 3-line block ×3, first 2 shown]
.LBB119_43:
	s_or_b64 exec, exec, s[2:3]
	v_cmp_eq_u32_e32 vcc, 8, v181
	s_waitcnt lgkmcnt(0)
	s_barrier
	s_and_saveexec_b64 s[2:3], vcc
	s_cbranch_execz .LBB119_46
; %bb.44:
	s_waitcnt vmcnt(56)
	v_pk_mov_b32 v[194:195], v[168:169], v[142:143] op_sel:[1,0]
	ds_write_b32 v183, v168
	ds_write2_b32 v185, v194, v195 offset0:9 offset1:10
	s_waitcnt vmcnt(54)
	v_pk_mov_b32 v[194:195], v[142:143], v[166:167] op_sel:[1,0]
	ds_write2_b32 v185, v194, v195 offset0:11 offset1:12
	s_waitcnt vmcnt(52)
	v_pk_mov_b32 v[194:195], v[166:167], v[140:141] op_sel:[1,0]
	;; [unrolled: 3-line block ×24, first 2 shown]
	ds_write2_b32 v185, v194, v195 offset0:57 offset1:58
	ds_write_b32 v185, v171 offset:236
	ds_read_b32 v193, v183
	s_waitcnt lgkmcnt(0)
	v_cmp_neq_f32_e32 vcc, 0, v193
	s_and_b64 exec, exec, vcc
	s_cbranch_execz .LBB119_46
; %bb.45:
	v_div_scale_f32 v194, s[4:5], v193, v193, 1.0
	v_rcp_f32_e32 v195, v194
	v_div_scale_f32 v196, vcc, 1.0, v193, 1.0
	v_fma_f32 v197, -v194, v195, 1.0
	v_fmac_f32_e32 v195, v197, v195
	v_mul_f32_e32 v197, v196, v195
	v_fma_f32 v198, -v194, v197, v196
	v_fmac_f32_e32 v197, v198, v195
	v_fma_f32 v194, -v194, v197, v196
	v_div_fmas_f32 v194, v194, v195, v197
	v_div_fixup_f32 v193, v194, v193, 1.0
	ds_write_b32 v183, v193
.LBB119_46:
	s_or_b64 exec, exec, s[2:3]
	s_waitcnt lgkmcnt(0)
	s_barrier
	ds_read_b32 v193, v183
	v_cmp_lt_u32_e32 vcc, 8, v181
	s_and_saveexec_b64 s[2:3], vcc
	s_cbranch_execz .LBB119_48
; %bb.47:
	ds_read_b32 v206, v185 offset:36
	ds_read2_b64 v[194:197], v185 offset0:5 offset1:6
	s_waitcnt vmcnt(59) lgkmcnt(2)
	v_mul_f32_e32 v168, v193, v168
	ds_read2_b64 v[198:201], v185 offset0:7 offset1:8
	ds_read2_b64 v[202:205], v185 offset0:9 offset1:10
	s_waitcnt vmcnt(58) lgkmcnt(3)
	v_fma_f32 v169, -v168, v206, v169
	s_waitcnt vmcnt(56) lgkmcnt(2)
	v_pk_fma_f32 v[142:143], v[168:169], v[194:195], v[142:143] op_sel_hi:[0,1,1] neg_lo:[1,0,0] neg_hi:[1,0,0]
	s_waitcnt vmcnt(54)
	v_pk_fma_f32 v[166:167], v[168:169], v[196:197], v[166:167] op_sel_hi:[0,1,1] neg_lo:[1,0,0] neg_hi:[1,0,0]
	ds_read2_b64 v[194:197], v185 offset0:11 offset1:12
	s_waitcnt vmcnt(52) lgkmcnt(2)
	v_pk_fma_f32 v[140:141], v[168:169], v[198:199], v[140:141] op_sel_hi:[0,1,1] neg_lo:[1,0,0] neg_hi:[1,0,0]
	s_waitcnt vmcnt(50)
	v_pk_fma_f32 v[164:165], v[168:169], v[200:201], v[164:165] op_sel_hi:[0,1,1] neg_lo:[1,0,0] neg_hi:[1,0,0]
	s_waitcnt vmcnt(48) lgkmcnt(1)
	v_pk_fma_f32 v[138:139], v[168:169], v[202:203], v[138:139] op_sel_hi:[0,1,1] neg_lo:[1,0,0] neg_hi:[1,0,0]
	ds_read2_b64 v[198:201], v185 offset0:13 offset1:14
	s_waitcnt vmcnt(46)
	v_pk_fma_f32 v[162:163], v[168:169], v[204:205], v[162:163] op_sel_hi:[0,1,1] neg_lo:[1,0,0] neg_hi:[1,0,0]
	s_waitcnt vmcnt(44) lgkmcnt(1)
	v_pk_fma_f32 v[136:137], v[168:169], v[194:195], v[136:137] op_sel_hi:[0,1,1] neg_lo:[1,0,0] neg_hi:[1,0,0]
	ds_read2_b64 v[202:205], v185 offset0:15 offset1:16
	s_waitcnt vmcnt(42)
	v_pk_fma_f32 v[160:161], v[168:169], v[196:197], v[160:161] op_sel_hi:[0,1,1] neg_lo:[1,0,0] neg_hi:[1,0,0]
	ds_read2_b64 v[194:197], v185 offset0:17 offset1:18
	s_waitcnt vmcnt(40) lgkmcnt(2)
	v_pk_fma_f32 v[134:135], v[168:169], v[198:199], v[134:135] op_sel_hi:[0,1,1] neg_lo:[1,0,0] neg_hi:[1,0,0]
	s_waitcnt vmcnt(38)
	v_pk_fma_f32 v[158:159], v[168:169], v[200:201], v[158:159] op_sel_hi:[0,1,1] neg_lo:[1,0,0] neg_hi:[1,0,0]
	s_waitcnt vmcnt(36) lgkmcnt(1)
	v_pk_fma_f32 v[132:133], v[168:169], v[202:203], v[132:133] op_sel_hi:[0,1,1] neg_lo:[1,0,0] neg_hi:[1,0,0]
	ds_read2_b64 v[198:201], v185 offset0:19 offset1:20
	s_waitcnt vmcnt(34)
	v_pk_fma_f32 v[156:157], v[168:169], v[204:205], v[156:157] op_sel_hi:[0,1,1] neg_lo:[1,0,0] neg_hi:[1,0,0]
	s_waitcnt vmcnt(32) lgkmcnt(1)
	v_pk_fma_f32 v[130:131], v[168:169], v[194:195], v[130:131] op_sel_hi:[0,1,1] neg_lo:[1,0,0] neg_hi:[1,0,0]
	ds_read2_b64 v[202:205], v185 offset0:21 offset1:22
	s_waitcnt vmcnt(30)
	v_pk_fma_f32 v[154:155], v[168:169], v[196:197], v[154:155] op_sel_hi:[0,1,1] neg_lo:[1,0,0] neg_hi:[1,0,0]
	ds_read2_b64 v[194:197], v185 offset0:23 offset1:24
	s_waitcnt vmcnt(28) lgkmcnt(2)
	v_pk_fma_f32 v[128:129], v[168:169], v[198:199], v[128:129] op_sel_hi:[0,1,1] neg_lo:[1,0,0] neg_hi:[1,0,0]
	s_waitcnt vmcnt(26)
	v_pk_fma_f32 v[152:153], v[168:169], v[200:201], v[152:153] op_sel_hi:[0,1,1] neg_lo:[1,0,0] neg_hi:[1,0,0]
	s_waitcnt vmcnt(24) lgkmcnt(1)
	v_pk_fma_f32 v[126:127], v[168:169], v[202:203], v[126:127] op_sel_hi:[0,1,1] neg_lo:[1,0,0] neg_hi:[1,0,0]
	s_waitcnt vmcnt(22)
	v_pk_fma_f32 v[150:151], v[168:169], v[204:205], v[150:151] op_sel_hi:[0,1,1] neg_lo:[1,0,0] neg_hi:[1,0,0]
	ds_read2_b64 v[198:201], v185 offset0:25 offset1:26
	s_waitcnt vmcnt(20) lgkmcnt(1)
	v_pk_fma_f32 v[124:125], v[168:169], v[194:195], v[124:125] op_sel_hi:[0,1,1] neg_lo:[1,0,0] neg_hi:[1,0,0]
	ds_read2_b64 v[202:205], v185 offset0:27 offset1:28
	ds_read_b64 v[194:195], v185 offset:232
	s_waitcnt vmcnt(18)
	v_pk_fma_f32 v[148:149], v[168:169], v[196:197], v[148:149] op_sel_hi:[0,1,1] neg_lo:[1,0,0] neg_hi:[1,0,0]
	s_waitcnt vmcnt(16) lgkmcnt(2)
	v_pk_fma_f32 v[122:123], v[168:169], v[198:199], v[122:123] op_sel_hi:[0,1,1] neg_lo:[1,0,0] neg_hi:[1,0,0]
	s_waitcnt vmcnt(14)
	v_pk_fma_f32 v[146:147], v[168:169], v[200:201], v[146:147] op_sel_hi:[0,1,1] neg_lo:[1,0,0] neg_hi:[1,0,0]
	s_waitcnt vmcnt(12) lgkmcnt(1)
	v_pk_fma_f32 v[120:121], v[168:169], v[202:203], v[120:121] op_sel_hi:[0,1,1] neg_lo:[1,0,0] neg_hi:[1,0,0]
	;; [unrolled: 4-line block ×3, first 2 shown]
.LBB119_48:
	s_or_b64 exec, exec, s[2:3]
	v_cmp_ne_u32_e32 vcc, 9, v181
	s_waitcnt lgkmcnt(0)
	s_barrier
	s_and_saveexec_b64 s[2:3], vcc
	s_xor_b64 s[2:3], exec, s[2:3]
	s_andn2_saveexec_b64 s[2:3], s[2:3]
	s_cbranch_execz .LBB119_52
; %bb.49:
	s_waitcnt vmcnt(58)
	ds_write_b32 v183, v169
	s_waitcnt vmcnt(54)
	ds_write2_b64 v185, v[142:143], v[166:167] offset0:5 offset1:6
	s_waitcnt vmcnt(50)
	ds_write2_b64 v185, v[140:141], v[164:165] offset0:7 offset1:8
	s_waitcnt vmcnt(46)
	ds_write2_b64 v185, v[138:139], v[162:163] offset0:9 offset1:10
	s_waitcnt vmcnt(42)
	ds_write2_b64 v185, v[136:137], v[160:161] offset0:11 offset1:12
	s_waitcnt vmcnt(38)
	ds_write2_b64 v185, v[134:135], v[158:159] offset0:13 offset1:14
	s_waitcnt vmcnt(34)
	ds_write2_b64 v185, v[132:133], v[156:157] offset0:15 offset1:16
	s_waitcnt vmcnt(30)
	ds_write2_b64 v185, v[130:131], v[154:155] offset0:17 offset1:18
	s_waitcnt vmcnt(26)
	ds_write2_b64 v185, v[128:129], v[152:153] offset0:19 offset1:20
	s_waitcnt vmcnt(22)
	ds_write2_b64 v185, v[126:127], v[150:151] offset0:21 offset1:22
	s_waitcnt vmcnt(18)
	ds_write2_b64 v185, v[124:125], v[148:149] offset0:23 offset1:24
	s_waitcnt vmcnt(14)
	ds_write2_b64 v185, v[122:123], v[146:147] offset0:25 offset1:26
	s_waitcnt vmcnt(10)
	ds_write2_b64 v185, v[120:121], v[144:145] offset0:27 offset1:28
	s_waitcnt vmcnt(8)
	ds_write_b64 v185, v[170:171] offset:232
	ds_read_b32 v194, v183
	s_waitcnt lgkmcnt(0)
	v_cmp_neq_f32_e32 vcc, 0, v194
	s_and_saveexec_b64 s[4:5], vcc
	s_cbranch_execz .LBB119_51
; %bb.50:
	v_div_scale_f32 v195, s[10:11], v194, v194, 1.0
	v_rcp_f32_e32 v196, v195
	v_div_scale_f32 v197, vcc, 1.0, v194, 1.0
	v_fma_f32 v198, -v195, v196, 1.0
	v_fmac_f32_e32 v196, v198, v196
	v_mul_f32_e32 v198, v197, v196
	v_fma_f32 v199, -v195, v198, v197
	v_fmac_f32_e32 v198, v199, v196
	v_fma_f32 v195, -v195, v198, v197
	v_div_fmas_f32 v195, v195, v196, v198
	v_div_fixup_f32 v194, v195, v194, 1.0
	ds_write_b32 v183, v194
.LBB119_51:
	s_or_b64 exec, exec, s[4:5]
.LBB119_52:
	s_or_b64 exec, exec, s[2:3]
	s_waitcnt lgkmcnt(0)
	s_barrier
	ds_read_b32 v194, v183
	v_cmp_lt_u32_e32 vcc, 9, v181
	s_and_saveexec_b64 s[2:3], vcc
	s_cbranch_execz .LBB119_54
; %bb.53:
	ds_read2_b64 v[196:199], v185 offset0:5 offset1:6
	ds_read2_b64 v[200:203], v185 offset0:7 offset1:8
	s_waitcnt vmcnt(58) lgkmcnt(2)
	v_mul_f32_e32 v208, v194, v169
	ds_read2_b64 v[204:207], v185 offset0:9 offset1:10
	v_mov_b32_e32 v169, v208
	s_waitcnt vmcnt(56) lgkmcnt(2)
	v_pk_fma_f32 v[142:143], v[208:209], v[196:197], v[142:143] op_sel_hi:[0,1,1] neg_lo:[1,0,0] neg_hi:[1,0,0]
	s_waitcnt vmcnt(54)
	v_pk_fma_f32 v[166:167], v[208:209], v[198:199], v[166:167] op_sel_hi:[0,1,1] neg_lo:[1,0,0] neg_hi:[1,0,0]
	ds_read2_b64 v[196:199], v185 offset0:11 offset1:12
	s_waitcnt vmcnt(52) lgkmcnt(2)
	v_pk_fma_f32 v[140:141], v[208:209], v[200:201], v[140:141] op_sel_hi:[0,1,1] neg_lo:[1,0,0] neg_hi:[1,0,0]
	s_waitcnt vmcnt(50)
	v_pk_fma_f32 v[164:165], v[208:209], v[202:203], v[164:165] op_sel_hi:[0,1,1] neg_lo:[1,0,0] neg_hi:[1,0,0]
	s_waitcnt vmcnt(48) lgkmcnt(1)
	v_pk_fma_f32 v[138:139], v[208:209], v[204:205], v[138:139] op_sel_hi:[0,1,1] neg_lo:[1,0,0] neg_hi:[1,0,0]
	ds_read2_b64 v[200:203], v185 offset0:13 offset1:14
	s_waitcnt vmcnt(46)
	v_pk_fma_f32 v[162:163], v[208:209], v[206:207], v[162:163] op_sel_hi:[0,1,1] neg_lo:[1,0,0] neg_hi:[1,0,0]
	s_waitcnt vmcnt(44) lgkmcnt(1)
	v_pk_fma_f32 v[136:137], v[208:209], v[196:197], v[136:137] op_sel_hi:[0,1,1] neg_lo:[1,0,0] neg_hi:[1,0,0]
	ds_read2_b64 v[204:207], v185 offset0:15 offset1:16
	s_waitcnt vmcnt(42)
	v_pk_fma_f32 v[160:161], v[208:209], v[198:199], v[160:161] op_sel_hi:[0,1,1] neg_lo:[1,0,0] neg_hi:[1,0,0]
	ds_read2_b64 v[196:199], v185 offset0:17 offset1:18
	s_waitcnt vmcnt(40) lgkmcnt(2)
	v_pk_fma_f32 v[134:135], v[208:209], v[200:201], v[134:135] op_sel_hi:[0,1,1] neg_lo:[1,0,0] neg_hi:[1,0,0]
	s_waitcnt vmcnt(38)
	v_pk_fma_f32 v[158:159], v[208:209], v[202:203], v[158:159] op_sel_hi:[0,1,1] neg_lo:[1,0,0] neg_hi:[1,0,0]
	s_waitcnt vmcnt(36) lgkmcnt(1)
	v_pk_fma_f32 v[132:133], v[208:209], v[204:205], v[132:133] op_sel_hi:[0,1,1] neg_lo:[1,0,0] neg_hi:[1,0,0]
	ds_read2_b64 v[200:203], v185 offset0:19 offset1:20
	s_waitcnt vmcnt(34)
	v_pk_fma_f32 v[156:157], v[208:209], v[206:207], v[156:157] op_sel_hi:[0,1,1] neg_lo:[1,0,0] neg_hi:[1,0,0]
	s_waitcnt vmcnt(32) lgkmcnt(1)
	v_pk_fma_f32 v[130:131], v[208:209], v[196:197], v[130:131] op_sel_hi:[0,1,1] neg_lo:[1,0,0] neg_hi:[1,0,0]
	ds_read2_b64 v[204:207], v185 offset0:21 offset1:22
	s_waitcnt vmcnt(30)
	v_pk_fma_f32 v[154:155], v[208:209], v[198:199], v[154:155] op_sel_hi:[0,1,1] neg_lo:[1,0,0] neg_hi:[1,0,0]
	ds_read2_b64 v[196:199], v185 offset0:23 offset1:24
	s_waitcnt vmcnt(28) lgkmcnt(2)
	v_pk_fma_f32 v[128:129], v[208:209], v[200:201], v[128:129] op_sel_hi:[0,1,1] neg_lo:[1,0,0] neg_hi:[1,0,0]
	s_waitcnt vmcnt(26)
	v_pk_fma_f32 v[152:153], v[208:209], v[202:203], v[152:153] op_sel_hi:[0,1,1] neg_lo:[1,0,0] neg_hi:[1,0,0]
	s_waitcnt vmcnt(24) lgkmcnt(1)
	v_pk_fma_f32 v[126:127], v[208:209], v[204:205], v[126:127] op_sel_hi:[0,1,1] neg_lo:[1,0,0] neg_hi:[1,0,0]
	s_waitcnt vmcnt(22)
	v_pk_fma_f32 v[150:151], v[208:209], v[206:207], v[150:151] op_sel_hi:[0,1,1] neg_lo:[1,0,0] neg_hi:[1,0,0]
	ds_read2_b64 v[200:203], v185 offset0:25 offset1:26
	ds_read2_b64 v[204:207], v185 offset0:27 offset1:28
	s_waitcnt vmcnt(20) lgkmcnt(2)
	v_pk_fma_f32 v[124:125], v[208:209], v[196:197], v[124:125] op_sel_hi:[0,1,1] neg_lo:[1,0,0] neg_hi:[1,0,0]
	ds_read_b64 v[196:197], v185 offset:232
	s_waitcnt vmcnt(18)
	v_pk_fma_f32 v[148:149], v[208:209], v[198:199], v[148:149] op_sel_hi:[0,1,1] neg_lo:[1,0,0] neg_hi:[1,0,0]
	s_waitcnt vmcnt(16) lgkmcnt(2)
	v_pk_fma_f32 v[122:123], v[208:209], v[200:201], v[122:123] op_sel_hi:[0,1,1] neg_lo:[1,0,0] neg_hi:[1,0,0]
	s_waitcnt vmcnt(14)
	v_pk_fma_f32 v[146:147], v[208:209], v[202:203], v[146:147] op_sel_hi:[0,1,1] neg_lo:[1,0,0] neg_hi:[1,0,0]
	s_waitcnt vmcnt(12) lgkmcnt(1)
	v_pk_fma_f32 v[120:121], v[208:209], v[204:205], v[120:121] op_sel_hi:[0,1,1] neg_lo:[1,0,0] neg_hi:[1,0,0]
	;; [unrolled: 4-line block ×3, first 2 shown]
.LBB119_54:
	s_or_b64 exec, exec, s[2:3]
	v_cmp_eq_u32_e32 vcc, 10, v181
	s_waitcnt lgkmcnt(0)
	s_barrier
	s_and_saveexec_b64 s[2:3], vcc
	s_cbranch_execz .LBB119_57
; %bb.55:
	s_waitcnt vmcnt(54)
	v_pk_mov_b32 v[196:197], v[142:143], v[166:167] op_sel:[1,0]
	ds_write_b32 v183, v142
	ds_write2_b32 v185, v196, v197 offset0:11 offset1:12
	s_waitcnt vmcnt(52)
	v_pk_mov_b32 v[196:197], v[166:167], v[140:141] op_sel:[1,0]
	ds_write2_b32 v185, v196, v197 offset0:13 offset1:14
	s_waitcnt vmcnt(50)
	v_pk_mov_b32 v[196:197], v[140:141], v[164:165] op_sel:[1,0]
	;; [unrolled: 3-line block ×23, first 2 shown]
	ds_write2_b32 v185, v196, v197 offset0:57 offset1:58
	ds_write_b32 v185, v171 offset:236
	ds_read_b32 v195, v183
	s_waitcnt lgkmcnt(0)
	v_cmp_neq_f32_e32 vcc, 0, v195
	s_and_b64 exec, exec, vcc
	s_cbranch_execz .LBB119_57
; %bb.56:
	v_div_scale_f32 v196, s[4:5], v195, v195, 1.0
	v_rcp_f32_e32 v197, v196
	v_div_scale_f32 v198, vcc, 1.0, v195, 1.0
	v_fma_f32 v199, -v196, v197, 1.0
	v_fmac_f32_e32 v197, v199, v197
	v_mul_f32_e32 v199, v198, v197
	v_fma_f32 v200, -v196, v199, v198
	v_fmac_f32_e32 v199, v200, v197
	v_fma_f32 v196, -v196, v199, v198
	v_div_fmas_f32 v196, v196, v197, v199
	v_div_fixup_f32 v195, v196, v195, 1.0
	ds_write_b32 v183, v195
.LBB119_57:
	s_or_b64 exec, exec, s[2:3]
	s_waitcnt lgkmcnt(0)
	s_barrier
	ds_read_b32 v195, v183
	v_cmp_lt_u32_e32 vcc, 10, v181
	s_and_saveexec_b64 s[2:3], vcc
	s_cbranch_execz .LBB119_59
; %bb.58:
	ds_read_b32 v208, v185 offset:44
	ds_read2_b64 v[196:199], v185 offset0:6 offset1:7
	ds_read2_b64 v[200:203], v185 offset0:8 offset1:9
	;; [unrolled: 1-line block ×3, first 2 shown]
	s_waitcnt vmcnt(57) lgkmcnt(4)
	v_mul_f32_e32 v142, v195, v142
	s_waitcnt vmcnt(56) lgkmcnt(3)
	v_fma_f32 v143, -v142, v208, v143
	s_waitcnt vmcnt(54) lgkmcnt(2)
	v_pk_fma_f32 v[166:167], v[142:143], v[196:197], v[166:167] op_sel_hi:[0,1,1] neg_lo:[1,0,0] neg_hi:[1,0,0]
	s_waitcnt vmcnt(52)
	v_pk_fma_f32 v[140:141], v[142:143], v[198:199], v[140:141] op_sel_hi:[0,1,1] neg_lo:[1,0,0] neg_hi:[1,0,0]
	s_waitcnt vmcnt(50) lgkmcnt(1)
	v_pk_fma_f32 v[164:165], v[142:143], v[200:201], v[164:165] op_sel_hi:[0,1,1] neg_lo:[1,0,0] neg_hi:[1,0,0]
	ds_read2_b64 v[196:199], v185 offset0:12 offset1:13
	s_waitcnt vmcnt(48)
	v_pk_fma_f32 v[138:139], v[142:143], v[202:203], v[138:139] op_sel_hi:[0,1,1] neg_lo:[1,0,0] neg_hi:[1,0,0]
	s_waitcnt vmcnt(46) lgkmcnt(1)
	v_pk_fma_f32 v[162:163], v[142:143], v[204:205], v[162:163] op_sel_hi:[0,1,1] neg_lo:[1,0,0] neg_hi:[1,0,0]
	ds_read2_b64 v[200:203], v185 offset0:14 offset1:15
	s_waitcnt vmcnt(44)
	v_pk_fma_f32 v[136:137], v[142:143], v[206:207], v[136:137] op_sel_hi:[0,1,1] neg_lo:[1,0,0] neg_hi:[1,0,0]
	ds_read2_b64 v[204:207], v185 offset0:16 offset1:17
	s_waitcnt vmcnt(42) lgkmcnt(2)
	v_pk_fma_f32 v[160:161], v[142:143], v[196:197], v[160:161] op_sel_hi:[0,1,1] neg_lo:[1,0,0] neg_hi:[1,0,0]
	s_waitcnt vmcnt(40)
	v_pk_fma_f32 v[134:135], v[142:143], v[198:199], v[134:135] op_sel_hi:[0,1,1] neg_lo:[1,0,0] neg_hi:[1,0,0]
	s_waitcnt vmcnt(38) lgkmcnt(1)
	v_pk_fma_f32 v[158:159], v[142:143], v[200:201], v[158:159] op_sel_hi:[0,1,1] neg_lo:[1,0,0] neg_hi:[1,0,0]
	ds_read2_b64 v[196:199], v185 offset0:18 offset1:19
	s_waitcnt vmcnt(36)
	v_pk_fma_f32 v[132:133], v[142:143], v[202:203], v[132:133] op_sel_hi:[0,1,1] neg_lo:[1,0,0] neg_hi:[1,0,0]
	s_waitcnt vmcnt(34) lgkmcnt(1)
	v_pk_fma_f32 v[156:157], v[142:143], v[204:205], v[156:157] op_sel_hi:[0,1,1] neg_lo:[1,0,0] neg_hi:[1,0,0]
	ds_read2_b64 v[200:203], v185 offset0:20 offset1:21
	s_waitcnt vmcnt(32)
	v_pk_fma_f32 v[130:131], v[142:143], v[206:207], v[130:131] op_sel_hi:[0,1,1] neg_lo:[1,0,0] neg_hi:[1,0,0]
	ds_read2_b64 v[204:207], v185 offset0:22 offset1:23
	s_waitcnt vmcnt(30) lgkmcnt(2)
	v_pk_fma_f32 v[154:155], v[142:143], v[196:197], v[154:155] op_sel_hi:[0,1,1] neg_lo:[1,0,0] neg_hi:[1,0,0]
	s_waitcnt vmcnt(28)
	v_pk_fma_f32 v[128:129], v[142:143], v[198:199], v[128:129] op_sel_hi:[0,1,1] neg_lo:[1,0,0] neg_hi:[1,0,0]
	s_waitcnt vmcnt(26) lgkmcnt(1)
	v_pk_fma_f32 v[152:153], v[142:143], v[200:201], v[152:153] op_sel_hi:[0,1,1] neg_lo:[1,0,0] neg_hi:[1,0,0]
	s_waitcnt vmcnt(24)
	v_pk_fma_f32 v[126:127], v[142:143], v[202:203], v[126:127] op_sel_hi:[0,1,1] neg_lo:[1,0,0] neg_hi:[1,0,0]
	ds_read2_b64 v[196:199], v185 offset0:24 offset1:25
	ds_read2_b64 v[200:203], v185 offset0:26 offset1:27
	s_waitcnt vmcnt(22) lgkmcnt(2)
	v_pk_fma_f32 v[150:151], v[142:143], v[204:205], v[150:151] op_sel_hi:[0,1,1] neg_lo:[1,0,0] neg_hi:[1,0,0]
	s_waitcnt vmcnt(20)
	v_pk_fma_f32 v[124:125], v[142:143], v[206:207], v[124:125] op_sel_hi:[0,1,1] neg_lo:[1,0,0] neg_hi:[1,0,0]
	ds_read2_b64 v[204:207], v185 offset0:28 offset1:29
	s_waitcnt vmcnt(18) lgkmcnt(2)
	v_pk_fma_f32 v[148:149], v[142:143], v[196:197], v[148:149] op_sel_hi:[0,1,1] neg_lo:[1,0,0] neg_hi:[1,0,0]
	s_waitcnt vmcnt(16)
	v_pk_fma_f32 v[122:123], v[142:143], v[198:199], v[122:123] op_sel_hi:[0,1,1] neg_lo:[1,0,0] neg_hi:[1,0,0]
	s_waitcnt vmcnt(14) lgkmcnt(1)
	v_pk_fma_f32 v[146:147], v[142:143], v[200:201], v[146:147] op_sel_hi:[0,1,1] neg_lo:[1,0,0] neg_hi:[1,0,0]
	s_waitcnt vmcnt(12)
	v_pk_fma_f32 v[120:121], v[142:143], v[202:203], v[120:121] op_sel_hi:[0,1,1] neg_lo:[1,0,0] neg_hi:[1,0,0]
	;; [unrolled: 4-line block ×3, first 2 shown]
.LBB119_59:
	s_or_b64 exec, exec, s[2:3]
	v_cmp_ne_u32_e32 vcc, 11, v181
	s_waitcnt lgkmcnt(0)
	s_barrier
	s_and_saveexec_b64 s[2:3], vcc
	s_xor_b64 s[2:3], exec, s[2:3]
	s_andn2_saveexec_b64 s[2:3], s[2:3]
	s_cbranch_execz .LBB119_63
; %bb.60:
	s_waitcnt vmcnt(55)
	v_mov_b32_e32 v196, v166
	s_waitcnt vmcnt(54)
	v_mov_b32_e32 v197, v167
	;; [unrolled: 2-line block ×4, first 2 shown]
	ds_write_b32 v183, v143
	ds_write2_b64 v185, v[196:197], v[198:199] offset0:6 offset1:7
	s_waitcnt vmcnt(51)
	v_mov_b32_e32 v196, v164
	s_waitcnt vmcnt(50)
	v_mov_b32_e32 v197, v165
	s_waitcnt vmcnt(49)
	v_mov_b32_e32 v198, v138
	s_waitcnt vmcnt(48)
	v_mov_b32_e32 v199, v139
	ds_write2_b64 v185, v[196:197], v[198:199] offset0:8 offset1:9
	s_waitcnt vmcnt(47)
	v_mov_b32_e32 v196, v162
	s_waitcnt vmcnt(46)
	v_mov_b32_e32 v197, v163
	s_waitcnt vmcnt(45)
	v_mov_b32_e32 v198, v136
	s_waitcnt vmcnt(44)
	v_mov_b32_e32 v199, v137
	;; [unrolled: 9-line block ×10, first 2 shown]
	ds_write2_b64 v185, v[196:197], v[198:199] offset0:26 offset1:27
	s_waitcnt vmcnt(11)
	v_mov_b32_e32 v196, v144
	s_waitcnt vmcnt(10)
	v_mov_b32_e32 v197, v145
	s_waitcnt vmcnt(8)
	ds_write2_b64 v185, v[196:197], v[170:171] offset0:28 offset1:29
	ds_read_b32 v196, v183
	s_waitcnt lgkmcnt(0)
	v_cmp_neq_f32_e32 vcc, 0, v196
	s_and_saveexec_b64 s[4:5], vcc
	s_cbranch_execz .LBB119_62
; %bb.61:
	v_div_scale_f32 v197, s[10:11], v196, v196, 1.0
	v_rcp_f32_e32 v198, v197
	v_div_scale_f32 v199, vcc, 1.0, v196, 1.0
	v_fma_f32 v200, -v197, v198, 1.0
	v_fmac_f32_e32 v198, v200, v198
	v_mul_f32_e32 v200, v199, v198
	v_fma_f32 v201, -v197, v200, v199
	v_fmac_f32_e32 v200, v201, v198
	v_fma_f32 v197, -v197, v200, v199
	v_div_fmas_f32 v197, v197, v198, v200
	v_div_fixup_f32 v196, v197, v196, 1.0
	ds_write_b32 v183, v196
.LBB119_62:
	s_or_b64 exec, exec, s[4:5]
.LBB119_63:
	s_or_b64 exec, exec, s[2:3]
	s_waitcnt lgkmcnt(0)
	s_barrier
	ds_read_b32 v196, v183
	v_cmp_lt_u32_e32 vcc, 11, v181
	s_and_saveexec_b64 s[2:3], vcc
	s_cbranch_execz .LBB119_65
; %bb.64:
	ds_read2_b64 v[198:201], v185 offset0:6 offset1:7
	ds_read2_b64 v[202:205], v185 offset0:8 offset1:9
	;; [unrolled: 1-line block ×3, first 2 shown]
	s_waitcnt vmcnt(56) lgkmcnt(3)
	v_mul_f32_e32 v210, v196, v143
	v_mov_b32_e32 v143, v210
	s_waitcnt vmcnt(54) lgkmcnt(2)
	v_pk_fma_f32 v[166:167], v[210:211], v[198:199], v[166:167] op_sel_hi:[0,1,1] neg_lo:[1,0,0] neg_hi:[1,0,0]
	s_waitcnt vmcnt(52)
	v_pk_fma_f32 v[140:141], v[210:211], v[200:201], v[140:141] op_sel_hi:[0,1,1] neg_lo:[1,0,0] neg_hi:[1,0,0]
	s_waitcnt vmcnt(50) lgkmcnt(1)
	v_pk_fma_f32 v[164:165], v[210:211], v[202:203], v[164:165] op_sel_hi:[0,1,1] neg_lo:[1,0,0] neg_hi:[1,0,0]
	ds_read2_b64 v[198:201], v185 offset0:12 offset1:13
	s_waitcnt vmcnt(48)
	v_pk_fma_f32 v[138:139], v[210:211], v[204:205], v[138:139] op_sel_hi:[0,1,1] neg_lo:[1,0,0] neg_hi:[1,0,0]
	s_waitcnt vmcnt(46) lgkmcnt(1)
	v_pk_fma_f32 v[162:163], v[210:211], v[206:207], v[162:163] op_sel_hi:[0,1,1] neg_lo:[1,0,0] neg_hi:[1,0,0]
	ds_read2_b64 v[202:205], v185 offset0:14 offset1:15
	s_waitcnt vmcnt(44)
	v_pk_fma_f32 v[136:137], v[210:211], v[208:209], v[136:137] op_sel_hi:[0,1,1] neg_lo:[1,0,0] neg_hi:[1,0,0]
	ds_read2_b64 v[206:209], v185 offset0:16 offset1:17
	s_waitcnt vmcnt(42) lgkmcnt(2)
	v_pk_fma_f32 v[160:161], v[210:211], v[198:199], v[160:161] op_sel_hi:[0,1,1] neg_lo:[1,0,0] neg_hi:[1,0,0]
	s_waitcnt vmcnt(40)
	v_pk_fma_f32 v[134:135], v[210:211], v[200:201], v[134:135] op_sel_hi:[0,1,1] neg_lo:[1,0,0] neg_hi:[1,0,0]
	s_waitcnt vmcnt(38) lgkmcnt(1)
	v_pk_fma_f32 v[158:159], v[210:211], v[202:203], v[158:159] op_sel_hi:[0,1,1] neg_lo:[1,0,0] neg_hi:[1,0,0]
	ds_read2_b64 v[198:201], v185 offset0:18 offset1:19
	s_waitcnt vmcnt(36)
	v_pk_fma_f32 v[132:133], v[210:211], v[204:205], v[132:133] op_sel_hi:[0,1,1] neg_lo:[1,0,0] neg_hi:[1,0,0]
	s_waitcnt vmcnt(34) lgkmcnt(1)
	v_pk_fma_f32 v[156:157], v[210:211], v[206:207], v[156:157] op_sel_hi:[0,1,1] neg_lo:[1,0,0] neg_hi:[1,0,0]
	ds_read2_b64 v[202:205], v185 offset0:20 offset1:21
	s_waitcnt vmcnt(32)
	v_pk_fma_f32 v[130:131], v[210:211], v[208:209], v[130:131] op_sel_hi:[0,1,1] neg_lo:[1,0,0] neg_hi:[1,0,0]
	ds_read2_b64 v[206:209], v185 offset0:22 offset1:23
	s_waitcnt vmcnt(30) lgkmcnt(2)
	v_pk_fma_f32 v[154:155], v[210:211], v[198:199], v[154:155] op_sel_hi:[0,1,1] neg_lo:[1,0,0] neg_hi:[1,0,0]
	s_waitcnt vmcnt(28)
	v_pk_fma_f32 v[128:129], v[210:211], v[200:201], v[128:129] op_sel_hi:[0,1,1] neg_lo:[1,0,0] neg_hi:[1,0,0]
	s_waitcnt vmcnt(26) lgkmcnt(1)
	v_pk_fma_f32 v[152:153], v[210:211], v[202:203], v[152:153] op_sel_hi:[0,1,1] neg_lo:[1,0,0] neg_hi:[1,0,0]
	s_waitcnt vmcnt(24)
	v_pk_fma_f32 v[126:127], v[210:211], v[204:205], v[126:127] op_sel_hi:[0,1,1] neg_lo:[1,0,0] neg_hi:[1,0,0]
	ds_read2_b64 v[198:201], v185 offset0:24 offset1:25
	s_waitcnt vmcnt(22) lgkmcnt(1)
	v_pk_fma_f32 v[150:151], v[210:211], v[206:207], v[150:151] op_sel_hi:[0,1,1] neg_lo:[1,0,0] neg_hi:[1,0,0]
	ds_read2_b64 v[202:205], v185 offset0:26 offset1:27
	s_waitcnt vmcnt(20)
	v_pk_fma_f32 v[124:125], v[210:211], v[208:209], v[124:125] op_sel_hi:[0,1,1] neg_lo:[1,0,0] neg_hi:[1,0,0]
	ds_read2_b64 v[206:209], v185 offset0:28 offset1:29
	s_waitcnt vmcnt(18) lgkmcnt(2)
	v_pk_fma_f32 v[148:149], v[210:211], v[198:199], v[148:149] op_sel_hi:[0,1,1] neg_lo:[1,0,0] neg_hi:[1,0,0]
	s_waitcnt vmcnt(16)
	v_pk_fma_f32 v[122:123], v[210:211], v[200:201], v[122:123] op_sel_hi:[0,1,1] neg_lo:[1,0,0] neg_hi:[1,0,0]
	s_waitcnt vmcnt(14) lgkmcnt(1)
	v_pk_fma_f32 v[146:147], v[210:211], v[202:203], v[146:147] op_sel_hi:[0,1,1] neg_lo:[1,0,0] neg_hi:[1,0,0]
	s_waitcnt vmcnt(12)
	v_pk_fma_f32 v[120:121], v[210:211], v[204:205], v[120:121] op_sel_hi:[0,1,1] neg_lo:[1,0,0] neg_hi:[1,0,0]
	;; [unrolled: 4-line block ×3, first 2 shown]
.LBB119_65:
	s_or_b64 exec, exec, s[2:3]
	v_cmp_eq_u32_e32 vcc, 12, v181
	s_waitcnt lgkmcnt(0)
	s_barrier
	s_and_saveexec_b64 s[2:3], vcc
	s_cbranch_execz .LBB119_68
; %bb.66:
	s_waitcnt vmcnt(52)
	v_pk_mov_b32 v[198:199], v[166:167], v[140:141] op_sel:[1,0]
	ds_write_b32 v183, v166
	ds_write2_b32 v185, v198, v199 offset0:13 offset1:14
	s_waitcnt vmcnt(50)
	v_pk_mov_b32 v[198:199], v[140:141], v[164:165] op_sel:[1,0]
	ds_write2_b32 v185, v198, v199 offset0:15 offset1:16
	s_waitcnt vmcnt(48)
	v_pk_mov_b32 v[198:199], v[164:165], v[138:139] op_sel:[1,0]
	;; [unrolled: 3-line block ×22, first 2 shown]
	ds_write2_b32 v185, v198, v199 offset0:57 offset1:58
	ds_write_b32 v185, v171 offset:236
	ds_read_b32 v197, v183
	s_waitcnt lgkmcnt(0)
	v_cmp_neq_f32_e32 vcc, 0, v197
	s_and_b64 exec, exec, vcc
	s_cbranch_execz .LBB119_68
; %bb.67:
	v_div_scale_f32 v198, s[4:5], v197, v197, 1.0
	v_rcp_f32_e32 v199, v198
	v_div_scale_f32 v200, vcc, 1.0, v197, 1.0
	v_fma_f32 v201, -v198, v199, 1.0
	v_fmac_f32_e32 v199, v201, v199
	v_mul_f32_e32 v201, v200, v199
	v_fma_f32 v202, -v198, v201, v200
	v_fmac_f32_e32 v201, v202, v199
	v_fma_f32 v198, -v198, v201, v200
	v_div_fmas_f32 v198, v198, v199, v201
	v_div_fixup_f32 v197, v198, v197, 1.0
	ds_write_b32 v183, v197
.LBB119_68:
	s_or_b64 exec, exec, s[2:3]
	s_waitcnt lgkmcnt(0)
	s_barrier
	ds_read_b32 v197, v183
	v_cmp_lt_u32_e32 vcc, 12, v181
	s_and_saveexec_b64 s[2:3], vcc
	s_cbranch_execz .LBB119_70
; %bb.69:
	ds_read_b32 v210, v185 offset:52
	ds_read2_b64 v[198:201], v185 offset0:7 offset1:8
	ds_read2_b64 v[202:205], v185 offset0:9 offset1:10
	;; [unrolled: 1-line block ×3, first 2 shown]
	s_waitcnt vmcnt(55) lgkmcnt(4)
	v_mul_f32_e32 v166, v197, v166
	s_waitcnt vmcnt(54) lgkmcnt(3)
	v_fma_f32 v167, -v166, v210, v167
	s_waitcnt vmcnt(52) lgkmcnt(2)
	v_pk_fma_f32 v[140:141], v[166:167], v[198:199], v[140:141] op_sel_hi:[0,1,1] neg_lo:[1,0,0] neg_hi:[1,0,0]
	s_waitcnt vmcnt(50)
	v_pk_fma_f32 v[164:165], v[166:167], v[200:201], v[164:165] op_sel_hi:[0,1,1] neg_lo:[1,0,0] neg_hi:[1,0,0]
	s_waitcnt vmcnt(48) lgkmcnt(1)
	v_pk_fma_f32 v[138:139], v[166:167], v[202:203], v[138:139] op_sel_hi:[0,1,1] neg_lo:[1,0,0] neg_hi:[1,0,0]
	ds_read2_b64 v[198:201], v185 offset0:13 offset1:14
	s_waitcnt vmcnt(46)
	v_pk_fma_f32 v[162:163], v[166:167], v[204:205], v[162:163] op_sel_hi:[0,1,1] neg_lo:[1,0,0] neg_hi:[1,0,0]
	s_waitcnt vmcnt(44) lgkmcnt(1)
	v_pk_fma_f32 v[136:137], v[166:167], v[206:207], v[136:137] op_sel_hi:[0,1,1] neg_lo:[1,0,0] neg_hi:[1,0,0]
	ds_read2_b64 v[202:205], v185 offset0:15 offset1:16
	s_waitcnt vmcnt(42)
	v_pk_fma_f32 v[160:161], v[166:167], v[208:209], v[160:161] op_sel_hi:[0,1,1] neg_lo:[1,0,0] neg_hi:[1,0,0]
	ds_read2_b64 v[206:209], v185 offset0:17 offset1:18
	s_waitcnt vmcnt(40) lgkmcnt(2)
	v_pk_fma_f32 v[134:135], v[166:167], v[198:199], v[134:135] op_sel_hi:[0,1,1] neg_lo:[1,0,0] neg_hi:[1,0,0]
	s_waitcnt vmcnt(38)
	v_pk_fma_f32 v[158:159], v[166:167], v[200:201], v[158:159] op_sel_hi:[0,1,1] neg_lo:[1,0,0] neg_hi:[1,0,0]
	s_waitcnt vmcnt(36) lgkmcnt(1)
	v_pk_fma_f32 v[132:133], v[166:167], v[202:203], v[132:133] op_sel_hi:[0,1,1] neg_lo:[1,0,0] neg_hi:[1,0,0]
	ds_read2_b64 v[198:201], v185 offset0:19 offset1:20
	s_waitcnt vmcnt(34)
	v_pk_fma_f32 v[156:157], v[166:167], v[204:205], v[156:157] op_sel_hi:[0,1,1] neg_lo:[1,0,0] neg_hi:[1,0,0]
	s_waitcnt vmcnt(32) lgkmcnt(1)
	v_pk_fma_f32 v[130:131], v[166:167], v[206:207], v[130:131] op_sel_hi:[0,1,1] neg_lo:[1,0,0] neg_hi:[1,0,0]
	ds_read2_b64 v[202:205], v185 offset0:21 offset1:22
	s_waitcnt vmcnt(30)
	v_pk_fma_f32 v[154:155], v[166:167], v[208:209], v[154:155] op_sel_hi:[0,1,1] neg_lo:[1,0,0] neg_hi:[1,0,0]
	ds_read2_b64 v[206:209], v185 offset0:23 offset1:24
	s_waitcnt vmcnt(28) lgkmcnt(2)
	v_pk_fma_f32 v[128:129], v[166:167], v[198:199], v[128:129] op_sel_hi:[0,1,1] neg_lo:[1,0,0] neg_hi:[1,0,0]
	s_waitcnt vmcnt(26)
	v_pk_fma_f32 v[152:153], v[166:167], v[200:201], v[152:153] op_sel_hi:[0,1,1] neg_lo:[1,0,0] neg_hi:[1,0,0]
	s_waitcnt vmcnt(24) lgkmcnt(1)
	v_pk_fma_f32 v[126:127], v[166:167], v[202:203], v[126:127] op_sel_hi:[0,1,1] neg_lo:[1,0,0] neg_hi:[1,0,0]
	s_waitcnt vmcnt(22)
	v_pk_fma_f32 v[150:151], v[166:167], v[204:205], v[150:151] op_sel_hi:[0,1,1] neg_lo:[1,0,0] neg_hi:[1,0,0]
	ds_read2_b64 v[198:201], v185 offset0:25 offset1:26
	ds_read2_b64 v[202:205], v185 offset0:27 offset1:28
	s_waitcnt vmcnt(20) lgkmcnt(2)
	v_pk_fma_f32 v[124:125], v[166:167], v[206:207], v[124:125] op_sel_hi:[0,1,1] neg_lo:[1,0,0] neg_hi:[1,0,0]
	ds_read_b64 v[206:207], v185 offset:232
	s_waitcnt vmcnt(18)
	v_pk_fma_f32 v[148:149], v[166:167], v[208:209], v[148:149] op_sel_hi:[0,1,1] neg_lo:[1,0,0] neg_hi:[1,0,0]
	s_waitcnt vmcnt(16) lgkmcnt(2)
	v_pk_fma_f32 v[122:123], v[166:167], v[198:199], v[122:123] op_sel_hi:[0,1,1] neg_lo:[1,0,0] neg_hi:[1,0,0]
	s_waitcnt vmcnt(14)
	v_pk_fma_f32 v[146:147], v[166:167], v[200:201], v[146:147] op_sel_hi:[0,1,1] neg_lo:[1,0,0] neg_hi:[1,0,0]
	s_waitcnt vmcnt(12) lgkmcnt(1)
	v_pk_fma_f32 v[120:121], v[166:167], v[202:203], v[120:121] op_sel_hi:[0,1,1] neg_lo:[1,0,0] neg_hi:[1,0,0]
	;; [unrolled: 4-line block ×3, first 2 shown]
.LBB119_70:
	s_or_b64 exec, exec, s[2:3]
	v_cmp_ne_u32_e32 vcc, 13, v181
	s_waitcnt lgkmcnt(0)
	s_barrier
	s_and_saveexec_b64 s[2:3], vcc
	s_xor_b64 s[2:3], exec, s[2:3]
	s_andn2_saveexec_b64 s[2:3], s[2:3]
	s_cbranch_execz .LBB119_74
; %bb.71:
	s_waitcnt vmcnt(54)
	ds_write_b32 v183, v167
	s_waitcnt vmcnt(50)
	ds_write2_b64 v185, v[140:141], v[164:165] offset0:7 offset1:8
	s_waitcnt vmcnt(46)
	ds_write2_b64 v185, v[138:139], v[162:163] offset0:9 offset1:10
	;; [unrolled: 2-line block ×11, first 2 shown]
	s_waitcnt vmcnt(8)
	ds_write_b64 v185, v[170:171] offset:232
	ds_read_b32 v198, v183
	s_waitcnt lgkmcnt(0)
	v_cmp_neq_f32_e32 vcc, 0, v198
	s_and_saveexec_b64 s[4:5], vcc
	s_cbranch_execz .LBB119_73
; %bb.72:
	v_div_scale_f32 v199, s[10:11], v198, v198, 1.0
	v_rcp_f32_e32 v200, v199
	v_div_scale_f32 v201, vcc, 1.0, v198, 1.0
	v_fma_f32 v202, -v199, v200, 1.0
	v_fmac_f32_e32 v200, v202, v200
	v_mul_f32_e32 v202, v201, v200
	v_fma_f32 v203, -v199, v202, v201
	v_fmac_f32_e32 v202, v203, v200
	v_fma_f32 v199, -v199, v202, v201
	v_div_fmas_f32 v199, v199, v200, v202
	v_div_fixup_f32 v198, v199, v198, 1.0
	ds_write_b32 v183, v198
.LBB119_73:
	s_or_b64 exec, exec, s[4:5]
.LBB119_74:
	s_or_b64 exec, exec, s[2:3]
	s_waitcnt lgkmcnt(0)
	s_barrier
	ds_read_b32 v198, v183
	v_cmp_lt_u32_e32 vcc, 13, v181
	s_and_saveexec_b64 s[2:3], vcc
	s_cbranch_execz .LBB119_76
; %bb.75:
	ds_read2_b64 v[200:203], v185 offset0:7 offset1:8
	ds_read2_b64 v[204:207], v185 offset0:9 offset1:10
	;; [unrolled: 1-line block ×3, first 2 shown]
	s_waitcnt vmcnt(54) lgkmcnt(3)
	v_mul_f32_e32 v212, v198, v167
	v_mov_b32_e32 v167, v212
	s_waitcnt vmcnt(52) lgkmcnt(2)
	v_pk_fma_f32 v[140:141], v[212:213], v[200:201], v[140:141] op_sel_hi:[0,1,1] neg_lo:[1,0,0] neg_hi:[1,0,0]
	s_waitcnt vmcnt(50)
	v_pk_fma_f32 v[164:165], v[212:213], v[202:203], v[164:165] op_sel_hi:[0,1,1] neg_lo:[1,0,0] neg_hi:[1,0,0]
	s_waitcnt vmcnt(48) lgkmcnt(1)
	v_pk_fma_f32 v[138:139], v[212:213], v[204:205], v[138:139] op_sel_hi:[0,1,1] neg_lo:[1,0,0] neg_hi:[1,0,0]
	ds_read2_b64 v[200:203], v185 offset0:13 offset1:14
	s_waitcnt vmcnt(46)
	v_pk_fma_f32 v[162:163], v[212:213], v[206:207], v[162:163] op_sel_hi:[0,1,1] neg_lo:[1,0,0] neg_hi:[1,0,0]
	s_waitcnt vmcnt(44) lgkmcnt(1)
	v_pk_fma_f32 v[136:137], v[212:213], v[208:209], v[136:137] op_sel_hi:[0,1,1] neg_lo:[1,0,0] neg_hi:[1,0,0]
	ds_read2_b64 v[204:207], v185 offset0:15 offset1:16
	s_waitcnt vmcnt(42)
	v_pk_fma_f32 v[160:161], v[212:213], v[210:211], v[160:161] op_sel_hi:[0,1,1] neg_lo:[1,0,0] neg_hi:[1,0,0]
	ds_read2_b64 v[208:211], v185 offset0:17 offset1:18
	s_waitcnt vmcnt(40) lgkmcnt(2)
	v_pk_fma_f32 v[134:135], v[212:213], v[200:201], v[134:135] op_sel_hi:[0,1,1] neg_lo:[1,0,0] neg_hi:[1,0,0]
	s_waitcnt vmcnt(38)
	v_pk_fma_f32 v[158:159], v[212:213], v[202:203], v[158:159] op_sel_hi:[0,1,1] neg_lo:[1,0,0] neg_hi:[1,0,0]
	s_waitcnt vmcnt(36) lgkmcnt(1)
	v_pk_fma_f32 v[132:133], v[212:213], v[204:205], v[132:133] op_sel_hi:[0,1,1] neg_lo:[1,0,0] neg_hi:[1,0,0]
	ds_read2_b64 v[200:203], v185 offset0:19 offset1:20
	s_waitcnt vmcnt(34)
	v_pk_fma_f32 v[156:157], v[212:213], v[206:207], v[156:157] op_sel_hi:[0,1,1] neg_lo:[1,0,0] neg_hi:[1,0,0]
	s_waitcnt vmcnt(32) lgkmcnt(1)
	v_pk_fma_f32 v[130:131], v[212:213], v[208:209], v[130:131] op_sel_hi:[0,1,1] neg_lo:[1,0,0] neg_hi:[1,0,0]
	ds_read2_b64 v[204:207], v185 offset0:21 offset1:22
	s_waitcnt vmcnt(30)
	v_pk_fma_f32 v[154:155], v[212:213], v[210:211], v[154:155] op_sel_hi:[0,1,1] neg_lo:[1,0,0] neg_hi:[1,0,0]
	ds_read2_b64 v[208:211], v185 offset0:23 offset1:24
	s_waitcnt vmcnt(28) lgkmcnt(2)
	v_pk_fma_f32 v[128:129], v[212:213], v[200:201], v[128:129] op_sel_hi:[0,1,1] neg_lo:[1,0,0] neg_hi:[1,0,0]
	s_waitcnt vmcnt(26)
	v_pk_fma_f32 v[152:153], v[212:213], v[202:203], v[152:153] op_sel_hi:[0,1,1] neg_lo:[1,0,0] neg_hi:[1,0,0]
	s_waitcnt vmcnt(24) lgkmcnt(1)
	v_pk_fma_f32 v[126:127], v[212:213], v[204:205], v[126:127] op_sel_hi:[0,1,1] neg_lo:[1,0,0] neg_hi:[1,0,0]
	s_waitcnt vmcnt(22)
	v_pk_fma_f32 v[150:151], v[212:213], v[206:207], v[150:151] op_sel_hi:[0,1,1] neg_lo:[1,0,0] neg_hi:[1,0,0]
	ds_read2_b64 v[200:203], v185 offset0:25 offset1:26
	s_waitcnt vmcnt(20) lgkmcnt(1)
	v_pk_fma_f32 v[124:125], v[212:213], v[208:209], v[124:125] op_sel_hi:[0,1,1] neg_lo:[1,0,0] neg_hi:[1,0,0]
	ds_read2_b64 v[204:207], v185 offset0:27 offset1:28
	ds_read_b64 v[208:209], v185 offset:232
	s_waitcnt vmcnt(18)
	v_pk_fma_f32 v[148:149], v[212:213], v[210:211], v[148:149] op_sel_hi:[0,1,1] neg_lo:[1,0,0] neg_hi:[1,0,0]
	s_waitcnt vmcnt(16) lgkmcnt(2)
	v_pk_fma_f32 v[122:123], v[212:213], v[200:201], v[122:123] op_sel_hi:[0,1,1] neg_lo:[1,0,0] neg_hi:[1,0,0]
	s_waitcnt vmcnt(14)
	v_pk_fma_f32 v[146:147], v[212:213], v[202:203], v[146:147] op_sel_hi:[0,1,1] neg_lo:[1,0,0] neg_hi:[1,0,0]
	s_waitcnt vmcnt(12) lgkmcnt(1)
	v_pk_fma_f32 v[120:121], v[212:213], v[204:205], v[120:121] op_sel_hi:[0,1,1] neg_lo:[1,0,0] neg_hi:[1,0,0]
	;; [unrolled: 4-line block ×3, first 2 shown]
.LBB119_76:
	s_or_b64 exec, exec, s[2:3]
	v_cmp_eq_u32_e32 vcc, 14, v181
	s_waitcnt lgkmcnt(0)
	s_barrier
	s_and_saveexec_b64 s[2:3], vcc
	s_cbranch_execz .LBB119_79
; %bb.77:
	s_waitcnt vmcnt(50)
	v_pk_mov_b32 v[200:201], v[140:141], v[164:165] op_sel:[1,0]
	ds_write_b32 v183, v140
	ds_write2_b32 v185, v200, v201 offset0:15 offset1:16
	s_waitcnt vmcnt(48)
	v_pk_mov_b32 v[200:201], v[164:165], v[138:139] op_sel:[1,0]
	ds_write2_b32 v185, v200, v201 offset0:17 offset1:18
	s_waitcnt vmcnt(46)
	v_pk_mov_b32 v[200:201], v[138:139], v[162:163] op_sel:[1,0]
	;; [unrolled: 3-line block ×21, first 2 shown]
	ds_write2_b32 v185, v200, v201 offset0:57 offset1:58
	ds_write_b32 v185, v171 offset:236
	ds_read_b32 v199, v183
	s_waitcnt lgkmcnt(0)
	v_cmp_neq_f32_e32 vcc, 0, v199
	s_and_b64 exec, exec, vcc
	s_cbranch_execz .LBB119_79
; %bb.78:
	v_div_scale_f32 v200, s[4:5], v199, v199, 1.0
	v_rcp_f32_e32 v201, v200
	v_div_scale_f32 v202, vcc, 1.0, v199, 1.0
	v_fma_f32 v203, -v200, v201, 1.0
	v_fmac_f32_e32 v201, v203, v201
	v_mul_f32_e32 v203, v202, v201
	v_fma_f32 v204, -v200, v203, v202
	v_fmac_f32_e32 v203, v204, v201
	v_fma_f32 v200, -v200, v203, v202
	v_div_fmas_f32 v200, v200, v201, v203
	v_div_fixup_f32 v199, v200, v199, 1.0
	ds_write_b32 v183, v199
.LBB119_79:
	s_or_b64 exec, exec, s[2:3]
	s_waitcnt lgkmcnt(0)
	s_barrier
	ds_read_b32 v199, v183
	v_cmp_lt_u32_e32 vcc, 14, v181
	s_and_saveexec_b64 s[2:3], vcc
	s_cbranch_execz .LBB119_81
; %bb.80:
	ds_read_b32 v212, v185 offset:60
	ds_read2_b64 v[200:203], v185 offset0:8 offset1:9
	ds_read2_b64 v[204:207], v185 offset0:10 offset1:11
	ds_read2_b64 v[208:211], v185 offset0:12 offset1:13
	s_waitcnt vmcnt(53) lgkmcnt(4)
	v_mul_f32_e32 v140, v199, v140
	s_waitcnt vmcnt(52) lgkmcnt(3)
	v_fma_f32 v141, -v140, v212, v141
	s_waitcnt vmcnt(50) lgkmcnt(2)
	v_pk_fma_f32 v[164:165], v[140:141], v[200:201], v[164:165] op_sel_hi:[0,1,1] neg_lo:[1,0,0] neg_hi:[1,0,0]
	s_waitcnt vmcnt(48)
	v_pk_fma_f32 v[138:139], v[140:141], v[202:203], v[138:139] op_sel_hi:[0,1,1] neg_lo:[1,0,0] neg_hi:[1,0,0]
	s_waitcnt vmcnt(46) lgkmcnt(1)
	v_pk_fma_f32 v[162:163], v[140:141], v[204:205], v[162:163] op_sel_hi:[0,1,1] neg_lo:[1,0,0] neg_hi:[1,0,0]
	ds_read2_b64 v[200:203], v185 offset0:14 offset1:15
	s_waitcnt vmcnt(44)
	v_pk_fma_f32 v[136:137], v[140:141], v[206:207], v[136:137] op_sel_hi:[0,1,1] neg_lo:[1,0,0] neg_hi:[1,0,0]
	ds_read2_b64 v[204:207], v185 offset0:16 offset1:17
	s_waitcnt vmcnt(42) lgkmcnt(2)
	v_pk_fma_f32 v[160:161], v[140:141], v[208:209], v[160:161] op_sel_hi:[0,1,1] neg_lo:[1,0,0] neg_hi:[1,0,0]
	s_waitcnt vmcnt(40)
	v_pk_fma_f32 v[134:135], v[140:141], v[210:211], v[134:135] op_sel_hi:[0,1,1] neg_lo:[1,0,0] neg_hi:[1,0,0]
	s_waitcnt vmcnt(38) lgkmcnt(1)
	v_pk_fma_f32 v[158:159], v[140:141], v[200:201], v[158:159] op_sel_hi:[0,1,1] neg_lo:[1,0,0] neg_hi:[1,0,0]
	ds_read2_b64 v[208:211], v185 offset0:18 offset1:19
	s_waitcnt vmcnt(36)
	v_pk_fma_f32 v[132:133], v[140:141], v[202:203], v[132:133] op_sel_hi:[0,1,1] neg_lo:[1,0,0] neg_hi:[1,0,0]
	s_waitcnt vmcnt(34) lgkmcnt(1)
	v_pk_fma_f32 v[156:157], v[140:141], v[204:205], v[156:157] op_sel_hi:[0,1,1] neg_lo:[1,0,0] neg_hi:[1,0,0]
	ds_read2_b64 v[200:203], v185 offset0:20 offset1:21
	s_waitcnt vmcnt(32)
	v_pk_fma_f32 v[130:131], v[140:141], v[206:207], v[130:131] op_sel_hi:[0,1,1] neg_lo:[1,0,0] neg_hi:[1,0,0]
	ds_read2_b64 v[204:207], v185 offset0:22 offset1:23
	s_waitcnt vmcnt(30) lgkmcnt(2)
	v_pk_fma_f32 v[154:155], v[140:141], v[208:209], v[154:155] op_sel_hi:[0,1,1] neg_lo:[1,0,0] neg_hi:[1,0,0]
	s_waitcnt vmcnt(28)
	v_pk_fma_f32 v[128:129], v[140:141], v[210:211], v[128:129] op_sel_hi:[0,1,1] neg_lo:[1,0,0] neg_hi:[1,0,0]
	s_waitcnt vmcnt(26) lgkmcnt(1)
	v_pk_fma_f32 v[152:153], v[140:141], v[200:201], v[152:153] op_sel_hi:[0,1,1] neg_lo:[1,0,0] neg_hi:[1,0,0]
	s_waitcnt vmcnt(24)
	v_pk_fma_f32 v[126:127], v[140:141], v[202:203], v[126:127] op_sel_hi:[0,1,1] neg_lo:[1,0,0] neg_hi:[1,0,0]
	ds_read2_b64 v[200:203], v185 offset0:24 offset1:25
	s_waitcnt vmcnt(22) lgkmcnt(1)
	v_pk_fma_f32 v[150:151], v[140:141], v[204:205], v[150:151] op_sel_hi:[0,1,1] neg_lo:[1,0,0] neg_hi:[1,0,0]
	ds_read2_b64 v[208:211], v185 offset0:26 offset1:27
	s_waitcnt vmcnt(20)
	v_pk_fma_f32 v[124:125], v[140:141], v[206:207], v[124:125] op_sel_hi:[0,1,1] neg_lo:[1,0,0] neg_hi:[1,0,0]
	ds_read2_b64 v[204:207], v185 offset0:28 offset1:29
	s_waitcnt vmcnt(18) lgkmcnt(2)
	v_pk_fma_f32 v[148:149], v[140:141], v[200:201], v[148:149] op_sel_hi:[0,1,1] neg_lo:[1,0,0] neg_hi:[1,0,0]
	s_waitcnt vmcnt(16)
	v_pk_fma_f32 v[122:123], v[140:141], v[202:203], v[122:123] op_sel_hi:[0,1,1] neg_lo:[1,0,0] neg_hi:[1,0,0]
	s_waitcnt vmcnt(14) lgkmcnt(1)
	v_pk_fma_f32 v[146:147], v[140:141], v[208:209], v[146:147] op_sel_hi:[0,1,1] neg_lo:[1,0,0] neg_hi:[1,0,0]
	s_waitcnt vmcnt(12)
	v_pk_fma_f32 v[120:121], v[140:141], v[210:211], v[120:121] op_sel_hi:[0,1,1] neg_lo:[1,0,0] neg_hi:[1,0,0]
	;; [unrolled: 4-line block ×3, first 2 shown]
.LBB119_81:
	s_or_b64 exec, exec, s[2:3]
	v_cmp_ne_u32_e32 vcc, 15, v181
	s_waitcnt lgkmcnt(0)
	s_barrier
	s_and_saveexec_b64 s[2:3], vcc
	s_xor_b64 s[2:3], exec, s[2:3]
	s_andn2_saveexec_b64 s[2:3], s[2:3]
	s_cbranch_execz .LBB119_85
; %bb.82:
	s_waitcnt vmcnt(51)
	v_mov_b32_e32 v200, v164
	s_waitcnt vmcnt(50)
	v_mov_b32_e32 v201, v165
	;; [unrolled: 2-line block ×4, first 2 shown]
	ds_write_b32 v183, v141
	ds_write2_b64 v185, v[200:201], v[202:203] offset0:8 offset1:9
	s_waitcnt vmcnt(47)
	v_mov_b32_e32 v200, v162
	s_waitcnt vmcnt(46)
	v_mov_b32_e32 v201, v163
	s_waitcnt vmcnt(45)
	v_mov_b32_e32 v202, v136
	s_waitcnt vmcnt(44)
	v_mov_b32_e32 v203, v137
	ds_write2_b64 v185, v[200:201], v[202:203] offset0:10 offset1:11
	s_waitcnt vmcnt(43)
	v_mov_b32_e32 v200, v160
	s_waitcnt vmcnt(42)
	v_mov_b32_e32 v201, v161
	s_waitcnt vmcnt(41)
	v_mov_b32_e32 v202, v134
	s_waitcnt vmcnt(40)
	v_mov_b32_e32 v203, v135
	;; [unrolled: 9-line block ×9, first 2 shown]
	ds_write2_b64 v185, v[200:201], v[202:203] offset0:26 offset1:27
	s_waitcnt vmcnt(11)
	v_mov_b32_e32 v200, v144
	s_waitcnt vmcnt(10)
	v_mov_b32_e32 v201, v145
	s_waitcnt vmcnt(8)
	ds_write2_b64 v185, v[200:201], v[170:171] offset0:28 offset1:29
	ds_read_b32 v200, v183
	s_waitcnt lgkmcnt(0)
	v_cmp_neq_f32_e32 vcc, 0, v200
	s_and_saveexec_b64 s[4:5], vcc
	s_cbranch_execz .LBB119_84
; %bb.83:
	v_div_scale_f32 v201, s[10:11], v200, v200, 1.0
	v_rcp_f32_e32 v202, v201
	v_div_scale_f32 v203, vcc, 1.0, v200, 1.0
	v_fma_f32 v204, -v201, v202, 1.0
	v_fmac_f32_e32 v202, v204, v202
	v_mul_f32_e32 v204, v203, v202
	v_fma_f32 v205, -v201, v204, v203
	v_fmac_f32_e32 v204, v205, v202
	v_fma_f32 v201, -v201, v204, v203
	v_div_fmas_f32 v201, v201, v202, v204
	v_div_fixup_f32 v200, v201, v200, 1.0
	ds_write_b32 v183, v200
.LBB119_84:
	s_or_b64 exec, exec, s[4:5]
.LBB119_85:
	s_or_b64 exec, exec, s[2:3]
	s_waitcnt lgkmcnt(0)
	s_barrier
	ds_read_b32 v200, v183
	v_cmp_lt_u32_e32 vcc, 15, v181
	s_and_saveexec_b64 s[2:3], vcc
	s_cbranch_execz .LBB119_87
; %bb.86:
	ds_read2_b64 v[202:205], v185 offset0:8 offset1:9
	ds_read2_b64 v[206:209], v185 offset0:10 offset1:11
	s_waitcnt vmcnt(52) lgkmcnt(2)
	v_mul_f32_e32 v214, v200, v141
	ds_read2_b64 v[210:213], v185 offset0:12 offset1:13
	v_mov_b32_e32 v141, v214
	s_waitcnt vmcnt(50) lgkmcnt(2)
	v_pk_fma_f32 v[164:165], v[214:215], v[202:203], v[164:165] op_sel_hi:[0,1,1] neg_lo:[1,0,0] neg_hi:[1,0,0]
	s_waitcnt vmcnt(48)
	v_pk_fma_f32 v[138:139], v[214:215], v[204:205], v[138:139] op_sel_hi:[0,1,1] neg_lo:[1,0,0] neg_hi:[1,0,0]
	s_waitcnt vmcnt(46) lgkmcnt(1)
	v_pk_fma_f32 v[162:163], v[214:215], v[206:207], v[162:163] op_sel_hi:[0,1,1] neg_lo:[1,0,0] neg_hi:[1,0,0]
	ds_read2_b64 v[202:205], v185 offset0:14 offset1:15
	s_waitcnt vmcnt(44)
	v_pk_fma_f32 v[136:137], v[214:215], v[208:209], v[136:137] op_sel_hi:[0,1,1] neg_lo:[1,0,0] neg_hi:[1,0,0]
	ds_read2_b64 v[206:209], v185 offset0:16 offset1:17
	s_waitcnt vmcnt(42) lgkmcnt(2)
	v_pk_fma_f32 v[160:161], v[214:215], v[210:211], v[160:161] op_sel_hi:[0,1,1] neg_lo:[1,0,0] neg_hi:[1,0,0]
	s_waitcnt vmcnt(40)
	v_pk_fma_f32 v[134:135], v[214:215], v[212:213], v[134:135] op_sel_hi:[0,1,1] neg_lo:[1,0,0] neg_hi:[1,0,0]
	s_waitcnt vmcnt(38) lgkmcnt(1)
	v_pk_fma_f32 v[158:159], v[214:215], v[202:203], v[158:159] op_sel_hi:[0,1,1] neg_lo:[1,0,0] neg_hi:[1,0,0]
	ds_read2_b64 v[210:213], v185 offset0:18 offset1:19
	s_waitcnt vmcnt(36)
	v_pk_fma_f32 v[132:133], v[214:215], v[204:205], v[132:133] op_sel_hi:[0,1,1] neg_lo:[1,0,0] neg_hi:[1,0,0]
	s_waitcnt vmcnt(34) lgkmcnt(1)
	v_pk_fma_f32 v[156:157], v[214:215], v[206:207], v[156:157] op_sel_hi:[0,1,1] neg_lo:[1,0,0] neg_hi:[1,0,0]
	ds_read2_b64 v[202:205], v185 offset0:20 offset1:21
	s_waitcnt vmcnt(32)
	v_pk_fma_f32 v[130:131], v[214:215], v[208:209], v[130:131] op_sel_hi:[0,1,1] neg_lo:[1,0,0] neg_hi:[1,0,0]
	ds_read2_b64 v[206:209], v185 offset0:22 offset1:23
	s_waitcnt vmcnt(30) lgkmcnt(2)
	v_pk_fma_f32 v[154:155], v[214:215], v[210:211], v[154:155] op_sel_hi:[0,1,1] neg_lo:[1,0,0] neg_hi:[1,0,0]
	s_waitcnt vmcnt(28)
	v_pk_fma_f32 v[128:129], v[214:215], v[212:213], v[128:129] op_sel_hi:[0,1,1] neg_lo:[1,0,0] neg_hi:[1,0,0]
	s_waitcnt vmcnt(26) lgkmcnt(1)
	v_pk_fma_f32 v[152:153], v[214:215], v[202:203], v[152:153] op_sel_hi:[0,1,1] neg_lo:[1,0,0] neg_hi:[1,0,0]
	s_waitcnt vmcnt(24)
	v_pk_fma_f32 v[126:127], v[214:215], v[204:205], v[126:127] op_sel_hi:[0,1,1] neg_lo:[1,0,0] neg_hi:[1,0,0]
	ds_read2_b64 v[202:205], v185 offset0:24 offset1:25
	ds_read2_b64 v[210:213], v185 offset0:26 offset1:27
	s_waitcnt vmcnt(22) lgkmcnt(2)
	v_pk_fma_f32 v[150:151], v[214:215], v[206:207], v[150:151] op_sel_hi:[0,1,1] neg_lo:[1,0,0] neg_hi:[1,0,0]
	s_waitcnt vmcnt(20)
	v_pk_fma_f32 v[124:125], v[214:215], v[208:209], v[124:125] op_sel_hi:[0,1,1] neg_lo:[1,0,0] neg_hi:[1,0,0]
	ds_read2_b64 v[206:209], v185 offset0:28 offset1:29
	s_waitcnt vmcnt(18) lgkmcnt(2)
	v_pk_fma_f32 v[148:149], v[214:215], v[202:203], v[148:149] op_sel_hi:[0,1,1] neg_lo:[1,0,0] neg_hi:[1,0,0]
	s_waitcnt vmcnt(16)
	v_pk_fma_f32 v[122:123], v[214:215], v[204:205], v[122:123] op_sel_hi:[0,1,1] neg_lo:[1,0,0] neg_hi:[1,0,0]
	s_waitcnt vmcnt(14) lgkmcnt(1)
	v_pk_fma_f32 v[146:147], v[214:215], v[210:211], v[146:147] op_sel_hi:[0,1,1] neg_lo:[1,0,0] neg_hi:[1,0,0]
	s_waitcnt vmcnt(12)
	v_pk_fma_f32 v[120:121], v[214:215], v[212:213], v[120:121] op_sel_hi:[0,1,1] neg_lo:[1,0,0] neg_hi:[1,0,0]
	;; [unrolled: 4-line block ×3, first 2 shown]
.LBB119_87:
	s_or_b64 exec, exec, s[2:3]
	v_cmp_eq_u32_e32 vcc, 16, v181
	s_waitcnt lgkmcnt(0)
	s_barrier
	s_and_saveexec_b64 s[2:3], vcc
	s_cbranch_execz .LBB119_90
; %bb.88:
	s_waitcnt vmcnt(48)
	v_pk_mov_b32 v[202:203], v[164:165], v[138:139] op_sel:[1,0]
	ds_write_b32 v183, v164
	ds_write2_b32 v185, v202, v203 offset0:17 offset1:18
	s_waitcnt vmcnt(46)
	v_pk_mov_b32 v[202:203], v[138:139], v[162:163] op_sel:[1,0]
	ds_write2_b32 v185, v202, v203 offset0:19 offset1:20
	s_waitcnt vmcnt(44)
	v_pk_mov_b32 v[202:203], v[162:163], v[136:137] op_sel:[1,0]
	;; [unrolled: 3-line block ×20, first 2 shown]
	ds_write2_b32 v185, v202, v203 offset0:57 offset1:58
	ds_write_b32 v185, v171 offset:236
	ds_read_b32 v201, v183
	s_waitcnt lgkmcnt(0)
	v_cmp_neq_f32_e32 vcc, 0, v201
	s_and_b64 exec, exec, vcc
	s_cbranch_execz .LBB119_90
; %bb.89:
	v_div_scale_f32 v202, s[4:5], v201, v201, 1.0
	v_rcp_f32_e32 v203, v202
	v_div_scale_f32 v204, vcc, 1.0, v201, 1.0
	v_fma_f32 v205, -v202, v203, 1.0
	v_fmac_f32_e32 v203, v205, v203
	v_mul_f32_e32 v205, v204, v203
	v_fma_f32 v206, -v202, v205, v204
	v_fmac_f32_e32 v205, v206, v203
	v_fma_f32 v202, -v202, v205, v204
	v_div_fmas_f32 v202, v202, v203, v205
	v_div_fixup_f32 v201, v202, v201, 1.0
	ds_write_b32 v183, v201
.LBB119_90:
	s_or_b64 exec, exec, s[2:3]
	s_waitcnt lgkmcnt(0)
	s_barrier
	ds_read_b32 v201, v183
	v_cmp_lt_u32_e32 vcc, 16, v181
	s_and_saveexec_b64 s[2:3], vcc
	s_cbranch_execz .LBB119_92
; %bb.91:
	ds_read_b32 v214, v185 offset:68
	ds_read2_b64 v[202:205], v185 offset0:9 offset1:10
	ds_read2_b64 v[206:209], v185 offset0:11 offset1:12
	;; [unrolled: 1-line block ×3, first 2 shown]
	s_waitcnt vmcnt(51) lgkmcnt(4)
	v_mul_f32_e32 v164, v201, v164
	s_waitcnt vmcnt(50) lgkmcnt(3)
	v_fma_f32 v165, -v164, v214, v165
	s_waitcnt vmcnt(48) lgkmcnt(2)
	v_pk_fma_f32 v[138:139], v[164:165], v[202:203], v[138:139] op_sel_hi:[0,1,1] neg_lo:[1,0,0] neg_hi:[1,0,0]
	s_waitcnt vmcnt(46)
	v_pk_fma_f32 v[162:163], v[164:165], v[204:205], v[162:163] op_sel_hi:[0,1,1] neg_lo:[1,0,0] neg_hi:[1,0,0]
	s_waitcnt vmcnt(44) lgkmcnt(1)
	v_pk_fma_f32 v[136:137], v[164:165], v[206:207], v[136:137] op_sel_hi:[0,1,1] neg_lo:[1,0,0] neg_hi:[1,0,0]
	ds_read2_b64 v[202:205], v185 offset0:15 offset1:16
	s_waitcnt vmcnt(42)
	v_pk_fma_f32 v[160:161], v[164:165], v[208:209], v[160:161] op_sel_hi:[0,1,1] neg_lo:[1,0,0] neg_hi:[1,0,0]
	ds_read2_b64 v[206:209], v185 offset0:17 offset1:18
	s_waitcnt vmcnt(40) lgkmcnt(2)
	v_pk_fma_f32 v[134:135], v[164:165], v[210:211], v[134:135] op_sel_hi:[0,1,1] neg_lo:[1,0,0] neg_hi:[1,0,0]
	s_waitcnt vmcnt(38)
	v_pk_fma_f32 v[158:159], v[164:165], v[212:213], v[158:159] op_sel_hi:[0,1,1] neg_lo:[1,0,0] neg_hi:[1,0,0]
	s_waitcnt vmcnt(36) lgkmcnt(1)
	v_pk_fma_f32 v[132:133], v[164:165], v[202:203], v[132:133] op_sel_hi:[0,1,1] neg_lo:[1,0,0] neg_hi:[1,0,0]
	ds_read2_b64 v[210:213], v185 offset0:19 offset1:20
	s_waitcnt vmcnt(34)
	v_pk_fma_f32 v[156:157], v[164:165], v[204:205], v[156:157] op_sel_hi:[0,1,1] neg_lo:[1,0,0] neg_hi:[1,0,0]
	s_waitcnt vmcnt(32) lgkmcnt(1)
	v_pk_fma_f32 v[130:131], v[164:165], v[206:207], v[130:131] op_sel_hi:[0,1,1] neg_lo:[1,0,0] neg_hi:[1,0,0]
	ds_read2_b64 v[202:205], v185 offset0:21 offset1:22
	s_waitcnt vmcnt(30)
	v_pk_fma_f32 v[154:155], v[164:165], v[208:209], v[154:155] op_sel_hi:[0,1,1] neg_lo:[1,0,0] neg_hi:[1,0,0]
	ds_read2_b64 v[206:209], v185 offset0:23 offset1:24
	s_waitcnt vmcnt(28) lgkmcnt(2)
	v_pk_fma_f32 v[128:129], v[164:165], v[210:211], v[128:129] op_sel_hi:[0,1,1] neg_lo:[1,0,0] neg_hi:[1,0,0]
	s_waitcnt vmcnt(26)
	v_pk_fma_f32 v[152:153], v[164:165], v[212:213], v[152:153] op_sel_hi:[0,1,1] neg_lo:[1,0,0] neg_hi:[1,0,0]
	s_waitcnt vmcnt(24) lgkmcnt(1)
	v_pk_fma_f32 v[126:127], v[164:165], v[202:203], v[126:127] op_sel_hi:[0,1,1] neg_lo:[1,0,0] neg_hi:[1,0,0]
	s_waitcnt vmcnt(22)
	v_pk_fma_f32 v[150:151], v[164:165], v[204:205], v[150:151] op_sel_hi:[0,1,1] neg_lo:[1,0,0] neg_hi:[1,0,0]
	ds_read2_b64 v[202:205], v185 offset0:25 offset1:26
	s_waitcnt vmcnt(20) lgkmcnt(1)
	v_pk_fma_f32 v[124:125], v[164:165], v[206:207], v[124:125] op_sel_hi:[0,1,1] neg_lo:[1,0,0] neg_hi:[1,0,0]
	ds_read2_b64 v[210:213], v185 offset0:27 offset1:28
	ds_read_b64 v[206:207], v185 offset:232
	s_waitcnt vmcnt(18)
	v_pk_fma_f32 v[148:149], v[164:165], v[208:209], v[148:149] op_sel_hi:[0,1,1] neg_lo:[1,0,0] neg_hi:[1,0,0]
	s_waitcnt vmcnt(16) lgkmcnt(2)
	v_pk_fma_f32 v[122:123], v[164:165], v[202:203], v[122:123] op_sel_hi:[0,1,1] neg_lo:[1,0,0] neg_hi:[1,0,0]
	s_waitcnt vmcnt(14)
	v_pk_fma_f32 v[146:147], v[164:165], v[204:205], v[146:147] op_sel_hi:[0,1,1] neg_lo:[1,0,0] neg_hi:[1,0,0]
	s_waitcnt vmcnt(12) lgkmcnt(1)
	v_pk_fma_f32 v[120:121], v[164:165], v[210:211], v[120:121] op_sel_hi:[0,1,1] neg_lo:[1,0,0] neg_hi:[1,0,0]
	;; [unrolled: 4-line block ×3, first 2 shown]
.LBB119_92:
	s_or_b64 exec, exec, s[2:3]
	v_cmp_ne_u32_e32 vcc, 17, v181
	s_waitcnt lgkmcnt(0)
	s_barrier
	s_and_saveexec_b64 s[2:3], vcc
	s_xor_b64 s[2:3], exec, s[2:3]
	s_andn2_saveexec_b64 s[2:3], s[2:3]
	s_cbranch_execz .LBB119_96
; %bb.93:
	s_waitcnt vmcnt(50)
	ds_write_b32 v183, v165
	s_waitcnt vmcnt(46)
	ds_write2_b64 v185, v[138:139], v[162:163] offset0:9 offset1:10
	s_waitcnt vmcnt(42)
	ds_write2_b64 v185, v[136:137], v[160:161] offset0:11 offset1:12
	;; [unrolled: 2-line block ×10, first 2 shown]
	s_waitcnt vmcnt(8)
	ds_write_b64 v185, v[170:171] offset:232
	ds_read_b32 v202, v183
	s_waitcnt lgkmcnt(0)
	v_cmp_neq_f32_e32 vcc, 0, v202
	s_and_saveexec_b64 s[4:5], vcc
	s_cbranch_execz .LBB119_95
; %bb.94:
	v_div_scale_f32 v203, s[10:11], v202, v202, 1.0
	v_rcp_f32_e32 v204, v203
	v_div_scale_f32 v205, vcc, 1.0, v202, 1.0
	v_fma_f32 v206, -v203, v204, 1.0
	v_fmac_f32_e32 v204, v206, v204
	v_mul_f32_e32 v206, v205, v204
	v_fma_f32 v207, -v203, v206, v205
	v_fmac_f32_e32 v206, v207, v204
	v_fma_f32 v203, -v203, v206, v205
	v_div_fmas_f32 v203, v203, v204, v206
	v_div_fixup_f32 v202, v203, v202, 1.0
	ds_write_b32 v183, v202
.LBB119_95:
	s_or_b64 exec, exec, s[4:5]
.LBB119_96:
	s_or_b64 exec, exec, s[2:3]
	s_waitcnt lgkmcnt(0)
	s_barrier
	ds_read_b32 v202, v183
	v_cmp_lt_u32_e32 vcc, 17, v181
	s_and_saveexec_b64 s[2:3], vcc
	s_cbranch_execz .LBB119_98
; %bb.97:
	ds_read2_b64 v[204:207], v185 offset0:9 offset1:10
	ds_read2_b64 v[208:211], v185 offset0:11 offset1:12
	s_waitcnt vmcnt(50) lgkmcnt(2)
	v_mul_f32_e32 v216, v202, v165
	ds_read2_b64 v[212:215], v185 offset0:13 offset1:14
	v_mov_b32_e32 v165, v216
	s_waitcnt vmcnt(48) lgkmcnt(2)
	v_pk_fma_f32 v[138:139], v[216:217], v[204:205], v[138:139] op_sel_hi:[0,1,1] neg_lo:[1,0,0] neg_hi:[1,0,0]
	s_waitcnt vmcnt(46)
	v_pk_fma_f32 v[162:163], v[216:217], v[206:207], v[162:163] op_sel_hi:[0,1,1] neg_lo:[1,0,0] neg_hi:[1,0,0]
	s_waitcnt vmcnt(44) lgkmcnt(1)
	v_pk_fma_f32 v[136:137], v[216:217], v[208:209], v[136:137] op_sel_hi:[0,1,1] neg_lo:[1,0,0] neg_hi:[1,0,0]
	ds_read2_b64 v[204:207], v185 offset0:15 offset1:16
	s_waitcnt vmcnt(42)
	v_pk_fma_f32 v[160:161], v[216:217], v[210:211], v[160:161] op_sel_hi:[0,1,1] neg_lo:[1,0,0] neg_hi:[1,0,0]
	ds_read2_b64 v[208:211], v185 offset0:17 offset1:18
	s_waitcnt vmcnt(40) lgkmcnt(2)
	v_pk_fma_f32 v[134:135], v[216:217], v[212:213], v[134:135] op_sel_hi:[0,1,1] neg_lo:[1,0,0] neg_hi:[1,0,0]
	s_waitcnt vmcnt(38)
	v_pk_fma_f32 v[158:159], v[216:217], v[214:215], v[158:159] op_sel_hi:[0,1,1] neg_lo:[1,0,0] neg_hi:[1,0,0]
	s_waitcnt vmcnt(36) lgkmcnt(1)
	v_pk_fma_f32 v[132:133], v[216:217], v[204:205], v[132:133] op_sel_hi:[0,1,1] neg_lo:[1,0,0] neg_hi:[1,0,0]
	ds_read2_b64 v[212:215], v185 offset0:19 offset1:20
	s_waitcnt vmcnt(34)
	v_pk_fma_f32 v[156:157], v[216:217], v[206:207], v[156:157] op_sel_hi:[0,1,1] neg_lo:[1,0,0] neg_hi:[1,0,0]
	s_waitcnt vmcnt(32) lgkmcnt(1)
	v_pk_fma_f32 v[130:131], v[216:217], v[208:209], v[130:131] op_sel_hi:[0,1,1] neg_lo:[1,0,0] neg_hi:[1,0,0]
	ds_read2_b64 v[204:207], v185 offset0:21 offset1:22
	s_waitcnt vmcnt(30)
	v_pk_fma_f32 v[154:155], v[216:217], v[210:211], v[154:155] op_sel_hi:[0,1,1] neg_lo:[1,0,0] neg_hi:[1,0,0]
	ds_read2_b64 v[208:211], v185 offset0:23 offset1:24
	s_waitcnt vmcnt(28) lgkmcnt(2)
	v_pk_fma_f32 v[128:129], v[216:217], v[212:213], v[128:129] op_sel_hi:[0,1,1] neg_lo:[1,0,0] neg_hi:[1,0,0]
	s_waitcnt vmcnt(26)
	v_pk_fma_f32 v[152:153], v[216:217], v[214:215], v[152:153] op_sel_hi:[0,1,1] neg_lo:[1,0,0] neg_hi:[1,0,0]
	s_waitcnt vmcnt(24) lgkmcnt(1)
	v_pk_fma_f32 v[126:127], v[216:217], v[204:205], v[126:127] op_sel_hi:[0,1,1] neg_lo:[1,0,0] neg_hi:[1,0,0]
	s_waitcnt vmcnt(22)
	v_pk_fma_f32 v[150:151], v[216:217], v[206:207], v[150:151] op_sel_hi:[0,1,1] neg_lo:[1,0,0] neg_hi:[1,0,0]
	ds_read2_b64 v[204:207], v185 offset0:25 offset1:26
	ds_read2_b64 v[212:215], v185 offset0:27 offset1:28
	s_waitcnt vmcnt(20) lgkmcnt(2)
	v_pk_fma_f32 v[124:125], v[216:217], v[208:209], v[124:125] op_sel_hi:[0,1,1] neg_lo:[1,0,0] neg_hi:[1,0,0]
	ds_read_b64 v[208:209], v185 offset:232
	s_waitcnt vmcnt(18)
	v_pk_fma_f32 v[148:149], v[216:217], v[210:211], v[148:149] op_sel_hi:[0,1,1] neg_lo:[1,0,0] neg_hi:[1,0,0]
	s_waitcnt vmcnt(16) lgkmcnt(2)
	v_pk_fma_f32 v[122:123], v[216:217], v[204:205], v[122:123] op_sel_hi:[0,1,1] neg_lo:[1,0,0] neg_hi:[1,0,0]
	s_waitcnt vmcnt(14)
	v_pk_fma_f32 v[146:147], v[216:217], v[206:207], v[146:147] op_sel_hi:[0,1,1] neg_lo:[1,0,0] neg_hi:[1,0,0]
	s_waitcnt vmcnt(12) lgkmcnt(1)
	v_pk_fma_f32 v[120:121], v[216:217], v[212:213], v[120:121] op_sel_hi:[0,1,1] neg_lo:[1,0,0] neg_hi:[1,0,0]
	;; [unrolled: 4-line block ×3, first 2 shown]
.LBB119_98:
	s_or_b64 exec, exec, s[2:3]
	v_cmp_eq_u32_e32 vcc, 18, v181
	s_waitcnt lgkmcnt(0)
	s_barrier
	s_and_saveexec_b64 s[2:3], vcc
	s_cbranch_execz .LBB119_101
; %bb.99:
	s_waitcnt vmcnt(46)
	v_pk_mov_b32 v[204:205], v[138:139], v[162:163] op_sel:[1,0]
	ds_write_b32 v183, v138
	ds_write2_b32 v185, v204, v205 offset0:19 offset1:20
	s_waitcnt vmcnt(44)
	v_pk_mov_b32 v[204:205], v[162:163], v[136:137] op_sel:[1,0]
	ds_write2_b32 v185, v204, v205 offset0:21 offset1:22
	s_waitcnt vmcnt(42)
	v_pk_mov_b32 v[204:205], v[136:137], v[160:161] op_sel:[1,0]
	;; [unrolled: 3-line block ×19, first 2 shown]
	ds_write2_b32 v185, v204, v205 offset0:57 offset1:58
	ds_write_b32 v185, v171 offset:236
	ds_read_b32 v203, v183
	s_waitcnt lgkmcnt(0)
	v_cmp_neq_f32_e32 vcc, 0, v203
	s_and_b64 exec, exec, vcc
	s_cbranch_execz .LBB119_101
; %bb.100:
	v_div_scale_f32 v204, s[4:5], v203, v203, 1.0
	v_rcp_f32_e32 v205, v204
	v_div_scale_f32 v206, vcc, 1.0, v203, 1.0
	v_fma_f32 v207, -v204, v205, 1.0
	v_fmac_f32_e32 v205, v207, v205
	v_mul_f32_e32 v207, v206, v205
	v_fma_f32 v208, -v204, v207, v206
	v_fmac_f32_e32 v207, v208, v205
	v_fma_f32 v204, -v204, v207, v206
	v_div_fmas_f32 v204, v204, v205, v207
	v_div_fixup_f32 v203, v204, v203, 1.0
	ds_write_b32 v183, v203
.LBB119_101:
	s_or_b64 exec, exec, s[2:3]
	s_waitcnt lgkmcnt(0)
	s_barrier
	ds_read_b32 v203, v183
	v_cmp_lt_u32_e32 vcc, 18, v181
	s_and_saveexec_b64 s[2:3], vcc
	s_cbranch_execz .LBB119_103
; %bb.102:
	ds_read_b32 v216, v185 offset:76
	ds_read2_b64 v[204:207], v185 offset0:10 offset1:11
	s_waitcnt vmcnt(49) lgkmcnt(2)
	v_mul_f32_e32 v138, v203, v138
	ds_read2_b64 v[208:211], v185 offset0:12 offset1:13
	ds_read2_b64 v[212:215], v185 offset0:14 offset1:15
	s_waitcnt vmcnt(48) lgkmcnt(3)
	v_fma_f32 v139, -v138, v216, v139
	s_waitcnt vmcnt(46) lgkmcnt(2)
	v_pk_fma_f32 v[162:163], v[138:139], v[204:205], v[162:163] op_sel_hi:[0,1,1] neg_lo:[1,0,0] neg_hi:[1,0,0]
	s_waitcnt vmcnt(44)
	v_pk_fma_f32 v[136:137], v[138:139], v[206:207], v[136:137] op_sel_hi:[0,1,1] neg_lo:[1,0,0] neg_hi:[1,0,0]
	ds_read2_b64 v[204:207], v185 offset0:16 offset1:17
	s_waitcnt vmcnt(42) lgkmcnt(2)
	v_pk_fma_f32 v[160:161], v[138:139], v[208:209], v[160:161] op_sel_hi:[0,1,1] neg_lo:[1,0,0] neg_hi:[1,0,0]
	s_waitcnt vmcnt(40)
	v_pk_fma_f32 v[134:135], v[138:139], v[210:211], v[134:135] op_sel_hi:[0,1,1] neg_lo:[1,0,0] neg_hi:[1,0,0]
	s_waitcnt vmcnt(38) lgkmcnt(1)
	v_pk_fma_f32 v[158:159], v[138:139], v[212:213], v[158:159] op_sel_hi:[0,1,1] neg_lo:[1,0,0] neg_hi:[1,0,0]
	ds_read2_b64 v[208:211], v185 offset0:18 offset1:19
	s_waitcnt vmcnt(36)
	v_pk_fma_f32 v[132:133], v[138:139], v[214:215], v[132:133] op_sel_hi:[0,1,1] neg_lo:[1,0,0] neg_hi:[1,0,0]
	s_waitcnt vmcnt(34) lgkmcnt(1)
	v_pk_fma_f32 v[156:157], v[138:139], v[204:205], v[156:157] op_sel_hi:[0,1,1] neg_lo:[1,0,0] neg_hi:[1,0,0]
	ds_read2_b64 v[212:215], v185 offset0:20 offset1:21
	s_waitcnt vmcnt(32)
	v_pk_fma_f32 v[130:131], v[138:139], v[206:207], v[130:131] op_sel_hi:[0,1,1] neg_lo:[1,0,0] neg_hi:[1,0,0]
	ds_read2_b64 v[204:207], v185 offset0:22 offset1:23
	s_waitcnt vmcnt(30) lgkmcnt(2)
	v_pk_fma_f32 v[154:155], v[138:139], v[208:209], v[154:155] op_sel_hi:[0,1,1] neg_lo:[1,0,0] neg_hi:[1,0,0]
	s_waitcnt vmcnt(28)
	v_pk_fma_f32 v[128:129], v[138:139], v[210:211], v[128:129] op_sel_hi:[0,1,1] neg_lo:[1,0,0] neg_hi:[1,0,0]
	s_waitcnt vmcnt(26) lgkmcnt(1)
	v_pk_fma_f32 v[152:153], v[138:139], v[212:213], v[152:153] op_sel_hi:[0,1,1] neg_lo:[1,0,0] neg_hi:[1,0,0]
	s_waitcnt vmcnt(24)
	v_pk_fma_f32 v[126:127], v[138:139], v[214:215], v[126:127] op_sel_hi:[0,1,1] neg_lo:[1,0,0] neg_hi:[1,0,0]
	ds_read2_b64 v[208:211], v185 offset0:24 offset1:25
	ds_read2_b64 v[212:215], v185 offset0:26 offset1:27
	s_waitcnt vmcnt(22) lgkmcnt(2)
	v_pk_fma_f32 v[150:151], v[138:139], v[204:205], v[150:151] op_sel_hi:[0,1,1] neg_lo:[1,0,0] neg_hi:[1,0,0]
	s_waitcnt vmcnt(20)
	v_pk_fma_f32 v[124:125], v[138:139], v[206:207], v[124:125] op_sel_hi:[0,1,1] neg_lo:[1,0,0] neg_hi:[1,0,0]
	ds_read2_b64 v[204:207], v185 offset0:28 offset1:29
	s_waitcnt vmcnt(18) lgkmcnt(2)
	v_pk_fma_f32 v[148:149], v[138:139], v[208:209], v[148:149] op_sel_hi:[0,1,1] neg_lo:[1,0,0] neg_hi:[1,0,0]
	s_waitcnt vmcnt(16)
	v_pk_fma_f32 v[122:123], v[138:139], v[210:211], v[122:123] op_sel_hi:[0,1,1] neg_lo:[1,0,0] neg_hi:[1,0,0]
	s_waitcnt vmcnt(14) lgkmcnt(1)
	v_pk_fma_f32 v[146:147], v[138:139], v[212:213], v[146:147] op_sel_hi:[0,1,1] neg_lo:[1,0,0] neg_hi:[1,0,0]
	s_waitcnt vmcnt(12)
	v_pk_fma_f32 v[120:121], v[138:139], v[214:215], v[120:121] op_sel_hi:[0,1,1] neg_lo:[1,0,0] neg_hi:[1,0,0]
	s_waitcnt vmcnt(10) lgkmcnt(0)
	v_pk_fma_f32 v[144:145], v[138:139], v[204:205], v[144:145] op_sel_hi:[0,1,1] neg_lo:[1,0,0] neg_hi:[1,0,0]
	s_waitcnt vmcnt(8)
	v_pk_fma_f32 v[170:171], v[138:139], v[206:207], v[170:171] op_sel_hi:[0,1,1] neg_lo:[1,0,0] neg_hi:[1,0,0]
.LBB119_103:
	s_or_b64 exec, exec, s[2:3]
	v_cmp_ne_u32_e32 vcc, 19, v181
	s_waitcnt lgkmcnt(0)
	s_barrier
	s_and_saveexec_b64 s[2:3], vcc
	s_xor_b64 s[2:3], exec, s[2:3]
	s_andn2_saveexec_b64 s[2:3], s[2:3]
	s_cbranch_execz .LBB119_107
; %bb.104:
	s_waitcnt vmcnt(47)
	v_mov_b32_e32 v204, v162
	s_waitcnt vmcnt(46)
	v_mov_b32_e32 v205, v163
	;; [unrolled: 2-line block ×4, first 2 shown]
	ds_write_b32 v183, v139
	ds_write2_b64 v185, v[204:205], v[206:207] offset0:10 offset1:11
	s_waitcnt vmcnt(43)
	v_mov_b32_e32 v204, v160
	s_waitcnt vmcnt(42)
	v_mov_b32_e32 v205, v161
	s_waitcnt vmcnt(41)
	v_mov_b32_e32 v206, v134
	s_waitcnt vmcnt(40)
	v_mov_b32_e32 v207, v135
	ds_write2_b64 v185, v[204:205], v[206:207] offset0:12 offset1:13
	s_waitcnt vmcnt(39)
	v_mov_b32_e32 v204, v158
	s_waitcnt vmcnt(38)
	v_mov_b32_e32 v205, v159
	s_waitcnt vmcnt(37)
	v_mov_b32_e32 v206, v132
	s_waitcnt vmcnt(36)
	v_mov_b32_e32 v207, v133
	;; [unrolled: 9-line block ×8, first 2 shown]
	ds_write2_b64 v185, v[204:205], v[206:207] offset0:26 offset1:27
	s_waitcnt vmcnt(11)
	v_mov_b32_e32 v204, v144
	s_waitcnt vmcnt(10)
	v_mov_b32_e32 v205, v145
	s_waitcnt vmcnt(8)
	ds_write2_b64 v185, v[204:205], v[170:171] offset0:28 offset1:29
	ds_read_b32 v204, v183
	s_waitcnt lgkmcnt(0)
	v_cmp_neq_f32_e32 vcc, 0, v204
	s_and_saveexec_b64 s[4:5], vcc
	s_cbranch_execz .LBB119_106
; %bb.105:
	v_div_scale_f32 v205, s[10:11], v204, v204, 1.0
	v_rcp_f32_e32 v206, v205
	v_div_scale_f32 v207, vcc, 1.0, v204, 1.0
	v_fma_f32 v208, -v205, v206, 1.0
	v_fmac_f32_e32 v206, v208, v206
	v_mul_f32_e32 v208, v207, v206
	v_fma_f32 v209, -v205, v208, v207
	v_fmac_f32_e32 v208, v209, v206
	v_fma_f32 v205, -v205, v208, v207
	v_div_fmas_f32 v205, v205, v206, v208
	v_div_fixup_f32 v204, v205, v204, 1.0
	ds_write_b32 v183, v204
.LBB119_106:
	s_or_b64 exec, exec, s[4:5]
.LBB119_107:
	s_or_b64 exec, exec, s[2:3]
	s_waitcnt lgkmcnt(0)
	s_barrier
	ds_read_b32 v204, v183
	v_cmp_lt_u32_e32 vcc, 19, v181
	s_and_saveexec_b64 s[2:3], vcc
	s_cbranch_execz .LBB119_109
; %bb.108:
	ds_read2_b64 v[206:209], v185 offset0:10 offset1:11
	ds_read2_b64 v[210:213], v185 offset0:12 offset1:13
	s_waitcnt vmcnt(48) lgkmcnt(2)
	v_mul_f32_e32 v218, v204, v139
	ds_read2_b64 v[214:217], v185 offset0:14 offset1:15
	v_mov_b32_e32 v139, v218
	s_waitcnt vmcnt(46) lgkmcnt(2)
	v_pk_fma_f32 v[162:163], v[218:219], v[206:207], v[162:163] op_sel_hi:[0,1,1] neg_lo:[1,0,0] neg_hi:[1,0,0]
	s_waitcnt vmcnt(44)
	v_pk_fma_f32 v[136:137], v[218:219], v[208:209], v[136:137] op_sel_hi:[0,1,1] neg_lo:[1,0,0] neg_hi:[1,0,0]
	ds_read2_b64 v[206:209], v185 offset0:16 offset1:17
	s_waitcnt vmcnt(42) lgkmcnt(2)
	v_pk_fma_f32 v[160:161], v[218:219], v[210:211], v[160:161] op_sel_hi:[0,1,1] neg_lo:[1,0,0] neg_hi:[1,0,0]
	s_waitcnt vmcnt(40)
	v_pk_fma_f32 v[134:135], v[218:219], v[212:213], v[134:135] op_sel_hi:[0,1,1] neg_lo:[1,0,0] neg_hi:[1,0,0]
	s_waitcnt vmcnt(38) lgkmcnt(1)
	v_pk_fma_f32 v[158:159], v[218:219], v[214:215], v[158:159] op_sel_hi:[0,1,1] neg_lo:[1,0,0] neg_hi:[1,0,0]
	ds_read2_b64 v[210:213], v185 offset0:18 offset1:19
	s_waitcnt vmcnt(36)
	v_pk_fma_f32 v[132:133], v[218:219], v[216:217], v[132:133] op_sel_hi:[0,1,1] neg_lo:[1,0,0] neg_hi:[1,0,0]
	s_waitcnt vmcnt(34) lgkmcnt(1)
	v_pk_fma_f32 v[156:157], v[218:219], v[206:207], v[156:157] op_sel_hi:[0,1,1] neg_lo:[1,0,0] neg_hi:[1,0,0]
	ds_read2_b64 v[214:217], v185 offset0:20 offset1:21
	s_waitcnt vmcnt(32)
	v_pk_fma_f32 v[130:131], v[218:219], v[208:209], v[130:131] op_sel_hi:[0,1,1] neg_lo:[1,0,0] neg_hi:[1,0,0]
	ds_read2_b64 v[206:209], v185 offset0:22 offset1:23
	s_waitcnt vmcnt(30) lgkmcnt(2)
	v_pk_fma_f32 v[154:155], v[218:219], v[210:211], v[154:155] op_sel_hi:[0,1,1] neg_lo:[1,0,0] neg_hi:[1,0,0]
	s_waitcnt vmcnt(28)
	v_pk_fma_f32 v[128:129], v[218:219], v[212:213], v[128:129] op_sel_hi:[0,1,1] neg_lo:[1,0,0] neg_hi:[1,0,0]
	s_waitcnt vmcnt(26) lgkmcnt(1)
	v_pk_fma_f32 v[152:153], v[218:219], v[214:215], v[152:153] op_sel_hi:[0,1,1] neg_lo:[1,0,0] neg_hi:[1,0,0]
	s_waitcnt vmcnt(24)
	v_pk_fma_f32 v[126:127], v[218:219], v[216:217], v[126:127] op_sel_hi:[0,1,1] neg_lo:[1,0,0] neg_hi:[1,0,0]
	ds_read2_b64 v[210:213], v185 offset0:24 offset1:25
	s_waitcnt vmcnt(22) lgkmcnt(1)
	v_pk_fma_f32 v[150:151], v[218:219], v[206:207], v[150:151] op_sel_hi:[0,1,1] neg_lo:[1,0,0] neg_hi:[1,0,0]
	ds_read2_b64 v[214:217], v185 offset0:26 offset1:27
	s_waitcnt vmcnt(20)
	v_pk_fma_f32 v[124:125], v[218:219], v[208:209], v[124:125] op_sel_hi:[0,1,1] neg_lo:[1,0,0] neg_hi:[1,0,0]
	ds_read2_b64 v[206:209], v185 offset0:28 offset1:29
	s_waitcnt vmcnt(18) lgkmcnt(2)
	v_pk_fma_f32 v[148:149], v[218:219], v[210:211], v[148:149] op_sel_hi:[0,1,1] neg_lo:[1,0,0] neg_hi:[1,0,0]
	s_waitcnt vmcnt(16)
	v_pk_fma_f32 v[122:123], v[218:219], v[212:213], v[122:123] op_sel_hi:[0,1,1] neg_lo:[1,0,0] neg_hi:[1,0,0]
	s_waitcnt vmcnt(14) lgkmcnt(1)
	v_pk_fma_f32 v[146:147], v[218:219], v[214:215], v[146:147] op_sel_hi:[0,1,1] neg_lo:[1,0,0] neg_hi:[1,0,0]
	s_waitcnt vmcnt(12)
	v_pk_fma_f32 v[120:121], v[218:219], v[216:217], v[120:121] op_sel_hi:[0,1,1] neg_lo:[1,0,0] neg_hi:[1,0,0]
	;; [unrolled: 4-line block ×3, first 2 shown]
.LBB119_109:
	s_or_b64 exec, exec, s[2:3]
	v_cmp_eq_u32_e32 vcc, 20, v181
	s_waitcnt lgkmcnt(0)
	s_barrier
	s_and_saveexec_b64 s[2:3], vcc
	s_cbranch_execz .LBB119_112
; %bb.110:
	s_waitcnt vmcnt(44)
	v_pk_mov_b32 v[206:207], v[162:163], v[136:137] op_sel:[1,0]
	ds_write_b32 v183, v162
	ds_write2_b32 v185, v206, v207 offset0:21 offset1:22
	s_waitcnt vmcnt(42)
	v_pk_mov_b32 v[206:207], v[136:137], v[160:161] op_sel:[1,0]
	ds_write2_b32 v185, v206, v207 offset0:23 offset1:24
	s_waitcnt vmcnt(40)
	v_pk_mov_b32 v[206:207], v[160:161], v[134:135] op_sel:[1,0]
	;; [unrolled: 3-line block ×18, first 2 shown]
	ds_write2_b32 v185, v206, v207 offset0:57 offset1:58
	ds_write_b32 v185, v171 offset:236
	ds_read_b32 v205, v183
	s_waitcnt lgkmcnt(0)
	v_cmp_neq_f32_e32 vcc, 0, v205
	s_and_b64 exec, exec, vcc
	s_cbranch_execz .LBB119_112
; %bb.111:
	v_div_scale_f32 v206, s[4:5], v205, v205, 1.0
	v_rcp_f32_e32 v207, v206
	v_div_scale_f32 v208, vcc, 1.0, v205, 1.0
	v_fma_f32 v209, -v206, v207, 1.0
	v_fmac_f32_e32 v207, v209, v207
	v_mul_f32_e32 v209, v208, v207
	v_fma_f32 v210, -v206, v209, v208
	v_fmac_f32_e32 v209, v210, v207
	v_fma_f32 v206, -v206, v209, v208
	v_div_fmas_f32 v206, v206, v207, v209
	v_div_fixup_f32 v205, v206, v205, 1.0
	ds_write_b32 v183, v205
.LBB119_112:
	s_or_b64 exec, exec, s[2:3]
	s_waitcnt lgkmcnt(0)
	s_barrier
	ds_read_b32 v205, v183
	v_cmp_lt_u32_e32 vcc, 20, v181
	s_and_saveexec_b64 s[2:3], vcc
	s_cbranch_execz .LBB119_114
; %bb.113:
	ds_read_b32 v218, v185 offset:84
	ds_read2_b64 v[206:209], v185 offset0:11 offset1:12
	s_waitcnt vmcnt(47) lgkmcnt(2)
	v_mul_f32_e32 v162, v205, v162
	ds_read2_b64 v[210:213], v185 offset0:13 offset1:14
	ds_read2_b64 v[214:217], v185 offset0:15 offset1:16
	s_waitcnt vmcnt(46) lgkmcnt(3)
	v_fma_f32 v163, -v162, v218, v163
	s_waitcnt vmcnt(44) lgkmcnt(2)
	v_pk_fma_f32 v[136:137], v[162:163], v[206:207], v[136:137] op_sel_hi:[0,1,1] neg_lo:[1,0,0] neg_hi:[1,0,0]
	s_waitcnt vmcnt(42)
	v_pk_fma_f32 v[160:161], v[162:163], v[208:209], v[160:161] op_sel_hi:[0,1,1] neg_lo:[1,0,0] neg_hi:[1,0,0]
	ds_read2_b64 v[206:209], v185 offset0:17 offset1:18
	s_waitcnt vmcnt(40) lgkmcnt(2)
	v_pk_fma_f32 v[134:135], v[162:163], v[210:211], v[134:135] op_sel_hi:[0,1,1] neg_lo:[1,0,0] neg_hi:[1,0,0]
	s_waitcnt vmcnt(38)
	v_pk_fma_f32 v[158:159], v[162:163], v[212:213], v[158:159] op_sel_hi:[0,1,1] neg_lo:[1,0,0] neg_hi:[1,0,0]
	s_waitcnt vmcnt(36) lgkmcnt(1)
	v_pk_fma_f32 v[132:133], v[162:163], v[214:215], v[132:133] op_sel_hi:[0,1,1] neg_lo:[1,0,0] neg_hi:[1,0,0]
	ds_read2_b64 v[210:213], v185 offset0:19 offset1:20
	s_waitcnt vmcnt(34)
	v_pk_fma_f32 v[156:157], v[162:163], v[216:217], v[156:157] op_sel_hi:[0,1,1] neg_lo:[1,0,0] neg_hi:[1,0,0]
	s_waitcnt vmcnt(32) lgkmcnt(1)
	v_pk_fma_f32 v[130:131], v[162:163], v[206:207], v[130:131] op_sel_hi:[0,1,1] neg_lo:[1,0,0] neg_hi:[1,0,0]
	ds_read2_b64 v[214:217], v185 offset0:21 offset1:22
	s_waitcnt vmcnt(30)
	v_pk_fma_f32 v[154:155], v[162:163], v[208:209], v[154:155] op_sel_hi:[0,1,1] neg_lo:[1,0,0] neg_hi:[1,0,0]
	ds_read2_b64 v[206:209], v185 offset0:23 offset1:24
	s_waitcnt vmcnt(28) lgkmcnt(2)
	v_pk_fma_f32 v[128:129], v[162:163], v[210:211], v[128:129] op_sel_hi:[0,1,1] neg_lo:[1,0,0] neg_hi:[1,0,0]
	s_waitcnt vmcnt(26)
	v_pk_fma_f32 v[152:153], v[162:163], v[212:213], v[152:153] op_sel_hi:[0,1,1] neg_lo:[1,0,0] neg_hi:[1,0,0]
	s_waitcnt vmcnt(24) lgkmcnt(1)
	v_pk_fma_f32 v[126:127], v[162:163], v[214:215], v[126:127] op_sel_hi:[0,1,1] neg_lo:[1,0,0] neg_hi:[1,0,0]
	s_waitcnt vmcnt(22)
	v_pk_fma_f32 v[150:151], v[162:163], v[216:217], v[150:151] op_sel_hi:[0,1,1] neg_lo:[1,0,0] neg_hi:[1,0,0]
	ds_read2_b64 v[210:213], v185 offset0:25 offset1:26
	ds_read2_b64 v[214:217], v185 offset0:27 offset1:28
	s_waitcnt vmcnt(20) lgkmcnt(2)
	v_pk_fma_f32 v[124:125], v[162:163], v[206:207], v[124:125] op_sel_hi:[0,1,1] neg_lo:[1,0,0] neg_hi:[1,0,0]
	ds_read_b64 v[206:207], v185 offset:232
	s_waitcnt vmcnt(18)
	v_pk_fma_f32 v[148:149], v[162:163], v[208:209], v[148:149] op_sel_hi:[0,1,1] neg_lo:[1,0,0] neg_hi:[1,0,0]
	s_waitcnt vmcnt(16) lgkmcnt(2)
	v_pk_fma_f32 v[122:123], v[162:163], v[210:211], v[122:123] op_sel_hi:[0,1,1] neg_lo:[1,0,0] neg_hi:[1,0,0]
	s_waitcnt vmcnt(14)
	v_pk_fma_f32 v[146:147], v[162:163], v[212:213], v[146:147] op_sel_hi:[0,1,1] neg_lo:[1,0,0] neg_hi:[1,0,0]
	s_waitcnt vmcnt(12) lgkmcnt(1)
	v_pk_fma_f32 v[120:121], v[162:163], v[214:215], v[120:121] op_sel_hi:[0,1,1] neg_lo:[1,0,0] neg_hi:[1,0,0]
	;; [unrolled: 4-line block ×3, first 2 shown]
.LBB119_114:
	s_or_b64 exec, exec, s[2:3]
	v_cmp_ne_u32_e32 vcc, 21, v181
	s_waitcnt lgkmcnt(0)
	s_barrier
	s_and_saveexec_b64 s[2:3], vcc
	s_xor_b64 s[2:3], exec, s[2:3]
	s_andn2_saveexec_b64 s[2:3], s[2:3]
	s_cbranch_execz .LBB119_118
; %bb.115:
	s_waitcnt vmcnt(46)
	ds_write_b32 v183, v163
	s_waitcnt vmcnt(42)
	ds_write2_b64 v185, v[136:137], v[160:161] offset0:11 offset1:12
	s_waitcnt vmcnt(38)
	ds_write2_b64 v185, v[134:135], v[158:159] offset0:13 offset1:14
	;; [unrolled: 2-line block ×9, first 2 shown]
	s_waitcnt vmcnt(8)
	ds_write_b64 v185, v[170:171] offset:232
	ds_read_b32 v206, v183
	s_waitcnt lgkmcnt(0)
	v_cmp_neq_f32_e32 vcc, 0, v206
	s_and_saveexec_b64 s[4:5], vcc
	s_cbranch_execz .LBB119_117
; %bb.116:
	v_div_scale_f32 v207, s[10:11], v206, v206, 1.0
	v_rcp_f32_e32 v208, v207
	v_div_scale_f32 v209, vcc, 1.0, v206, 1.0
	v_fma_f32 v210, -v207, v208, 1.0
	v_fmac_f32_e32 v208, v210, v208
	v_mul_f32_e32 v210, v209, v208
	v_fma_f32 v211, -v207, v210, v209
	v_fmac_f32_e32 v210, v211, v208
	v_fma_f32 v207, -v207, v210, v209
	v_div_fmas_f32 v207, v207, v208, v210
	v_div_fixup_f32 v206, v207, v206, 1.0
	ds_write_b32 v183, v206
.LBB119_117:
	s_or_b64 exec, exec, s[4:5]
.LBB119_118:
	s_or_b64 exec, exec, s[2:3]
	s_waitcnt lgkmcnt(0)
	s_barrier
	ds_read_b32 v206, v183
	v_cmp_lt_u32_e32 vcc, 21, v181
	s_and_saveexec_b64 s[2:3], vcc
	s_cbranch_execz .LBB119_120
; %bb.119:
	ds_read2_b64 v[208:211], v185 offset0:11 offset1:12
	ds_read2_b64 v[212:215], v185 offset0:13 offset1:14
	s_waitcnt vmcnt(46) lgkmcnt(2)
	v_mul_f32_e32 v220, v206, v163
	ds_read2_b64 v[216:219], v185 offset0:15 offset1:16
	v_mov_b32_e32 v163, v220
	s_waitcnt vmcnt(44) lgkmcnt(2)
	v_pk_fma_f32 v[136:137], v[220:221], v[208:209], v[136:137] op_sel_hi:[0,1,1] neg_lo:[1,0,0] neg_hi:[1,0,0]
	s_waitcnt vmcnt(42)
	v_pk_fma_f32 v[160:161], v[220:221], v[210:211], v[160:161] op_sel_hi:[0,1,1] neg_lo:[1,0,0] neg_hi:[1,0,0]
	ds_read2_b64 v[208:211], v185 offset0:17 offset1:18
	s_waitcnt vmcnt(40) lgkmcnt(2)
	v_pk_fma_f32 v[134:135], v[220:221], v[212:213], v[134:135] op_sel_hi:[0,1,1] neg_lo:[1,0,0] neg_hi:[1,0,0]
	s_waitcnt vmcnt(38)
	v_pk_fma_f32 v[158:159], v[220:221], v[214:215], v[158:159] op_sel_hi:[0,1,1] neg_lo:[1,0,0] neg_hi:[1,0,0]
	s_waitcnt vmcnt(36) lgkmcnt(1)
	v_pk_fma_f32 v[132:133], v[220:221], v[216:217], v[132:133] op_sel_hi:[0,1,1] neg_lo:[1,0,0] neg_hi:[1,0,0]
	ds_read2_b64 v[212:215], v185 offset0:19 offset1:20
	s_waitcnt vmcnt(34)
	v_pk_fma_f32 v[156:157], v[220:221], v[218:219], v[156:157] op_sel_hi:[0,1,1] neg_lo:[1,0,0] neg_hi:[1,0,0]
	s_waitcnt vmcnt(32) lgkmcnt(1)
	v_pk_fma_f32 v[130:131], v[220:221], v[208:209], v[130:131] op_sel_hi:[0,1,1] neg_lo:[1,0,0] neg_hi:[1,0,0]
	ds_read2_b64 v[216:219], v185 offset0:21 offset1:22
	s_waitcnt vmcnt(30)
	v_pk_fma_f32 v[154:155], v[220:221], v[210:211], v[154:155] op_sel_hi:[0,1,1] neg_lo:[1,0,0] neg_hi:[1,0,0]
	ds_read2_b64 v[208:211], v185 offset0:23 offset1:24
	s_waitcnt vmcnt(28) lgkmcnt(2)
	v_pk_fma_f32 v[128:129], v[220:221], v[212:213], v[128:129] op_sel_hi:[0,1,1] neg_lo:[1,0,0] neg_hi:[1,0,0]
	s_waitcnt vmcnt(26)
	v_pk_fma_f32 v[152:153], v[220:221], v[214:215], v[152:153] op_sel_hi:[0,1,1] neg_lo:[1,0,0] neg_hi:[1,0,0]
	s_waitcnt vmcnt(24) lgkmcnt(1)
	v_pk_fma_f32 v[126:127], v[220:221], v[216:217], v[126:127] op_sel_hi:[0,1,1] neg_lo:[1,0,0] neg_hi:[1,0,0]
	s_waitcnt vmcnt(22)
	v_pk_fma_f32 v[150:151], v[220:221], v[218:219], v[150:151] op_sel_hi:[0,1,1] neg_lo:[1,0,0] neg_hi:[1,0,0]
	ds_read2_b64 v[212:215], v185 offset0:25 offset1:26
	s_waitcnt vmcnt(20) lgkmcnt(1)
	v_pk_fma_f32 v[124:125], v[220:221], v[208:209], v[124:125] op_sel_hi:[0,1,1] neg_lo:[1,0,0] neg_hi:[1,0,0]
	ds_read2_b64 v[216:219], v185 offset0:27 offset1:28
	ds_read_b64 v[208:209], v185 offset:232
	s_waitcnt vmcnt(18)
	v_pk_fma_f32 v[148:149], v[220:221], v[210:211], v[148:149] op_sel_hi:[0,1,1] neg_lo:[1,0,0] neg_hi:[1,0,0]
	s_waitcnt vmcnt(16) lgkmcnt(2)
	v_pk_fma_f32 v[122:123], v[220:221], v[212:213], v[122:123] op_sel_hi:[0,1,1] neg_lo:[1,0,0] neg_hi:[1,0,0]
	s_waitcnt vmcnt(14)
	v_pk_fma_f32 v[146:147], v[220:221], v[214:215], v[146:147] op_sel_hi:[0,1,1] neg_lo:[1,0,0] neg_hi:[1,0,0]
	s_waitcnt vmcnt(12) lgkmcnt(1)
	v_pk_fma_f32 v[120:121], v[220:221], v[216:217], v[120:121] op_sel_hi:[0,1,1] neg_lo:[1,0,0] neg_hi:[1,0,0]
	;; [unrolled: 4-line block ×3, first 2 shown]
.LBB119_120:
	s_or_b64 exec, exec, s[2:3]
	v_cmp_eq_u32_e32 vcc, 22, v181
	s_waitcnt lgkmcnt(0)
	s_barrier
	s_and_saveexec_b64 s[2:3], vcc
	s_cbranch_execz .LBB119_123
; %bb.121:
	s_waitcnt vmcnt(42)
	v_pk_mov_b32 v[208:209], v[136:137], v[160:161] op_sel:[1,0]
	ds_write_b32 v183, v136
	ds_write2_b32 v185, v208, v209 offset0:23 offset1:24
	s_waitcnt vmcnt(40)
	v_pk_mov_b32 v[208:209], v[160:161], v[134:135] op_sel:[1,0]
	ds_write2_b32 v185, v208, v209 offset0:25 offset1:26
	s_waitcnt vmcnt(38)
	v_pk_mov_b32 v[208:209], v[134:135], v[158:159] op_sel:[1,0]
	;; [unrolled: 3-line block ×17, first 2 shown]
	ds_write2_b32 v185, v208, v209 offset0:57 offset1:58
	ds_write_b32 v185, v171 offset:236
	ds_read_b32 v207, v183
	s_waitcnt lgkmcnt(0)
	v_cmp_neq_f32_e32 vcc, 0, v207
	s_and_b64 exec, exec, vcc
	s_cbranch_execz .LBB119_123
; %bb.122:
	v_div_scale_f32 v208, s[4:5], v207, v207, 1.0
	v_rcp_f32_e32 v209, v208
	v_div_scale_f32 v210, vcc, 1.0, v207, 1.0
	v_fma_f32 v211, -v208, v209, 1.0
	v_fmac_f32_e32 v209, v211, v209
	v_mul_f32_e32 v211, v210, v209
	v_fma_f32 v212, -v208, v211, v210
	v_fmac_f32_e32 v211, v212, v209
	v_fma_f32 v208, -v208, v211, v210
	v_div_fmas_f32 v208, v208, v209, v211
	v_div_fixup_f32 v207, v208, v207, 1.0
	ds_write_b32 v183, v207
.LBB119_123:
	s_or_b64 exec, exec, s[2:3]
	s_waitcnt lgkmcnt(0)
	s_barrier
	ds_read_b32 v207, v183
	v_cmp_lt_u32_e32 vcc, 22, v181
	s_and_saveexec_b64 s[2:3], vcc
	s_cbranch_execz .LBB119_125
; %bb.124:
	ds_read_b32 v220, v185 offset:92
	ds_read2_b64 v[208:211], v185 offset0:12 offset1:13
	ds_read2_b64 v[212:215], v185 offset0:14 offset1:15
	;; [unrolled: 1-line block ×3, first 2 shown]
	s_waitcnt vmcnt(45) lgkmcnt(4)
	v_mul_f32_e32 v136, v207, v136
	s_waitcnt vmcnt(44) lgkmcnt(3)
	v_fma_f32 v137, -v136, v220, v137
	s_waitcnt vmcnt(42) lgkmcnt(2)
	v_pk_fma_f32 v[160:161], v[136:137], v[208:209], v[160:161] op_sel_hi:[0,1,1] neg_lo:[1,0,0] neg_hi:[1,0,0]
	s_waitcnt vmcnt(40)
	v_pk_fma_f32 v[134:135], v[136:137], v[210:211], v[134:135] op_sel_hi:[0,1,1] neg_lo:[1,0,0] neg_hi:[1,0,0]
	s_waitcnt vmcnt(38) lgkmcnt(1)
	v_pk_fma_f32 v[158:159], v[136:137], v[212:213], v[158:159] op_sel_hi:[0,1,1] neg_lo:[1,0,0] neg_hi:[1,0,0]
	ds_read2_b64 v[208:211], v185 offset0:18 offset1:19
	s_waitcnt vmcnt(36)
	v_pk_fma_f32 v[132:133], v[136:137], v[214:215], v[132:133] op_sel_hi:[0,1,1] neg_lo:[1,0,0] neg_hi:[1,0,0]
	s_waitcnt vmcnt(34) lgkmcnt(1)
	v_pk_fma_f32 v[156:157], v[136:137], v[216:217], v[156:157] op_sel_hi:[0,1,1] neg_lo:[1,0,0] neg_hi:[1,0,0]
	ds_read2_b64 v[212:215], v185 offset0:20 offset1:21
	s_waitcnt vmcnt(32)
	v_pk_fma_f32 v[130:131], v[136:137], v[218:219], v[130:131] op_sel_hi:[0,1,1] neg_lo:[1,0,0] neg_hi:[1,0,0]
	ds_read2_b64 v[216:219], v185 offset0:22 offset1:23
	s_waitcnt vmcnt(30) lgkmcnt(2)
	v_pk_fma_f32 v[154:155], v[136:137], v[208:209], v[154:155] op_sel_hi:[0,1,1] neg_lo:[1,0,0] neg_hi:[1,0,0]
	s_waitcnt vmcnt(28)
	v_pk_fma_f32 v[128:129], v[136:137], v[210:211], v[128:129] op_sel_hi:[0,1,1] neg_lo:[1,0,0] neg_hi:[1,0,0]
	s_waitcnt vmcnt(26) lgkmcnt(1)
	v_pk_fma_f32 v[152:153], v[136:137], v[212:213], v[152:153] op_sel_hi:[0,1,1] neg_lo:[1,0,0] neg_hi:[1,0,0]
	s_waitcnt vmcnt(24)
	v_pk_fma_f32 v[126:127], v[136:137], v[214:215], v[126:127] op_sel_hi:[0,1,1] neg_lo:[1,0,0] neg_hi:[1,0,0]
	ds_read2_b64 v[208:211], v185 offset0:24 offset1:25
	s_waitcnt vmcnt(22) lgkmcnt(1)
	v_pk_fma_f32 v[150:151], v[136:137], v[216:217], v[150:151] op_sel_hi:[0,1,1] neg_lo:[1,0,0] neg_hi:[1,0,0]
	ds_read2_b64 v[212:215], v185 offset0:26 offset1:27
	s_waitcnt vmcnt(20)
	v_pk_fma_f32 v[124:125], v[136:137], v[218:219], v[124:125] op_sel_hi:[0,1,1] neg_lo:[1,0,0] neg_hi:[1,0,0]
	ds_read2_b64 v[216:219], v185 offset0:28 offset1:29
	s_waitcnt vmcnt(18) lgkmcnt(2)
	v_pk_fma_f32 v[148:149], v[136:137], v[208:209], v[148:149] op_sel_hi:[0,1,1] neg_lo:[1,0,0] neg_hi:[1,0,0]
	s_waitcnt vmcnt(16)
	v_pk_fma_f32 v[122:123], v[136:137], v[210:211], v[122:123] op_sel_hi:[0,1,1] neg_lo:[1,0,0] neg_hi:[1,0,0]
	s_waitcnt vmcnt(14) lgkmcnt(1)
	v_pk_fma_f32 v[146:147], v[136:137], v[212:213], v[146:147] op_sel_hi:[0,1,1] neg_lo:[1,0,0] neg_hi:[1,0,0]
	s_waitcnt vmcnt(12)
	v_pk_fma_f32 v[120:121], v[136:137], v[214:215], v[120:121] op_sel_hi:[0,1,1] neg_lo:[1,0,0] neg_hi:[1,0,0]
	;; [unrolled: 4-line block ×3, first 2 shown]
.LBB119_125:
	s_or_b64 exec, exec, s[2:3]
	v_cmp_ne_u32_e32 vcc, 23, v181
	s_waitcnt lgkmcnt(0)
	s_barrier
	s_and_saveexec_b64 s[2:3], vcc
	s_xor_b64 s[2:3], exec, s[2:3]
	s_andn2_saveexec_b64 s[2:3], s[2:3]
	s_cbranch_execz .LBB119_129
; %bb.126:
	s_waitcnt vmcnt(43)
	v_mov_b32_e32 v208, v160
	s_waitcnt vmcnt(42)
	v_mov_b32_e32 v209, v161
	;; [unrolled: 2-line block ×4, first 2 shown]
	ds_write_b32 v183, v137
	ds_write2_b64 v185, v[208:209], v[210:211] offset0:12 offset1:13
	s_waitcnt vmcnt(39)
	v_mov_b32_e32 v208, v158
	s_waitcnt vmcnt(38)
	v_mov_b32_e32 v209, v159
	s_waitcnt vmcnt(37)
	v_mov_b32_e32 v210, v132
	s_waitcnt vmcnt(36)
	v_mov_b32_e32 v211, v133
	ds_write2_b64 v185, v[208:209], v[210:211] offset0:14 offset1:15
	s_waitcnt vmcnt(35)
	v_mov_b32_e32 v208, v156
	s_waitcnt vmcnt(34)
	v_mov_b32_e32 v209, v157
	s_waitcnt vmcnt(33)
	v_mov_b32_e32 v210, v130
	s_waitcnt vmcnt(32)
	v_mov_b32_e32 v211, v131
	;; [unrolled: 9-line block ×7, first 2 shown]
	ds_write2_b64 v185, v[208:209], v[210:211] offset0:26 offset1:27
	s_waitcnt vmcnt(11)
	v_mov_b32_e32 v208, v144
	s_waitcnt vmcnt(10)
	v_mov_b32_e32 v209, v145
	s_waitcnt vmcnt(8)
	ds_write2_b64 v185, v[208:209], v[170:171] offset0:28 offset1:29
	ds_read_b32 v208, v183
	s_waitcnt lgkmcnt(0)
	v_cmp_neq_f32_e32 vcc, 0, v208
	s_and_saveexec_b64 s[4:5], vcc
	s_cbranch_execz .LBB119_128
; %bb.127:
	v_div_scale_f32 v209, s[10:11], v208, v208, 1.0
	v_rcp_f32_e32 v210, v209
	v_div_scale_f32 v211, vcc, 1.0, v208, 1.0
	v_fma_f32 v212, -v209, v210, 1.0
	v_fmac_f32_e32 v210, v212, v210
	v_mul_f32_e32 v212, v211, v210
	v_fma_f32 v213, -v209, v212, v211
	v_fmac_f32_e32 v212, v213, v210
	v_fma_f32 v209, -v209, v212, v211
	v_div_fmas_f32 v209, v209, v210, v212
	v_div_fixup_f32 v208, v209, v208, 1.0
	ds_write_b32 v183, v208
.LBB119_128:
	s_or_b64 exec, exec, s[4:5]
.LBB119_129:
	s_or_b64 exec, exec, s[2:3]
	s_waitcnt lgkmcnt(0)
	s_barrier
	ds_read_b32 v208, v183
	v_cmp_lt_u32_e32 vcc, 23, v181
	s_and_saveexec_b64 s[2:3], vcc
	s_cbranch_execz .LBB119_131
; %bb.130:
	ds_read2_b64 v[210:213], v185 offset0:12 offset1:13
	ds_read2_b64 v[214:217], v185 offset0:14 offset1:15
	;; [unrolled: 1-line block ×3, first 2 shown]
	s_waitcnt vmcnt(44) lgkmcnt(3)
	v_mul_f32_e32 v222, v208, v137
	v_mov_b32_e32 v137, v222
	s_waitcnt vmcnt(42) lgkmcnt(2)
	v_pk_fma_f32 v[160:161], v[222:223], v[210:211], v[160:161] op_sel_hi:[0,1,1] neg_lo:[1,0,0] neg_hi:[1,0,0]
	s_waitcnt vmcnt(40)
	v_pk_fma_f32 v[134:135], v[222:223], v[212:213], v[134:135] op_sel_hi:[0,1,1] neg_lo:[1,0,0] neg_hi:[1,0,0]
	s_waitcnt vmcnt(38) lgkmcnt(1)
	v_pk_fma_f32 v[158:159], v[222:223], v[214:215], v[158:159] op_sel_hi:[0,1,1] neg_lo:[1,0,0] neg_hi:[1,0,0]
	ds_read2_b64 v[210:213], v185 offset0:18 offset1:19
	s_waitcnt vmcnt(36)
	v_pk_fma_f32 v[132:133], v[222:223], v[216:217], v[132:133] op_sel_hi:[0,1,1] neg_lo:[1,0,0] neg_hi:[1,0,0]
	s_waitcnt vmcnt(34) lgkmcnt(1)
	v_pk_fma_f32 v[156:157], v[222:223], v[218:219], v[156:157] op_sel_hi:[0,1,1] neg_lo:[1,0,0] neg_hi:[1,0,0]
	ds_read2_b64 v[214:217], v185 offset0:20 offset1:21
	s_waitcnt vmcnt(32)
	v_pk_fma_f32 v[130:131], v[222:223], v[220:221], v[130:131] op_sel_hi:[0,1,1] neg_lo:[1,0,0] neg_hi:[1,0,0]
	ds_read2_b64 v[218:221], v185 offset0:22 offset1:23
	s_waitcnt vmcnt(30) lgkmcnt(2)
	v_pk_fma_f32 v[154:155], v[222:223], v[210:211], v[154:155] op_sel_hi:[0,1,1] neg_lo:[1,0,0] neg_hi:[1,0,0]
	s_waitcnt vmcnt(28)
	v_pk_fma_f32 v[128:129], v[222:223], v[212:213], v[128:129] op_sel_hi:[0,1,1] neg_lo:[1,0,0] neg_hi:[1,0,0]
	s_waitcnt vmcnt(26) lgkmcnt(1)
	v_pk_fma_f32 v[152:153], v[222:223], v[214:215], v[152:153] op_sel_hi:[0,1,1] neg_lo:[1,0,0] neg_hi:[1,0,0]
	s_waitcnt vmcnt(24)
	v_pk_fma_f32 v[126:127], v[222:223], v[216:217], v[126:127] op_sel_hi:[0,1,1] neg_lo:[1,0,0] neg_hi:[1,0,0]
	ds_read2_b64 v[210:213], v185 offset0:24 offset1:25
	ds_read2_b64 v[214:217], v185 offset0:26 offset1:27
	s_waitcnt vmcnt(22) lgkmcnt(2)
	v_pk_fma_f32 v[150:151], v[222:223], v[218:219], v[150:151] op_sel_hi:[0,1,1] neg_lo:[1,0,0] neg_hi:[1,0,0]
	s_waitcnt vmcnt(20)
	v_pk_fma_f32 v[124:125], v[222:223], v[220:221], v[124:125] op_sel_hi:[0,1,1] neg_lo:[1,0,0] neg_hi:[1,0,0]
	ds_read2_b64 v[218:221], v185 offset0:28 offset1:29
	s_waitcnt vmcnt(18) lgkmcnt(2)
	v_pk_fma_f32 v[148:149], v[222:223], v[210:211], v[148:149] op_sel_hi:[0,1,1] neg_lo:[1,0,0] neg_hi:[1,0,0]
	s_waitcnt vmcnt(16)
	v_pk_fma_f32 v[122:123], v[222:223], v[212:213], v[122:123] op_sel_hi:[0,1,1] neg_lo:[1,0,0] neg_hi:[1,0,0]
	s_waitcnt vmcnt(14) lgkmcnt(1)
	v_pk_fma_f32 v[146:147], v[222:223], v[214:215], v[146:147] op_sel_hi:[0,1,1] neg_lo:[1,0,0] neg_hi:[1,0,0]
	s_waitcnt vmcnt(12)
	v_pk_fma_f32 v[120:121], v[222:223], v[216:217], v[120:121] op_sel_hi:[0,1,1] neg_lo:[1,0,0] neg_hi:[1,0,0]
	;; [unrolled: 4-line block ×3, first 2 shown]
.LBB119_131:
	s_or_b64 exec, exec, s[2:3]
	v_cmp_eq_u32_e32 vcc, 24, v181
	s_waitcnt lgkmcnt(0)
	s_barrier
	s_and_saveexec_b64 s[2:3], vcc
	s_cbranch_execz .LBB119_134
; %bb.132:
	s_waitcnt vmcnt(40)
	v_pk_mov_b32 v[210:211], v[160:161], v[134:135] op_sel:[1,0]
	ds_write_b32 v183, v160
	ds_write2_b32 v185, v210, v211 offset0:25 offset1:26
	s_waitcnt vmcnt(38)
	v_pk_mov_b32 v[210:211], v[134:135], v[158:159] op_sel:[1,0]
	ds_write2_b32 v185, v210, v211 offset0:27 offset1:28
	s_waitcnt vmcnt(36)
	v_pk_mov_b32 v[210:211], v[158:159], v[132:133] op_sel:[1,0]
	;; [unrolled: 3-line block ×16, first 2 shown]
	ds_write2_b32 v185, v210, v211 offset0:57 offset1:58
	ds_write_b32 v185, v171 offset:236
	ds_read_b32 v209, v183
	s_waitcnt lgkmcnt(0)
	v_cmp_neq_f32_e32 vcc, 0, v209
	s_and_b64 exec, exec, vcc
	s_cbranch_execz .LBB119_134
; %bb.133:
	v_div_scale_f32 v210, s[4:5], v209, v209, 1.0
	v_rcp_f32_e32 v211, v210
	v_div_scale_f32 v212, vcc, 1.0, v209, 1.0
	v_fma_f32 v213, -v210, v211, 1.0
	v_fmac_f32_e32 v211, v213, v211
	v_mul_f32_e32 v213, v212, v211
	v_fma_f32 v214, -v210, v213, v212
	v_fmac_f32_e32 v213, v214, v211
	v_fma_f32 v210, -v210, v213, v212
	v_div_fmas_f32 v210, v210, v211, v213
	v_div_fixup_f32 v209, v210, v209, 1.0
	ds_write_b32 v183, v209
.LBB119_134:
	s_or_b64 exec, exec, s[2:3]
	s_waitcnt lgkmcnt(0)
	s_barrier
	ds_read_b32 v209, v183
	v_cmp_lt_u32_e32 vcc, 24, v181
	s_and_saveexec_b64 s[2:3], vcc
	s_cbranch_execz .LBB119_136
; %bb.135:
	ds_read_b32 v222, v185 offset:100
	ds_read2_b64 v[210:213], v185 offset0:13 offset1:14
	ds_read2_b64 v[214:217], v185 offset0:15 offset1:16
	;; [unrolled: 1-line block ×3, first 2 shown]
	s_waitcnt vmcnt(43) lgkmcnt(4)
	v_mul_f32_e32 v160, v209, v160
	s_waitcnt vmcnt(42) lgkmcnt(3)
	v_fma_f32 v161, -v160, v222, v161
	s_waitcnt vmcnt(40) lgkmcnt(2)
	v_pk_fma_f32 v[134:135], v[160:161], v[210:211], v[134:135] op_sel_hi:[0,1,1] neg_lo:[1,0,0] neg_hi:[1,0,0]
	s_waitcnt vmcnt(38)
	v_pk_fma_f32 v[158:159], v[160:161], v[212:213], v[158:159] op_sel_hi:[0,1,1] neg_lo:[1,0,0] neg_hi:[1,0,0]
	s_waitcnt vmcnt(36) lgkmcnt(1)
	v_pk_fma_f32 v[132:133], v[160:161], v[214:215], v[132:133] op_sel_hi:[0,1,1] neg_lo:[1,0,0] neg_hi:[1,0,0]
	ds_read2_b64 v[210:213], v185 offset0:19 offset1:20
	s_waitcnt vmcnt(34)
	v_pk_fma_f32 v[156:157], v[160:161], v[216:217], v[156:157] op_sel_hi:[0,1,1] neg_lo:[1,0,0] neg_hi:[1,0,0]
	s_waitcnt vmcnt(32) lgkmcnt(1)
	v_pk_fma_f32 v[130:131], v[160:161], v[218:219], v[130:131] op_sel_hi:[0,1,1] neg_lo:[1,0,0] neg_hi:[1,0,0]
	ds_read2_b64 v[214:217], v185 offset0:21 offset1:22
	s_waitcnt vmcnt(30)
	v_pk_fma_f32 v[154:155], v[160:161], v[220:221], v[154:155] op_sel_hi:[0,1,1] neg_lo:[1,0,0] neg_hi:[1,0,0]
	ds_read2_b64 v[218:221], v185 offset0:23 offset1:24
	s_waitcnt vmcnt(28) lgkmcnt(2)
	v_pk_fma_f32 v[128:129], v[160:161], v[210:211], v[128:129] op_sel_hi:[0,1,1] neg_lo:[1,0,0] neg_hi:[1,0,0]
	s_waitcnt vmcnt(26)
	v_pk_fma_f32 v[152:153], v[160:161], v[212:213], v[152:153] op_sel_hi:[0,1,1] neg_lo:[1,0,0] neg_hi:[1,0,0]
	s_waitcnt vmcnt(24) lgkmcnt(1)
	v_pk_fma_f32 v[126:127], v[160:161], v[214:215], v[126:127] op_sel_hi:[0,1,1] neg_lo:[1,0,0] neg_hi:[1,0,0]
	s_waitcnt vmcnt(22)
	v_pk_fma_f32 v[150:151], v[160:161], v[216:217], v[150:151] op_sel_hi:[0,1,1] neg_lo:[1,0,0] neg_hi:[1,0,0]
	ds_read2_b64 v[210:213], v185 offset0:25 offset1:26
	s_waitcnt vmcnt(20) lgkmcnt(1)
	v_pk_fma_f32 v[124:125], v[160:161], v[218:219], v[124:125] op_sel_hi:[0,1,1] neg_lo:[1,0,0] neg_hi:[1,0,0]
	ds_read2_b64 v[214:217], v185 offset0:27 offset1:28
	ds_read_b64 v[218:219], v185 offset:232
	s_waitcnt vmcnt(18)
	v_pk_fma_f32 v[148:149], v[160:161], v[220:221], v[148:149] op_sel_hi:[0,1,1] neg_lo:[1,0,0] neg_hi:[1,0,0]
	s_waitcnt vmcnt(16) lgkmcnt(2)
	v_pk_fma_f32 v[122:123], v[160:161], v[210:211], v[122:123] op_sel_hi:[0,1,1] neg_lo:[1,0,0] neg_hi:[1,0,0]
	s_waitcnt vmcnt(14)
	v_pk_fma_f32 v[146:147], v[160:161], v[212:213], v[146:147] op_sel_hi:[0,1,1] neg_lo:[1,0,0] neg_hi:[1,0,0]
	s_waitcnt vmcnt(12) lgkmcnt(1)
	v_pk_fma_f32 v[120:121], v[160:161], v[214:215], v[120:121] op_sel_hi:[0,1,1] neg_lo:[1,0,0] neg_hi:[1,0,0]
	;; [unrolled: 4-line block ×3, first 2 shown]
.LBB119_136:
	s_or_b64 exec, exec, s[2:3]
	v_cmp_ne_u32_e32 vcc, 25, v181
	s_waitcnt lgkmcnt(0)
	s_barrier
	s_and_saveexec_b64 s[2:3], vcc
	s_xor_b64 s[2:3], exec, s[2:3]
	s_andn2_saveexec_b64 s[2:3], s[2:3]
	s_cbranch_execz .LBB119_140
; %bb.137:
	s_waitcnt vmcnt(42)
	ds_write_b32 v183, v161
	s_waitcnt vmcnt(38)
	ds_write2_b64 v185, v[134:135], v[158:159] offset0:13 offset1:14
	s_waitcnt vmcnt(34)
	ds_write2_b64 v185, v[132:133], v[156:157] offset0:15 offset1:16
	;; [unrolled: 2-line block ×8, first 2 shown]
	s_waitcnt vmcnt(8)
	ds_write_b64 v185, v[170:171] offset:232
	ds_read_b32 v210, v183
	s_waitcnt lgkmcnt(0)
	v_cmp_neq_f32_e32 vcc, 0, v210
	s_and_saveexec_b64 s[4:5], vcc
	s_cbranch_execz .LBB119_139
; %bb.138:
	v_div_scale_f32 v211, s[10:11], v210, v210, 1.0
	v_rcp_f32_e32 v212, v211
	v_div_scale_f32 v213, vcc, 1.0, v210, 1.0
	v_fma_f32 v214, -v211, v212, 1.0
	v_fmac_f32_e32 v212, v214, v212
	v_mul_f32_e32 v214, v213, v212
	v_fma_f32 v215, -v211, v214, v213
	v_fmac_f32_e32 v214, v215, v212
	v_fma_f32 v211, -v211, v214, v213
	v_div_fmas_f32 v211, v211, v212, v214
	v_div_fixup_f32 v210, v211, v210, 1.0
	ds_write_b32 v183, v210
.LBB119_139:
	s_or_b64 exec, exec, s[4:5]
.LBB119_140:
	s_or_b64 exec, exec, s[2:3]
	s_waitcnt lgkmcnt(0)
	s_barrier
	ds_read_b32 v210, v183
	v_cmp_lt_u32_e32 vcc, 25, v181
	s_and_saveexec_b64 s[2:3], vcc
	s_cbranch_execz .LBB119_142
; %bb.141:
	ds_read2_b64 v[212:215], v185 offset0:13 offset1:14
	ds_read2_b64 v[216:219], v185 offset0:15 offset1:16
	;; [unrolled: 1-line block ×3, first 2 shown]
	s_waitcnt vmcnt(42) lgkmcnt(3)
	v_mul_f32_e32 v224, v210, v161
	v_mov_b32_e32 v161, v224
	s_waitcnt vmcnt(40) lgkmcnt(2)
	v_pk_fma_f32 v[134:135], v[224:225], v[212:213], v[134:135] op_sel_hi:[0,1,1] neg_lo:[1,0,0] neg_hi:[1,0,0]
	s_waitcnt vmcnt(38)
	v_pk_fma_f32 v[158:159], v[224:225], v[214:215], v[158:159] op_sel_hi:[0,1,1] neg_lo:[1,0,0] neg_hi:[1,0,0]
	s_waitcnt vmcnt(36) lgkmcnt(1)
	v_pk_fma_f32 v[132:133], v[224:225], v[216:217], v[132:133] op_sel_hi:[0,1,1] neg_lo:[1,0,0] neg_hi:[1,0,0]
	ds_read2_b64 v[212:215], v185 offset0:19 offset1:20
	s_waitcnt vmcnt(34)
	v_pk_fma_f32 v[156:157], v[224:225], v[218:219], v[156:157] op_sel_hi:[0,1,1] neg_lo:[1,0,0] neg_hi:[1,0,0]
	s_waitcnt vmcnt(32) lgkmcnt(1)
	v_pk_fma_f32 v[130:131], v[224:225], v[220:221], v[130:131] op_sel_hi:[0,1,1] neg_lo:[1,0,0] neg_hi:[1,0,0]
	ds_read2_b64 v[216:219], v185 offset0:21 offset1:22
	s_waitcnt vmcnt(30)
	v_pk_fma_f32 v[154:155], v[224:225], v[222:223], v[154:155] op_sel_hi:[0,1,1] neg_lo:[1,0,0] neg_hi:[1,0,0]
	ds_read2_b64 v[220:223], v185 offset0:23 offset1:24
	s_waitcnt vmcnt(28) lgkmcnt(2)
	v_pk_fma_f32 v[128:129], v[224:225], v[212:213], v[128:129] op_sel_hi:[0,1,1] neg_lo:[1,0,0] neg_hi:[1,0,0]
	s_waitcnt vmcnt(26)
	v_pk_fma_f32 v[152:153], v[224:225], v[214:215], v[152:153] op_sel_hi:[0,1,1] neg_lo:[1,0,0] neg_hi:[1,0,0]
	s_waitcnt vmcnt(24) lgkmcnt(1)
	v_pk_fma_f32 v[126:127], v[224:225], v[216:217], v[126:127] op_sel_hi:[0,1,1] neg_lo:[1,0,0] neg_hi:[1,0,0]
	s_waitcnt vmcnt(22)
	v_pk_fma_f32 v[150:151], v[224:225], v[218:219], v[150:151] op_sel_hi:[0,1,1] neg_lo:[1,0,0] neg_hi:[1,0,0]
	ds_read2_b64 v[212:215], v185 offset0:25 offset1:26
	ds_read2_b64 v[216:219], v185 offset0:27 offset1:28
	s_waitcnt vmcnt(20) lgkmcnt(2)
	v_pk_fma_f32 v[124:125], v[224:225], v[220:221], v[124:125] op_sel_hi:[0,1,1] neg_lo:[1,0,0] neg_hi:[1,0,0]
	ds_read_b64 v[220:221], v185 offset:232
	s_waitcnt vmcnt(18)
	v_pk_fma_f32 v[148:149], v[224:225], v[222:223], v[148:149] op_sel_hi:[0,1,1] neg_lo:[1,0,0] neg_hi:[1,0,0]
	s_waitcnt vmcnt(16) lgkmcnt(2)
	v_pk_fma_f32 v[122:123], v[224:225], v[212:213], v[122:123] op_sel_hi:[0,1,1] neg_lo:[1,0,0] neg_hi:[1,0,0]
	s_waitcnt vmcnt(14)
	v_pk_fma_f32 v[146:147], v[224:225], v[214:215], v[146:147] op_sel_hi:[0,1,1] neg_lo:[1,0,0] neg_hi:[1,0,0]
	s_waitcnt vmcnt(12) lgkmcnt(1)
	v_pk_fma_f32 v[120:121], v[224:225], v[216:217], v[120:121] op_sel_hi:[0,1,1] neg_lo:[1,0,0] neg_hi:[1,0,0]
	;; [unrolled: 4-line block ×3, first 2 shown]
.LBB119_142:
	s_or_b64 exec, exec, s[2:3]
	v_cmp_eq_u32_e32 vcc, 26, v181
	s_waitcnt lgkmcnt(0)
	s_barrier
	s_and_saveexec_b64 s[2:3], vcc
	s_cbranch_execz .LBB119_145
; %bb.143:
	s_waitcnt vmcnt(38)
	v_pk_mov_b32 v[212:213], v[134:135], v[158:159] op_sel:[1,0]
	ds_write_b32 v183, v134
	ds_write2_b32 v185, v212, v213 offset0:27 offset1:28
	s_waitcnt vmcnt(36)
	v_pk_mov_b32 v[212:213], v[158:159], v[132:133] op_sel:[1,0]
	ds_write2_b32 v185, v212, v213 offset0:29 offset1:30
	s_waitcnt vmcnt(34)
	v_pk_mov_b32 v[212:213], v[132:133], v[156:157] op_sel:[1,0]
	;; [unrolled: 3-line block ×15, first 2 shown]
	ds_write2_b32 v185, v212, v213 offset0:57 offset1:58
	ds_write_b32 v185, v171 offset:236
	ds_read_b32 v211, v183
	s_waitcnt lgkmcnt(0)
	v_cmp_neq_f32_e32 vcc, 0, v211
	s_and_b64 exec, exec, vcc
	s_cbranch_execz .LBB119_145
; %bb.144:
	v_div_scale_f32 v212, s[4:5], v211, v211, 1.0
	v_rcp_f32_e32 v213, v212
	v_div_scale_f32 v214, vcc, 1.0, v211, 1.0
	v_fma_f32 v215, -v212, v213, 1.0
	v_fmac_f32_e32 v213, v215, v213
	v_mul_f32_e32 v215, v214, v213
	v_fma_f32 v216, -v212, v215, v214
	v_fmac_f32_e32 v215, v216, v213
	v_fma_f32 v212, -v212, v215, v214
	v_div_fmas_f32 v212, v212, v213, v215
	v_div_fixup_f32 v211, v212, v211, 1.0
	ds_write_b32 v183, v211
.LBB119_145:
	s_or_b64 exec, exec, s[2:3]
	s_waitcnt lgkmcnt(0)
	s_barrier
	ds_read_b32 v211, v183
	v_cmp_lt_u32_e32 vcc, 26, v181
	s_and_saveexec_b64 s[2:3], vcc
	s_cbranch_execz .LBB119_147
; %bb.146:
	ds_read_b32 v224, v185 offset:108
	ds_read2_b64 v[212:215], v185 offset0:14 offset1:15
	ds_read2_b64 v[216:219], v185 offset0:16 offset1:17
	;; [unrolled: 1-line block ×3, first 2 shown]
	s_waitcnt vmcnt(41) lgkmcnt(4)
	v_mul_f32_e32 v134, v211, v134
	s_waitcnt vmcnt(40) lgkmcnt(3)
	v_fma_f32 v135, -v134, v224, v135
	s_waitcnt vmcnt(38) lgkmcnt(2)
	v_pk_fma_f32 v[158:159], v[134:135], v[212:213], v[158:159] op_sel_hi:[0,1,1] neg_lo:[1,0,0] neg_hi:[1,0,0]
	s_waitcnt vmcnt(36)
	v_pk_fma_f32 v[132:133], v[134:135], v[214:215], v[132:133] op_sel_hi:[0,1,1] neg_lo:[1,0,0] neg_hi:[1,0,0]
	s_waitcnt vmcnt(34) lgkmcnt(1)
	v_pk_fma_f32 v[156:157], v[134:135], v[216:217], v[156:157] op_sel_hi:[0,1,1] neg_lo:[1,0,0] neg_hi:[1,0,0]
	ds_read2_b64 v[212:215], v185 offset0:20 offset1:21
	s_waitcnt vmcnt(32)
	v_pk_fma_f32 v[130:131], v[134:135], v[218:219], v[130:131] op_sel_hi:[0,1,1] neg_lo:[1,0,0] neg_hi:[1,0,0]
	ds_read2_b64 v[216:219], v185 offset0:22 offset1:23
	s_waitcnt vmcnt(30) lgkmcnt(2)
	v_pk_fma_f32 v[154:155], v[134:135], v[220:221], v[154:155] op_sel_hi:[0,1,1] neg_lo:[1,0,0] neg_hi:[1,0,0]
	s_waitcnt vmcnt(28)
	v_pk_fma_f32 v[128:129], v[134:135], v[222:223], v[128:129] op_sel_hi:[0,1,1] neg_lo:[1,0,0] neg_hi:[1,0,0]
	s_waitcnt vmcnt(26) lgkmcnt(1)
	v_pk_fma_f32 v[152:153], v[134:135], v[212:213], v[152:153] op_sel_hi:[0,1,1] neg_lo:[1,0,0] neg_hi:[1,0,0]
	s_waitcnt vmcnt(24)
	v_pk_fma_f32 v[126:127], v[134:135], v[214:215], v[126:127] op_sel_hi:[0,1,1] neg_lo:[1,0,0] neg_hi:[1,0,0]
	ds_read2_b64 v[212:215], v185 offset0:24 offset1:25
	ds_read2_b64 v[220:223], v185 offset0:26 offset1:27
	s_waitcnt vmcnt(22) lgkmcnt(2)
	v_pk_fma_f32 v[150:151], v[134:135], v[216:217], v[150:151] op_sel_hi:[0,1,1] neg_lo:[1,0,0] neg_hi:[1,0,0]
	s_waitcnt vmcnt(20)
	v_pk_fma_f32 v[124:125], v[134:135], v[218:219], v[124:125] op_sel_hi:[0,1,1] neg_lo:[1,0,0] neg_hi:[1,0,0]
	ds_read2_b64 v[216:219], v185 offset0:28 offset1:29
	s_waitcnt vmcnt(18) lgkmcnt(2)
	v_pk_fma_f32 v[148:149], v[134:135], v[212:213], v[148:149] op_sel_hi:[0,1,1] neg_lo:[1,0,0] neg_hi:[1,0,0]
	s_waitcnt vmcnt(16)
	v_pk_fma_f32 v[122:123], v[134:135], v[214:215], v[122:123] op_sel_hi:[0,1,1] neg_lo:[1,0,0] neg_hi:[1,0,0]
	s_waitcnt vmcnt(14) lgkmcnt(1)
	v_pk_fma_f32 v[146:147], v[134:135], v[220:221], v[146:147] op_sel_hi:[0,1,1] neg_lo:[1,0,0] neg_hi:[1,0,0]
	s_waitcnt vmcnt(12)
	v_pk_fma_f32 v[120:121], v[134:135], v[222:223], v[120:121] op_sel_hi:[0,1,1] neg_lo:[1,0,0] neg_hi:[1,0,0]
	;; [unrolled: 4-line block ×3, first 2 shown]
.LBB119_147:
	s_or_b64 exec, exec, s[2:3]
	v_cmp_ne_u32_e32 vcc, 27, v181
	s_waitcnt lgkmcnt(0)
	s_barrier
	s_and_saveexec_b64 s[2:3], vcc
	s_xor_b64 s[2:3], exec, s[2:3]
	s_andn2_saveexec_b64 s[2:3], s[2:3]
	s_cbranch_execz .LBB119_151
; %bb.148:
	s_waitcnt vmcnt(39)
	v_mov_b32_e32 v212, v158
	s_waitcnt vmcnt(38)
	v_mov_b32_e32 v213, v159
	;; [unrolled: 2-line block ×4, first 2 shown]
	ds_write_b32 v183, v135
	ds_write2_b64 v185, v[212:213], v[214:215] offset0:14 offset1:15
	s_waitcnt vmcnt(35)
	v_mov_b32_e32 v212, v156
	s_waitcnt vmcnt(34)
	v_mov_b32_e32 v213, v157
	s_waitcnt vmcnt(33)
	v_mov_b32_e32 v214, v130
	s_waitcnt vmcnt(32)
	v_mov_b32_e32 v215, v131
	ds_write2_b64 v185, v[212:213], v[214:215] offset0:16 offset1:17
	s_waitcnt vmcnt(31)
	v_mov_b32_e32 v212, v154
	s_waitcnt vmcnt(30)
	v_mov_b32_e32 v213, v155
	s_waitcnt vmcnt(29)
	v_mov_b32_e32 v214, v128
	s_waitcnt vmcnt(28)
	v_mov_b32_e32 v215, v129
	;; [unrolled: 9-line block ×6, first 2 shown]
	ds_write2_b64 v185, v[212:213], v[214:215] offset0:26 offset1:27
	s_waitcnt vmcnt(11)
	v_mov_b32_e32 v212, v144
	s_waitcnt vmcnt(10)
	v_mov_b32_e32 v213, v145
	s_waitcnt vmcnt(8)
	ds_write2_b64 v185, v[212:213], v[170:171] offset0:28 offset1:29
	ds_read_b32 v212, v183
	s_waitcnt lgkmcnt(0)
	v_cmp_neq_f32_e32 vcc, 0, v212
	s_and_saveexec_b64 s[4:5], vcc
	s_cbranch_execz .LBB119_150
; %bb.149:
	v_div_scale_f32 v213, s[10:11], v212, v212, 1.0
	v_rcp_f32_e32 v214, v213
	v_div_scale_f32 v215, vcc, 1.0, v212, 1.0
	v_fma_f32 v216, -v213, v214, 1.0
	v_fmac_f32_e32 v214, v216, v214
	v_mul_f32_e32 v216, v215, v214
	v_fma_f32 v217, -v213, v216, v215
	v_fmac_f32_e32 v216, v217, v214
	v_fma_f32 v213, -v213, v216, v215
	v_div_fmas_f32 v213, v213, v214, v216
	v_div_fixup_f32 v212, v213, v212, 1.0
	ds_write_b32 v183, v212
.LBB119_150:
	s_or_b64 exec, exec, s[4:5]
.LBB119_151:
	s_or_b64 exec, exec, s[2:3]
	s_waitcnt lgkmcnt(0)
	s_barrier
	ds_read_b32 v212, v183
	v_cmp_lt_u32_e32 vcc, 27, v181
	s_and_saveexec_b64 s[2:3], vcc
	s_cbranch_execz .LBB119_153
; %bb.152:
	ds_read2_b64 v[214:217], v185 offset0:14 offset1:15
	ds_read2_b64 v[218:221], v185 offset0:16 offset1:17
	s_waitcnt vmcnt(40) lgkmcnt(2)
	v_mul_f32_e32 v226, v212, v135
	ds_read2_b64 v[222:225], v185 offset0:18 offset1:19
	v_mov_b32_e32 v135, v226
	s_waitcnt vmcnt(38) lgkmcnt(2)
	v_pk_fma_f32 v[158:159], v[226:227], v[214:215], v[158:159] op_sel_hi:[0,1,1] neg_lo:[1,0,0] neg_hi:[1,0,0]
	s_waitcnt vmcnt(36)
	v_pk_fma_f32 v[132:133], v[226:227], v[216:217], v[132:133] op_sel_hi:[0,1,1] neg_lo:[1,0,0] neg_hi:[1,0,0]
	s_waitcnt vmcnt(34) lgkmcnt(1)
	v_pk_fma_f32 v[156:157], v[226:227], v[218:219], v[156:157] op_sel_hi:[0,1,1] neg_lo:[1,0,0] neg_hi:[1,0,0]
	ds_read2_b64 v[214:217], v185 offset0:20 offset1:21
	s_waitcnt vmcnt(32)
	v_pk_fma_f32 v[130:131], v[226:227], v[220:221], v[130:131] op_sel_hi:[0,1,1] neg_lo:[1,0,0] neg_hi:[1,0,0]
	ds_read2_b64 v[218:221], v185 offset0:22 offset1:23
	s_waitcnt vmcnt(30) lgkmcnt(2)
	v_pk_fma_f32 v[154:155], v[226:227], v[222:223], v[154:155] op_sel_hi:[0,1,1] neg_lo:[1,0,0] neg_hi:[1,0,0]
	s_waitcnt vmcnt(28)
	v_pk_fma_f32 v[128:129], v[226:227], v[224:225], v[128:129] op_sel_hi:[0,1,1] neg_lo:[1,0,0] neg_hi:[1,0,0]
	s_waitcnt vmcnt(26) lgkmcnt(1)
	v_pk_fma_f32 v[152:153], v[226:227], v[214:215], v[152:153] op_sel_hi:[0,1,1] neg_lo:[1,0,0] neg_hi:[1,0,0]
	s_waitcnt vmcnt(24)
	v_pk_fma_f32 v[126:127], v[226:227], v[216:217], v[126:127] op_sel_hi:[0,1,1] neg_lo:[1,0,0] neg_hi:[1,0,0]
	ds_read2_b64 v[214:217], v185 offset0:24 offset1:25
	s_waitcnt vmcnt(22) lgkmcnt(1)
	v_pk_fma_f32 v[150:151], v[226:227], v[218:219], v[150:151] op_sel_hi:[0,1,1] neg_lo:[1,0,0] neg_hi:[1,0,0]
	ds_read2_b64 v[222:225], v185 offset0:26 offset1:27
	s_waitcnt vmcnt(20)
	v_pk_fma_f32 v[124:125], v[226:227], v[220:221], v[124:125] op_sel_hi:[0,1,1] neg_lo:[1,0,0] neg_hi:[1,0,0]
	ds_read2_b64 v[218:221], v185 offset0:28 offset1:29
	s_waitcnt vmcnt(18) lgkmcnt(2)
	v_pk_fma_f32 v[148:149], v[226:227], v[214:215], v[148:149] op_sel_hi:[0,1,1] neg_lo:[1,0,0] neg_hi:[1,0,0]
	s_waitcnt vmcnt(16)
	v_pk_fma_f32 v[122:123], v[226:227], v[216:217], v[122:123] op_sel_hi:[0,1,1] neg_lo:[1,0,0] neg_hi:[1,0,0]
	s_waitcnt vmcnt(14) lgkmcnt(1)
	v_pk_fma_f32 v[146:147], v[226:227], v[222:223], v[146:147] op_sel_hi:[0,1,1] neg_lo:[1,0,0] neg_hi:[1,0,0]
	s_waitcnt vmcnt(12)
	v_pk_fma_f32 v[120:121], v[226:227], v[224:225], v[120:121] op_sel_hi:[0,1,1] neg_lo:[1,0,0] neg_hi:[1,0,0]
	;; [unrolled: 4-line block ×3, first 2 shown]
.LBB119_153:
	s_or_b64 exec, exec, s[2:3]
	v_cmp_eq_u32_e32 vcc, 28, v181
	s_waitcnt lgkmcnt(0)
	s_barrier
	s_and_saveexec_b64 s[2:3], vcc
	s_cbranch_execz .LBB119_156
; %bb.154:
	s_waitcnt vmcnt(36)
	v_pk_mov_b32 v[214:215], v[158:159], v[132:133] op_sel:[1,0]
	ds_write_b32 v183, v158
	ds_write2_b32 v185, v214, v215 offset0:29 offset1:30
	s_waitcnt vmcnt(34)
	v_pk_mov_b32 v[214:215], v[132:133], v[156:157] op_sel:[1,0]
	ds_write2_b32 v185, v214, v215 offset0:31 offset1:32
	s_waitcnt vmcnt(32)
	v_pk_mov_b32 v[214:215], v[156:157], v[130:131] op_sel:[1,0]
	;; [unrolled: 3-line block ×14, first 2 shown]
	ds_write2_b32 v185, v214, v215 offset0:57 offset1:58
	ds_write_b32 v185, v171 offset:236
	ds_read_b32 v213, v183
	s_waitcnt lgkmcnt(0)
	v_cmp_neq_f32_e32 vcc, 0, v213
	s_and_b64 exec, exec, vcc
	s_cbranch_execz .LBB119_156
; %bb.155:
	v_div_scale_f32 v214, s[4:5], v213, v213, 1.0
	v_rcp_f32_e32 v215, v214
	v_div_scale_f32 v216, vcc, 1.0, v213, 1.0
	v_fma_f32 v217, -v214, v215, 1.0
	v_fmac_f32_e32 v215, v217, v215
	v_mul_f32_e32 v217, v216, v215
	v_fma_f32 v218, -v214, v217, v216
	v_fmac_f32_e32 v217, v218, v215
	v_fma_f32 v214, -v214, v217, v216
	v_div_fmas_f32 v214, v214, v215, v217
	v_div_fixup_f32 v213, v214, v213, 1.0
	ds_write_b32 v183, v213
.LBB119_156:
	s_or_b64 exec, exec, s[2:3]
	s_waitcnt lgkmcnt(0)
	s_barrier
	ds_read_b32 v213, v183
	v_cmp_lt_u32_e32 vcc, 28, v181
	s_and_saveexec_b64 s[2:3], vcc
	s_cbranch_execz .LBB119_158
; %bb.157:
	ds_read_b32 v226, v185 offset:116
	ds_read2_b64 v[214:217], v185 offset0:15 offset1:16
	ds_read2_b64 v[218:221], v185 offset0:17 offset1:18
	;; [unrolled: 1-line block ×3, first 2 shown]
	s_waitcnt vmcnt(39) lgkmcnt(4)
	v_mul_f32_e32 v158, v213, v158
	s_waitcnt vmcnt(38) lgkmcnt(3)
	v_fma_f32 v159, -v158, v226, v159
	s_waitcnt vmcnt(36) lgkmcnt(2)
	v_pk_fma_f32 v[132:133], v[158:159], v[214:215], v[132:133] op_sel_hi:[0,1,1] neg_lo:[1,0,0] neg_hi:[1,0,0]
	s_waitcnt vmcnt(34)
	v_pk_fma_f32 v[156:157], v[158:159], v[216:217], v[156:157] op_sel_hi:[0,1,1] neg_lo:[1,0,0] neg_hi:[1,0,0]
	s_waitcnt vmcnt(32) lgkmcnt(1)
	v_pk_fma_f32 v[130:131], v[158:159], v[218:219], v[130:131] op_sel_hi:[0,1,1] neg_lo:[1,0,0] neg_hi:[1,0,0]
	ds_read2_b64 v[214:217], v185 offset0:21 offset1:22
	s_waitcnt vmcnt(30)
	v_pk_fma_f32 v[154:155], v[158:159], v[220:221], v[154:155] op_sel_hi:[0,1,1] neg_lo:[1,0,0] neg_hi:[1,0,0]
	ds_read2_b64 v[218:221], v185 offset0:23 offset1:24
	s_waitcnt vmcnt(28) lgkmcnt(2)
	v_pk_fma_f32 v[128:129], v[158:159], v[222:223], v[128:129] op_sel_hi:[0,1,1] neg_lo:[1,0,0] neg_hi:[1,0,0]
	s_waitcnt vmcnt(26)
	v_pk_fma_f32 v[152:153], v[158:159], v[224:225], v[152:153] op_sel_hi:[0,1,1] neg_lo:[1,0,0] neg_hi:[1,0,0]
	s_waitcnt vmcnt(24) lgkmcnt(1)
	v_pk_fma_f32 v[126:127], v[158:159], v[214:215], v[126:127] op_sel_hi:[0,1,1] neg_lo:[1,0,0] neg_hi:[1,0,0]
	s_waitcnt vmcnt(22)
	v_pk_fma_f32 v[150:151], v[158:159], v[216:217], v[150:151] op_sel_hi:[0,1,1] neg_lo:[1,0,0] neg_hi:[1,0,0]
	ds_read2_b64 v[214:217], v185 offset0:25 offset1:26
	ds_read2_b64 v[222:225], v185 offset0:27 offset1:28
	s_waitcnt vmcnt(20) lgkmcnt(2)
	v_pk_fma_f32 v[124:125], v[158:159], v[218:219], v[124:125] op_sel_hi:[0,1,1] neg_lo:[1,0,0] neg_hi:[1,0,0]
	ds_read_b64 v[218:219], v185 offset:232
	s_waitcnt vmcnt(18)
	v_pk_fma_f32 v[148:149], v[158:159], v[220:221], v[148:149] op_sel_hi:[0,1,1] neg_lo:[1,0,0] neg_hi:[1,0,0]
	s_waitcnt vmcnt(16) lgkmcnt(2)
	v_pk_fma_f32 v[122:123], v[158:159], v[214:215], v[122:123] op_sel_hi:[0,1,1] neg_lo:[1,0,0] neg_hi:[1,0,0]
	s_waitcnt vmcnt(14)
	v_pk_fma_f32 v[146:147], v[158:159], v[216:217], v[146:147] op_sel_hi:[0,1,1] neg_lo:[1,0,0] neg_hi:[1,0,0]
	s_waitcnt vmcnt(12) lgkmcnt(1)
	v_pk_fma_f32 v[120:121], v[158:159], v[222:223], v[120:121] op_sel_hi:[0,1,1] neg_lo:[1,0,0] neg_hi:[1,0,0]
	;; [unrolled: 4-line block ×3, first 2 shown]
.LBB119_158:
	s_or_b64 exec, exec, s[2:3]
	v_cmp_ne_u32_e32 vcc, 29, v181
	s_waitcnt lgkmcnt(0)
	s_barrier
	s_and_saveexec_b64 s[2:3], vcc
	s_xor_b64 s[2:3], exec, s[2:3]
	s_andn2_saveexec_b64 s[2:3], s[2:3]
	s_cbranch_execz .LBB119_162
; %bb.159:
	s_waitcnt vmcnt(38)
	ds_write_b32 v183, v159
	s_waitcnt vmcnt(34)
	ds_write2_b64 v185, v[132:133], v[156:157] offset0:15 offset1:16
	s_waitcnt vmcnt(30)
	ds_write2_b64 v185, v[130:131], v[154:155] offset0:17 offset1:18
	;; [unrolled: 2-line block ×7, first 2 shown]
	s_waitcnt vmcnt(8)
	ds_write_b64 v185, v[170:171] offset:232
	ds_read_b32 v214, v183
	s_waitcnt lgkmcnt(0)
	v_cmp_neq_f32_e32 vcc, 0, v214
	s_and_saveexec_b64 s[4:5], vcc
	s_cbranch_execz .LBB119_161
; %bb.160:
	v_div_scale_f32 v215, s[10:11], v214, v214, 1.0
	v_rcp_f32_e32 v216, v215
	v_div_scale_f32 v217, vcc, 1.0, v214, 1.0
	v_fma_f32 v218, -v215, v216, 1.0
	v_fmac_f32_e32 v216, v218, v216
	v_mul_f32_e32 v218, v217, v216
	v_fma_f32 v219, -v215, v218, v217
	v_fmac_f32_e32 v218, v219, v216
	v_fma_f32 v215, -v215, v218, v217
	v_div_fmas_f32 v215, v215, v216, v218
	v_div_fixup_f32 v214, v215, v214, 1.0
	ds_write_b32 v183, v214
.LBB119_161:
	s_or_b64 exec, exec, s[4:5]
.LBB119_162:
	s_or_b64 exec, exec, s[2:3]
	s_waitcnt lgkmcnt(0)
	s_barrier
	ds_read_b32 v214, v183
	v_cmp_lt_u32_e32 vcc, 29, v181
	s_and_saveexec_b64 s[2:3], vcc
	s_cbranch_execz .LBB119_164
; %bb.163:
	ds_read2_b64 v[216:219], v185 offset0:15 offset1:16
	ds_read2_b64 v[220:223], v185 offset0:17 offset1:18
	s_waitcnt vmcnt(38) lgkmcnt(2)
	v_mul_f32_e32 v228, v214, v159
	ds_read2_b64 v[224:227], v185 offset0:19 offset1:20
	v_mov_b32_e32 v159, v228
	s_waitcnt vmcnt(36) lgkmcnt(2)
	v_pk_fma_f32 v[132:133], v[228:229], v[216:217], v[132:133] op_sel_hi:[0,1,1] neg_lo:[1,0,0] neg_hi:[1,0,0]
	s_waitcnt vmcnt(34)
	v_pk_fma_f32 v[156:157], v[228:229], v[218:219], v[156:157] op_sel_hi:[0,1,1] neg_lo:[1,0,0] neg_hi:[1,0,0]
	s_waitcnt vmcnt(32) lgkmcnt(1)
	v_pk_fma_f32 v[130:131], v[228:229], v[220:221], v[130:131] op_sel_hi:[0,1,1] neg_lo:[1,0,0] neg_hi:[1,0,0]
	ds_read2_b64 v[216:219], v185 offset0:21 offset1:22
	s_waitcnt vmcnt(30)
	v_pk_fma_f32 v[154:155], v[228:229], v[222:223], v[154:155] op_sel_hi:[0,1,1] neg_lo:[1,0,0] neg_hi:[1,0,0]
	ds_read2_b64 v[220:223], v185 offset0:23 offset1:24
	s_waitcnt vmcnt(28) lgkmcnt(2)
	v_pk_fma_f32 v[128:129], v[228:229], v[224:225], v[128:129] op_sel_hi:[0,1,1] neg_lo:[1,0,0] neg_hi:[1,0,0]
	s_waitcnt vmcnt(26)
	v_pk_fma_f32 v[152:153], v[228:229], v[226:227], v[152:153] op_sel_hi:[0,1,1] neg_lo:[1,0,0] neg_hi:[1,0,0]
	s_waitcnt vmcnt(24) lgkmcnt(1)
	v_pk_fma_f32 v[126:127], v[228:229], v[216:217], v[126:127] op_sel_hi:[0,1,1] neg_lo:[1,0,0] neg_hi:[1,0,0]
	s_waitcnt vmcnt(22)
	v_pk_fma_f32 v[150:151], v[228:229], v[218:219], v[150:151] op_sel_hi:[0,1,1] neg_lo:[1,0,0] neg_hi:[1,0,0]
	ds_read2_b64 v[216:219], v185 offset0:25 offset1:26
	s_waitcnt vmcnt(20) lgkmcnt(1)
	v_pk_fma_f32 v[124:125], v[228:229], v[220:221], v[124:125] op_sel_hi:[0,1,1] neg_lo:[1,0,0] neg_hi:[1,0,0]
	ds_read2_b64 v[224:227], v185 offset0:27 offset1:28
	ds_read_b64 v[220:221], v185 offset:232
	s_waitcnt vmcnt(18)
	v_pk_fma_f32 v[148:149], v[228:229], v[222:223], v[148:149] op_sel_hi:[0,1,1] neg_lo:[1,0,0] neg_hi:[1,0,0]
	s_waitcnt vmcnt(16) lgkmcnt(2)
	v_pk_fma_f32 v[122:123], v[228:229], v[216:217], v[122:123] op_sel_hi:[0,1,1] neg_lo:[1,0,0] neg_hi:[1,0,0]
	s_waitcnt vmcnt(14)
	v_pk_fma_f32 v[146:147], v[228:229], v[218:219], v[146:147] op_sel_hi:[0,1,1] neg_lo:[1,0,0] neg_hi:[1,0,0]
	s_waitcnt vmcnt(12) lgkmcnt(1)
	v_pk_fma_f32 v[120:121], v[228:229], v[224:225], v[120:121] op_sel_hi:[0,1,1] neg_lo:[1,0,0] neg_hi:[1,0,0]
	;; [unrolled: 4-line block ×3, first 2 shown]
.LBB119_164:
	s_or_b64 exec, exec, s[2:3]
	v_cmp_eq_u32_e32 vcc, 30, v181
	s_waitcnt lgkmcnt(0)
	s_barrier
	s_and_saveexec_b64 s[2:3], vcc
	s_cbranch_execz .LBB119_167
; %bb.165:
	s_waitcnt vmcnt(34)
	v_pk_mov_b32 v[216:217], v[132:133], v[156:157] op_sel:[1,0]
	ds_write_b32 v183, v132
	ds_write2_b32 v185, v216, v217 offset0:31 offset1:32
	s_waitcnt vmcnt(32)
	v_pk_mov_b32 v[216:217], v[156:157], v[130:131] op_sel:[1,0]
	ds_write2_b32 v185, v216, v217 offset0:33 offset1:34
	s_waitcnt vmcnt(30)
	v_pk_mov_b32 v[216:217], v[130:131], v[154:155] op_sel:[1,0]
	;; [unrolled: 3-line block ×13, first 2 shown]
	ds_write2_b32 v185, v216, v217 offset0:57 offset1:58
	ds_write_b32 v185, v171 offset:236
	ds_read_b32 v215, v183
	s_waitcnt lgkmcnt(0)
	v_cmp_neq_f32_e32 vcc, 0, v215
	s_and_b64 exec, exec, vcc
	s_cbranch_execz .LBB119_167
; %bb.166:
	v_div_scale_f32 v216, s[4:5], v215, v215, 1.0
	v_rcp_f32_e32 v217, v216
	v_div_scale_f32 v218, vcc, 1.0, v215, 1.0
	v_fma_f32 v219, -v216, v217, 1.0
	v_fmac_f32_e32 v217, v219, v217
	v_mul_f32_e32 v219, v218, v217
	v_fma_f32 v220, -v216, v219, v218
	v_fmac_f32_e32 v219, v220, v217
	v_fma_f32 v216, -v216, v219, v218
	v_div_fmas_f32 v216, v216, v217, v219
	v_div_fixup_f32 v215, v216, v215, 1.0
	ds_write_b32 v183, v215
.LBB119_167:
	s_or_b64 exec, exec, s[2:3]
	s_waitcnt lgkmcnt(0)
	s_barrier
	ds_read_b32 v215, v183
	v_cmp_lt_u32_e32 vcc, 30, v181
	s_and_saveexec_b64 s[2:3], vcc
	s_cbranch_execz .LBB119_169
; %bb.168:
	ds_read_b32 v228, v185 offset:124
	ds_read2_b64 v[216:219], v185 offset0:16 offset1:17
	s_waitcnt vmcnt(37) lgkmcnt(2)
	v_mul_f32_e32 v132, v215, v132
	ds_read2_b64 v[220:223], v185 offset0:18 offset1:19
	ds_read2_b64 v[224:227], v185 offset0:20 offset1:21
	s_waitcnt vmcnt(36) lgkmcnt(3)
	v_fma_f32 v133, -v132, v228, v133
	s_waitcnt vmcnt(34) lgkmcnt(2)
	v_pk_fma_f32 v[156:157], v[132:133], v[216:217], v[156:157] op_sel_hi:[0,1,1] neg_lo:[1,0,0] neg_hi:[1,0,0]
	s_waitcnt vmcnt(32)
	v_pk_fma_f32 v[130:131], v[132:133], v[218:219], v[130:131] op_sel_hi:[0,1,1] neg_lo:[1,0,0] neg_hi:[1,0,0]
	ds_read2_b64 v[216:219], v185 offset0:22 offset1:23
	s_waitcnt vmcnt(30) lgkmcnt(2)
	v_pk_fma_f32 v[154:155], v[132:133], v[220:221], v[154:155] op_sel_hi:[0,1,1] neg_lo:[1,0,0] neg_hi:[1,0,0]
	s_waitcnt vmcnt(28)
	v_pk_fma_f32 v[128:129], v[132:133], v[222:223], v[128:129] op_sel_hi:[0,1,1] neg_lo:[1,0,0] neg_hi:[1,0,0]
	s_waitcnt vmcnt(26) lgkmcnt(1)
	v_pk_fma_f32 v[152:153], v[132:133], v[224:225], v[152:153] op_sel_hi:[0,1,1] neg_lo:[1,0,0] neg_hi:[1,0,0]
	s_waitcnt vmcnt(24)
	v_pk_fma_f32 v[126:127], v[132:133], v[226:227], v[126:127] op_sel_hi:[0,1,1] neg_lo:[1,0,0] neg_hi:[1,0,0]
	ds_read2_b64 v[220:223], v185 offset0:24 offset1:25
	s_waitcnt vmcnt(22) lgkmcnt(1)
	v_pk_fma_f32 v[150:151], v[132:133], v[216:217], v[150:151] op_sel_hi:[0,1,1] neg_lo:[1,0,0] neg_hi:[1,0,0]
	ds_read2_b64 v[224:227], v185 offset0:26 offset1:27
	s_waitcnt vmcnt(20)
	v_pk_fma_f32 v[124:125], v[132:133], v[218:219], v[124:125] op_sel_hi:[0,1,1] neg_lo:[1,0,0] neg_hi:[1,0,0]
	ds_read2_b64 v[216:219], v185 offset0:28 offset1:29
	s_waitcnt vmcnt(18) lgkmcnt(2)
	v_pk_fma_f32 v[148:149], v[132:133], v[220:221], v[148:149] op_sel_hi:[0,1,1] neg_lo:[1,0,0] neg_hi:[1,0,0]
	s_waitcnt vmcnt(16)
	v_pk_fma_f32 v[122:123], v[132:133], v[222:223], v[122:123] op_sel_hi:[0,1,1] neg_lo:[1,0,0] neg_hi:[1,0,0]
	s_waitcnt vmcnt(14) lgkmcnt(1)
	v_pk_fma_f32 v[146:147], v[132:133], v[224:225], v[146:147] op_sel_hi:[0,1,1] neg_lo:[1,0,0] neg_hi:[1,0,0]
	s_waitcnt vmcnt(12)
	v_pk_fma_f32 v[120:121], v[132:133], v[226:227], v[120:121] op_sel_hi:[0,1,1] neg_lo:[1,0,0] neg_hi:[1,0,0]
	;; [unrolled: 4-line block ×3, first 2 shown]
.LBB119_169:
	s_or_b64 exec, exec, s[2:3]
	v_cmp_ne_u32_e32 vcc, 31, v181
	s_waitcnt lgkmcnt(0)
	s_barrier
	s_and_saveexec_b64 s[2:3], vcc
	s_xor_b64 s[2:3], exec, s[2:3]
	s_andn2_saveexec_b64 s[2:3], s[2:3]
	s_cbranch_execz .LBB119_173
; %bb.170:
	s_waitcnt vmcnt(35)
	v_mov_b32_e32 v216, v156
	s_waitcnt vmcnt(34)
	v_mov_b32_e32 v217, v157
	;; [unrolled: 2-line block ×4, first 2 shown]
	ds_write_b32 v183, v133
	ds_write2_b64 v185, v[216:217], v[218:219] offset0:16 offset1:17
	s_waitcnt vmcnt(31)
	v_mov_b32_e32 v216, v154
	s_waitcnt vmcnt(30)
	v_mov_b32_e32 v217, v155
	s_waitcnt vmcnt(29)
	v_mov_b32_e32 v218, v128
	s_waitcnt vmcnt(28)
	v_mov_b32_e32 v219, v129
	ds_write2_b64 v185, v[216:217], v[218:219] offset0:18 offset1:19
	s_waitcnt vmcnt(27)
	v_mov_b32_e32 v216, v152
	s_waitcnt vmcnt(26)
	v_mov_b32_e32 v217, v153
	s_waitcnt vmcnt(25)
	v_mov_b32_e32 v218, v126
	s_waitcnt vmcnt(24)
	v_mov_b32_e32 v219, v127
	;; [unrolled: 9-line block ×5, first 2 shown]
	ds_write2_b64 v185, v[216:217], v[218:219] offset0:26 offset1:27
	s_waitcnt vmcnt(11)
	v_mov_b32_e32 v216, v144
	s_waitcnt vmcnt(10)
	v_mov_b32_e32 v217, v145
	s_waitcnt vmcnt(8)
	ds_write2_b64 v185, v[216:217], v[170:171] offset0:28 offset1:29
	ds_read_b32 v216, v183
	s_waitcnt lgkmcnt(0)
	v_cmp_neq_f32_e32 vcc, 0, v216
	s_and_saveexec_b64 s[4:5], vcc
	s_cbranch_execz .LBB119_172
; %bb.171:
	v_div_scale_f32 v217, s[10:11], v216, v216, 1.0
	v_rcp_f32_e32 v218, v217
	v_div_scale_f32 v219, vcc, 1.0, v216, 1.0
	v_fma_f32 v220, -v217, v218, 1.0
	v_fmac_f32_e32 v218, v220, v218
	v_mul_f32_e32 v220, v219, v218
	v_fma_f32 v221, -v217, v220, v219
	v_fmac_f32_e32 v220, v221, v218
	v_fma_f32 v217, -v217, v220, v219
	v_div_fmas_f32 v217, v217, v218, v220
	v_div_fixup_f32 v216, v217, v216, 1.0
	ds_write_b32 v183, v216
.LBB119_172:
	s_or_b64 exec, exec, s[4:5]
.LBB119_173:
	s_or_b64 exec, exec, s[2:3]
	s_waitcnt lgkmcnt(0)
	s_barrier
	ds_read_b32 v216, v183
	v_cmp_lt_u32_e32 vcc, 31, v181
	s_and_saveexec_b64 s[2:3], vcc
	s_cbranch_execz .LBB119_175
; %bb.174:
	ds_read2_b64 v[218:221], v185 offset0:16 offset1:17
	ds_read2_b64 v[222:225], v185 offset0:18 offset1:19
	s_waitcnt vmcnt(36) lgkmcnt(2)
	v_mul_f32_e32 v230, v216, v133
	ds_read2_b64 v[226:229], v185 offset0:20 offset1:21
	v_mov_b32_e32 v133, v230
	s_waitcnt vmcnt(34) lgkmcnt(2)
	v_pk_fma_f32 v[156:157], v[230:231], v[218:219], v[156:157] op_sel_hi:[0,1,1] neg_lo:[1,0,0] neg_hi:[1,0,0]
	s_waitcnt vmcnt(32)
	v_pk_fma_f32 v[130:131], v[230:231], v[220:221], v[130:131] op_sel_hi:[0,1,1] neg_lo:[1,0,0] neg_hi:[1,0,0]
	ds_read2_b64 v[218:221], v185 offset0:22 offset1:23
	s_waitcnt vmcnt(30) lgkmcnt(2)
	v_pk_fma_f32 v[154:155], v[230:231], v[222:223], v[154:155] op_sel_hi:[0,1,1] neg_lo:[1,0,0] neg_hi:[1,0,0]
	s_waitcnt vmcnt(28)
	v_pk_fma_f32 v[128:129], v[230:231], v[224:225], v[128:129] op_sel_hi:[0,1,1] neg_lo:[1,0,0] neg_hi:[1,0,0]
	s_waitcnt vmcnt(26) lgkmcnt(1)
	v_pk_fma_f32 v[152:153], v[230:231], v[226:227], v[152:153] op_sel_hi:[0,1,1] neg_lo:[1,0,0] neg_hi:[1,0,0]
	s_waitcnt vmcnt(24)
	v_pk_fma_f32 v[126:127], v[230:231], v[228:229], v[126:127] op_sel_hi:[0,1,1] neg_lo:[1,0,0] neg_hi:[1,0,0]
	ds_read2_b64 v[222:225], v185 offset0:24 offset1:25
	ds_read2_b64 v[226:229], v185 offset0:26 offset1:27
	s_waitcnt vmcnt(22) lgkmcnt(2)
	v_pk_fma_f32 v[150:151], v[230:231], v[218:219], v[150:151] op_sel_hi:[0,1,1] neg_lo:[1,0,0] neg_hi:[1,0,0]
	s_waitcnt vmcnt(20)
	v_pk_fma_f32 v[124:125], v[230:231], v[220:221], v[124:125] op_sel_hi:[0,1,1] neg_lo:[1,0,0] neg_hi:[1,0,0]
	ds_read2_b64 v[218:221], v185 offset0:28 offset1:29
	s_waitcnt vmcnt(18) lgkmcnt(2)
	v_pk_fma_f32 v[148:149], v[230:231], v[222:223], v[148:149] op_sel_hi:[0,1,1] neg_lo:[1,0,0] neg_hi:[1,0,0]
	s_waitcnt vmcnt(16)
	v_pk_fma_f32 v[122:123], v[230:231], v[224:225], v[122:123] op_sel_hi:[0,1,1] neg_lo:[1,0,0] neg_hi:[1,0,0]
	s_waitcnt vmcnt(14) lgkmcnt(1)
	v_pk_fma_f32 v[146:147], v[230:231], v[226:227], v[146:147] op_sel_hi:[0,1,1] neg_lo:[1,0,0] neg_hi:[1,0,0]
	s_waitcnt vmcnt(12)
	v_pk_fma_f32 v[120:121], v[230:231], v[228:229], v[120:121] op_sel_hi:[0,1,1] neg_lo:[1,0,0] neg_hi:[1,0,0]
	;; [unrolled: 4-line block ×3, first 2 shown]
.LBB119_175:
	s_or_b64 exec, exec, s[2:3]
	v_cmp_eq_u32_e32 vcc, 32, v181
	s_waitcnt lgkmcnt(0)
	s_barrier
	s_and_saveexec_b64 s[2:3], vcc
	s_cbranch_execz .LBB119_178
; %bb.176:
	s_waitcnt vmcnt(32)
	v_pk_mov_b32 v[218:219], v[156:157], v[130:131] op_sel:[1,0]
	ds_write_b32 v183, v156
	ds_write2_b32 v185, v218, v219 offset0:33 offset1:34
	s_waitcnt vmcnt(30)
	v_pk_mov_b32 v[218:219], v[130:131], v[154:155] op_sel:[1,0]
	ds_write2_b32 v185, v218, v219 offset0:35 offset1:36
	s_waitcnt vmcnt(28)
	v_pk_mov_b32 v[218:219], v[154:155], v[128:129] op_sel:[1,0]
	;; [unrolled: 3-line block ×12, first 2 shown]
	ds_write2_b32 v185, v218, v219 offset0:57 offset1:58
	ds_write_b32 v185, v171 offset:236
	ds_read_b32 v217, v183
	s_waitcnt lgkmcnt(0)
	v_cmp_neq_f32_e32 vcc, 0, v217
	s_and_b64 exec, exec, vcc
	s_cbranch_execz .LBB119_178
; %bb.177:
	v_div_scale_f32 v218, s[4:5], v217, v217, 1.0
	v_rcp_f32_e32 v219, v218
	v_div_scale_f32 v220, vcc, 1.0, v217, 1.0
	v_fma_f32 v221, -v218, v219, 1.0
	v_fmac_f32_e32 v219, v221, v219
	v_mul_f32_e32 v221, v220, v219
	v_fma_f32 v222, -v218, v221, v220
	v_fmac_f32_e32 v221, v222, v219
	v_fma_f32 v218, -v218, v221, v220
	v_div_fmas_f32 v218, v218, v219, v221
	v_div_fixup_f32 v217, v218, v217, 1.0
	ds_write_b32 v183, v217
.LBB119_178:
	s_or_b64 exec, exec, s[2:3]
	s_waitcnt lgkmcnt(0)
	s_barrier
	ds_read_b32 v217, v183
	v_cmp_lt_u32_e32 vcc, 32, v181
	s_and_saveexec_b64 s[2:3], vcc
	s_cbranch_execz .LBB119_180
; %bb.179:
	ds_read_b32 v230, v185 offset:132
	ds_read2_b64 v[218:221], v185 offset0:17 offset1:18
	s_waitcnt vmcnt(35) lgkmcnt(2)
	v_mul_f32_e32 v156, v217, v156
	ds_read2_b64 v[222:225], v185 offset0:19 offset1:20
	ds_read2_b64 v[226:229], v185 offset0:21 offset1:22
	s_waitcnt vmcnt(34) lgkmcnt(3)
	v_fma_f32 v157, -v156, v230, v157
	s_waitcnt vmcnt(32) lgkmcnt(2)
	v_pk_fma_f32 v[130:131], v[156:157], v[218:219], v[130:131] op_sel_hi:[0,1,1] neg_lo:[1,0,0] neg_hi:[1,0,0]
	s_waitcnt vmcnt(30)
	v_pk_fma_f32 v[154:155], v[156:157], v[220:221], v[154:155] op_sel_hi:[0,1,1] neg_lo:[1,0,0] neg_hi:[1,0,0]
	ds_read2_b64 v[218:221], v185 offset0:23 offset1:24
	s_waitcnt vmcnt(28) lgkmcnt(2)
	v_pk_fma_f32 v[128:129], v[156:157], v[222:223], v[128:129] op_sel_hi:[0,1,1] neg_lo:[1,0,0] neg_hi:[1,0,0]
	s_waitcnt vmcnt(26)
	v_pk_fma_f32 v[152:153], v[156:157], v[224:225], v[152:153] op_sel_hi:[0,1,1] neg_lo:[1,0,0] neg_hi:[1,0,0]
	s_waitcnt vmcnt(24) lgkmcnt(1)
	v_pk_fma_f32 v[126:127], v[156:157], v[226:227], v[126:127] op_sel_hi:[0,1,1] neg_lo:[1,0,0] neg_hi:[1,0,0]
	s_waitcnt vmcnt(22)
	v_pk_fma_f32 v[150:151], v[156:157], v[228:229], v[150:151] op_sel_hi:[0,1,1] neg_lo:[1,0,0] neg_hi:[1,0,0]
	ds_read2_b64 v[222:225], v185 offset0:25 offset1:26
	s_waitcnt vmcnt(20) lgkmcnt(1)
	v_pk_fma_f32 v[124:125], v[156:157], v[218:219], v[124:125] op_sel_hi:[0,1,1] neg_lo:[1,0,0] neg_hi:[1,0,0]
	ds_read2_b64 v[226:229], v185 offset0:27 offset1:28
	ds_read_b64 v[218:219], v185 offset:232
	s_waitcnt vmcnt(18)
	v_pk_fma_f32 v[148:149], v[156:157], v[220:221], v[148:149] op_sel_hi:[0,1,1] neg_lo:[1,0,0] neg_hi:[1,0,0]
	s_waitcnt vmcnt(16) lgkmcnt(2)
	v_pk_fma_f32 v[122:123], v[156:157], v[222:223], v[122:123] op_sel_hi:[0,1,1] neg_lo:[1,0,0] neg_hi:[1,0,0]
	s_waitcnt vmcnt(14)
	v_pk_fma_f32 v[146:147], v[156:157], v[224:225], v[146:147] op_sel_hi:[0,1,1] neg_lo:[1,0,0] neg_hi:[1,0,0]
	s_waitcnt vmcnt(12) lgkmcnt(1)
	v_pk_fma_f32 v[120:121], v[156:157], v[226:227], v[120:121] op_sel_hi:[0,1,1] neg_lo:[1,0,0] neg_hi:[1,0,0]
	;; [unrolled: 4-line block ×3, first 2 shown]
.LBB119_180:
	s_or_b64 exec, exec, s[2:3]
	v_cmp_ne_u32_e32 vcc, 33, v181
	s_waitcnt lgkmcnt(0)
	s_barrier
	s_and_saveexec_b64 s[2:3], vcc
	s_xor_b64 s[2:3], exec, s[2:3]
	s_andn2_saveexec_b64 s[2:3], s[2:3]
	s_cbranch_execz .LBB119_184
; %bb.181:
	s_waitcnt vmcnt(34)
	ds_write_b32 v183, v157
	s_waitcnt vmcnt(30)
	ds_write2_b64 v185, v[130:131], v[154:155] offset0:17 offset1:18
	s_waitcnt vmcnt(26)
	ds_write2_b64 v185, v[128:129], v[152:153] offset0:19 offset1:20
	;; [unrolled: 2-line block ×6, first 2 shown]
	s_waitcnt vmcnt(8)
	ds_write_b64 v185, v[170:171] offset:232
	ds_read_b32 v218, v183
	s_waitcnt lgkmcnt(0)
	v_cmp_neq_f32_e32 vcc, 0, v218
	s_and_saveexec_b64 s[4:5], vcc
	s_cbranch_execz .LBB119_183
; %bb.182:
	v_div_scale_f32 v219, s[10:11], v218, v218, 1.0
	v_rcp_f32_e32 v220, v219
	v_div_scale_f32 v221, vcc, 1.0, v218, 1.0
	v_fma_f32 v222, -v219, v220, 1.0
	v_fmac_f32_e32 v220, v222, v220
	v_mul_f32_e32 v222, v221, v220
	v_fma_f32 v223, -v219, v222, v221
	v_fmac_f32_e32 v222, v223, v220
	v_fma_f32 v219, -v219, v222, v221
	v_div_fmas_f32 v219, v219, v220, v222
	v_div_fixup_f32 v218, v219, v218, 1.0
	ds_write_b32 v183, v218
.LBB119_183:
	s_or_b64 exec, exec, s[4:5]
.LBB119_184:
	s_or_b64 exec, exec, s[2:3]
	s_waitcnt lgkmcnt(0)
	s_barrier
	ds_read_b32 v218, v183
	v_cmp_lt_u32_e32 vcc, 33, v181
	s_and_saveexec_b64 s[2:3], vcc
	s_cbranch_execz .LBB119_186
; %bb.185:
	ds_read2_b64 v[220:223], v185 offset0:17 offset1:18
	ds_read2_b64 v[224:227], v185 offset0:19 offset1:20
	s_waitcnt vmcnt(34) lgkmcnt(2)
	v_mul_f32_e32 v232, v218, v157
	ds_read2_b64 v[228:231], v185 offset0:21 offset1:22
	v_mov_b32_e32 v157, v232
	s_waitcnt vmcnt(32) lgkmcnt(2)
	v_pk_fma_f32 v[130:131], v[232:233], v[220:221], v[130:131] op_sel_hi:[0,1,1] neg_lo:[1,0,0] neg_hi:[1,0,0]
	s_waitcnt vmcnt(30)
	v_pk_fma_f32 v[154:155], v[232:233], v[222:223], v[154:155] op_sel_hi:[0,1,1] neg_lo:[1,0,0] neg_hi:[1,0,0]
	ds_read2_b64 v[220:223], v185 offset0:23 offset1:24
	s_waitcnt vmcnt(28) lgkmcnt(2)
	v_pk_fma_f32 v[128:129], v[232:233], v[224:225], v[128:129] op_sel_hi:[0,1,1] neg_lo:[1,0,0] neg_hi:[1,0,0]
	s_waitcnt vmcnt(26)
	v_pk_fma_f32 v[152:153], v[232:233], v[226:227], v[152:153] op_sel_hi:[0,1,1] neg_lo:[1,0,0] neg_hi:[1,0,0]
	s_waitcnt vmcnt(24) lgkmcnt(1)
	v_pk_fma_f32 v[126:127], v[232:233], v[228:229], v[126:127] op_sel_hi:[0,1,1] neg_lo:[1,0,0] neg_hi:[1,0,0]
	s_waitcnt vmcnt(22)
	v_pk_fma_f32 v[150:151], v[232:233], v[230:231], v[150:151] op_sel_hi:[0,1,1] neg_lo:[1,0,0] neg_hi:[1,0,0]
	ds_read2_b64 v[224:227], v185 offset0:25 offset1:26
	ds_read2_b64 v[228:231], v185 offset0:27 offset1:28
	s_waitcnt vmcnt(20) lgkmcnt(2)
	v_pk_fma_f32 v[124:125], v[232:233], v[220:221], v[124:125] op_sel_hi:[0,1,1] neg_lo:[1,0,0] neg_hi:[1,0,0]
	ds_read_b64 v[220:221], v185 offset:232
	s_waitcnt vmcnt(18)
	v_pk_fma_f32 v[148:149], v[232:233], v[222:223], v[148:149] op_sel_hi:[0,1,1] neg_lo:[1,0,0] neg_hi:[1,0,0]
	s_waitcnt vmcnt(16) lgkmcnt(2)
	v_pk_fma_f32 v[122:123], v[232:233], v[224:225], v[122:123] op_sel_hi:[0,1,1] neg_lo:[1,0,0] neg_hi:[1,0,0]
	s_waitcnt vmcnt(14)
	v_pk_fma_f32 v[146:147], v[232:233], v[226:227], v[146:147] op_sel_hi:[0,1,1] neg_lo:[1,0,0] neg_hi:[1,0,0]
	s_waitcnt vmcnt(12) lgkmcnt(1)
	v_pk_fma_f32 v[120:121], v[232:233], v[228:229], v[120:121] op_sel_hi:[0,1,1] neg_lo:[1,0,0] neg_hi:[1,0,0]
	s_waitcnt vmcnt(10)
	v_pk_fma_f32 v[144:145], v[232:233], v[230:231], v[144:145] op_sel_hi:[0,1,1] neg_lo:[1,0,0] neg_hi:[1,0,0]
	s_waitcnt vmcnt(8) lgkmcnt(0)
	v_pk_fma_f32 v[170:171], v[232:233], v[220:221], v[170:171] op_sel_hi:[0,1,1] neg_lo:[1,0,0] neg_hi:[1,0,0]
.LBB119_186:
	s_or_b64 exec, exec, s[2:3]
	v_cmp_eq_u32_e32 vcc, 34, v181
	s_waitcnt lgkmcnt(0)
	s_barrier
	s_and_saveexec_b64 s[2:3], vcc
	s_cbranch_execz .LBB119_189
; %bb.187:
	s_waitcnt vmcnt(30)
	v_pk_mov_b32 v[220:221], v[130:131], v[154:155] op_sel:[1,0]
	ds_write_b32 v183, v130
	ds_write2_b32 v185, v220, v221 offset0:35 offset1:36
	s_waitcnt vmcnt(28)
	v_pk_mov_b32 v[220:221], v[154:155], v[128:129] op_sel:[1,0]
	ds_write2_b32 v185, v220, v221 offset0:37 offset1:38
	s_waitcnt vmcnt(26)
	v_pk_mov_b32 v[220:221], v[128:129], v[152:153] op_sel:[1,0]
	;; [unrolled: 3-line block ×11, first 2 shown]
	ds_write2_b32 v185, v220, v221 offset0:57 offset1:58
	ds_write_b32 v185, v171 offset:236
	ds_read_b32 v219, v183
	s_waitcnt lgkmcnt(0)
	v_cmp_neq_f32_e32 vcc, 0, v219
	s_and_b64 exec, exec, vcc
	s_cbranch_execz .LBB119_189
; %bb.188:
	v_div_scale_f32 v220, s[4:5], v219, v219, 1.0
	v_rcp_f32_e32 v221, v220
	v_div_scale_f32 v222, vcc, 1.0, v219, 1.0
	v_fma_f32 v223, -v220, v221, 1.0
	v_fmac_f32_e32 v221, v223, v221
	v_mul_f32_e32 v223, v222, v221
	v_fma_f32 v224, -v220, v223, v222
	v_fmac_f32_e32 v223, v224, v221
	v_fma_f32 v220, -v220, v223, v222
	v_div_fmas_f32 v220, v220, v221, v223
	v_div_fixup_f32 v219, v220, v219, 1.0
	ds_write_b32 v183, v219
.LBB119_189:
	s_or_b64 exec, exec, s[2:3]
	s_waitcnt lgkmcnt(0)
	s_barrier
	ds_read_b32 v219, v183
	v_cmp_lt_u32_e32 vcc, 34, v181
	s_and_saveexec_b64 s[2:3], vcc
	s_cbranch_execz .LBB119_191
; %bb.190:
	ds_read_b32 v232, v185 offset:140
	ds_read2_b64 v[220:223], v185 offset0:18 offset1:19
	ds_read2_b64 v[224:227], v185 offset0:20 offset1:21
	ds_read2_b64 v[228:231], v185 offset0:22 offset1:23
	s_waitcnt vmcnt(33) lgkmcnt(4)
	v_mul_f32_e32 v130, v219, v130
	s_waitcnt vmcnt(32) lgkmcnt(3)
	v_fma_f32 v131, -v130, v232, v131
	s_waitcnt vmcnt(30) lgkmcnt(2)
	v_pk_fma_f32 v[154:155], v[130:131], v[220:221], v[154:155] op_sel_hi:[0,1,1] neg_lo:[1,0,0] neg_hi:[1,0,0]
	s_waitcnt vmcnt(28)
	v_pk_fma_f32 v[128:129], v[130:131], v[222:223], v[128:129] op_sel_hi:[0,1,1] neg_lo:[1,0,0] neg_hi:[1,0,0]
	s_waitcnt vmcnt(26) lgkmcnt(1)
	v_pk_fma_f32 v[152:153], v[130:131], v[224:225], v[152:153] op_sel_hi:[0,1,1] neg_lo:[1,0,0] neg_hi:[1,0,0]
	s_waitcnt vmcnt(24)
	v_pk_fma_f32 v[126:127], v[130:131], v[226:227], v[126:127] op_sel_hi:[0,1,1] neg_lo:[1,0,0] neg_hi:[1,0,0]
	ds_read2_b64 v[220:223], v185 offset0:24 offset1:25
	ds_read2_b64 v[224:227], v185 offset0:26 offset1:27
	s_waitcnt vmcnt(22) lgkmcnt(2)
	v_pk_fma_f32 v[150:151], v[130:131], v[228:229], v[150:151] op_sel_hi:[0,1,1] neg_lo:[1,0,0] neg_hi:[1,0,0]
	s_waitcnt vmcnt(20)
	v_pk_fma_f32 v[124:125], v[130:131], v[230:231], v[124:125] op_sel_hi:[0,1,1] neg_lo:[1,0,0] neg_hi:[1,0,0]
	ds_read2_b64 v[228:231], v185 offset0:28 offset1:29
	s_waitcnt vmcnt(18) lgkmcnt(2)
	v_pk_fma_f32 v[148:149], v[130:131], v[220:221], v[148:149] op_sel_hi:[0,1,1] neg_lo:[1,0,0] neg_hi:[1,0,0]
	s_waitcnt vmcnt(16)
	v_pk_fma_f32 v[122:123], v[130:131], v[222:223], v[122:123] op_sel_hi:[0,1,1] neg_lo:[1,0,0] neg_hi:[1,0,0]
	s_waitcnt vmcnt(14) lgkmcnt(1)
	v_pk_fma_f32 v[146:147], v[130:131], v[224:225], v[146:147] op_sel_hi:[0,1,1] neg_lo:[1,0,0] neg_hi:[1,0,0]
	s_waitcnt vmcnt(12)
	v_pk_fma_f32 v[120:121], v[130:131], v[226:227], v[120:121] op_sel_hi:[0,1,1] neg_lo:[1,0,0] neg_hi:[1,0,0]
	;; [unrolled: 4-line block ×3, first 2 shown]
.LBB119_191:
	s_or_b64 exec, exec, s[2:3]
	v_cmp_ne_u32_e32 vcc, 35, v181
	s_waitcnt lgkmcnt(0)
	s_barrier
	s_and_saveexec_b64 s[2:3], vcc
	s_xor_b64 s[2:3], exec, s[2:3]
	s_andn2_saveexec_b64 s[2:3], s[2:3]
	s_cbranch_execz .LBB119_195
; %bb.192:
	s_waitcnt vmcnt(31)
	v_mov_b32_e32 v220, v154
	s_waitcnt vmcnt(30)
	v_mov_b32_e32 v221, v155
	;; [unrolled: 2-line block ×4, first 2 shown]
	ds_write_b32 v183, v131
	ds_write2_b64 v185, v[220:221], v[222:223] offset0:18 offset1:19
	s_waitcnt vmcnt(27)
	v_mov_b32_e32 v220, v152
	s_waitcnt vmcnt(26)
	v_mov_b32_e32 v221, v153
	s_waitcnt vmcnt(25)
	v_mov_b32_e32 v222, v126
	s_waitcnt vmcnt(24)
	v_mov_b32_e32 v223, v127
	ds_write2_b64 v185, v[220:221], v[222:223] offset0:20 offset1:21
	s_waitcnt vmcnt(23)
	v_mov_b32_e32 v220, v150
	s_waitcnt vmcnt(22)
	v_mov_b32_e32 v221, v151
	s_waitcnt vmcnt(21)
	v_mov_b32_e32 v222, v124
	s_waitcnt vmcnt(20)
	v_mov_b32_e32 v223, v125
	;; [unrolled: 9-line block ×4, first 2 shown]
	ds_write2_b64 v185, v[220:221], v[222:223] offset0:26 offset1:27
	s_waitcnt vmcnt(11)
	v_mov_b32_e32 v220, v144
	s_waitcnt vmcnt(10)
	v_mov_b32_e32 v221, v145
	s_waitcnt vmcnt(8)
	ds_write2_b64 v185, v[220:221], v[170:171] offset0:28 offset1:29
	ds_read_b32 v220, v183
	s_waitcnt lgkmcnt(0)
	v_cmp_neq_f32_e32 vcc, 0, v220
	s_and_saveexec_b64 s[4:5], vcc
	s_cbranch_execz .LBB119_194
; %bb.193:
	v_div_scale_f32 v221, s[10:11], v220, v220, 1.0
	v_rcp_f32_e32 v222, v221
	v_div_scale_f32 v223, vcc, 1.0, v220, 1.0
	v_fma_f32 v224, -v221, v222, 1.0
	v_fmac_f32_e32 v222, v224, v222
	v_mul_f32_e32 v224, v223, v222
	v_fma_f32 v225, -v221, v224, v223
	v_fmac_f32_e32 v224, v225, v222
	v_fma_f32 v221, -v221, v224, v223
	v_div_fmas_f32 v221, v221, v222, v224
	v_div_fixup_f32 v220, v221, v220, 1.0
	ds_write_b32 v183, v220
.LBB119_194:
	s_or_b64 exec, exec, s[4:5]
.LBB119_195:
	s_or_b64 exec, exec, s[2:3]
	s_waitcnt lgkmcnt(0)
	s_barrier
	ds_read_b32 v220, v183
	v_cmp_lt_u32_e32 vcc, 35, v181
	s_and_saveexec_b64 s[2:3], vcc
	s_cbranch_execz .LBB119_197
; %bb.196:
	ds_read2_b64 v[222:225], v185 offset0:18 offset1:19
	ds_read2_b64 v[226:229], v185 offset0:20 offset1:21
	ds_read2_b64 v[230:233], v185 offset0:22 offset1:23
	s_waitcnt vmcnt(32) lgkmcnt(3)
	v_mul_f32_e32 v234, v220, v131
	v_mov_b32_e32 v131, v234
	s_waitcnt vmcnt(30) lgkmcnt(2)
	v_pk_fma_f32 v[154:155], v[234:235], v[222:223], v[154:155] op_sel_hi:[0,1,1] neg_lo:[1,0,0] neg_hi:[1,0,0]
	s_waitcnt vmcnt(28)
	v_pk_fma_f32 v[128:129], v[234:235], v[224:225], v[128:129] op_sel_hi:[0,1,1] neg_lo:[1,0,0] neg_hi:[1,0,0]
	s_waitcnt vmcnt(26) lgkmcnt(1)
	v_pk_fma_f32 v[152:153], v[234:235], v[226:227], v[152:153] op_sel_hi:[0,1,1] neg_lo:[1,0,0] neg_hi:[1,0,0]
	s_waitcnt vmcnt(24)
	v_pk_fma_f32 v[126:127], v[234:235], v[228:229], v[126:127] op_sel_hi:[0,1,1] neg_lo:[1,0,0] neg_hi:[1,0,0]
	ds_read2_b64 v[222:225], v185 offset0:24 offset1:25
	s_waitcnt vmcnt(22) lgkmcnt(1)
	v_pk_fma_f32 v[150:151], v[234:235], v[230:231], v[150:151] op_sel_hi:[0,1,1] neg_lo:[1,0,0] neg_hi:[1,0,0]
	ds_read2_b64 v[226:229], v185 offset0:26 offset1:27
	s_waitcnt vmcnt(20)
	v_pk_fma_f32 v[124:125], v[234:235], v[232:233], v[124:125] op_sel_hi:[0,1,1] neg_lo:[1,0,0] neg_hi:[1,0,0]
	ds_read2_b64 v[230:233], v185 offset0:28 offset1:29
	s_waitcnt vmcnt(18) lgkmcnt(2)
	v_pk_fma_f32 v[148:149], v[234:235], v[222:223], v[148:149] op_sel_hi:[0,1,1] neg_lo:[1,0,0] neg_hi:[1,0,0]
	s_waitcnt vmcnt(16)
	v_pk_fma_f32 v[122:123], v[234:235], v[224:225], v[122:123] op_sel_hi:[0,1,1] neg_lo:[1,0,0] neg_hi:[1,0,0]
	s_waitcnt vmcnt(14) lgkmcnt(1)
	v_pk_fma_f32 v[146:147], v[234:235], v[226:227], v[146:147] op_sel_hi:[0,1,1] neg_lo:[1,0,0] neg_hi:[1,0,0]
	s_waitcnt vmcnt(12)
	v_pk_fma_f32 v[120:121], v[234:235], v[228:229], v[120:121] op_sel_hi:[0,1,1] neg_lo:[1,0,0] neg_hi:[1,0,0]
	;; [unrolled: 4-line block ×3, first 2 shown]
.LBB119_197:
	s_or_b64 exec, exec, s[2:3]
	v_cmp_eq_u32_e32 vcc, 36, v181
	s_waitcnt lgkmcnt(0)
	s_barrier
	s_and_saveexec_b64 s[2:3], vcc
	s_cbranch_execz .LBB119_200
; %bb.198:
	s_waitcnt vmcnt(28)
	v_pk_mov_b32 v[222:223], v[154:155], v[128:129] op_sel:[1,0]
	ds_write_b32 v183, v154
	ds_write2_b32 v185, v222, v223 offset0:37 offset1:38
	s_waitcnt vmcnt(26)
	v_pk_mov_b32 v[222:223], v[128:129], v[152:153] op_sel:[1,0]
	ds_write2_b32 v185, v222, v223 offset0:39 offset1:40
	s_waitcnt vmcnt(24)
	v_pk_mov_b32 v[222:223], v[152:153], v[126:127] op_sel:[1,0]
	;; [unrolled: 3-line block ×10, first 2 shown]
	ds_write2_b32 v185, v222, v223 offset0:57 offset1:58
	ds_write_b32 v185, v171 offset:236
	ds_read_b32 v221, v183
	s_waitcnt lgkmcnt(0)
	v_cmp_neq_f32_e32 vcc, 0, v221
	s_and_b64 exec, exec, vcc
	s_cbranch_execz .LBB119_200
; %bb.199:
	v_div_scale_f32 v222, s[4:5], v221, v221, 1.0
	v_rcp_f32_e32 v223, v222
	v_div_scale_f32 v224, vcc, 1.0, v221, 1.0
	v_fma_f32 v225, -v222, v223, 1.0
	v_fmac_f32_e32 v223, v225, v223
	v_mul_f32_e32 v225, v224, v223
	v_fma_f32 v226, -v222, v225, v224
	v_fmac_f32_e32 v225, v226, v223
	v_fma_f32 v222, -v222, v225, v224
	v_div_fmas_f32 v222, v222, v223, v225
	v_div_fixup_f32 v221, v222, v221, 1.0
	ds_write_b32 v183, v221
.LBB119_200:
	s_or_b64 exec, exec, s[2:3]
	s_waitcnt lgkmcnt(0)
	s_barrier
	ds_read_b32 v221, v183
	v_cmp_lt_u32_e32 vcc, 36, v181
	s_and_saveexec_b64 s[2:3], vcc
	s_cbranch_execz .LBB119_202
; %bb.201:
	ds_read_b32 v234, v185 offset:148
	ds_read2_b64 v[222:225], v185 offset0:19 offset1:20
	ds_read2_b64 v[226:229], v185 offset0:21 offset1:22
	;; [unrolled: 1-line block ×3, first 2 shown]
	s_waitcnt vmcnt(31) lgkmcnt(4)
	v_mul_f32_e32 v154, v221, v154
	s_waitcnt vmcnt(30) lgkmcnt(3)
	v_fma_f32 v155, -v154, v234, v155
	s_waitcnt vmcnt(28) lgkmcnt(2)
	v_pk_fma_f32 v[128:129], v[154:155], v[222:223], v[128:129] op_sel_hi:[0,1,1] neg_lo:[1,0,0] neg_hi:[1,0,0]
	s_waitcnt vmcnt(26)
	v_pk_fma_f32 v[152:153], v[154:155], v[224:225], v[152:153] op_sel_hi:[0,1,1] neg_lo:[1,0,0] neg_hi:[1,0,0]
	s_waitcnt vmcnt(24) lgkmcnt(1)
	v_pk_fma_f32 v[126:127], v[154:155], v[226:227], v[126:127] op_sel_hi:[0,1,1] neg_lo:[1,0,0] neg_hi:[1,0,0]
	s_waitcnt vmcnt(22)
	v_pk_fma_f32 v[150:151], v[154:155], v[228:229], v[150:151] op_sel_hi:[0,1,1] neg_lo:[1,0,0] neg_hi:[1,0,0]
	ds_read2_b64 v[222:225], v185 offset0:25 offset1:26
	ds_read2_b64 v[226:229], v185 offset0:27 offset1:28
	s_waitcnt vmcnt(20) lgkmcnt(2)
	v_pk_fma_f32 v[124:125], v[154:155], v[230:231], v[124:125] op_sel_hi:[0,1,1] neg_lo:[1,0,0] neg_hi:[1,0,0]
	ds_read_b64 v[230:231], v185 offset:232
	s_waitcnt vmcnt(18)
	v_pk_fma_f32 v[148:149], v[154:155], v[232:233], v[148:149] op_sel_hi:[0,1,1] neg_lo:[1,0,0] neg_hi:[1,0,0]
	s_waitcnt vmcnt(16) lgkmcnt(2)
	v_pk_fma_f32 v[122:123], v[154:155], v[222:223], v[122:123] op_sel_hi:[0,1,1] neg_lo:[1,0,0] neg_hi:[1,0,0]
	s_waitcnt vmcnt(14)
	v_pk_fma_f32 v[146:147], v[154:155], v[224:225], v[146:147] op_sel_hi:[0,1,1] neg_lo:[1,0,0] neg_hi:[1,0,0]
	s_waitcnt vmcnt(12) lgkmcnt(1)
	v_pk_fma_f32 v[120:121], v[154:155], v[226:227], v[120:121] op_sel_hi:[0,1,1] neg_lo:[1,0,0] neg_hi:[1,0,0]
	;; [unrolled: 4-line block ×3, first 2 shown]
.LBB119_202:
	s_or_b64 exec, exec, s[2:3]
	v_cmp_ne_u32_e32 vcc, 37, v181
	s_waitcnt lgkmcnt(0)
	s_barrier
	s_and_saveexec_b64 s[2:3], vcc
	s_xor_b64 s[2:3], exec, s[2:3]
	s_andn2_saveexec_b64 s[2:3], s[2:3]
	s_cbranch_execz .LBB119_206
; %bb.203:
	s_waitcnt vmcnt(30)
	ds_write_b32 v183, v155
	s_waitcnt vmcnt(26)
	ds_write2_b64 v185, v[128:129], v[152:153] offset0:19 offset1:20
	s_waitcnt vmcnt(22)
	ds_write2_b64 v185, v[126:127], v[150:151] offset0:21 offset1:22
	;; [unrolled: 2-line block ×5, first 2 shown]
	s_waitcnt vmcnt(8)
	ds_write_b64 v185, v[170:171] offset:232
	ds_read_b32 v222, v183
	s_waitcnt lgkmcnt(0)
	v_cmp_neq_f32_e32 vcc, 0, v222
	s_and_saveexec_b64 s[4:5], vcc
	s_cbranch_execz .LBB119_205
; %bb.204:
	v_div_scale_f32 v223, s[10:11], v222, v222, 1.0
	v_rcp_f32_e32 v224, v223
	v_div_scale_f32 v225, vcc, 1.0, v222, 1.0
	v_fma_f32 v226, -v223, v224, 1.0
	v_fmac_f32_e32 v224, v226, v224
	v_mul_f32_e32 v226, v225, v224
	v_fma_f32 v227, -v223, v226, v225
	v_fmac_f32_e32 v226, v227, v224
	v_fma_f32 v223, -v223, v226, v225
	v_div_fmas_f32 v223, v223, v224, v226
	v_div_fixup_f32 v222, v223, v222, 1.0
	ds_write_b32 v183, v222
.LBB119_205:
	s_or_b64 exec, exec, s[4:5]
.LBB119_206:
	s_or_b64 exec, exec, s[2:3]
	s_waitcnt lgkmcnt(0)
	s_barrier
	ds_read_b32 v222, v183
	v_cmp_lt_u32_e32 vcc, 37, v181
	s_and_saveexec_b64 s[2:3], vcc
	s_cbranch_execz .LBB119_208
; %bb.207:
	ds_read2_b64 v[224:227], v185 offset0:19 offset1:20
	ds_read2_b64 v[228:231], v185 offset0:21 offset1:22
	;; [unrolled: 1-line block ×3, first 2 shown]
	s_waitcnt vmcnt(30) lgkmcnt(3)
	v_mul_f32_e32 v236, v222, v155
	v_mov_b32_e32 v155, v236
	s_waitcnt vmcnt(28) lgkmcnt(2)
	v_pk_fma_f32 v[128:129], v[236:237], v[224:225], v[128:129] op_sel_hi:[0,1,1] neg_lo:[1,0,0] neg_hi:[1,0,0]
	s_waitcnt vmcnt(26)
	v_pk_fma_f32 v[152:153], v[236:237], v[226:227], v[152:153] op_sel_hi:[0,1,1] neg_lo:[1,0,0] neg_hi:[1,0,0]
	s_waitcnt vmcnt(24) lgkmcnt(1)
	v_pk_fma_f32 v[126:127], v[236:237], v[228:229], v[126:127] op_sel_hi:[0,1,1] neg_lo:[1,0,0] neg_hi:[1,0,0]
	s_waitcnt vmcnt(22)
	v_pk_fma_f32 v[150:151], v[236:237], v[230:231], v[150:151] op_sel_hi:[0,1,1] neg_lo:[1,0,0] neg_hi:[1,0,0]
	ds_read2_b64 v[224:227], v185 offset0:25 offset1:26
	s_waitcnt vmcnt(20) lgkmcnt(1)
	v_pk_fma_f32 v[124:125], v[236:237], v[232:233], v[124:125] op_sel_hi:[0,1,1] neg_lo:[1,0,0] neg_hi:[1,0,0]
	ds_read2_b64 v[228:231], v185 offset0:27 offset1:28
	ds_read_b64 v[232:233], v185 offset:232
	s_waitcnt vmcnt(18)
	v_pk_fma_f32 v[148:149], v[236:237], v[234:235], v[148:149] op_sel_hi:[0,1,1] neg_lo:[1,0,0] neg_hi:[1,0,0]
	s_waitcnt vmcnt(16) lgkmcnt(2)
	v_pk_fma_f32 v[122:123], v[236:237], v[224:225], v[122:123] op_sel_hi:[0,1,1] neg_lo:[1,0,0] neg_hi:[1,0,0]
	s_waitcnt vmcnt(14)
	v_pk_fma_f32 v[146:147], v[236:237], v[226:227], v[146:147] op_sel_hi:[0,1,1] neg_lo:[1,0,0] neg_hi:[1,0,0]
	s_waitcnt vmcnt(12) lgkmcnt(1)
	v_pk_fma_f32 v[120:121], v[236:237], v[228:229], v[120:121] op_sel_hi:[0,1,1] neg_lo:[1,0,0] neg_hi:[1,0,0]
	;; [unrolled: 4-line block ×3, first 2 shown]
.LBB119_208:
	s_or_b64 exec, exec, s[2:3]
	v_cmp_eq_u32_e32 vcc, 38, v181
	s_waitcnt lgkmcnt(0)
	s_barrier
	s_and_saveexec_b64 s[2:3], vcc
	s_cbranch_execz .LBB119_211
; %bb.209:
	s_waitcnt vmcnt(26)
	v_pk_mov_b32 v[224:225], v[128:129], v[152:153] op_sel:[1,0]
	ds_write_b32 v183, v128
	ds_write2_b32 v185, v224, v225 offset0:39 offset1:40
	s_waitcnt vmcnt(24)
	v_pk_mov_b32 v[224:225], v[152:153], v[126:127] op_sel:[1,0]
	ds_write2_b32 v185, v224, v225 offset0:41 offset1:42
	s_waitcnt vmcnt(22)
	v_pk_mov_b32 v[224:225], v[126:127], v[150:151] op_sel:[1,0]
	ds_write2_b32 v185, v224, v225 offset0:43 offset1:44
	s_waitcnt vmcnt(20)
	v_pk_mov_b32 v[224:225], v[150:151], v[124:125] op_sel:[1,0]
	ds_write2_b32 v185, v224, v225 offset0:45 offset1:46
	s_waitcnt vmcnt(18)
	v_pk_mov_b32 v[224:225], v[124:125], v[148:149] op_sel:[1,0]
	ds_write2_b32 v185, v224, v225 offset0:47 offset1:48
	s_waitcnt vmcnt(16)
	v_pk_mov_b32 v[224:225], v[148:149], v[122:123] op_sel:[1,0]
	ds_write2_b32 v185, v224, v225 offset0:49 offset1:50
	s_waitcnt vmcnt(14)
	v_pk_mov_b32 v[224:225], v[122:123], v[146:147] op_sel:[1,0]
	ds_write2_b32 v185, v224, v225 offset0:51 offset1:52
	s_waitcnt vmcnt(12)
	v_pk_mov_b32 v[224:225], v[146:147], v[120:121] op_sel:[1,0]
	ds_write2_b32 v185, v224, v225 offset0:53 offset1:54
	s_waitcnt vmcnt(10)
	v_pk_mov_b32 v[224:225], v[120:121], v[144:145] op_sel:[1,0]
	ds_write2_b32 v185, v224, v225 offset0:55 offset1:56
	s_waitcnt vmcnt(8)
	v_pk_mov_b32 v[224:225], v[144:145], v[170:171] op_sel:[1,0]
	ds_write2_b32 v185, v224, v225 offset0:57 offset1:58
	ds_write_b32 v185, v171 offset:236
	ds_read_b32 v223, v183
	s_waitcnt lgkmcnt(0)
	v_cmp_neq_f32_e32 vcc, 0, v223
	s_and_b64 exec, exec, vcc
	s_cbranch_execz .LBB119_211
; %bb.210:
	v_div_scale_f32 v224, s[4:5], v223, v223, 1.0
	v_rcp_f32_e32 v225, v224
	v_div_scale_f32 v226, vcc, 1.0, v223, 1.0
	v_fma_f32 v227, -v224, v225, 1.0
	v_fmac_f32_e32 v225, v227, v225
	v_mul_f32_e32 v227, v226, v225
	v_fma_f32 v228, -v224, v227, v226
	v_fmac_f32_e32 v227, v228, v225
	v_fma_f32 v224, -v224, v227, v226
	v_div_fmas_f32 v224, v224, v225, v227
	v_div_fixup_f32 v223, v224, v223, 1.0
	ds_write_b32 v183, v223
.LBB119_211:
	s_or_b64 exec, exec, s[2:3]
	s_waitcnt lgkmcnt(0)
	s_barrier
	ds_read_b32 v223, v183
	v_cmp_lt_u32_e32 vcc, 38, v181
	s_and_saveexec_b64 s[2:3], vcc
	s_cbranch_execz .LBB119_213
; %bb.212:
	ds_read_b32 v232, v185 offset:156
	ds_read2_b64 v[224:227], v185 offset0:20 offset1:21
	ds_read2_b64 v[228:231], v185 offset0:22 offset1:23
	s_waitcnt vmcnt(29) lgkmcnt(3)
	v_mul_f32_e32 v128, v223, v128
	s_waitcnt vmcnt(28) lgkmcnt(2)
	v_fma_f32 v129, -v128, v232, v129
	s_waitcnt vmcnt(26) lgkmcnt(1)
	v_pk_fma_f32 v[152:153], v[128:129], v[224:225], v[152:153] op_sel_hi:[0,1,1] neg_lo:[1,0,0] neg_hi:[1,0,0]
	s_waitcnt vmcnt(24)
	v_pk_fma_f32 v[126:127], v[128:129], v[226:227], v[126:127] op_sel_hi:[0,1,1] neg_lo:[1,0,0] neg_hi:[1,0,0]
	ds_read2_b64 v[224:227], v185 offset0:24 offset1:25
	s_waitcnt vmcnt(22) lgkmcnt(1)
	v_pk_fma_f32 v[150:151], v[128:129], v[228:229], v[150:151] op_sel_hi:[0,1,1] neg_lo:[1,0,0] neg_hi:[1,0,0]
	ds_read2_b64 v[232:235], v185 offset0:26 offset1:27
	s_waitcnt vmcnt(20)
	v_pk_fma_f32 v[124:125], v[128:129], v[230:231], v[124:125] op_sel_hi:[0,1,1] neg_lo:[1,0,0] neg_hi:[1,0,0]
	ds_read2_b64 v[228:231], v185 offset0:28 offset1:29
	s_waitcnt vmcnt(18) lgkmcnt(2)
	v_pk_fma_f32 v[148:149], v[128:129], v[224:225], v[148:149] op_sel_hi:[0,1,1] neg_lo:[1,0,0] neg_hi:[1,0,0]
	s_waitcnt vmcnt(16)
	v_pk_fma_f32 v[122:123], v[128:129], v[226:227], v[122:123] op_sel_hi:[0,1,1] neg_lo:[1,0,0] neg_hi:[1,0,0]
	s_waitcnt vmcnt(14) lgkmcnt(1)
	v_pk_fma_f32 v[146:147], v[128:129], v[232:233], v[146:147] op_sel_hi:[0,1,1] neg_lo:[1,0,0] neg_hi:[1,0,0]
	s_waitcnt vmcnt(12)
	v_pk_fma_f32 v[120:121], v[128:129], v[234:235], v[120:121] op_sel_hi:[0,1,1] neg_lo:[1,0,0] neg_hi:[1,0,0]
	;; [unrolled: 4-line block ×3, first 2 shown]
.LBB119_213:
	s_or_b64 exec, exec, s[2:3]
	v_cmp_ne_u32_e32 vcc, 39, v181
	s_waitcnt lgkmcnt(0)
	s_barrier
	s_and_saveexec_b64 s[2:3], vcc
	s_xor_b64 s[2:3], exec, s[2:3]
	s_andn2_saveexec_b64 s[2:3], s[2:3]
	s_cbranch_execz .LBB119_217
; %bb.214:
	s_waitcnt vmcnt(27)
	v_mov_b32_e32 v224, v152
	s_waitcnt vmcnt(26)
	v_mov_b32_e32 v225, v153
	;; [unrolled: 2-line block ×4, first 2 shown]
	ds_write_b32 v183, v129
	ds_write2_b64 v185, v[224:225], v[226:227] offset0:20 offset1:21
	s_waitcnt vmcnt(23)
	v_mov_b32_e32 v224, v150
	s_waitcnt vmcnt(22)
	v_mov_b32_e32 v225, v151
	s_waitcnt vmcnt(21)
	v_mov_b32_e32 v226, v124
	s_waitcnt vmcnt(20)
	v_mov_b32_e32 v227, v125
	ds_write2_b64 v185, v[224:225], v[226:227] offset0:22 offset1:23
	s_waitcnt vmcnt(19)
	v_mov_b32_e32 v224, v148
	s_waitcnt vmcnt(18)
	v_mov_b32_e32 v225, v149
	s_waitcnt vmcnt(17)
	v_mov_b32_e32 v226, v122
	s_waitcnt vmcnt(16)
	v_mov_b32_e32 v227, v123
	;; [unrolled: 9-line block ×3, first 2 shown]
	ds_write2_b64 v185, v[224:225], v[226:227] offset0:26 offset1:27
	s_waitcnt vmcnt(11)
	v_mov_b32_e32 v224, v144
	s_waitcnt vmcnt(10)
	v_mov_b32_e32 v225, v145
	s_waitcnt vmcnt(8)
	ds_write2_b64 v185, v[224:225], v[170:171] offset0:28 offset1:29
	ds_read_b32 v224, v183
	s_waitcnt lgkmcnt(0)
	v_cmp_neq_f32_e32 vcc, 0, v224
	s_and_saveexec_b64 s[4:5], vcc
	s_cbranch_execz .LBB119_216
; %bb.215:
	v_div_scale_f32 v225, s[10:11], v224, v224, 1.0
	v_rcp_f32_e32 v226, v225
	v_div_scale_f32 v227, vcc, 1.0, v224, 1.0
	v_fma_f32 v228, -v225, v226, 1.0
	v_fmac_f32_e32 v226, v228, v226
	v_mul_f32_e32 v228, v227, v226
	v_fma_f32 v229, -v225, v228, v227
	v_fmac_f32_e32 v228, v229, v226
	v_fma_f32 v225, -v225, v228, v227
	v_div_fmas_f32 v225, v225, v226, v228
	v_div_fixup_f32 v224, v225, v224, 1.0
	ds_write_b32 v183, v224
.LBB119_216:
	s_or_b64 exec, exec, s[4:5]
.LBB119_217:
	s_or_b64 exec, exec, s[2:3]
	s_waitcnt lgkmcnt(0)
	s_barrier
	ds_read_b32 v224, v183
	v_cmp_lt_u32_e32 vcc, 39, v181
	s_and_saveexec_b64 s[2:3], vcc
	s_cbranch_execz .LBB119_219
; %bb.218:
	ds_read2_b64 v[226:229], v185 offset0:20 offset1:21
	ds_read2_b64 v[230:233], v185 offset0:22 offset1:23
	s_waitcnt vmcnt(28) lgkmcnt(2)
	v_mul_f32_e32 v238, v224, v129
	ds_read2_b64 v[234:237], v185 offset0:24 offset1:25
	v_mov_b32_e32 v129, v238
	s_waitcnt vmcnt(26) lgkmcnt(2)
	v_pk_fma_f32 v[152:153], v[238:239], v[226:227], v[152:153] op_sel_hi:[0,1,1] neg_lo:[1,0,0] neg_hi:[1,0,0]
	s_waitcnt vmcnt(24)
	v_pk_fma_f32 v[126:127], v[238:239], v[228:229], v[126:127] op_sel_hi:[0,1,1] neg_lo:[1,0,0] neg_hi:[1,0,0]
	s_waitcnt vmcnt(22) lgkmcnt(1)
	v_pk_fma_f32 v[150:151], v[238:239], v[230:231], v[150:151] op_sel_hi:[0,1,1] neg_lo:[1,0,0] neg_hi:[1,0,0]
	ds_read2_b64 v[226:229], v185 offset0:26 offset1:27
	s_waitcnt vmcnt(20)
	v_pk_fma_f32 v[124:125], v[238:239], v[232:233], v[124:125] op_sel_hi:[0,1,1] neg_lo:[1,0,0] neg_hi:[1,0,0]
	ds_read2_b64 v[230:233], v185 offset0:28 offset1:29
	s_waitcnt vmcnt(18) lgkmcnt(2)
	v_pk_fma_f32 v[148:149], v[238:239], v[234:235], v[148:149] op_sel_hi:[0,1,1] neg_lo:[1,0,0] neg_hi:[1,0,0]
	s_waitcnt vmcnt(16)
	v_pk_fma_f32 v[122:123], v[238:239], v[236:237], v[122:123] op_sel_hi:[0,1,1] neg_lo:[1,0,0] neg_hi:[1,0,0]
	s_waitcnt vmcnt(14) lgkmcnt(1)
	v_pk_fma_f32 v[146:147], v[238:239], v[226:227], v[146:147] op_sel_hi:[0,1,1] neg_lo:[1,0,0] neg_hi:[1,0,0]
	s_waitcnt vmcnt(12)
	v_pk_fma_f32 v[120:121], v[238:239], v[228:229], v[120:121] op_sel_hi:[0,1,1] neg_lo:[1,0,0] neg_hi:[1,0,0]
	;; [unrolled: 4-line block ×3, first 2 shown]
.LBB119_219:
	s_or_b64 exec, exec, s[2:3]
	v_cmp_eq_u32_e32 vcc, 40, v181
	s_waitcnt lgkmcnt(0)
	s_barrier
	s_and_saveexec_b64 s[2:3], vcc
	s_cbranch_execz .LBB119_222
; %bb.220:
	s_waitcnt vmcnt(24)
	v_pk_mov_b32 v[226:227], v[152:153], v[126:127] op_sel:[1,0]
	ds_write_b32 v183, v152
	ds_write2_b32 v185, v226, v227 offset0:41 offset1:42
	s_waitcnt vmcnt(22)
	v_pk_mov_b32 v[226:227], v[126:127], v[150:151] op_sel:[1,0]
	ds_write2_b32 v185, v226, v227 offset0:43 offset1:44
	s_waitcnt vmcnt(20)
	v_pk_mov_b32 v[226:227], v[150:151], v[124:125] op_sel:[1,0]
	;; [unrolled: 3-line block ×8, first 2 shown]
	ds_write2_b32 v185, v226, v227 offset0:57 offset1:58
	ds_write_b32 v185, v171 offset:236
	ds_read_b32 v225, v183
	s_waitcnt lgkmcnt(0)
	v_cmp_neq_f32_e32 vcc, 0, v225
	s_and_b64 exec, exec, vcc
	s_cbranch_execz .LBB119_222
; %bb.221:
	v_div_scale_f32 v226, s[4:5], v225, v225, 1.0
	v_rcp_f32_e32 v227, v226
	v_div_scale_f32 v228, vcc, 1.0, v225, 1.0
	v_fma_f32 v229, -v226, v227, 1.0
	v_fmac_f32_e32 v227, v229, v227
	v_mul_f32_e32 v229, v228, v227
	v_fma_f32 v230, -v226, v229, v228
	v_fmac_f32_e32 v229, v230, v227
	v_fma_f32 v226, -v226, v229, v228
	v_div_fmas_f32 v226, v226, v227, v229
	v_div_fixup_f32 v225, v226, v225, 1.0
	ds_write_b32 v183, v225
.LBB119_222:
	s_or_b64 exec, exec, s[2:3]
	s_waitcnt lgkmcnt(0)
	s_barrier
	ds_read_b32 v225, v183
	v_cmp_lt_u32_e32 vcc, 40, v181
	s_and_saveexec_b64 s[2:3], vcc
	s_cbranch_execz .LBB119_224
; %bb.223:
	ds_read_b32 v234, v185 offset:164
	ds_read2_b64 v[226:229], v185 offset0:21 offset1:22
	ds_read2_b64 v[230:233], v185 offset0:23 offset1:24
	s_waitcnt vmcnt(27) lgkmcnt(3)
	v_mul_f32_e32 v152, v225, v152
	s_waitcnt vmcnt(26) lgkmcnt(2)
	v_fma_f32 v153, -v152, v234, v153
	s_waitcnt vmcnt(24) lgkmcnt(1)
	v_pk_fma_f32 v[126:127], v[152:153], v[226:227], v[126:127] op_sel_hi:[0,1,1] neg_lo:[1,0,0] neg_hi:[1,0,0]
	s_waitcnt vmcnt(22)
	v_pk_fma_f32 v[150:151], v[152:153], v[228:229], v[150:151] op_sel_hi:[0,1,1] neg_lo:[1,0,0] neg_hi:[1,0,0]
	ds_read2_b64 v[226:229], v185 offset0:25 offset1:26
	s_waitcnt vmcnt(20) lgkmcnt(1)
	v_pk_fma_f32 v[124:125], v[152:153], v[230:231], v[124:125] op_sel_hi:[0,1,1] neg_lo:[1,0,0] neg_hi:[1,0,0]
	ds_read2_b64 v[234:237], v185 offset0:27 offset1:28
	ds_read_b64 v[230:231], v185 offset:232
	s_waitcnt vmcnt(18)
	v_pk_fma_f32 v[148:149], v[152:153], v[232:233], v[148:149] op_sel_hi:[0,1,1] neg_lo:[1,0,0] neg_hi:[1,0,0]
	s_waitcnt vmcnt(16) lgkmcnt(2)
	v_pk_fma_f32 v[122:123], v[152:153], v[226:227], v[122:123] op_sel_hi:[0,1,1] neg_lo:[1,0,0] neg_hi:[1,0,0]
	s_waitcnt vmcnt(14)
	v_pk_fma_f32 v[146:147], v[152:153], v[228:229], v[146:147] op_sel_hi:[0,1,1] neg_lo:[1,0,0] neg_hi:[1,0,0]
	s_waitcnt vmcnt(12) lgkmcnt(1)
	v_pk_fma_f32 v[120:121], v[152:153], v[234:235], v[120:121] op_sel_hi:[0,1,1] neg_lo:[1,0,0] neg_hi:[1,0,0]
	;; [unrolled: 4-line block ×3, first 2 shown]
.LBB119_224:
	s_or_b64 exec, exec, s[2:3]
	v_cmp_ne_u32_e32 vcc, 41, v181
	s_waitcnt lgkmcnt(0)
	s_barrier
	s_and_saveexec_b64 s[2:3], vcc
	s_xor_b64 s[2:3], exec, s[2:3]
	s_andn2_saveexec_b64 s[2:3], s[2:3]
	s_cbranch_execz .LBB119_228
; %bb.225:
	s_waitcnt vmcnt(26)
	ds_write_b32 v183, v153
	s_waitcnt vmcnt(22)
	ds_write2_b64 v185, v[126:127], v[150:151] offset0:21 offset1:22
	s_waitcnt vmcnt(18)
	ds_write2_b64 v185, v[124:125], v[148:149] offset0:23 offset1:24
	;; [unrolled: 2-line block ×4, first 2 shown]
	s_waitcnt vmcnt(8)
	ds_write_b64 v185, v[170:171] offset:232
	ds_read_b32 v226, v183
	s_waitcnt lgkmcnt(0)
	v_cmp_neq_f32_e32 vcc, 0, v226
	s_and_saveexec_b64 s[4:5], vcc
	s_cbranch_execz .LBB119_227
; %bb.226:
	v_div_scale_f32 v227, s[10:11], v226, v226, 1.0
	v_rcp_f32_e32 v228, v227
	v_div_scale_f32 v229, vcc, 1.0, v226, 1.0
	v_fma_f32 v230, -v227, v228, 1.0
	v_fmac_f32_e32 v228, v230, v228
	v_mul_f32_e32 v230, v229, v228
	v_fma_f32 v231, -v227, v230, v229
	v_fmac_f32_e32 v230, v231, v228
	v_fma_f32 v227, -v227, v230, v229
	v_div_fmas_f32 v227, v227, v228, v230
	v_div_fixup_f32 v226, v227, v226, 1.0
	ds_write_b32 v183, v226
.LBB119_227:
	s_or_b64 exec, exec, s[4:5]
.LBB119_228:
	s_or_b64 exec, exec, s[2:3]
	s_waitcnt lgkmcnt(0)
	s_barrier
	ds_read_b32 v226, v183
	v_cmp_lt_u32_e32 vcc, 41, v181
	s_and_saveexec_b64 s[2:3], vcc
	s_cbranch_execz .LBB119_230
; %bb.229:
	ds_read2_b64 v[228:231], v185 offset0:21 offset1:22
	ds_read2_b64 v[232:235], v185 offset0:23 offset1:24
	s_waitcnt vmcnt(26) lgkmcnt(2)
	v_mul_f32_e32 v240, v226, v153
	ds_read2_b64 v[236:239], v185 offset0:25 offset1:26
	v_mov_b32_e32 v153, v240
	s_waitcnt vmcnt(24) lgkmcnt(2)
	v_pk_fma_f32 v[126:127], v[240:241], v[228:229], v[126:127] op_sel_hi:[0,1,1] neg_lo:[1,0,0] neg_hi:[1,0,0]
	s_waitcnt vmcnt(22)
	v_pk_fma_f32 v[150:151], v[240:241], v[230:231], v[150:151] op_sel_hi:[0,1,1] neg_lo:[1,0,0] neg_hi:[1,0,0]
	s_waitcnt vmcnt(20) lgkmcnt(1)
	v_pk_fma_f32 v[124:125], v[240:241], v[232:233], v[124:125] op_sel_hi:[0,1,1] neg_lo:[1,0,0] neg_hi:[1,0,0]
	ds_read2_b64 v[228:231], v185 offset0:27 offset1:28
	ds_read_b64 v[232:233], v185 offset:232
	s_waitcnt vmcnt(18)
	v_pk_fma_f32 v[148:149], v[240:241], v[234:235], v[148:149] op_sel_hi:[0,1,1] neg_lo:[1,0,0] neg_hi:[1,0,0]
	s_waitcnt vmcnt(16) lgkmcnt(2)
	v_pk_fma_f32 v[122:123], v[240:241], v[236:237], v[122:123] op_sel_hi:[0,1,1] neg_lo:[1,0,0] neg_hi:[1,0,0]
	s_waitcnt vmcnt(14)
	v_pk_fma_f32 v[146:147], v[240:241], v[238:239], v[146:147] op_sel_hi:[0,1,1] neg_lo:[1,0,0] neg_hi:[1,0,0]
	s_waitcnt vmcnt(12) lgkmcnt(1)
	v_pk_fma_f32 v[120:121], v[240:241], v[228:229], v[120:121] op_sel_hi:[0,1,1] neg_lo:[1,0,0] neg_hi:[1,0,0]
	;; [unrolled: 4-line block ×3, first 2 shown]
.LBB119_230:
	s_or_b64 exec, exec, s[2:3]
	v_cmp_eq_u32_e32 vcc, 42, v181
	s_waitcnt lgkmcnt(0)
	s_barrier
	s_and_saveexec_b64 s[2:3], vcc
	s_cbranch_execz .LBB119_233
; %bb.231:
	s_waitcnt vmcnt(22)
	v_pk_mov_b32 v[228:229], v[126:127], v[150:151] op_sel:[1,0]
	ds_write_b32 v183, v126
	ds_write2_b32 v185, v228, v229 offset0:43 offset1:44
	s_waitcnt vmcnt(20)
	v_pk_mov_b32 v[228:229], v[150:151], v[124:125] op_sel:[1,0]
	ds_write2_b32 v185, v228, v229 offset0:45 offset1:46
	s_waitcnt vmcnt(18)
	v_pk_mov_b32 v[228:229], v[124:125], v[148:149] op_sel:[1,0]
	ds_write2_b32 v185, v228, v229 offset0:47 offset1:48
	s_waitcnt vmcnt(16)
	v_pk_mov_b32 v[228:229], v[148:149], v[122:123] op_sel:[1,0]
	ds_write2_b32 v185, v228, v229 offset0:49 offset1:50
	s_waitcnt vmcnt(14)
	v_pk_mov_b32 v[228:229], v[122:123], v[146:147] op_sel:[1,0]
	ds_write2_b32 v185, v228, v229 offset0:51 offset1:52
	s_waitcnt vmcnt(12)
	v_pk_mov_b32 v[228:229], v[146:147], v[120:121] op_sel:[1,0]
	ds_write2_b32 v185, v228, v229 offset0:53 offset1:54
	s_waitcnt vmcnt(10)
	v_pk_mov_b32 v[228:229], v[120:121], v[144:145] op_sel:[1,0]
	ds_write2_b32 v185, v228, v229 offset0:55 offset1:56
	s_waitcnt vmcnt(8)
	v_pk_mov_b32 v[228:229], v[144:145], v[170:171] op_sel:[1,0]
	ds_write2_b32 v185, v228, v229 offset0:57 offset1:58
	ds_write_b32 v185, v171 offset:236
	ds_read_b32 v227, v183
	s_waitcnt lgkmcnt(0)
	v_cmp_neq_f32_e32 vcc, 0, v227
	s_and_b64 exec, exec, vcc
	s_cbranch_execz .LBB119_233
; %bb.232:
	v_div_scale_f32 v228, s[4:5], v227, v227, 1.0
	v_rcp_f32_e32 v229, v228
	v_div_scale_f32 v230, vcc, 1.0, v227, 1.0
	v_fma_f32 v231, -v228, v229, 1.0
	v_fmac_f32_e32 v229, v231, v229
	v_mul_f32_e32 v231, v230, v229
	v_fma_f32 v232, -v228, v231, v230
	v_fmac_f32_e32 v231, v232, v229
	v_fma_f32 v228, -v228, v231, v230
	v_div_fmas_f32 v228, v228, v229, v231
	v_div_fixup_f32 v227, v228, v227, 1.0
	ds_write_b32 v183, v227
.LBB119_233:
	s_or_b64 exec, exec, s[2:3]
	s_waitcnt lgkmcnt(0)
	s_barrier
	ds_read_b32 v227, v183
	v_cmp_lt_u32_e32 vcc, 42, v181
	s_and_saveexec_b64 s[2:3], vcc
	s_cbranch_execz .LBB119_235
; %bb.234:
	ds_read_b32 v240, v185 offset:172
	ds_read2_b64 v[228:231], v185 offset0:22 offset1:23
	s_waitcnt vmcnt(25) lgkmcnt(2)
	v_mul_f32_e32 v126, v227, v126
	ds_read2_b64 v[232:235], v185 offset0:24 offset1:25
	ds_read2_b64 v[236:239], v185 offset0:26 offset1:27
	s_waitcnt vmcnt(24) lgkmcnt(3)
	v_fma_f32 v127, -v126, v240, v127
	s_waitcnt vmcnt(22) lgkmcnt(2)
	v_pk_fma_f32 v[150:151], v[126:127], v[228:229], v[150:151] op_sel_hi:[0,1,1] neg_lo:[1,0,0] neg_hi:[1,0,0]
	s_waitcnt vmcnt(20)
	v_pk_fma_f32 v[124:125], v[126:127], v[230:231], v[124:125] op_sel_hi:[0,1,1] neg_lo:[1,0,0] neg_hi:[1,0,0]
	ds_read2_b64 v[228:231], v185 offset0:28 offset1:29
	s_waitcnt vmcnt(18) lgkmcnt(2)
	v_pk_fma_f32 v[148:149], v[126:127], v[232:233], v[148:149] op_sel_hi:[0,1,1] neg_lo:[1,0,0] neg_hi:[1,0,0]
	s_waitcnt vmcnt(16)
	v_pk_fma_f32 v[122:123], v[126:127], v[234:235], v[122:123] op_sel_hi:[0,1,1] neg_lo:[1,0,0] neg_hi:[1,0,0]
	s_waitcnt vmcnt(14) lgkmcnt(1)
	v_pk_fma_f32 v[146:147], v[126:127], v[236:237], v[146:147] op_sel_hi:[0,1,1] neg_lo:[1,0,0] neg_hi:[1,0,0]
	s_waitcnt vmcnt(12)
	v_pk_fma_f32 v[120:121], v[126:127], v[238:239], v[120:121] op_sel_hi:[0,1,1] neg_lo:[1,0,0] neg_hi:[1,0,0]
	s_waitcnt vmcnt(10) lgkmcnt(0)
	v_pk_fma_f32 v[144:145], v[126:127], v[228:229], v[144:145] op_sel_hi:[0,1,1] neg_lo:[1,0,0] neg_hi:[1,0,0]
	s_waitcnt vmcnt(8)
	v_pk_fma_f32 v[170:171], v[126:127], v[230:231], v[170:171] op_sel_hi:[0,1,1] neg_lo:[1,0,0] neg_hi:[1,0,0]
.LBB119_235:
	s_or_b64 exec, exec, s[2:3]
	v_cmp_ne_u32_e32 vcc, 43, v181
	s_waitcnt lgkmcnt(0)
	s_barrier
	s_and_saveexec_b64 s[2:3], vcc
	s_xor_b64 s[2:3], exec, s[2:3]
	s_andn2_saveexec_b64 s[2:3], s[2:3]
	s_cbranch_execz .LBB119_239
; %bb.236:
	s_waitcnt vmcnt(23)
	v_mov_b32_e32 v228, v150
	s_waitcnt vmcnt(22)
	v_mov_b32_e32 v229, v151
	;; [unrolled: 2-line block ×4, first 2 shown]
	ds_write_b32 v183, v127
	ds_write2_b64 v185, v[228:229], v[230:231] offset0:22 offset1:23
	s_waitcnt vmcnt(19)
	v_mov_b32_e32 v228, v148
	s_waitcnt vmcnt(18)
	v_mov_b32_e32 v229, v149
	;; [unrolled: 2-line block ×4, first 2 shown]
	ds_write2_b64 v185, v[228:229], v[230:231] offset0:24 offset1:25
	s_waitcnt vmcnt(15)
	v_mov_b32_e32 v228, v146
	s_waitcnt vmcnt(14)
	v_mov_b32_e32 v229, v147
	;; [unrolled: 2-line block ×4, first 2 shown]
	ds_write2_b64 v185, v[228:229], v[230:231] offset0:26 offset1:27
	s_waitcnt vmcnt(11)
	v_mov_b32_e32 v228, v144
	s_waitcnt vmcnt(10)
	v_mov_b32_e32 v229, v145
	s_waitcnt vmcnt(8)
	ds_write2_b64 v185, v[228:229], v[170:171] offset0:28 offset1:29
	ds_read_b32 v228, v183
	s_waitcnt lgkmcnt(0)
	v_cmp_neq_f32_e32 vcc, 0, v228
	s_and_saveexec_b64 s[4:5], vcc
	s_cbranch_execz .LBB119_238
; %bb.237:
	v_div_scale_f32 v229, s[10:11], v228, v228, 1.0
	v_rcp_f32_e32 v230, v229
	v_div_scale_f32 v231, vcc, 1.0, v228, 1.0
	v_fma_f32 v232, -v229, v230, 1.0
	v_fmac_f32_e32 v230, v232, v230
	v_mul_f32_e32 v232, v231, v230
	v_fma_f32 v233, -v229, v232, v231
	v_fmac_f32_e32 v232, v233, v230
	v_fma_f32 v229, -v229, v232, v231
	v_div_fmas_f32 v229, v229, v230, v232
	v_div_fixup_f32 v228, v229, v228, 1.0
	ds_write_b32 v183, v228
.LBB119_238:
	s_or_b64 exec, exec, s[4:5]
.LBB119_239:
	s_or_b64 exec, exec, s[2:3]
	s_waitcnt lgkmcnt(0)
	s_barrier
	ds_read_b32 v228, v183
	v_cmp_lt_u32_e32 vcc, 43, v181
	s_and_saveexec_b64 s[2:3], vcc
	s_cbranch_execz .LBB119_241
; %bb.240:
	ds_read2_b64 v[230:233], v185 offset0:22 offset1:23
	s_waitcnt vmcnt(24) lgkmcnt(1)
	v_mul_f32_e32 v242, v228, v127
	ds_read2_b64 v[234:237], v185 offset0:24 offset1:25
	ds_read2_b64 v[238:241], v185 offset0:26 offset1:27
	v_mov_b32_e32 v127, v242
	s_waitcnt vmcnt(22) lgkmcnt(2)
	v_pk_fma_f32 v[150:151], v[242:243], v[230:231], v[150:151] op_sel_hi:[0,1,1] neg_lo:[1,0,0] neg_hi:[1,0,0]
	s_waitcnt vmcnt(20)
	v_pk_fma_f32 v[124:125], v[242:243], v[232:233], v[124:125] op_sel_hi:[0,1,1] neg_lo:[1,0,0] neg_hi:[1,0,0]
	ds_read2_b64 v[230:233], v185 offset0:28 offset1:29
	s_waitcnt vmcnt(18) lgkmcnt(2)
	v_pk_fma_f32 v[148:149], v[242:243], v[234:235], v[148:149] op_sel_hi:[0,1,1] neg_lo:[1,0,0] neg_hi:[1,0,0]
	s_waitcnt vmcnt(16)
	v_pk_fma_f32 v[122:123], v[242:243], v[236:237], v[122:123] op_sel_hi:[0,1,1] neg_lo:[1,0,0] neg_hi:[1,0,0]
	s_waitcnt vmcnt(14) lgkmcnt(1)
	v_pk_fma_f32 v[146:147], v[242:243], v[238:239], v[146:147] op_sel_hi:[0,1,1] neg_lo:[1,0,0] neg_hi:[1,0,0]
	s_waitcnt vmcnt(12)
	v_pk_fma_f32 v[120:121], v[242:243], v[240:241], v[120:121] op_sel_hi:[0,1,1] neg_lo:[1,0,0] neg_hi:[1,0,0]
	;; [unrolled: 4-line block ×3, first 2 shown]
.LBB119_241:
	s_or_b64 exec, exec, s[2:3]
	v_cmp_eq_u32_e32 vcc, 44, v181
	s_waitcnt lgkmcnt(0)
	s_barrier
	s_and_saveexec_b64 s[2:3], vcc
	s_cbranch_execz .LBB119_244
; %bb.242:
	s_waitcnt vmcnt(20)
	v_pk_mov_b32 v[230:231], v[150:151], v[124:125] op_sel:[1,0]
	ds_write_b32 v183, v150
	ds_write2_b32 v185, v230, v231 offset0:45 offset1:46
	s_waitcnt vmcnt(18)
	v_pk_mov_b32 v[230:231], v[124:125], v[148:149] op_sel:[1,0]
	ds_write2_b32 v185, v230, v231 offset0:47 offset1:48
	s_waitcnt vmcnt(16)
	v_pk_mov_b32 v[230:231], v[148:149], v[122:123] op_sel:[1,0]
	;; [unrolled: 3-line block ×6, first 2 shown]
	ds_write2_b32 v185, v230, v231 offset0:57 offset1:58
	ds_write_b32 v185, v171 offset:236
	ds_read_b32 v229, v183
	s_waitcnt lgkmcnt(0)
	v_cmp_neq_f32_e32 vcc, 0, v229
	s_and_b64 exec, exec, vcc
	s_cbranch_execz .LBB119_244
; %bb.243:
	v_div_scale_f32 v230, s[4:5], v229, v229, 1.0
	v_rcp_f32_e32 v231, v230
	v_div_scale_f32 v232, vcc, 1.0, v229, 1.0
	v_fma_f32 v233, -v230, v231, 1.0
	v_fmac_f32_e32 v231, v233, v231
	v_mul_f32_e32 v233, v232, v231
	v_fma_f32 v234, -v230, v233, v232
	v_fmac_f32_e32 v233, v234, v231
	v_fma_f32 v230, -v230, v233, v232
	v_div_fmas_f32 v230, v230, v231, v233
	v_div_fixup_f32 v229, v230, v229, 1.0
	ds_write_b32 v183, v229
.LBB119_244:
	s_or_b64 exec, exec, s[2:3]
	s_waitcnt lgkmcnt(0)
	s_barrier
	ds_read_b32 v229, v183
	v_cmp_lt_u32_e32 vcc, 44, v181
	s_and_saveexec_b64 s[2:3], vcc
	s_cbranch_execz .LBB119_246
; %bb.245:
	ds_read_b32 v238, v185 offset:180
	s_waitcnt vmcnt(23) lgkmcnt(1)
	v_mul_f32_e32 v150, v229, v150
	ds_read2_b64 v[230:233], v185 offset0:23 offset1:24
	ds_read_b64 v[242:243], v185 offset:232
	ds_read2_b64 v[234:237], v185 offset0:25 offset1:26
	s_waitcnt vmcnt(22) lgkmcnt(3)
	v_fma_f32 v151, -v150, v238, v151
	ds_read2_b64 v[238:241], v185 offset0:27 offset1:28
	s_waitcnt vmcnt(20) lgkmcnt(3)
	v_pk_fma_f32 v[124:125], v[150:151], v[230:231], v[124:125] op_sel_hi:[0,1,1] neg_lo:[1,0,0] neg_hi:[1,0,0]
	s_waitcnt vmcnt(18)
	v_pk_fma_f32 v[148:149], v[150:151], v[232:233], v[148:149] op_sel_hi:[0,1,1] neg_lo:[1,0,0] neg_hi:[1,0,0]
	s_waitcnt vmcnt(16) lgkmcnt(1)
	v_pk_fma_f32 v[122:123], v[150:151], v[234:235], v[122:123] op_sel_hi:[0,1,1] neg_lo:[1,0,0] neg_hi:[1,0,0]
	s_waitcnt vmcnt(14)
	v_pk_fma_f32 v[146:147], v[150:151], v[236:237], v[146:147] op_sel_hi:[0,1,1] neg_lo:[1,0,0] neg_hi:[1,0,0]
	;; [unrolled: 4-line block ×3, first 2 shown]
	s_waitcnt vmcnt(8)
	v_pk_fma_f32 v[170:171], v[150:151], v[242:243], v[170:171] op_sel_hi:[0,1,1] neg_lo:[1,0,0] neg_hi:[1,0,0]
.LBB119_246:
	s_or_b64 exec, exec, s[2:3]
	v_cmp_ne_u32_e32 vcc, 45, v181
	s_waitcnt lgkmcnt(0)
	s_barrier
	s_and_saveexec_b64 s[2:3], vcc
	s_xor_b64 s[2:3], exec, s[2:3]
	s_andn2_saveexec_b64 s[2:3], s[2:3]
	s_cbranch_execz .LBB119_250
; %bb.247:
	s_waitcnt vmcnt(22)
	ds_write_b32 v183, v151
	s_waitcnt vmcnt(18)
	ds_write2_b64 v185, v[124:125], v[148:149] offset0:23 offset1:24
	s_waitcnt vmcnt(14)
	ds_write2_b64 v185, v[122:123], v[146:147] offset0:25 offset1:26
	;; [unrolled: 2-line block ×3, first 2 shown]
	s_waitcnt vmcnt(8)
	ds_write_b64 v185, v[170:171] offset:232
	ds_read_b32 v230, v183
	s_waitcnt lgkmcnt(0)
	v_cmp_neq_f32_e32 vcc, 0, v230
	s_and_saveexec_b64 s[4:5], vcc
	s_cbranch_execz .LBB119_249
; %bb.248:
	v_div_scale_f32 v231, s[10:11], v230, v230, 1.0
	v_rcp_f32_e32 v232, v231
	v_div_scale_f32 v233, vcc, 1.0, v230, 1.0
	v_fma_f32 v234, -v231, v232, 1.0
	v_fmac_f32_e32 v232, v234, v232
	v_mul_f32_e32 v234, v233, v232
	v_fma_f32 v235, -v231, v234, v233
	v_fmac_f32_e32 v234, v235, v232
	v_fma_f32 v231, -v231, v234, v233
	v_div_fmas_f32 v231, v231, v232, v234
	v_div_fixup_f32 v230, v231, v230, 1.0
	ds_write_b32 v183, v230
.LBB119_249:
	s_or_b64 exec, exec, s[4:5]
.LBB119_250:
	s_or_b64 exec, exec, s[2:3]
	s_waitcnt lgkmcnt(0)
	s_barrier
	ds_read_b32 v230, v183
	v_cmp_lt_u32_e32 vcc, 45, v181
	s_and_saveexec_b64 s[2:3], vcc
	s_cbranch_execz .LBB119_252
; %bb.251:
	ds_read2_b64 v[232:235], v185 offset0:23 offset1:24
	s_waitcnt vmcnt(22) lgkmcnt(1)
	v_mul_f32_e32 v244, v230, v151
	ds_read2_b64 v[236:239], v185 offset0:25 offset1:26
	ds_read2_b64 v[240:243], v185 offset0:27 offset1:28
	v_mov_b32_e32 v151, v244
	s_waitcnt vmcnt(20) lgkmcnt(2)
	v_pk_fma_f32 v[124:125], v[244:245], v[232:233], v[124:125] op_sel_hi:[0,1,1] neg_lo:[1,0,0] neg_hi:[1,0,0]
	ds_read_b64 v[232:233], v185 offset:232
	s_waitcnt vmcnt(18)
	v_pk_fma_f32 v[148:149], v[244:245], v[234:235], v[148:149] op_sel_hi:[0,1,1] neg_lo:[1,0,0] neg_hi:[1,0,0]
	s_waitcnt vmcnt(16) lgkmcnt(2)
	v_pk_fma_f32 v[122:123], v[244:245], v[236:237], v[122:123] op_sel_hi:[0,1,1] neg_lo:[1,0,0] neg_hi:[1,0,0]
	s_waitcnt vmcnt(14)
	v_pk_fma_f32 v[146:147], v[244:245], v[238:239], v[146:147] op_sel_hi:[0,1,1] neg_lo:[1,0,0] neg_hi:[1,0,0]
	s_waitcnt vmcnt(12) lgkmcnt(1)
	v_pk_fma_f32 v[120:121], v[244:245], v[240:241], v[120:121] op_sel_hi:[0,1,1] neg_lo:[1,0,0] neg_hi:[1,0,0]
	;; [unrolled: 4-line block ×3, first 2 shown]
.LBB119_252:
	s_or_b64 exec, exec, s[2:3]
	v_cmp_eq_u32_e32 vcc, 46, v181
	s_waitcnt lgkmcnt(0)
	s_barrier
	s_and_saveexec_b64 s[2:3], vcc
	s_cbranch_execz .LBB119_255
; %bb.253:
	s_waitcnt vmcnt(18)
	v_pk_mov_b32 v[232:233], v[124:125], v[148:149] op_sel:[1,0]
	ds_write_b32 v183, v124
	ds_write2_b32 v185, v232, v233 offset0:47 offset1:48
	s_waitcnt vmcnt(16)
	v_pk_mov_b32 v[232:233], v[148:149], v[122:123] op_sel:[1,0]
	ds_write2_b32 v185, v232, v233 offset0:49 offset1:50
	s_waitcnt vmcnt(14)
	v_pk_mov_b32 v[232:233], v[122:123], v[146:147] op_sel:[1,0]
	;; [unrolled: 3-line block ×5, first 2 shown]
	ds_write2_b32 v185, v232, v233 offset0:57 offset1:58
	ds_write_b32 v185, v171 offset:236
	ds_read_b32 v231, v183
	s_waitcnt lgkmcnt(0)
	v_cmp_neq_f32_e32 vcc, 0, v231
	s_and_b64 exec, exec, vcc
	s_cbranch_execz .LBB119_255
; %bb.254:
	v_div_scale_f32 v232, s[4:5], v231, v231, 1.0
	v_rcp_f32_e32 v233, v232
	v_div_scale_f32 v234, vcc, 1.0, v231, 1.0
	v_fma_f32 v235, -v232, v233, 1.0
	v_fmac_f32_e32 v233, v235, v233
	v_mul_f32_e32 v235, v234, v233
	v_fma_f32 v236, -v232, v235, v234
	v_fmac_f32_e32 v235, v236, v233
	v_fma_f32 v232, -v232, v235, v234
	v_div_fmas_f32 v232, v232, v233, v235
	v_div_fixup_f32 v231, v232, v231, 1.0
	ds_write_b32 v183, v231
.LBB119_255:
	s_or_b64 exec, exec, s[2:3]
	s_waitcnt lgkmcnt(0)
	s_barrier
	ds_read_b32 v231, v183
	v_cmp_lt_u32_e32 vcc, 46, v181
	s_and_saveexec_b64 s[2:3], vcc
	s_cbranch_execz .LBB119_257
; %bb.256:
	ds_read_b32 v244, v185 offset:188
	ds_read2_b64 v[232:235], v185 offset0:24 offset1:25
	ds_read2_b64 v[236:239], v185 offset0:26 offset1:27
	;; [unrolled: 1-line block ×3, first 2 shown]
	s_waitcnt vmcnt(21) lgkmcnt(4)
	v_mul_f32_e32 v124, v231, v124
	s_waitcnt vmcnt(20) lgkmcnt(3)
	v_fma_f32 v125, -v124, v244, v125
	s_waitcnt vmcnt(18) lgkmcnt(2)
	v_pk_fma_f32 v[148:149], v[124:125], v[232:233], v[148:149] op_sel_hi:[0,1,1] neg_lo:[1,0,0] neg_hi:[1,0,0]
	s_waitcnt vmcnt(16)
	v_pk_fma_f32 v[122:123], v[124:125], v[234:235], v[122:123] op_sel_hi:[0,1,1] neg_lo:[1,0,0] neg_hi:[1,0,0]
	s_waitcnt vmcnt(14) lgkmcnt(1)
	v_pk_fma_f32 v[146:147], v[124:125], v[236:237], v[146:147] op_sel_hi:[0,1,1] neg_lo:[1,0,0] neg_hi:[1,0,0]
	s_waitcnt vmcnt(12)
	v_pk_fma_f32 v[120:121], v[124:125], v[238:239], v[120:121] op_sel_hi:[0,1,1] neg_lo:[1,0,0] neg_hi:[1,0,0]
	;; [unrolled: 4-line block ×3, first 2 shown]
.LBB119_257:
	s_or_b64 exec, exec, s[2:3]
	v_cmp_ne_u32_e32 vcc, 47, v181
	s_waitcnt lgkmcnt(0)
	s_barrier
	s_and_saveexec_b64 s[2:3], vcc
	s_xor_b64 s[2:3], exec, s[2:3]
	s_andn2_saveexec_b64 s[2:3], s[2:3]
	s_cbranch_execz .LBB119_261
; %bb.258:
	s_waitcnt vmcnt(19)
	v_mov_b32_e32 v232, v148
	s_waitcnt vmcnt(18)
	v_mov_b32_e32 v233, v149
	;; [unrolled: 2-line block ×4, first 2 shown]
	ds_write_b32 v183, v125
	ds_write2_b64 v185, v[232:233], v[234:235] offset0:24 offset1:25
	s_waitcnt vmcnt(15)
	v_mov_b32_e32 v232, v146
	s_waitcnt vmcnt(14)
	v_mov_b32_e32 v233, v147
	;; [unrolled: 2-line block ×4, first 2 shown]
	ds_write2_b64 v185, v[232:233], v[234:235] offset0:26 offset1:27
	s_waitcnt vmcnt(11)
	v_mov_b32_e32 v232, v144
	s_waitcnt vmcnt(10)
	v_mov_b32_e32 v233, v145
	s_waitcnt vmcnt(8)
	ds_write2_b64 v185, v[232:233], v[170:171] offset0:28 offset1:29
	ds_read_b32 v232, v183
	s_waitcnt lgkmcnt(0)
	v_cmp_neq_f32_e32 vcc, 0, v232
	s_and_saveexec_b64 s[4:5], vcc
	s_cbranch_execz .LBB119_260
; %bb.259:
	v_div_scale_f32 v233, s[10:11], v232, v232, 1.0
	v_rcp_f32_e32 v234, v233
	v_div_scale_f32 v235, vcc, 1.0, v232, 1.0
	v_fma_f32 v236, -v233, v234, 1.0
	v_fmac_f32_e32 v234, v236, v234
	v_mul_f32_e32 v236, v235, v234
	v_fma_f32 v237, -v233, v236, v235
	v_fmac_f32_e32 v236, v237, v234
	v_fma_f32 v233, -v233, v236, v235
	v_div_fmas_f32 v233, v233, v234, v236
	v_div_fixup_f32 v232, v233, v232, 1.0
	ds_write_b32 v183, v232
.LBB119_260:
	s_or_b64 exec, exec, s[4:5]
.LBB119_261:
	s_or_b64 exec, exec, s[2:3]
	s_waitcnt lgkmcnt(0)
	s_barrier
	ds_read_b32 v232, v183
	v_cmp_lt_u32_e32 vcc, 47, v181
	s_and_saveexec_b64 s[2:3], vcc
	s_cbranch_execz .LBB119_263
; %bb.262:
	ds_read2_b64 v[234:237], v185 offset0:24 offset1:25
	ds_read2_b64 v[238:241], v185 offset0:26 offset1:27
	;; [unrolled: 1-line block ×3, first 2 shown]
	s_waitcnt vmcnt(20) lgkmcnt(3)
	v_mul_f32_e32 v246, v232, v125
	v_mov_b32_e32 v125, v246
	s_waitcnt vmcnt(18) lgkmcnt(2)
	v_pk_fma_f32 v[148:149], v[246:247], v[234:235], v[148:149] op_sel_hi:[0,1,1] neg_lo:[1,0,0] neg_hi:[1,0,0]
	s_waitcnt vmcnt(16)
	v_pk_fma_f32 v[122:123], v[246:247], v[236:237], v[122:123] op_sel_hi:[0,1,1] neg_lo:[1,0,0] neg_hi:[1,0,0]
	s_waitcnt vmcnt(14) lgkmcnt(1)
	v_pk_fma_f32 v[146:147], v[246:247], v[238:239], v[146:147] op_sel_hi:[0,1,1] neg_lo:[1,0,0] neg_hi:[1,0,0]
	s_waitcnt vmcnt(12)
	v_pk_fma_f32 v[120:121], v[246:247], v[240:241], v[120:121] op_sel_hi:[0,1,1] neg_lo:[1,0,0] neg_hi:[1,0,0]
	;; [unrolled: 4-line block ×3, first 2 shown]
.LBB119_263:
	s_or_b64 exec, exec, s[2:3]
	v_cmp_eq_u32_e32 vcc, 48, v181
	s_waitcnt lgkmcnt(0)
	s_barrier
	s_and_saveexec_b64 s[2:3], vcc
	s_cbranch_execz .LBB119_266
; %bb.264:
	s_waitcnt vmcnt(16)
	v_pk_mov_b32 v[234:235], v[148:149], v[122:123] op_sel:[1,0]
	ds_write_b32 v183, v148
	ds_write2_b32 v185, v234, v235 offset0:49 offset1:50
	s_waitcnt vmcnt(14)
	v_pk_mov_b32 v[234:235], v[122:123], v[146:147] op_sel:[1,0]
	ds_write2_b32 v185, v234, v235 offset0:51 offset1:52
	s_waitcnt vmcnt(12)
	v_pk_mov_b32 v[234:235], v[146:147], v[120:121] op_sel:[1,0]
	ds_write2_b32 v185, v234, v235 offset0:53 offset1:54
	s_waitcnt vmcnt(10)
	v_pk_mov_b32 v[234:235], v[120:121], v[144:145] op_sel:[1,0]
	ds_write2_b32 v185, v234, v235 offset0:55 offset1:56
	s_waitcnt vmcnt(8)
	v_pk_mov_b32 v[234:235], v[144:145], v[170:171] op_sel:[1,0]
	ds_write2_b32 v185, v234, v235 offset0:57 offset1:58
	ds_write_b32 v185, v171 offset:236
	ds_read_b32 v233, v183
	s_waitcnt lgkmcnt(0)
	v_cmp_neq_f32_e32 vcc, 0, v233
	s_and_b64 exec, exec, vcc
	s_cbranch_execz .LBB119_266
; %bb.265:
	v_div_scale_f32 v234, s[4:5], v233, v233, 1.0
	v_rcp_f32_e32 v235, v234
	v_div_scale_f32 v236, vcc, 1.0, v233, 1.0
	v_fma_f32 v237, -v234, v235, 1.0
	v_fmac_f32_e32 v235, v237, v235
	v_mul_f32_e32 v237, v236, v235
	v_fma_f32 v238, -v234, v237, v236
	v_fmac_f32_e32 v237, v238, v235
	v_fma_f32 v234, -v234, v237, v236
	v_div_fmas_f32 v234, v234, v235, v237
	v_div_fixup_f32 v233, v234, v233, 1.0
	ds_write_b32 v183, v233
.LBB119_266:
	s_or_b64 exec, exec, s[2:3]
	s_waitcnt lgkmcnt(0)
	s_barrier
	ds_read_b32 v233, v183
	v_cmp_lt_u32_e32 vcc, 48, v181
	s_and_saveexec_b64 s[2:3], vcc
	s_cbranch_execz .LBB119_268
; %bb.267:
	ds_read_b32 v244, v185 offset:196
	ds_read2_b64 v[234:237], v185 offset0:25 offset1:26
	ds_read_b64 v[242:243], v185 offset:232
	ds_read2_b64 v[238:241], v185 offset0:27 offset1:28
	s_waitcnt vmcnt(19) lgkmcnt(4)
	v_mul_f32_e32 v148, v233, v148
	s_waitcnt vmcnt(18) lgkmcnt(3)
	v_fma_f32 v149, -v148, v244, v149
	s_waitcnt vmcnt(16) lgkmcnt(2)
	v_pk_fma_f32 v[122:123], v[148:149], v[234:235], v[122:123] op_sel_hi:[0,1,1] neg_lo:[1,0,0] neg_hi:[1,0,0]
	s_waitcnt vmcnt(14)
	v_pk_fma_f32 v[146:147], v[148:149], v[236:237], v[146:147] op_sel_hi:[0,1,1] neg_lo:[1,0,0] neg_hi:[1,0,0]
	s_waitcnt vmcnt(12) lgkmcnt(0)
	v_pk_fma_f32 v[120:121], v[148:149], v[238:239], v[120:121] op_sel_hi:[0,1,1] neg_lo:[1,0,0] neg_hi:[1,0,0]
	s_waitcnt vmcnt(10)
	v_pk_fma_f32 v[144:145], v[148:149], v[240:241], v[144:145] op_sel_hi:[0,1,1] neg_lo:[1,0,0] neg_hi:[1,0,0]
	s_waitcnt vmcnt(8)
	v_pk_fma_f32 v[170:171], v[148:149], v[242:243], v[170:171] op_sel_hi:[0,1,1] neg_lo:[1,0,0] neg_hi:[1,0,0]
.LBB119_268:
	s_or_b64 exec, exec, s[2:3]
	v_cmp_ne_u32_e32 vcc, 49, v181
	s_waitcnt lgkmcnt(0)
	s_barrier
	s_and_saveexec_b64 s[2:3], vcc
	s_xor_b64 s[2:3], exec, s[2:3]
	s_andn2_saveexec_b64 s[2:3], s[2:3]
	s_cbranch_execz .LBB119_272
; %bb.269:
	s_waitcnt vmcnt(18)
	ds_write_b32 v183, v149
	s_waitcnt vmcnt(14)
	ds_write2_b64 v185, v[122:123], v[146:147] offset0:25 offset1:26
	s_waitcnt vmcnt(10)
	ds_write2_b64 v185, v[120:121], v[144:145] offset0:27 offset1:28
	s_waitcnt vmcnt(8)
	ds_write_b64 v185, v[170:171] offset:232
	ds_read_b32 v234, v183
	s_waitcnt lgkmcnt(0)
	v_cmp_neq_f32_e32 vcc, 0, v234
	s_and_saveexec_b64 s[4:5], vcc
	s_cbranch_execz .LBB119_271
; %bb.270:
	v_div_scale_f32 v235, s[10:11], v234, v234, 1.0
	v_rcp_f32_e32 v236, v235
	v_div_scale_f32 v237, vcc, 1.0, v234, 1.0
	v_fma_f32 v238, -v235, v236, 1.0
	v_fmac_f32_e32 v236, v238, v236
	v_mul_f32_e32 v238, v237, v236
	v_fma_f32 v239, -v235, v238, v237
	v_fmac_f32_e32 v238, v239, v236
	v_fma_f32 v235, -v235, v238, v237
	v_div_fmas_f32 v235, v235, v236, v238
	v_div_fixup_f32 v234, v235, v234, 1.0
	ds_write_b32 v183, v234
.LBB119_271:
	s_or_b64 exec, exec, s[4:5]
.LBB119_272:
	s_or_b64 exec, exec, s[2:3]
	s_waitcnt lgkmcnt(0)
	s_barrier
	ds_read_b32 v234, v183
	v_cmp_lt_u32_e32 vcc, 49, v181
	s_and_saveexec_b64 s[2:3], vcc
	s_cbranch_execz .LBB119_274
; %bb.273:
	ds_read2_b64 v[236:239], v185 offset0:25 offset1:26
	ds_read2_b64 v[240:243], v185 offset0:27 offset1:28
	ds_read_b64 v[246:247], v185 offset:232
	s_waitcnt vmcnt(18) lgkmcnt(3)
	v_mul_f32_e32 v244, v234, v149
	v_mov_b32_e32 v149, v244
	s_waitcnt vmcnt(16) lgkmcnt(2)
	v_pk_fma_f32 v[122:123], v[244:245], v[236:237], v[122:123] op_sel_hi:[0,1,1] neg_lo:[1,0,0] neg_hi:[1,0,0]
	s_waitcnt vmcnt(14)
	v_pk_fma_f32 v[146:147], v[244:245], v[238:239], v[146:147] op_sel_hi:[0,1,1] neg_lo:[1,0,0] neg_hi:[1,0,0]
	s_waitcnt vmcnt(12) lgkmcnt(1)
	v_pk_fma_f32 v[120:121], v[244:245], v[240:241], v[120:121] op_sel_hi:[0,1,1] neg_lo:[1,0,0] neg_hi:[1,0,0]
	s_waitcnt vmcnt(10)
	v_pk_fma_f32 v[144:145], v[244:245], v[242:243], v[144:145] op_sel_hi:[0,1,1] neg_lo:[1,0,0] neg_hi:[1,0,0]
	s_waitcnt vmcnt(8) lgkmcnt(0)
	v_pk_fma_f32 v[170:171], v[244:245], v[246:247], v[170:171] op_sel_hi:[0,1,1] neg_lo:[1,0,0] neg_hi:[1,0,0]
.LBB119_274:
	s_or_b64 exec, exec, s[2:3]
	v_cmp_eq_u32_e32 vcc, 50, v181
	s_waitcnt lgkmcnt(0)
	s_barrier
	s_and_saveexec_b64 s[2:3], vcc
	s_cbranch_execz .LBB119_277
; %bb.275:
	s_waitcnt vmcnt(14)
	v_pk_mov_b32 v[236:237], v[122:123], v[146:147] op_sel:[1,0]
	ds_write_b32 v183, v122
	ds_write2_b32 v185, v236, v237 offset0:51 offset1:52
	s_waitcnt vmcnt(12)
	v_pk_mov_b32 v[236:237], v[146:147], v[120:121] op_sel:[1,0]
	ds_write2_b32 v185, v236, v237 offset0:53 offset1:54
	s_waitcnt vmcnt(10)
	v_pk_mov_b32 v[236:237], v[120:121], v[144:145] op_sel:[1,0]
	;; [unrolled: 3-line block ×3, first 2 shown]
	ds_write2_b32 v185, v236, v237 offset0:57 offset1:58
	ds_write_b32 v185, v171 offset:236
	ds_read_b32 v235, v183
	s_waitcnt lgkmcnt(0)
	v_cmp_neq_f32_e32 vcc, 0, v235
	s_and_b64 exec, exec, vcc
	s_cbranch_execz .LBB119_277
; %bb.276:
	v_div_scale_f32 v236, s[4:5], v235, v235, 1.0
	v_rcp_f32_e32 v237, v236
	v_div_scale_f32 v238, vcc, 1.0, v235, 1.0
	v_fma_f32 v239, -v236, v237, 1.0
	v_fmac_f32_e32 v237, v239, v237
	v_mul_f32_e32 v239, v238, v237
	v_fma_f32 v240, -v236, v239, v238
	v_fmac_f32_e32 v239, v240, v237
	v_fma_f32 v236, -v236, v239, v238
	v_div_fmas_f32 v236, v236, v237, v239
	v_div_fixup_f32 v235, v236, v235, 1.0
	ds_write_b32 v183, v235
.LBB119_277:
	s_or_b64 exec, exec, s[2:3]
	s_waitcnt lgkmcnt(0)
	s_barrier
	ds_read_b32 v235, v183
	v_cmp_lt_u32_e32 vcc, 50, v181
	s_and_saveexec_b64 s[2:3], vcc
	s_cbranch_execz .LBB119_279
; %bb.278:
	ds_read_b32 v244, v185 offset:204
	ds_read2_b64 v[236:239], v185 offset0:26 offset1:27
	ds_read2_b64 v[240:243], v185 offset0:28 offset1:29
	s_waitcnt vmcnt(17) lgkmcnt(3)
	v_mul_f32_e32 v122, v235, v122
	s_waitcnt vmcnt(16) lgkmcnt(2)
	v_fma_f32 v123, -v122, v244, v123
	s_waitcnt vmcnt(14) lgkmcnt(1)
	v_pk_fma_f32 v[146:147], v[122:123], v[236:237], v[146:147] op_sel_hi:[0,1,1] neg_lo:[1,0,0] neg_hi:[1,0,0]
	s_waitcnt vmcnt(12)
	v_pk_fma_f32 v[120:121], v[122:123], v[238:239], v[120:121] op_sel_hi:[0,1,1] neg_lo:[1,0,0] neg_hi:[1,0,0]
	s_waitcnt vmcnt(10) lgkmcnt(0)
	v_pk_fma_f32 v[144:145], v[122:123], v[240:241], v[144:145] op_sel_hi:[0,1,1] neg_lo:[1,0,0] neg_hi:[1,0,0]
	s_waitcnt vmcnt(8)
	v_pk_fma_f32 v[170:171], v[122:123], v[242:243], v[170:171] op_sel_hi:[0,1,1] neg_lo:[1,0,0] neg_hi:[1,0,0]
.LBB119_279:
	s_or_b64 exec, exec, s[2:3]
	v_cmp_ne_u32_e32 vcc, 51, v181
	s_waitcnt lgkmcnt(0)
	s_barrier
	s_and_saveexec_b64 s[2:3], vcc
	s_xor_b64 s[2:3], exec, s[2:3]
	s_andn2_saveexec_b64 s[2:3], s[2:3]
	s_cbranch_execz .LBB119_283
; %bb.280:
	s_waitcnt vmcnt(15)
	v_mov_b32_e32 v236, v146
	s_waitcnt vmcnt(14)
	v_mov_b32_e32 v237, v147
	;; [unrolled: 2-line block ×4, first 2 shown]
	ds_write_b32 v183, v123
	ds_write2_b64 v185, v[236:237], v[238:239] offset0:26 offset1:27
	s_waitcnt vmcnt(11)
	v_mov_b32_e32 v236, v144
	s_waitcnt vmcnt(10)
	v_mov_b32_e32 v237, v145
	s_waitcnt vmcnt(8)
	ds_write2_b64 v185, v[236:237], v[170:171] offset0:28 offset1:29
	ds_read_b32 v236, v183
	s_waitcnt lgkmcnt(0)
	v_cmp_neq_f32_e32 vcc, 0, v236
	s_and_saveexec_b64 s[4:5], vcc
	s_cbranch_execz .LBB119_282
; %bb.281:
	v_div_scale_f32 v237, s[10:11], v236, v236, 1.0
	v_rcp_f32_e32 v238, v237
	v_div_scale_f32 v239, vcc, 1.0, v236, 1.0
	v_fma_f32 v240, -v237, v238, 1.0
	v_fmac_f32_e32 v238, v240, v238
	v_mul_f32_e32 v240, v239, v238
	v_fma_f32 v241, -v237, v240, v239
	v_fmac_f32_e32 v240, v241, v238
	v_fma_f32 v237, -v237, v240, v239
	v_div_fmas_f32 v237, v237, v238, v240
	v_div_fixup_f32 v236, v237, v236, 1.0
	ds_write_b32 v183, v236
.LBB119_282:
	s_or_b64 exec, exec, s[4:5]
.LBB119_283:
	s_or_b64 exec, exec, s[2:3]
	s_waitcnt lgkmcnt(0)
	s_barrier
	ds_read_b32 v236, v183
	v_cmp_lt_u32_e32 vcc, 51, v181
	s_and_saveexec_b64 s[2:3], vcc
	s_cbranch_execz .LBB119_285
; %bb.284:
	ds_read2_b64 v[238:241], v185 offset0:26 offset1:27
	ds_read2_b64 v[242:245], v185 offset0:28 offset1:29
	s_waitcnt vmcnt(16) lgkmcnt(2)
	v_mul_f32_e32 v246, v236, v123
	v_mov_b32_e32 v123, v246
	s_waitcnt vmcnt(14) lgkmcnt(1)
	v_pk_fma_f32 v[146:147], v[246:247], v[238:239], v[146:147] op_sel_hi:[0,1,1] neg_lo:[1,0,0] neg_hi:[1,0,0]
	s_waitcnt vmcnt(12)
	v_pk_fma_f32 v[120:121], v[246:247], v[240:241], v[120:121] op_sel_hi:[0,1,1] neg_lo:[1,0,0] neg_hi:[1,0,0]
	s_waitcnt vmcnt(10) lgkmcnt(0)
	v_pk_fma_f32 v[144:145], v[246:247], v[242:243], v[144:145] op_sel_hi:[0,1,1] neg_lo:[1,0,0] neg_hi:[1,0,0]
	s_waitcnt vmcnt(8)
	v_pk_fma_f32 v[170:171], v[246:247], v[244:245], v[170:171] op_sel_hi:[0,1,1] neg_lo:[1,0,0] neg_hi:[1,0,0]
.LBB119_285:
	s_or_b64 exec, exec, s[2:3]
	v_cmp_eq_u32_e32 vcc, 52, v181
	s_waitcnt lgkmcnt(0)
	s_barrier
	s_and_saveexec_b64 s[2:3], vcc
	s_cbranch_execz .LBB119_288
; %bb.286:
	s_waitcnt vmcnt(12)
	v_pk_mov_b32 v[238:239], v[146:147], v[120:121] op_sel:[1,0]
	ds_write_b32 v183, v146
	ds_write2_b32 v185, v238, v239 offset0:53 offset1:54
	s_waitcnt vmcnt(10)
	v_pk_mov_b32 v[238:239], v[120:121], v[144:145] op_sel:[1,0]
	ds_write2_b32 v185, v238, v239 offset0:55 offset1:56
	s_waitcnt vmcnt(8)
	v_pk_mov_b32 v[238:239], v[144:145], v[170:171] op_sel:[1,0]
	ds_write2_b32 v185, v238, v239 offset0:57 offset1:58
	ds_write_b32 v185, v171 offset:236
	ds_read_b32 v237, v183
	s_waitcnt lgkmcnt(0)
	v_cmp_neq_f32_e32 vcc, 0, v237
	s_and_b64 exec, exec, vcc
	s_cbranch_execz .LBB119_288
; %bb.287:
	v_div_scale_f32 v238, s[4:5], v237, v237, 1.0
	v_rcp_f32_e32 v239, v238
	v_div_scale_f32 v240, vcc, 1.0, v237, 1.0
	v_fma_f32 v241, -v238, v239, 1.0
	v_fmac_f32_e32 v239, v241, v239
	v_mul_f32_e32 v241, v240, v239
	v_fma_f32 v242, -v238, v241, v240
	v_fmac_f32_e32 v241, v242, v239
	v_fma_f32 v238, -v238, v241, v240
	v_div_fmas_f32 v238, v238, v239, v241
	v_div_fixup_f32 v237, v238, v237, 1.0
	ds_write_b32 v183, v237
.LBB119_288:
	s_or_b64 exec, exec, s[2:3]
	s_waitcnt lgkmcnt(0)
	s_barrier
	ds_read_b32 v237, v183
	v_cmp_lt_u32_e32 vcc, 52, v181
	s_and_saveexec_b64 s[2:3], vcc
	s_cbranch_execz .LBB119_290
; %bb.289:
	ds_read_b32 v244, v185 offset:212
	ds_read2_b64 v[238:241], v185 offset0:27 offset1:28
	ds_read_b64 v[242:243], v185 offset:232
	s_waitcnt vmcnt(15) lgkmcnt(3)
	v_mul_f32_e32 v146, v237, v146
	s_waitcnt vmcnt(14) lgkmcnt(2)
	v_fma_f32 v147, -v146, v244, v147
	s_waitcnt vmcnt(12) lgkmcnt(1)
	v_pk_fma_f32 v[120:121], v[146:147], v[238:239], v[120:121] op_sel_hi:[0,1,1] neg_lo:[1,0,0] neg_hi:[1,0,0]
	s_waitcnt vmcnt(10)
	v_pk_fma_f32 v[144:145], v[146:147], v[240:241], v[144:145] op_sel_hi:[0,1,1] neg_lo:[1,0,0] neg_hi:[1,0,0]
	s_waitcnt vmcnt(8) lgkmcnt(0)
	v_pk_fma_f32 v[170:171], v[146:147], v[242:243], v[170:171] op_sel_hi:[0,1,1] neg_lo:[1,0,0] neg_hi:[1,0,0]
.LBB119_290:
	s_or_b64 exec, exec, s[2:3]
	v_cmp_ne_u32_e32 vcc, 53, v181
	s_waitcnt lgkmcnt(0)
	s_barrier
	s_and_saveexec_b64 s[2:3], vcc
	s_xor_b64 s[2:3], exec, s[2:3]
	s_andn2_saveexec_b64 s[2:3], s[2:3]
	s_cbranch_execz .LBB119_294
; %bb.291:
	s_waitcnt vmcnt(14)
	ds_write_b32 v183, v147
	s_waitcnt vmcnt(10)
	ds_write2_b64 v185, v[120:121], v[144:145] offset0:27 offset1:28
	s_waitcnt vmcnt(8)
	ds_write_b64 v185, v[170:171] offset:232
	ds_read_b32 v238, v183
	s_waitcnt lgkmcnt(0)
	v_cmp_neq_f32_e32 vcc, 0, v238
	s_and_saveexec_b64 s[4:5], vcc
	s_cbranch_execz .LBB119_293
; %bb.292:
	v_div_scale_f32 v239, s[10:11], v238, v238, 1.0
	v_rcp_f32_e32 v240, v239
	v_div_scale_f32 v241, vcc, 1.0, v238, 1.0
	v_fma_f32 v242, -v239, v240, 1.0
	v_fmac_f32_e32 v240, v242, v240
	v_mul_f32_e32 v242, v241, v240
	v_fma_f32 v243, -v239, v242, v241
	v_fmac_f32_e32 v242, v243, v240
	v_fma_f32 v239, -v239, v242, v241
	v_div_fmas_f32 v239, v239, v240, v242
	v_div_fixup_f32 v238, v239, v238, 1.0
	ds_write_b32 v183, v238
.LBB119_293:
	s_or_b64 exec, exec, s[4:5]
.LBB119_294:
	s_or_b64 exec, exec, s[2:3]
	s_waitcnt lgkmcnt(0)
	s_barrier
	ds_read_b32 v238, v183
	v_cmp_lt_u32_e32 vcc, 53, v181
	s_and_saveexec_b64 s[2:3], vcc
	s_cbranch_execz .LBB119_296
; %bb.295:
	ds_read2_b64 v[240:243], v185 offset0:27 offset1:28
	ds_read_b64 v[244:245], v185 offset:232
	s_waitcnt vmcnt(14) lgkmcnt(2)
	v_mul_f32_e32 v246, v238, v147
	v_mov_b32_e32 v147, v246
	s_waitcnt vmcnt(12) lgkmcnt(1)
	v_pk_fma_f32 v[120:121], v[246:247], v[240:241], v[120:121] op_sel_hi:[0,1,1] neg_lo:[1,0,0] neg_hi:[1,0,0]
	s_waitcnt vmcnt(10)
	v_pk_fma_f32 v[144:145], v[246:247], v[242:243], v[144:145] op_sel_hi:[0,1,1] neg_lo:[1,0,0] neg_hi:[1,0,0]
	s_waitcnt vmcnt(8) lgkmcnt(0)
	v_pk_fma_f32 v[170:171], v[246:247], v[244:245], v[170:171] op_sel_hi:[0,1,1] neg_lo:[1,0,0] neg_hi:[1,0,0]
.LBB119_296:
	s_or_b64 exec, exec, s[2:3]
	v_cmp_eq_u32_e32 vcc, 54, v181
	s_waitcnt lgkmcnt(0)
	s_barrier
	s_and_saveexec_b64 s[2:3], vcc
	s_cbranch_execz .LBB119_299
; %bb.297:
	s_waitcnt vmcnt(10)
	v_pk_mov_b32 v[240:241], v[120:121], v[144:145] op_sel:[1,0]
	ds_write_b32 v183, v120
	ds_write2_b32 v185, v240, v241 offset0:55 offset1:56
	s_waitcnt vmcnt(8)
	v_pk_mov_b32 v[240:241], v[144:145], v[170:171] op_sel:[1,0]
	ds_write2_b32 v185, v240, v241 offset0:57 offset1:58
	ds_write_b32 v185, v171 offset:236
	ds_read_b32 v239, v183
	s_waitcnt lgkmcnt(0)
	v_cmp_neq_f32_e32 vcc, 0, v239
	s_and_b64 exec, exec, vcc
	s_cbranch_execz .LBB119_299
; %bb.298:
	v_div_scale_f32 v240, s[4:5], v239, v239, 1.0
	v_rcp_f32_e32 v241, v240
	v_div_scale_f32 v242, vcc, 1.0, v239, 1.0
	v_fma_f32 v243, -v240, v241, 1.0
	v_fmac_f32_e32 v241, v243, v241
	v_mul_f32_e32 v243, v242, v241
	v_fma_f32 v244, -v240, v243, v242
	v_fmac_f32_e32 v243, v244, v241
	v_fma_f32 v240, -v240, v243, v242
	v_div_fmas_f32 v240, v240, v241, v243
	v_div_fixup_f32 v239, v240, v239, 1.0
	ds_write_b32 v183, v239
.LBB119_299:
	s_or_b64 exec, exec, s[2:3]
	s_waitcnt lgkmcnt(0)
	s_barrier
	ds_read_b32 v239, v183
	v_cmp_lt_u32_e32 vcc, 54, v181
	s_and_saveexec_b64 s[2:3], vcc
	s_cbranch_execz .LBB119_301
; %bb.300:
	ds_read_b32 v244, v185 offset:220
	ds_read2_b64 v[240:243], v185 offset0:28 offset1:29
	s_waitcnt vmcnt(13) lgkmcnt(2)
	v_mul_f32_e32 v120, v239, v120
	s_waitcnt vmcnt(12) lgkmcnt(1)
	v_fma_f32 v121, -v120, v244, v121
	s_waitcnt vmcnt(10) lgkmcnt(0)
	v_pk_fma_f32 v[144:145], v[120:121], v[240:241], v[144:145] op_sel_hi:[0,1,1] neg_lo:[1,0,0] neg_hi:[1,0,0]
	s_waitcnt vmcnt(8)
	v_pk_fma_f32 v[170:171], v[120:121], v[242:243], v[170:171] op_sel_hi:[0,1,1] neg_lo:[1,0,0] neg_hi:[1,0,0]
.LBB119_301:
	s_or_b64 exec, exec, s[2:3]
	v_cmp_ne_u32_e32 vcc, 55, v181
	s_waitcnt lgkmcnt(0)
	s_barrier
	s_and_saveexec_b64 s[2:3], vcc
	s_xor_b64 s[2:3], exec, s[2:3]
	s_andn2_saveexec_b64 s[2:3], s[2:3]
	s_cbranch_execz .LBB119_305
; %bb.302:
	s_waitcnt vmcnt(11)
	v_mov_b32_e32 v240, v144
	s_waitcnt vmcnt(10)
	v_mov_b32_e32 v241, v145
	ds_write_b32 v183, v121
	s_waitcnt vmcnt(8)
	ds_write2_b64 v185, v[240:241], v[170:171] offset0:28 offset1:29
	ds_read_b32 v240, v183
	s_waitcnt lgkmcnt(0)
	v_cmp_neq_f32_e32 vcc, 0, v240
	s_and_saveexec_b64 s[4:5], vcc
	s_cbranch_execz .LBB119_304
; %bb.303:
	v_div_scale_f32 v241, s[10:11], v240, v240, 1.0
	v_rcp_f32_e32 v242, v241
	v_div_scale_f32 v243, vcc, 1.0, v240, 1.0
	v_fma_f32 v244, -v241, v242, 1.0
	v_fmac_f32_e32 v242, v244, v242
	v_mul_f32_e32 v244, v243, v242
	v_fma_f32 v245, -v241, v244, v243
	v_fmac_f32_e32 v244, v245, v242
	v_fma_f32 v241, -v241, v244, v243
	v_div_fmas_f32 v241, v241, v242, v244
	v_div_fixup_f32 v240, v241, v240, 1.0
	ds_write_b32 v183, v240
.LBB119_304:
	s_or_b64 exec, exec, s[4:5]
.LBB119_305:
	s_or_b64 exec, exec, s[2:3]
	s_waitcnt lgkmcnt(0)
	s_barrier
	ds_read_b32 v240, v183
	v_cmp_lt_u32_e32 vcc, 55, v181
	s_and_saveexec_b64 s[2:3], vcc
	s_cbranch_execz .LBB119_307
; %bb.306:
	ds_read2_b64 v[242:245], v185 offset0:28 offset1:29
	s_waitcnt vmcnt(12) lgkmcnt(1)
	v_mul_f32_e32 v246, v240, v121
	v_mov_b32_e32 v121, v246
	s_waitcnt vmcnt(10) lgkmcnt(0)
	v_pk_fma_f32 v[144:145], v[246:247], v[242:243], v[144:145] op_sel_hi:[0,1,1] neg_lo:[1,0,0] neg_hi:[1,0,0]
	s_waitcnt vmcnt(8)
	v_pk_fma_f32 v[170:171], v[246:247], v[244:245], v[170:171] op_sel_hi:[0,1,1] neg_lo:[1,0,0] neg_hi:[1,0,0]
.LBB119_307:
	s_or_b64 exec, exec, s[2:3]
	v_cmp_eq_u32_e32 vcc, 56, v181
	s_waitcnt lgkmcnt(0)
	s_barrier
	s_and_saveexec_b64 s[2:3], vcc
	s_cbranch_execz .LBB119_310
; %bb.308:
	s_waitcnt vmcnt(8)
	v_pk_mov_b32 v[242:243], v[144:145], v[170:171] op_sel:[1,0]
	ds_write_b32 v183, v144
	ds_write2_b32 v185, v242, v243 offset0:57 offset1:58
	ds_write_b32 v185, v171 offset:236
	ds_read_b32 v241, v183
	s_waitcnt lgkmcnt(0)
	v_cmp_neq_f32_e32 vcc, 0, v241
	s_and_b64 exec, exec, vcc
	s_cbranch_execz .LBB119_310
; %bb.309:
	v_div_scale_f32 v242, s[4:5], v241, v241, 1.0
	v_rcp_f32_e32 v243, v242
	v_div_scale_f32 v244, vcc, 1.0, v241, 1.0
	v_fma_f32 v245, -v242, v243, 1.0
	v_fmac_f32_e32 v243, v245, v243
	v_mul_f32_e32 v245, v244, v243
	v_fma_f32 v246, -v242, v245, v244
	v_fmac_f32_e32 v245, v246, v243
	v_fma_f32 v242, -v242, v245, v244
	v_div_fmas_f32 v242, v242, v243, v245
	v_div_fixup_f32 v241, v242, v241, 1.0
	ds_write_b32 v183, v241
.LBB119_310:
	s_or_b64 exec, exec, s[2:3]
	s_waitcnt lgkmcnt(0)
	s_barrier
	ds_read_b32 v241, v183
	v_cmp_lt_u32_e32 vcc, 56, v181
	s_and_saveexec_b64 s[2:3], vcc
	s_cbranch_execz .LBB119_312
; %bb.311:
	ds_read_b32 v244, v185 offset:228
	ds_read_b64 v[242:243], v185 offset:232
	s_waitcnt vmcnt(11) lgkmcnt(2)
	v_mul_f32_e32 v144, v241, v144
	s_waitcnt vmcnt(10) lgkmcnt(1)
	v_fma_f32 v145, -v144, v244, v145
	s_waitcnt vmcnt(8) lgkmcnt(0)
	v_pk_fma_f32 v[170:171], v[144:145], v[242:243], v[170:171] op_sel_hi:[0,1,1] neg_lo:[1,0,0] neg_hi:[1,0,0]
.LBB119_312:
	s_or_b64 exec, exec, s[2:3]
	v_cmp_ne_u32_e32 vcc, 57, v181
	s_waitcnt lgkmcnt(0)
	s_barrier
	s_and_saveexec_b64 s[2:3], vcc
	s_xor_b64 s[2:3], exec, s[2:3]
	s_andn2_saveexec_b64 s[2:3], s[2:3]
	s_cbranch_execz .LBB119_316
; %bb.313:
	s_waitcnt vmcnt(10)
	ds_write_b32 v183, v145
	s_waitcnt vmcnt(8)
	ds_write_b64 v185, v[170:171] offset:232
	ds_read_b32 v242, v183
	s_waitcnt lgkmcnt(0)
	v_cmp_neq_f32_e32 vcc, 0, v242
	s_and_saveexec_b64 s[4:5], vcc
	s_cbranch_execz .LBB119_315
; %bb.314:
	v_div_scale_f32 v243, s[10:11], v242, v242, 1.0
	v_rcp_f32_e32 v244, v243
	v_div_scale_f32 v245, vcc, 1.0, v242, 1.0
	v_fma_f32 v246, -v243, v244, 1.0
	v_fmac_f32_e32 v244, v246, v244
	v_mul_f32_e32 v246, v245, v244
	v_fma_f32 v247, -v243, v246, v245
	v_fmac_f32_e32 v246, v247, v244
	v_fma_f32 v243, -v243, v246, v245
	v_div_fmas_f32 v243, v243, v244, v246
	v_div_fixup_f32 v242, v243, v242, 1.0
	ds_write_b32 v183, v242
.LBB119_315:
	s_or_b64 exec, exec, s[4:5]
.LBB119_316:
	s_or_b64 exec, exec, s[2:3]
	s_waitcnt lgkmcnt(0)
	s_barrier
	ds_read_b32 v242, v183
	v_cmp_lt_u32_e32 vcc, 57, v181
	s_and_saveexec_b64 s[2:3], vcc
	s_cbranch_execz .LBB119_318
; %bb.317:
	ds_read_b64 v[244:245], v185 offset:232
	s_waitcnt vmcnt(10) lgkmcnt(1)
	v_mul_f32_e32 v246, v242, v145
	v_mov_b32_e32 v145, v246
	s_waitcnt vmcnt(8) lgkmcnt(0)
	v_pk_fma_f32 v[170:171], v[246:247], v[244:245], v[170:171] op_sel_hi:[0,1,1] neg_lo:[1,0,0] neg_hi:[1,0,0]
.LBB119_318:
	s_or_b64 exec, exec, s[2:3]
	v_cmp_eq_u32_e32 vcc, 58, v181
	s_waitcnt lgkmcnt(0)
	s_barrier
	s_and_saveexec_b64 s[2:3], vcc
	s_cbranch_execz .LBB119_321
; %bb.319:
	s_waitcnt vmcnt(9)
	ds_write_b32 v183, v170
	s_waitcnt vmcnt(8)
	ds_write_b32 v185, v171 offset:236
	ds_read_b32 v243, v183
	s_waitcnt lgkmcnt(0)
	v_cmp_neq_f32_e32 vcc, 0, v243
	s_and_b64 exec, exec, vcc
	s_cbranch_execz .LBB119_321
; %bb.320:
	v_div_scale_f32 v244, s[4:5], v243, v243, 1.0
	v_rcp_f32_e32 v245, v244
	v_div_scale_f32 v246, vcc, 1.0, v243, 1.0
	v_fma_f32 v247, -v244, v245, 1.0
	v_fmac_f32_e32 v245, v247, v245
	v_mul_f32_e32 v247, v246, v245
	v_fma_f32 v248, -v244, v247, v246
	v_fmac_f32_e32 v247, v248, v245
	v_fma_f32 v244, -v244, v247, v246
	v_div_fmas_f32 v244, v244, v245, v247
	v_div_fixup_f32 v243, v244, v243, 1.0
	ds_write_b32 v183, v243
.LBB119_321:
	s_or_b64 exec, exec, s[2:3]
	s_waitcnt lgkmcnt(0)
	s_barrier
	ds_read_b32 v243, v183
	v_cmp_lt_u32_e32 vcc, 58, v181
	s_and_saveexec_b64 s[2:3], vcc
	s_cbranch_execz .LBB119_323
; %bb.322:
	ds_read_b32 v185, v185 offset:236
	s_waitcnt vmcnt(9) lgkmcnt(1)
	v_mul_f32_e32 v170, v243, v170
	s_waitcnt vmcnt(8) lgkmcnt(0)
	v_fma_f32 v171, -v170, v185, v171
.LBB119_323:
	s_or_b64 exec, exec, s[2:3]
	v_cmp_ne_u32_e32 vcc, 59, v181
	s_waitcnt lgkmcnt(0)
	s_barrier
	s_and_saveexec_b64 s[2:3], vcc
	s_xor_b64 s[2:3], exec, s[2:3]
	s_andn2_saveexec_b64 s[2:3], s[2:3]
	s_cbranch_execz .LBB119_327
; %bb.324:
	s_waitcnt vmcnt(8)
	v_cmp_neq_f32_e32 vcc, 0, v171
	ds_write_b32 v183, v171
	s_and_saveexec_b64 s[4:5], vcc
	s_cbranch_execz .LBB119_326
; %bb.325:
	v_div_scale_f32 v185, s[10:11], v171, v171, 1.0
	v_rcp_f32_e32 v244, v185
	v_div_scale_f32 v245, vcc, 1.0, v171, 1.0
	v_fma_f32 v246, -v185, v244, 1.0
	v_fmac_f32_e32 v244, v246, v244
	v_mul_f32_e32 v246, v245, v244
	v_fma_f32 v247, -v185, v246, v245
	v_fmac_f32_e32 v246, v247, v244
	v_fma_f32 v185, -v185, v246, v245
	v_div_fmas_f32 v185, v185, v244, v246
	v_div_fixup_f32 v185, v185, v171, 1.0
	ds_write_b32 v183, v185
.LBB119_326:
	s_or_b64 exec, exec, s[4:5]
.LBB119_327:
	s_or_b64 exec, exec, s[2:3]
	s_waitcnt lgkmcnt(0)
	s_barrier
	ds_read_b32 v183, v183
	s_waitcnt lgkmcnt(0)
	s_barrier
	s_and_saveexec_b64 s[2:3], s[0:1]
	s_cbranch_execz .LBB119_330
; %bb.328:
	v_cmp_eq_f32_e32 vcc, 0, v184
	v_cmp_neq_f32_e64 s[0:1], 0, v186
	v_mov_b32_e32 v185, s7
	v_cndmask_b32_e64 v184, 0, 1, vcc
	s_or_b64 vcc, s[0:1], vcc
	v_cndmask_b32_e32 v184, 2, v184, vcc
	v_cmp_eq_f32_e32 vcc, 0, v187
	v_cmp_eq_u32_e64 s[0:1], 0, v184
	s_and_b64 s[0:1], vcc, s[0:1]
	v_cmp_eq_f32_e32 vcc, 0, v188
	v_cndmask_b32_e64 v184, v184, 3, s[0:1]
	v_cmp_eq_u32_e64 s[0:1], 0, v184
	s_and_b64 s[0:1], vcc, s[0:1]
	v_cmp_eq_f32_e32 vcc, 0, v189
	v_cndmask_b32_e64 v184, v184, 4, s[0:1]
	v_cmp_eq_u32_e64 s[0:1], 0, v184
	s_and_b64 s[0:1], vcc, s[0:1]
	v_cmp_eq_f32_e32 vcc, 0, v190
	v_cndmask_b32_e64 v184, v184, 5, s[0:1]
	v_cmp_eq_u32_e64 s[0:1], 0, v184
	s_and_b64 s[0:1], vcc, s[0:1]
	v_cmp_eq_f32_e32 vcc, 0, v191
	v_cndmask_b32_e64 v184, v184, 6, s[0:1]
	v_cmp_eq_u32_e64 s[0:1], 0, v184
	s_and_b64 s[0:1], vcc, s[0:1]
	v_cmp_eq_f32_e32 vcc, 0, v192
	v_cndmask_b32_e64 v184, v184, 7, s[0:1]
	v_cmp_eq_u32_e64 s[0:1], 0, v184
	s_and_b64 s[0:1], vcc, s[0:1]
	v_cmp_eq_f32_e32 vcc, 0, v193
	v_cndmask_b32_e64 v184, v184, 8, s[0:1]
	v_cmp_eq_u32_e64 s[0:1], 0, v184
	s_and_b64 s[0:1], vcc, s[0:1]
	v_cmp_eq_f32_e32 vcc, 0, v194
	v_cndmask_b32_e64 v184, v184, 9, s[0:1]
	v_cmp_eq_u32_e64 s[0:1], 0, v184
	s_and_b64 s[0:1], vcc, s[0:1]
	v_cmp_eq_f32_e32 vcc, 0, v195
	v_cndmask_b32_e64 v184, v184, 10, s[0:1]
	v_cmp_eq_u32_e64 s[0:1], 0, v184
	s_and_b64 s[0:1], vcc, s[0:1]
	v_cmp_eq_f32_e32 vcc, 0, v196
	v_cndmask_b32_e64 v184, v184, 11, s[0:1]
	v_cmp_eq_u32_e64 s[0:1], 0, v184
	s_and_b64 s[0:1], vcc, s[0:1]
	v_cmp_eq_f32_e32 vcc, 0, v197
	v_cndmask_b32_e64 v184, v184, 12, s[0:1]
	v_cmp_eq_u32_e64 s[0:1], 0, v184
	s_and_b64 s[0:1], vcc, s[0:1]
	v_cmp_eq_f32_e32 vcc, 0, v198
	v_cndmask_b32_e64 v184, v184, 13, s[0:1]
	v_cmp_eq_u32_e64 s[0:1], 0, v184
	s_and_b64 s[0:1], vcc, s[0:1]
	v_cmp_eq_f32_e32 vcc, 0, v199
	v_cndmask_b32_e64 v184, v184, 14, s[0:1]
	v_cmp_eq_u32_e64 s[0:1], 0, v184
	s_and_b64 s[0:1], vcc, s[0:1]
	v_cmp_eq_f32_e32 vcc, 0, v200
	v_cndmask_b32_e64 v184, v184, 15, s[0:1]
	v_cmp_eq_u32_e64 s[0:1], 0, v184
	s_and_b64 s[0:1], vcc, s[0:1]
	v_cmp_eq_f32_e32 vcc, 0, v201
	v_cndmask_b32_e64 v184, v184, 16, s[0:1]
	v_cmp_eq_u32_e64 s[0:1], 0, v184
	s_and_b64 s[0:1], vcc, s[0:1]
	v_cmp_eq_f32_e32 vcc, 0, v202
	v_cndmask_b32_e64 v184, v184, 17, s[0:1]
	v_cmp_eq_u32_e64 s[0:1], 0, v184
	s_and_b64 s[0:1], vcc, s[0:1]
	v_cmp_eq_f32_e32 vcc, 0, v203
	v_cndmask_b32_e64 v184, v184, 18, s[0:1]
	v_cmp_eq_u32_e64 s[0:1], 0, v184
	s_and_b64 s[0:1], vcc, s[0:1]
	v_cmp_eq_f32_e32 vcc, 0, v204
	v_cndmask_b32_e64 v184, v184, 19, s[0:1]
	v_cmp_eq_u32_e64 s[0:1], 0, v184
	s_and_b64 s[0:1], vcc, s[0:1]
	v_cmp_eq_f32_e32 vcc, 0, v205
	v_cndmask_b32_e64 v184, v184, 20, s[0:1]
	v_cmp_eq_u32_e64 s[0:1], 0, v184
	s_and_b64 s[0:1], vcc, s[0:1]
	v_cmp_eq_f32_e32 vcc, 0, v206
	v_cndmask_b32_e64 v184, v184, 21, s[0:1]
	v_cmp_eq_u32_e64 s[0:1], 0, v184
	s_and_b64 s[0:1], vcc, s[0:1]
	v_cmp_eq_f32_e32 vcc, 0, v207
	v_cndmask_b32_e64 v184, v184, 22, s[0:1]
	v_cmp_eq_u32_e64 s[0:1], 0, v184
	s_and_b64 s[0:1], vcc, s[0:1]
	v_cmp_eq_f32_e32 vcc, 0, v208
	v_cndmask_b32_e64 v184, v184, 23, s[0:1]
	v_cmp_eq_u32_e64 s[0:1], 0, v184
	s_and_b64 s[0:1], vcc, s[0:1]
	v_cmp_eq_f32_e32 vcc, 0, v209
	v_cndmask_b32_e64 v184, v184, 24, s[0:1]
	v_cmp_eq_u32_e64 s[0:1], 0, v184
	s_and_b64 s[0:1], vcc, s[0:1]
	v_cmp_eq_f32_e32 vcc, 0, v210
	v_cndmask_b32_e64 v184, v184, 25, s[0:1]
	v_cmp_eq_u32_e64 s[0:1], 0, v184
	s_and_b64 s[0:1], vcc, s[0:1]
	v_cmp_eq_f32_e32 vcc, 0, v211
	v_cndmask_b32_e64 v184, v184, 26, s[0:1]
	v_cmp_eq_u32_e64 s[0:1], 0, v184
	s_and_b64 s[0:1], vcc, s[0:1]
	v_cmp_eq_f32_e32 vcc, 0, v212
	v_cndmask_b32_e64 v184, v184, 27, s[0:1]
	v_cmp_eq_u32_e64 s[0:1], 0, v184
	s_and_b64 s[0:1], vcc, s[0:1]
	v_cmp_eq_f32_e32 vcc, 0, v213
	v_cndmask_b32_e64 v184, v184, 28, s[0:1]
	v_cmp_eq_u32_e64 s[0:1], 0, v184
	s_and_b64 s[0:1], vcc, s[0:1]
	v_cmp_eq_f32_e32 vcc, 0, v214
	v_cndmask_b32_e64 v184, v184, 29, s[0:1]
	v_cmp_eq_u32_e64 s[0:1], 0, v184
	s_and_b64 s[0:1], vcc, s[0:1]
	v_cmp_eq_f32_e32 vcc, 0, v215
	v_cndmask_b32_e64 v184, v184, 30, s[0:1]
	v_cmp_eq_u32_e64 s[0:1], 0, v184
	s_and_b64 s[0:1], vcc, s[0:1]
	v_cmp_eq_f32_e32 vcc, 0, v216
	v_cndmask_b32_e64 v184, v184, 31, s[0:1]
	v_cmp_eq_u32_e64 s[0:1], 0, v184
	s_and_b64 s[0:1], vcc, s[0:1]
	v_cmp_eq_f32_e32 vcc, 0, v217
	v_cndmask_b32_e64 v184, v184, 32, s[0:1]
	v_cmp_eq_u32_e64 s[0:1], 0, v184
	s_and_b64 s[0:1], vcc, s[0:1]
	v_cmp_eq_f32_e32 vcc, 0, v218
	v_cndmask_b32_e64 v184, v184, 33, s[0:1]
	v_cmp_eq_u32_e64 s[0:1], 0, v184
	s_and_b64 s[0:1], vcc, s[0:1]
	v_cmp_eq_f32_e32 vcc, 0, v219
	v_cndmask_b32_e64 v184, v184, 34, s[0:1]
	v_cmp_eq_u32_e64 s[0:1], 0, v184
	s_and_b64 s[0:1], vcc, s[0:1]
	v_cmp_eq_f32_e32 vcc, 0, v220
	v_cndmask_b32_e64 v184, v184, 35, s[0:1]
	v_cmp_eq_u32_e64 s[0:1], 0, v184
	s_and_b64 s[0:1], vcc, s[0:1]
	v_cmp_eq_f32_e32 vcc, 0, v221
	v_cndmask_b32_e64 v184, v184, 36, s[0:1]
	v_cmp_eq_u32_e64 s[0:1], 0, v184
	s_and_b64 s[0:1], vcc, s[0:1]
	v_cmp_eq_f32_e32 vcc, 0, v222
	v_cndmask_b32_e64 v184, v184, 37, s[0:1]
	v_cmp_eq_u32_e64 s[0:1], 0, v184
	s_and_b64 s[0:1], vcc, s[0:1]
	v_cmp_eq_f32_e32 vcc, 0, v223
	v_cndmask_b32_e64 v184, v184, 38, s[0:1]
	v_cmp_eq_u32_e64 s[0:1], 0, v184
	s_and_b64 s[0:1], vcc, s[0:1]
	v_cmp_eq_f32_e32 vcc, 0, v224
	v_cndmask_b32_e64 v184, v184, 39, s[0:1]
	v_cmp_eq_u32_e64 s[0:1], 0, v184
	s_and_b64 s[0:1], vcc, s[0:1]
	v_cmp_eq_f32_e32 vcc, 0, v225
	v_cndmask_b32_e64 v186, v184, 40, s[0:1]
	v_mov_b32_e32 v184, s6
	v_lshl_add_u64 v[24:25], v[24:25], 2, v[184:185]
	global_load_dword v185, v[24:25], off
	v_cmp_eq_u32_e64 s[0:1], 0, v186
	s_and_b64 s[0:1], vcc, s[0:1]
	v_cmp_eq_f32_e32 vcc, 0, v226
	v_cndmask_b32_e64 v184, v186, 41, s[0:1]
	v_cmp_eq_u32_e64 s[0:1], 0, v184
	s_and_b64 s[0:1], vcc, s[0:1]
	v_cmp_eq_f32_e32 vcc, 0, v227
	v_cndmask_b32_e64 v184, v184, 42, s[0:1]
	;; [unrolled: 4-line block ×19, first 2 shown]
	v_cmp_eq_u32_e64 s[0:1], 0, v184
	s_and_b64 s[0:1], vcc, s[0:1]
	s_waitcnt vmcnt(0)
	v_cmp_eq_u32_e32 vcc, 0, v185
	v_cndmask_b32_e64 v184, v184, 60, s[0:1]
	v_cmp_ne_u32_e64 s[0:1], 0, v184
	s_and_b64 s[0:1], vcc, s[0:1]
	s_and_b64 exec, exec, s[0:1]
	s_cbranch_execz .LBB119_330
; %bb.329:
	v_add_u32_e32 v184, s9, v184
	global_store_dword v[24:25], v184, off
.LBB119_330:
	s_or_b64 exec, exec, s[2:3]
	s_waitcnt vmcnt(8)
	v_mul_f32_e32 v24, v183, v171
	v_cmp_lt_u32_e32 vcc, 59, v181
	s_nop 1
	v_cndmask_b32_e32 v24, v171, v24, vcc
	s_waitcnt vmcnt(1)
	global_store_dword v[0:1], v180, off
	s_waitcnt vmcnt(1)
	global_store_dword v[178:179], v182, off
	global_store_dword v[2:3], v174, off
	;; [unrolled: 1-line block ×59, first 2 shown]
.LBB119_331:
	s_endpgm
	.section	.rodata,"a",@progbits
	.p2align	6, 0x0
	.amdhsa_kernel _ZN9rocsolver6v33100L23getf2_npvt_small_kernelILi60EfiiPfEEvT1_T3_lS3_lPT2_S3_S3_
		.amdhsa_group_segment_fixed_size 0
		.amdhsa_private_segment_fixed_size 0
		.amdhsa_kernarg_size 312
		.amdhsa_user_sgpr_count 2
		.amdhsa_user_sgpr_dispatch_ptr 0
		.amdhsa_user_sgpr_queue_ptr 0
		.amdhsa_user_sgpr_kernarg_segment_ptr 1
		.amdhsa_user_sgpr_dispatch_id 0
		.amdhsa_user_sgpr_kernarg_preload_length 0
		.amdhsa_user_sgpr_kernarg_preload_offset 0
		.amdhsa_user_sgpr_private_segment_size 0
		.amdhsa_uses_dynamic_stack 0
		.amdhsa_enable_private_segment 0
		.amdhsa_system_sgpr_workgroup_id_x 1
		.amdhsa_system_sgpr_workgroup_id_y 1
		.amdhsa_system_sgpr_workgroup_id_z 0
		.amdhsa_system_sgpr_workgroup_info 0
		.amdhsa_system_vgpr_workitem_id 1
		.amdhsa_next_free_vgpr 249
		.amdhsa_next_free_sgpr 16
		.amdhsa_accum_offset 252
		.amdhsa_reserve_vcc 1
		.amdhsa_float_round_mode_32 0
		.amdhsa_float_round_mode_16_64 0
		.amdhsa_float_denorm_mode_32 3
		.amdhsa_float_denorm_mode_16_64 3
		.amdhsa_dx10_clamp 1
		.amdhsa_ieee_mode 1
		.amdhsa_fp16_overflow 0
		.amdhsa_tg_split 0
		.amdhsa_exception_fp_ieee_invalid_op 0
		.amdhsa_exception_fp_denorm_src 0
		.amdhsa_exception_fp_ieee_div_zero 0
		.amdhsa_exception_fp_ieee_overflow 0
		.amdhsa_exception_fp_ieee_underflow 0
		.amdhsa_exception_fp_ieee_inexact 0
		.amdhsa_exception_int_div_zero 0
	.end_amdhsa_kernel
	.section	.text._ZN9rocsolver6v33100L23getf2_npvt_small_kernelILi60EfiiPfEEvT1_T3_lS3_lPT2_S3_S3_,"axG",@progbits,_ZN9rocsolver6v33100L23getf2_npvt_small_kernelILi60EfiiPfEEvT1_T3_lS3_lPT2_S3_S3_,comdat
.Lfunc_end119:
	.size	_ZN9rocsolver6v33100L23getf2_npvt_small_kernelILi60EfiiPfEEvT1_T3_lS3_lPT2_S3_S3_, .Lfunc_end119-_ZN9rocsolver6v33100L23getf2_npvt_small_kernelILi60EfiiPfEEvT1_T3_lS3_lPT2_S3_S3_
                                        ; -- End function
	.set _ZN9rocsolver6v33100L23getf2_npvt_small_kernelILi60EfiiPfEEvT1_T3_lS3_lPT2_S3_S3_.num_vgpr, 249
	.set _ZN9rocsolver6v33100L23getf2_npvt_small_kernelILi60EfiiPfEEvT1_T3_lS3_lPT2_S3_S3_.num_agpr, 0
	.set _ZN9rocsolver6v33100L23getf2_npvt_small_kernelILi60EfiiPfEEvT1_T3_lS3_lPT2_S3_S3_.numbered_sgpr, 16
	.set _ZN9rocsolver6v33100L23getf2_npvt_small_kernelILi60EfiiPfEEvT1_T3_lS3_lPT2_S3_S3_.num_named_barrier, 0
	.set _ZN9rocsolver6v33100L23getf2_npvt_small_kernelILi60EfiiPfEEvT1_T3_lS3_lPT2_S3_S3_.private_seg_size, 0
	.set _ZN9rocsolver6v33100L23getf2_npvt_small_kernelILi60EfiiPfEEvT1_T3_lS3_lPT2_S3_S3_.uses_vcc, 1
	.set _ZN9rocsolver6v33100L23getf2_npvt_small_kernelILi60EfiiPfEEvT1_T3_lS3_lPT2_S3_S3_.uses_flat_scratch, 0
	.set _ZN9rocsolver6v33100L23getf2_npvt_small_kernelILi60EfiiPfEEvT1_T3_lS3_lPT2_S3_S3_.has_dyn_sized_stack, 0
	.set _ZN9rocsolver6v33100L23getf2_npvt_small_kernelILi60EfiiPfEEvT1_T3_lS3_lPT2_S3_S3_.has_recursion, 0
	.set _ZN9rocsolver6v33100L23getf2_npvt_small_kernelILi60EfiiPfEEvT1_T3_lS3_lPT2_S3_S3_.has_indirect_call, 0
	.section	.AMDGPU.csdata,"",@progbits
; Kernel info:
; codeLenInByte = 42156
; TotalNumSgprs: 22
; NumVgprs: 249
; NumAgprs: 0
; TotalNumVgprs: 249
; ScratchSize: 0
; MemoryBound: 0
; FloatMode: 240
; IeeeMode: 1
; LDSByteSize: 0 bytes/workgroup (compile time only)
; SGPRBlocks: 2
; VGPRBlocks: 31
; NumSGPRsForWavesPerEU: 22
; NumVGPRsForWavesPerEU: 249
; AccumOffset: 252
; Occupancy: 2
; WaveLimiterHint : 0
; COMPUTE_PGM_RSRC2:SCRATCH_EN: 0
; COMPUTE_PGM_RSRC2:USER_SGPR: 2
; COMPUTE_PGM_RSRC2:TRAP_HANDLER: 0
; COMPUTE_PGM_RSRC2:TGID_X_EN: 1
; COMPUTE_PGM_RSRC2:TGID_Y_EN: 1
; COMPUTE_PGM_RSRC2:TGID_Z_EN: 0
; COMPUTE_PGM_RSRC2:TIDIG_COMP_CNT: 1
; COMPUTE_PGM_RSRC3_GFX90A:ACCUM_OFFSET: 62
; COMPUTE_PGM_RSRC3_GFX90A:TG_SPLIT: 0
	.section	.text._ZN9rocsolver6v33100L18getf2_small_kernelILi61EfiiPfEEvT1_T3_lS3_lPS3_llPT2_S3_S3_S5_l,"axG",@progbits,_ZN9rocsolver6v33100L18getf2_small_kernelILi61EfiiPfEEvT1_T3_lS3_lPS3_llPT2_S3_S3_S5_l,comdat
	.globl	_ZN9rocsolver6v33100L18getf2_small_kernelILi61EfiiPfEEvT1_T3_lS3_lPS3_llPT2_S3_S3_S5_l ; -- Begin function _ZN9rocsolver6v33100L18getf2_small_kernelILi61EfiiPfEEvT1_T3_lS3_lPS3_llPT2_S3_S3_S5_l
	.p2align	8
	.type	_ZN9rocsolver6v33100L18getf2_small_kernelILi61EfiiPfEEvT1_T3_lS3_lPS3_llPT2_S3_S3_S5_l,@function
_ZN9rocsolver6v33100L18getf2_small_kernelILi61EfiiPfEEvT1_T3_lS3_lPS3_llPT2_S3_S3_S5_l: ; @_ZN9rocsolver6v33100L18getf2_small_kernelILi61EfiiPfEEvT1_T3_lS3_lPS3_llPT2_S3_S3_S5_l
; %bb.0:
	s_load_dword s2, s[0:1], 0x6c
	s_load_dwordx2 s[18:19], s[0:1], 0x48
	v_bfe_u32 v67, v0, 10, 10
	s_waitcnt lgkmcnt(0)
	s_lshr_b32 s2, s2, 16
	s_mul_i32 s3, s3, s2
	v_add_u32_e32 v2, s3, v67
	v_cmp_gt_i32_e32 vcc, s18, v2
	s_and_saveexec_b64 s[2:3], vcc
	s_cbranch_execz .LBB120_1034
; %bb.1:
	s_load_dwordx4 s[4:7], s[0:1], 0x50
	v_ashrrev_i32_e32 v3, 31, v2
	v_mov_b64_e32 v[4:5], 0
	s_waitcnt lgkmcnt(0)
	s_cmp_eq_u64 s[4:5], 0
	s_cselect_b64 s[20:21], -1, 0
	s_and_b64 vcc, exec, s[20:21]
	s_cbranch_vccnz .LBB120_3
; %bb.2:
	v_mul_lo_u32 v1, s7, v2
	v_mul_lo_u32 v6, s6, v3
	v_mad_u64_u32 v[4:5], s[2:3], s6, v2, 0
	v_add3_u32 v5, v5, v6, v1
	v_lshl_add_u64 v[4:5], v[4:5], 2, s[4:5]
.LBB120_3:
	s_load_dwordx4 s[12:15], s[0:1], 0x8
	s_load_dwordx8 s[4:11], s[0:1], 0x20
	s_load_dword s16, s[0:1], 0x18
	s_load_dword s22, s[0:1], 0x0
	v_and_b32_e32 v72, 0x3ff, v0
	s_waitcnt lgkmcnt(0)
	v_mov_b32_e32 v6, s12
	v_mul_lo_u32 v1, s5, v2
	v_mul_lo_u32 v10, s4, v3
	v_mad_u64_u32 v[8:9], s[2:3], s4, v2, 0
	v_mov_b32_e32 v7, s13
	v_add3_u32 v9, v9, v10, v1
	s_add_i32 s18, s16, s16
	v_lshl_add_u64 v[6:7], v[8:9], 2, v[6:7]
	v_add_u32_e32 v8, s18, v72
	v_lshl_add_u64 v[6:7], s[14:15], 2, v[6:7]
	v_ashrrev_i32_e32 v9, 31, v8
	v_lshl_add_u64 v[10:11], v[8:9], 2, v[6:7]
	v_add_u32_e32 v8, s16, v8
	v_ashrrev_i32_e32 v9, 31, v8
	v_lshl_add_u64 v[12:13], v[8:9], 2, v[6:7]
	v_add_u32_e32 v8, s16, v8
	v_ashrrev_i32_e32 v9, 31, v8
	v_lshl_add_u64 v[14:15], v[8:9], 2, v[6:7]
	v_add_u32_e32 v8, s16, v8
	v_ashrrev_i32_e32 v9, 31, v8
	v_lshlrev_b32_e32 v68, 2, v72
	v_mov_b32_e32 v69, 0
	v_lshl_add_u64 v[16:17], v[8:9], 2, v[6:7]
	v_add_u32_e32 v8, s16, v8
	v_lshl_add_u64 v[62:63], v[6:7], 0, v[68:69]
	s_ashr_i32 s17, s16, 31
	v_add_u32_e32 v64, s16, v8
	v_lshl_add_u64 v[0:1], s[16:17], 2, v[62:63]
	v_ashrrev_i32_e32 v9, 31, v8
	v_add_u32_e32 v70, s16, v64
	v_lshl_add_u64 v[18:19], v[8:9], 2, v[6:7]
	global_load_dword v58, v[0:1], off
	global_load_dword v59, v[10:11], off
	;; [unrolled: 1-line block ×6, first 2 shown]
	v_add_u32_e32 v0, s16, v70
	v_ashrrev_i32_e32 v1, 31, v0
	v_lshl_add_u64 v[8:9], v[0:1], 2, v[6:7]
	v_add_u32_e32 v0, s16, v0
	v_ashrrev_i32_e32 v1, 31, v0
	v_lshl_add_u64 v[10:11], v[0:1], 2, v[6:7]
	;; [unrolled: 3-line block ×3, first 2 shown]
	v_add_u32_e32 v0, s16, v0
	v_add_u32_e32 v74, s16, v0
	v_add_u32_e32 v76, s16, v74
	v_add_u32_e32 v78, s16, v76
	v_ashrrev_i32_e32 v1, 31, v0
	v_add_u32_e32 v60, s16, v78
	v_lshl_add_u64 v[14:15], v[0:1], 2, v[6:7]
	v_add_u32_e32 v0, s16, v60
	v_ashrrev_i32_e32 v1, 31, v0
	global_load_dword v54, v[8:9], off
	global_load_dword v55, v[10:11], off
	global_load_dword v50, v[12:13], off
	global_load_dword v51, v[14:15], off
	v_lshl_add_u64 v[8:9], v[0:1], 2, v[6:7]
	v_add_u32_e32 v0, s16, v0
	v_ashrrev_i32_e32 v1, 31, v0
	v_lshl_add_u64 v[10:11], v[0:1], 2, v[6:7]
	v_add_u32_e32 v0, s16, v0
	v_ashrrev_i32_e32 v1, 31, v0
	;; [unrolled: 3-line block ×7, first 2 shown]
	global_load_dword v48, v[8:9], off
	global_load_dword v49, v[10:11], off
	global_load_dword v44, v[12:13], off
	global_load_dword v45, v[14:15], off
	global_load_dword v38, v[16:17], off
	global_load_dword v39, v[18:19], off
	global_load_dword v30, v[20:21], off
	v_lshl_add_u64 v[8:9], v[0:1], 2, v[6:7]
	v_add_u32_e32 v0, s16, v0
	v_ashrrev_i32_e32 v1, 31, v0
	v_lshl_add_u64 v[10:11], v[0:1], 2, v[6:7]
	v_add_u32_e32 v0, s16, v0
	v_ashrrev_i32_e32 v1, 31, v0
	v_lshl_add_u64 v[12:13], v[0:1], 2, v[6:7]
	v_add_u32_e32 v0, s16, v0
	v_ashrrev_i32_e32 v1, 31, v0
	v_lshl_add_u64 v[14:15], v[0:1], 2, v[6:7]
	v_add_u32_e32 v0, s16, v0
	v_ashrrev_i32_e32 v1, 31, v0
	v_lshl_add_u64 v[16:17], v[0:1], 2, v[6:7]
	v_add_u32_e32 v0, s16, v0
	v_ashrrev_i32_e32 v1, 31, v0
	v_lshl_add_u64 v[18:19], v[0:1], 2, v[6:7]
	v_add_u32_e32 v0, s16, v0
	v_ashrrev_i32_e32 v1, 31, v0
	v_lshl_add_u64 v[20:21], v[0:1], 2, v[6:7]
	v_add_u32_e32 v0, s16, v0
	v_ashrrev_i32_e32 v1, 31, v0
	v_lshl_add_u64 v[22:23], v[0:1], 2, v[6:7]
	v_add_u32_e32 v0, s16, v0
	v_ashrrev_i32_e32 v1, 31, v0
	global_load_dword v31, v[8:9], off
	global_load_dword v46, v[10:11], off
	global_load_dword v47, v[12:13], off
	global_load_dword v40, v[14:15], off
	global_load_dword v41, v[16:17], off
	global_load_dword v32, v[18:19], off
	global_load_dword v33, v[20:21], off
	global_load_dword v24, v[22:23], off
	v_lshl_add_u64 v[8:9], v[0:1], 2, v[6:7]
	v_add_u32_e32 v0, s16, v0
	v_ashrrev_i32_e32 v1, 31, v0
	v_lshl_add_u64 v[10:11], v[0:1], 2, v[6:7]
	v_add_u32_e32 v0, s16, v0
	v_ashrrev_i32_e32 v1, 31, v0
	v_lshl_add_u64 v[12:13], v[0:1], 2, v[6:7]
	v_add_u32_e32 v0, s16, v0
	v_ashrrev_i32_e32 v1, 31, v0
	v_lshl_add_u64 v[14:15], v[0:1], 2, v[6:7]
	v_add_u32_e32 v0, s16, v0
	v_ashrrev_i32_e32 v1, 31, v0
	v_lshl_add_u64 v[16:17], v[0:1], 2, v[6:7]
	v_add_u32_e32 v0, s16, v0
	v_ashrrev_i32_e32 v1, 31, v0
	v_lshl_add_u64 v[20:21], v[0:1], 2, v[6:7]
	v_add_u32_e32 v0, s16, v0
	v_ashrrev_i32_e32 v1, 31, v0
	v_lshl_add_u64 v[22:23], v[0:1], 2, v[6:7]
	v_add_u32_e32 v0, s16, v0
	v_ashrrev_i32_e32 v1, 31, v0
	v_lshl_add_u64 v[28:29], v[0:1], 2, v[6:7]
	v_add_u32_e32 v0, s16, v0
	v_ashrrev_i32_e32 v1, 31, v0
	global_load_dword v25, v[8:9], off
	;; [unrolled: 32-line block ×3, first 2 shown]
	global_load_dword v36, v[12:13], off
	global_load_dword v37, v[14:15], off
	;; [unrolled: 1-line block ×7, first 2 shown]
	v_lshl_add_u64 v[8:9], v[0:1], 2, v[6:7]
	v_add_u32_e32 v0, s16, v0
	v_ashrrev_i32_e32 v1, 31, v0
	v_lshl_add_u64 v[12:13], v[0:1], 2, v[6:7]
	v_add_u32_e32 v0, s16, v0
	v_ashrrev_i32_e32 v1, 31, v0
	;; [unrolled: 3-line block ×5, first 2 shown]
	global_load_dword v11, v[8:9], off
	global_load_dword v22, v[12:13], off
	;; [unrolled: 1-line block ×5, first 2 shown]
	v_lshl_add_u64 v[12:13], v[0:1], 2, v[6:7]
	v_add_u32_e32 v0, s16, v0
	v_ashrrev_i32_e32 v1, 31, v0
	v_lshl_add_u64 v[80:81], v[0:1], 2, v[6:7]
	v_add_u32_e32 v0, s16, v0
	v_ashrrev_i32_e32 v1, 31, v0
	;; [unrolled: 3-line block ×3, first 2 shown]
	global_load_dword v16, v[12:13], off
	global_load_dword v17, v[80:81], off
	;; [unrolled: 1-line block ×3, first 2 shown]
	v_lshl_add_u64 v[12:13], v[0:1], 2, v[6:7]
	global_load_dword v9, v[12:13], off
	v_add_u32_e32 v12, s16, v0
	v_ashrrev_i32_e32 v13, 31, v12
	v_lshl_add_u64 v[0:1], v[12:13], 2, v[6:7]
	v_add_u32_e32 v12, s16, v12
	v_ashrrev_i32_e32 v13, 31, v12
	v_lshl_add_u64 v[80:81], v[12:13], 2, v[6:7]
	v_add_u32_e32 v12, s16, v12
	v_ashrrev_i32_e32 v13, 31, v12
	global_load_dword v0, v[0:1], off
	v_ashrrev_i32_e32 v61, 31, v60
	global_load_dword v1, v[80:81], off
	v_lshl_add_u64 v[80:81], v[12:13], 2, v[6:7]
	v_add_u32_e32 v12, s16, v12
	v_ashrrev_i32_e32 v13, 31, v12
	v_ashrrev_i32_e32 v65, 31, v64
	v_lshl_add_u64 v[82:83], v[12:13], 2, v[6:7]
	global_load_dword v12, v[80:81], off
	global_load_dword v13, v[82:83], off
	v_lshl_add_u64 v[60:61], v[60:61], 2, v[6:7]
	v_lshl_add_u64 v[80:81], v[64:65], 2, v[6:7]
	global_load_dword v61, v[60:61], off
	s_nop 0
	global_load_dword v64, v[80:81], off
	global_load_dword v66, v[62:63], off
	v_ashrrev_i32_e32 v75, 31, v74
	v_lshl_add_u64 v[74:75], v[74:75], 2, v[6:7]
	v_ashrrev_i32_e32 v77, 31, v76
	v_ashrrev_i32_e32 v79, 31, v78
	;; [unrolled: 1-line block ×3, first 2 shown]
	v_lshl_add_u64 v[76:77], v[76:77], 2, v[6:7]
	v_lshl_add_u64 v[78:79], v[78:79], 2, v[6:7]
	;; [unrolled: 1-line block ×3, first 2 shown]
	global_load_dword v62, v[74:75], off
	global_load_dword v63, v[76:77], off
	;; [unrolled: 1-line block ×4, first 2 shown]
	s_max_i32 s2, s22, 61
	v_mul_lo_u32 v70, s2, v67
	v_lshl_add_u32 v67, v70, 2, 0
	v_add_u32_e32 v68, v67, v68
	s_load_dwordx2 s[4:5], s[0:1], 0x40
	s_cmp_lt_i32 s22, 2
	v_lshlrev_b32_e32 v70, 2, v70
	s_waitcnt vmcnt(4)
	ds_write_b32 v68, v66
	s_waitcnt lgkmcnt(0)
	s_barrier
	ds_read_b32 v68, v67
	s_cbranch_scc1 .LBB120_6
; %bb.4:
	v_add3_u32 v71, v70, 0, 4
	v_mov_b32_e32 v69, 0
	s_mov_b32 s0, 1
.LBB120_5:                              ; =>This Inner Loop Header: Depth=1
	ds_read_b32 v73, v71
	v_mov_b32_e32 v74, s0
	s_add_i32 s0, s0, 1
	v_add_u32_e32 v71, 4, v71
	s_cmp_eq_u32 s22, s0
	s_waitcnt lgkmcnt(0)
	v_cmp_lt_f32_e64 vcc, |v68|, |v73|
	s_nop 1
	v_cndmask_b32_e32 v68, v68, v73, vcc
	v_cndmask_b32_e32 v69, v69, v74, vcc
	s_cbranch_scc0 .LBB120_5
.LBB120_6:
	v_cmp_ne_u32_e32 vcc, v72, v69
                                        ; implicit-def: $vgpr71
	s_and_saveexec_b64 s[0:1], vcc
	s_xor_b64 s[0:1], exec, s[0:1]
	s_cbranch_execz .LBB120_12
; %bb.7:
	v_cmp_eq_u32_e32 vcc, 0, v72
	s_and_saveexec_b64 s[2:3], vcc
	s_cbranch_execz .LBB120_11
; %bb.8:
	v_cmp_ne_u32_e32 vcc, 0, v69
	s_xor_b64 s[12:13], s[20:21], -1
	s_and_b64 s[14:15], s[12:13], vcc
	s_and_saveexec_b64 s[12:13], s[14:15]
	s_cbranch_execz .LBB120_10
; %bb.9:
	v_ashrrev_i32_e32 v73, 31, v69
	v_mov_b32_e32 v72, v69
	v_lshl_add_u64 v[72:73], v[72:73], 2, v[4:5]
	global_load_dword v71, v[72:73], off
	global_load_dword v74, v[4:5], off
	s_waitcnt vmcnt(1)
	global_store_dword v[4:5], v71, off
	s_waitcnt vmcnt(1)
	global_store_dword v[72:73], v74, off
.LBB120_10:
	s_or_b64 exec, exec, s[12:13]
	v_mov_b32_e32 v72, v69
.LBB120_11:
	s_or_b64 exec, exec, s[2:3]
	v_mov_b32_e32 v71, v72
                                        ; implicit-def: $vgpr72
.LBB120_12:
	s_or_saveexec_b64 s[0:1], s[0:1]
	v_mov_b32_e32 v69, v71
	s_xor_b64 exec, exec, s[0:1]
	s_cbranch_execz .LBB120_14
; %bb.13:
	v_mov_b32_e32 v71, 0
	v_mov_b32_e32 v69, v72
	ds_write2_b32 v67, v58, v59 offset0:1 offset1:2
	ds_write2_b32 v67, v56, v57 offset0:3 offset1:4
	;; [unrolled: 1-line block ×3, first 2 shown]
	s_waitcnt vmcnt(0)
	ds_write2_b32 v67, v64, v65 offset0:7 offset1:8
	ds_write2_b32 v67, v54, v55 offset0:9 offset1:10
	;; [unrolled: 1-line block ×27, first 2 shown]
.LBB120_14:
	s_or_b64 exec, exec, s[0:1]
	s_waitcnt lgkmcnt(0)
	v_cmp_eq_f32_e64 s[0:1], 0, v68
	v_cmp_lt_i32_e32 vcc, 0, v71
	s_barrier
	s_and_saveexec_b64 s[2:3], vcc
	s_cbranch_execz .LBB120_16
; %bb.15:
	v_div_scale_f32 v72, s[12:13], v68, v68, 1.0
	v_rcp_f32_e32 v73, v72
	s_nop 0
	v_fma_f32 v74, -v72, v73, 1.0
	v_fmac_f32_e32 v73, v74, v73
	v_div_scale_f32 v74, vcc, 1.0, v68, 1.0
	v_mul_f32_e32 v75, v74, v73
	v_fma_f32 v76, -v72, v75, v74
	v_fmac_f32_e32 v75, v76, v73
	v_fma_f32 v72, -v72, v75, v74
	v_div_fmas_f32 v72, v72, v73, v75
	v_div_fixup_f32 v72, v72, v68, 1.0
	v_cndmask_b32_e64 v68, v72, v68, s[0:1]
	ds_read2_b32 v[72:73], v67 offset0:1 offset1:2
	v_mul_f32_e32 v66, v68, v66
	s_waitcnt lgkmcnt(0)
	v_pk_fma_f32 v[58:59], v[66:67], v[72:73], v[58:59] op_sel_hi:[0,1,1] neg_lo:[1,0,0] neg_hi:[1,0,0]
	ds_read2_b32 v[72:73], v67 offset0:3 offset1:4
	s_waitcnt lgkmcnt(0)
	v_pk_fma_f32 v[56:57], v[66:67], v[72:73], v[56:57] op_sel_hi:[0,1,1] neg_lo:[1,0,0] neg_hi:[1,0,0]
	ds_read2_b32 v[72:73], v67 offset0:5 offset1:6
	;; [unrolled: 3-line block ×3, first 2 shown]
	s_waitcnt vmcnt(0) lgkmcnt(0)
	v_pk_fma_f32 v[64:65], v[66:67], v[72:73], v[64:65] op_sel_hi:[0,1,1] neg_lo:[1,0,0] neg_hi:[1,0,0]
	ds_read2_b32 v[72:73], v67 offset0:9 offset1:10
	s_waitcnt lgkmcnt(0)
	v_pk_fma_f32 v[54:55], v[66:67], v[72:73], v[54:55] op_sel_hi:[0,1,1] neg_lo:[1,0,0] neg_hi:[1,0,0]
	ds_read2_b32 v[72:73], v67 offset0:11 offset1:12
	s_waitcnt lgkmcnt(0)
	;; [unrolled: 3-line block ×26, first 2 shown]
	v_pk_fma_f32 v[12:13], v[66:67], v[72:73], v[12:13] op_sel_hi:[0,1,1] neg_lo:[1,0,0] neg_hi:[1,0,0]
.LBB120_16:
	s_or_b64 exec, exec, s[2:3]
	v_lshl_add_u32 v68, v71, 2, v67
	s_barrier
	ds_write_b32 v68, v58
	s_waitcnt lgkmcnt(0)
	s_barrier
	ds_read_b32 v72, v67 offset:4
	s_mov_b32 s2, 2
	s_cmp_lt_i32 s22, 3
	v_mov_b32_e32 v68, 1
	s_cbranch_scc1 .LBB120_19
; %bb.17:
	v_add3_u32 v73, v70, 0, 8
	v_mov_b32_e32 v68, 1
.LBB120_18:                             ; =>This Inner Loop Header: Depth=1
	ds_read_b32 v74, v73
	v_mov_b32_e32 v75, s2
	s_add_i32 s2, s2, 1
	v_add_u32_e32 v73, 4, v73
	s_cmp_lg_u32 s22, s2
	s_waitcnt lgkmcnt(0)
	v_cmp_lt_f32_e64 vcc, |v72|, |v74|
	s_nop 1
	v_cndmask_b32_e32 v72, v72, v74, vcc
	v_cndmask_b32_e32 v68, v68, v75, vcc
	s_cbranch_scc1 .LBB120_18
.LBB120_19:
	v_cmp_ne_u32_e32 vcc, v71, v68
	s_and_saveexec_b64 s[2:3], vcc
	s_xor_b64 s[2:3], exec, s[2:3]
	s_cbranch_execz .LBB120_25
; %bb.20:
	v_cmp_eq_u32_e32 vcc, 1, v71
	s_and_saveexec_b64 s[12:13], vcc
	s_cbranch_execz .LBB120_24
; %bb.21:
	v_cmp_ne_u32_e32 vcc, 1, v68
	s_xor_b64 s[14:15], s[20:21], -1
	s_and_b64 s[24:25], s[14:15], vcc
	s_and_saveexec_b64 s[14:15], s[24:25]
	s_cbranch_execz .LBB120_23
; %bb.22:
	v_ashrrev_i32_e32 v69, 31, v68
	v_lshl_add_u64 v[74:75], v[68:69], 2, v[4:5]
	global_load_dword v69, v[74:75], off
	global_load_dword v71, v[4:5], off offset:4
	s_waitcnt vmcnt(1)
	global_store_dword v[4:5], v69, off offset:4
	s_waitcnt vmcnt(1)
	global_store_dword v[74:75], v71, off
.LBB120_23:
	s_or_b64 exec, exec, s[14:15]
	v_mov_b32_e32 v69, v68
	v_mov_b32_e32 v71, v68
.LBB120_24:
	s_or_b64 exec, exec, s[12:13]
.LBB120_25:
	s_andn2_saveexec_b64 s[2:3], s[2:3]
	s_cbranch_execz .LBB120_27
; %bb.26:
	v_pk_mov_b32 v[74:75], v[58:59], v[56:57] op_sel:[1,0]
	ds_write2_b32 v67, v74, v75 offset0:2 offset1:3
	v_pk_mov_b32 v[74:75], v[56:57], v[52:53] op_sel:[1,0]
	ds_write2_b32 v67, v74, v75 offset0:4 offset1:5
	s_waitcnt vmcnt(0)
	v_pk_mov_b32 v[74:75], v[52:53], v[64:65] op_sel:[1,0]
	ds_write2_b32 v67, v74, v75 offset0:6 offset1:7
	v_pk_mov_b32 v[74:75], v[64:65], v[54:55] op_sel:[1,0]
	ds_write2_b32 v67, v74, v75 offset0:8 offset1:9
	;; [unrolled: 2-line block ×26, first 2 shown]
	v_pk_mov_b32 v[74:75], v[0:1], v[12:13] op_sel:[1,0]
	v_mov_b32_e32 v71, 1
	ds_write2_b32 v67, v74, v75 offset0:58 offset1:59
	ds_write_b32 v67, v13 offset:240
.LBB120_27:
	s_or_b64 exec, exec, s[2:3]
	s_waitcnt lgkmcnt(0)
	v_cmp_neq_f32_e64 s[2:3], 0, v72
	v_cmp_lt_i32_e32 vcc, 1, v71
	s_barrier
	s_and_saveexec_b64 s[12:13], vcc
	s_cbranch_execz .LBB120_29
; %bb.28:
	v_div_scale_f32 v68, s[14:15], v72, v72, 1.0
	v_rcp_f32_e32 v73, v68
	s_nop 0
	v_fma_f32 v74, -v68, v73, 1.0
	v_fmac_f32_e32 v73, v74, v73
	v_div_scale_f32 v74, vcc, 1.0, v72, 1.0
	v_mul_f32_e32 v75, v74, v73
	v_fma_f32 v76, -v68, v75, v74
	v_fmac_f32_e32 v75, v76, v73
	v_fma_f32 v68, -v68, v75, v74
	v_div_fmas_f32 v68, v68, v73, v75
	v_div_fixup_f32 v68, v68, v72, 1.0
	v_cndmask_b32_e64 v68, v72, v68, s[2:3]
	v_mul_f32_e32 v58, v68, v58
	ds_read_b32 v68, v67 offset:8
	ds_read2_b32 v[72:73], v67 offset0:3 offset1:4
	s_waitcnt lgkmcnt(1)
	v_fma_f32 v59, -v58, v68, v59
	s_waitcnt lgkmcnt(0)
	v_pk_fma_f32 v[56:57], v[58:59], v[72:73], v[56:57] op_sel_hi:[0,1,1] neg_lo:[1,0,0] neg_hi:[1,0,0]
	ds_read2_b32 v[72:73], v67 offset0:5 offset1:6
	s_waitcnt lgkmcnt(0)
	v_pk_fma_f32 v[52:53], v[58:59], v[72:73], v[52:53] op_sel_hi:[0,1,1] neg_lo:[1,0,0] neg_hi:[1,0,0]
	ds_read2_b32 v[72:73], v67 offset0:7 offset1:8
	s_waitcnt vmcnt(0) lgkmcnt(0)
	v_pk_fma_f32 v[64:65], v[58:59], v[72:73], v[64:65] op_sel_hi:[0,1,1] neg_lo:[1,0,0] neg_hi:[1,0,0]
	ds_read2_b32 v[72:73], v67 offset0:9 offset1:10
	s_waitcnt lgkmcnt(0)
	v_pk_fma_f32 v[54:55], v[58:59], v[72:73], v[54:55] op_sel_hi:[0,1,1] neg_lo:[1,0,0] neg_hi:[1,0,0]
	ds_read2_b32 v[72:73], v67 offset0:11 offset1:12
	s_waitcnt lgkmcnt(0)
	;; [unrolled: 3-line block ×26, first 2 shown]
	v_pk_fma_f32 v[12:13], v[58:59], v[72:73], v[12:13] op_sel_hi:[0,1,1] neg_lo:[1,0,0] neg_hi:[1,0,0]
.LBB120_29:
	s_or_b64 exec, exec, s[12:13]
	v_lshl_add_u32 v68, v71, 2, v67
	s_barrier
	ds_write_b32 v68, v59
	s_waitcnt lgkmcnt(0)
	s_barrier
	ds_read_b32 v73, v67 offset:8
	s_cmp_lt_i32 s22, 4
	v_mov_b32_e32 v68, 2
	s_cbranch_scc1 .LBB120_32
; %bb.30:
	v_mov_b32_e32 v68, 2
	v_add3_u32 v72, v70, 0, 12
	s_mov_b32 s12, 3
.LBB120_31:                             ; =>This Inner Loop Header: Depth=1
	ds_read_b32 v74, v72
	v_mov_b32_e32 v75, s12
	s_add_i32 s12, s12, 1
	v_add_u32_e32 v72, 4, v72
	s_cmp_lg_u32 s22, s12
	s_waitcnt lgkmcnt(0)
	v_cmp_lt_f32_e64 vcc, |v73|, |v74|
	s_nop 1
	v_cndmask_b32_e32 v73, v73, v74, vcc
	v_cndmask_b32_e32 v68, v68, v75, vcc
	s_cbranch_scc1 .LBB120_31
.LBB120_32:
	v_cndmask_b32_e64 v72, 2, 1, s[0:1]
	v_cndmask_b32_e64 v74, 0, 1, s[0:1]
	;; [unrolled: 1-line block ×3, first 2 shown]
	s_waitcnt lgkmcnt(0)
	v_cmp_eq_f32_e32 vcc, 0, v73
	s_and_saveexec_b64 s[0:1], vcc
	s_xor_b64 s[0:1], exec, s[0:1]
; %bb.33:
	v_cmp_ne_u32_e32 vcc, 0, v72
	s_nop 1
	v_cndmask_b32_e32 v72, 3, v72, vcc
; %bb.34:
	s_andn2_saveexec_b64 s[0:1], s[0:1]
	s_cbranch_execz .LBB120_36
; %bb.35:
	v_div_scale_f32 v74, s[2:3], v73, v73, 1.0
	v_rcp_f32_e32 v75, v74
	v_div_scale_f32 v76, vcc, 1.0, v73, 1.0
	v_fma_f32 v77, -v74, v75, 1.0
	v_fmac_f32_e32 v75, v77, v75
	v_mul_f32_e32 v77, v76, v75
	v_fma_f32 v78, -v74, v77, v76
	v_fmac_f32_e32 v77, v78, v75
	v_fma_f32 v74, -v74, v77, v76
	v_div_fmas_f32 v74, v74, v75, v77
	v_div_fixup_f32 v73, v74, v73, 1.0
.LBB120_36:
	s_or_b64 exec, exec, s[0:1]
	v_cmp_ne_u32_e32 vcc, v71, v68
	s_and_saveexec_b64 s[0:1], vcc
	s_xor_b64 s[0:1], exec, s[0:1]
	s_cbranch_execz .LBB120_42
; %bb.37:
	v_cmp_eq_u32_e32 vcc, 2, v71
	s_and_saveexec_b64 s[2:3], vcc
	s_cbranch_execz .LBB120_41
; %bb.38:
	v_cmp_ne_u32_e32 vcc, 2, v68
	s_xor_b64 s[12:13], s[20:21], -1
	s_and_b64 s[14:15], s[12:13], vcc
	s_and_saveexec_b64 s[12:13], s[14:15]
	s_cbranch_execz .LBB120_40
; %bb.39:
	v_ashrrev_i32_e32 v69, 31, v68
	v_lshl_add_u64 v[74:75], v[68:69], 2, v[4:5]
	global_load_dword v69, v[74:75], off
	global_load_dword v71, v[4:5], off offset:8
	s_waitcnt vmcnt(1)
	global_store_dword v[4:5], v69, off offset:8
	s_waitcnt vmcnt(1)
	global_store_dword v[74:75], v71, off
.LBB120_40:
	s_or_b64 exec, exec, s[12:13]
	v_mov_b32_e32 v69, v68
	v_mov_b32_e32 v71, v68
.LBB120_41:
	s_or_b64 exec, exec, s[2:3]
.LBB120_42:
	s_andn2_saveexec_b64 s[0:1], s[0:1]
	s_cbranch_execz .LBB120_44
; %bb.43:
	v_mov_b32_e32 v71, 2
	ds_write2_b32 v67, v56, v57 offset0:3 offset1:4
	ds_write2_b32 v67, v52, v53 offset0:5 offset1:6
	s_waitcnt vmcnt(0)
	ds_write2_b32 v67, v64, v65 offset0:7 offset1:8
	ds_write2_b32 v67, v54, v55 offset0:9 offset1:10
	;; [unrolled: 1-line block ×27, first 2 shown]
.LBB120_44:
	s_or_b64 exec, exec, s[0:1]
	v_cmp_lt_i32_e32 vcc, 2, v71
	s_waitcnt lgkmcnt(0)
	s_barrier
	s_and_saveexec_b64 s[0:1], vcc
	s_cbranch_execz .LBB120_46
; %bb.45:
	ds_read2_b32 v[74:75], v67 offset0:3 offset1:4
	v_mul_f32_e32 v68, v73, v59
	v_mov_b32_e32 v59, v68
	s_waitcnt lgkmcnt(0)
	v_pk_fma_f32 v[56:57], v[68:69], v[74:75], v[56:57] op_sel_hi:[0,1,1] neg_lo:[1,0,0] neg_hi:[1,0,0]
	ds_read2_b32 v[74:75], v67 offset0:5 offset1:6
	s_waitcnt lgkmcnt(0)
	v_pk_fma_f32 v[52:53], v[68:69], v[74:75], v[52:53] op_sel_hi:[0,1,1] neg_lo:[1,0,0] neg_hi:[1,0,0]
	ds_read2_b32 v[74:75], v67 offset0:7 offset1:8
	s_waitcnt vmcnt(0) lgkmcnt(0)
	v_pk_fma_f32 v[64:65], v[68:69], v[74:75], v[64:65] op_sel_hi:[0,1,1] neg_lo:[1,0,0] neg_hi:[1,0,0]
	ds_read2_b32 v[74:75], v67 offset0:9 offset1:10
	s_waitcnt lgkmcnt(0)
	v_pk_fma_f32 v[54:55], v[68:69], v[74:75], v[54:55] op_sel_hi:[0,1,1] neg_lo:[1,0,0] neg_hi:[1,0,0]
	ds_read2_b32 v[74:75], v67 offset0:11 offset1:12
	s_waitcnt lgkmcnt(0)
	;; [unrolled: 3-line block ×26, first 2 shown]
	v_pk_fma_f32 v[12:13], v[68:69], v[74:75], v[12:13] op_sel_hi:[0,1,1] neg_lo:[1,0,0] neg_hi:[1,0,0]
.LBB120_46:
	s_or_b64 exec, exec, s[0:1]
	v_lshl_add_u32 v68, v71, 2, v67
	s_barrier
	ds_write_b32 v68, v56
	s_waitcnt lgkmcnt(0)
	s_barrier
	ds_read_b32 v73, v67 offset:12
	s_cmp_lt_i32 s22, 5
	v_mov_b32_e32 v68, 3
	s_cbranch_scc1 .LBB120_49
; %bb.47:
	v_add3_u32 v74, v70, 0, 16
	v_mov_b32_e32 v68, 3
	s_mov_b32 s0, 4
.LBB120_48:                             ; =>This Inner Loop Header: Depth=1
	ds_read_b32 v75, v74
	v_mov_b32_e32 v76, s0
	s_add_i32 s0, s0, 1
	v_add_u32_e32 v74, 4, v74
	s_cmp_lg_u32 s22, s0
	s_waitcnt lgkmcnt(0)
	v_cmp_lt_f32_e64 vcc, |v73|, |v75|
	s_nop 1
	v_cndmask_b32_e32 v73, v73, v75, vcc
	v_cndmask_b32_e32 v68, v68, v76, vcc
	s_cbranch_scc1 .LBB120_48
.LBB120_49:
	s_waitcnt lgkmcnt(0)
	v_cmp_eq_f32_e32 vcc, 0, v73
	s_and_saveexec_b64 s[0:1], vcc
	s_xor_b64 s[0:1], exec, s[0:1]
; %bb.50:
	v_cmp_ne_u32_e32 vcc, 0, v72
	s_nop 1
	v_cndmask_b32_e32 v72, 4, v72, vcc
; %bb.51:
	s_andn2_saveexec_b64 s[0:1], s[0:1]
	s_cbranch_execz .LBB120_53
; %bb.52:
	v_div_scale_f32 v74, s[2:3], v73, v73, 1.0
	v_rcp_f32_e32 v75, v74
	v_div_scale_f32 v76, vcc, 1.0, v73, 1.0
	v_fma_f32 v77, -v74, v75, 1.0
	v_fmac_f32_e32 v75, v77, v75
	v_mul_f32_e32 v77, v76, v75
	v_fma_f32 v78, -v74, v77, v76
	v_fmac_f32_e32 v77, v78, v75
	v_fma_f32 v74, -v74, v77, v76
	v_div_fmas_f32 v74, v74, v75, v77
	v_div_fixup_f32 v73, v74, v73, 1.0
.LBB120_53:
	s_or_b64 exec, exec, s[0:1]
	v_cmp_ne_u32_e32 vcc, v71, v68
	s_and_saveexec_b64 s[0:1], vcc
	s_xor_b64 s[0:1], exec, s[0:1]
	s_cbranch_execz .LBB120_59
; %bb.54:
	v_cmp_eq_u32_e32 vcc, 3, v71
	s_and_saveexec_b64 s[2:3], vcc
	s_cbranch_execz .LBB120_58
; %bb.55:
	v_cmp_ne_u32_e32 vcc, 3, v68
	s_xor_b64 s[12:13], s[20:21], -1
	s_and_b64 s[14:15], s[12:13], vcc
	s_and_saveexec_b64 s[12:13], s[14:15]
	s_cbranch_execz .LBB120_57
; %bb.56:
	v_ashrrev_i32_e32 v69, 31, v68
	v_lshl_add_u64 v[74:75], v[68:69], 2, v[4:5]
	global_load_dword v69, v[74:75], off
	global_load_dword v71, v[4:5], off offset:12
	s_waitcnt vmcnt(1)
	global_store_dword v[4:5], v69, off offset:12
	s_waitcnt vmcnt(1)
	global_store_dword v[74:75], v71, off
.LBB120_57:
	s_or_b64 exec, exec, s[12:13]
	v_mov_b32_e32 v69, v68
	v_mov_b32_e32 v71, v68
.LBB120_58:
	s_or_b64 exec, exec, s[2:3]
.LBB120_59:
	s_andn2_saveexec_b64 s[0:1], s[0:1]
	s_cbranch_execz .LBB120_61
; %bb.60:
	v_pk_mov_b32 v[74:75], v[56:57], v[52:53] op_sel:[1,0]
	ds_write2_b32 v67, v74, v75 offset0:4 offset1:5
	s_waitcnt vmcnt(0)
	v_pk_mov_b32 v[74:75], v[52:53], v[64:65] op_sel:[1,0]
	ds_write2_b32 v67, v74, v75 offset0:6 offset1:7
	v_pk_mov_b32 v[74:75], v[64:65], v[54:55] op_sel:[1,0]
	ds_write2_b32 v67, v74, v75 offset0:8 offset1:9
	;; [unrolled: 2-line block ×26, first 2 shown]
	v_pk_mov_b32 v[74:75], v[0:1], v[12:13] op_sel:[1,0]
	v_mov_b32_e32 v71, 3
	ds_write2_b32 v67, v74, v75 offset0:58 offset1:59
	ds_write_b32 v67, v13 offset:240
.LBB120_61:
	s_or_b64 exec, exec, s[0:1]
	v_cmp_lt_i32_e32 vcc, 3, v71
	s_waitcnt lgkmcnt(0)
	s_barrier
	s_and_saveexec_b64 s[0:1], vcc
	s_cbranch_execz .LBB120_63
; %bb.62:
	ds_read_b32 v68, v67 offset:16
	ds_read2_b32 v[74:75], v67 offset0:5 offset1:6
	v_mul_f32_e32 v56, v73, v56
	s_waitcnt lgkmcnt(1)
	v_fma_f32 v57, -v56, v68, v57
	s_waitcnt lgkmcnt(0)
	v_pk_fma_f32 v[52:53], v[56:57], v[74:75], v[52:53] op_sel_hi:[0,1,1] neg_lo:[1,0,0] neg_hi:[1,0,0]
	ds_read2_b32 v[74:75], v67 offset0:7 offset1:8
	s_waitcnt vmcnt(0) lgkmcnt(0)
	v_pk_fma_f32 v[64:65], v[56:57], v[74:75], v[64:65] op_sel_hi:[0,1,1] neg_lo:[1,0,0] neg_hi:[1,0,0]
	ds_read2_b32 v[74:75], v67 offset0:9 offset1:10
	s_waitcnt lgkmcnt(0)
	v_pk_fma_f32 v[54:55], v[56:57], v[74:75], v[54:55] op_sel_hi:[0,1,1] neg_lo:[1,0,0] neg_hi:[1,0,0]
	ds_read2_b32 v[74:75], v67 offset0:11 offset1:12
	s_waitcnt lgkmcnt(0)
	;; [unrolled: 3-line block ×26, first 2 shown]
	v_pk_fma_f32 v[12:13], v[56:57], v[74:75], v[12:13] op_sel_hi:[0,1,1] neg_lo:[1,0,0] neg_hi:[1,0,0]
.LBB120_63:
	s_or_b64 exec, exec, s[0:1]
	v_lshl_add_u32 v68, v71, 2, v67
	s_barrier
	ds_write_b32 v68, v57
	s_waitcnt lgkmcnt(0)
	s_barrier
	ds_read_b32 v73, v67 offset:16
	s_cmp_lt_i32 s22, 6
	v_mov_b32_e32 v68, 4
	s_cbranch_scc1 .LBB120_66
; %bb.64:
	v_add3_u32 v74, v70, 0, 20
	v_mov_b32_e32 v68, 4
	s_mov_b32 s0, 5
.LBB120_65:                             ; =>This Inner Loop Header: Depth=1
	ds_read_b32 v75, v74
	v_mov_b32_e32 v76, s0
	s_add_i32 s0, s0, 1
	v_add_u32_e32 v74, 4, v74
	s_cmp_lg_u32 s22, s0
	s_waitcnt lgkmcnt(0)
	v_cmp_lt_f32_e64 vcc, |v73|, |v75|
	s_nop 1
	v_cndmask_b32_e32 v73, v73, v75, vcc
	v_cndmask_b32_e32 v68, v68, v76, vcc
	s_cbranch_scc1 .LBB120_65
.LBB120_66:
	s_waitcnt lgkmcnt(0)
	v_cmp_eq_f32_e32 vcc, 0, v73
	s_and_saveexec_b64 s[0:1], vcc
	s_xor_b64 s[0:1], exec, s[0:1]
; %bb.67:
	v_cmp_ne_u32_e32 vcc, 0, v72
	s_nop 1
	v_cndmask_b32_e32 v72, 5, v72, vcc
; %bb.68:
	s_andn2_saveexec_b64 s[0:1], s[0:1]
	s_cbranch_execz .LBB120_70
; %bb.69:
	v_div_scale_f32 v74, s[2:3], v73, v73, 1.0
	v_rcp_f32_e32 v75, v74
	v_div_scale_f32 v76, vcc, 1.0, v73, 1.0
	v_fma_f32 v77, -v74, v75, 1.0
	v_fmac_f32_e32 v75, v77, v75
	v_mul_f32_e32 v77, v76, v75
	v_fma_f32 v78, -v74, v77, v76
	v_fmac_f32_e32 v77, v78, v75
	v_fma_f32 v74, -v74, v77, v76
	v_div_fmas_f32 v74, v74, v75, v77
	v_div_fixup_f32 v73, v74, v73, 1.0
.LBB120_70:
	s_or_b64 exec, exec, s[0:1]
	v_cmp_ne_u32_e32 vcc, v71, v68
	s_and_saveexec_b64 s[0:1], vcc
	s_xor_b64 s[0:1], exec, s[0:1]
	s_cbranch_execz .LBB120_76
; %bb.71:
	v_cmp_eq_u32_e32 vcc, 4, v71
	s_and_saveexec_b64 s[2:3], vcc
	s_cbranch_execz .LBB120_75
; %bb.72:
	v_cmp_ne_u32_e32 vcc, 4, v68
	s_xor_b64 s[12:13], s[20:21], -1
	s_and_b64 s[14:15], s[12:13], vcc
	s_and_saveexec_b64 s[12:13], s[14:15]
	s_cbranch_execz .LBB120_74
; %bb.73:
	v_ashrrev_i32_e32 v69, 31, v68
	v_lshl_add_u64 v[74:75], v[68:69], 2, v[4:5]
	global_load_dword v69, v[74:75], off
	global_load_dword v71, v[4:5], off offset:16
	s_waitcnt vmcnt(1)
	global_store_dword v[4:5], v69, off offset:16
	s_waitcnt vmcnt(1)
	global_store_dword v[74:75], v71, off
.LBB120_74:
	s_or_b64 exec, exec, s[12:13]
	v_mov_b32_e32 v69, v68
	v_mov_b32_e32 v71, v68
.LBB120_75:
	s_or_b64 exec, exec, s[2:3]
.LBB120_76:
	s_andn2_saveexec_b64 s[0:1], s[0:1]
	s_cbranch_execz .LBB120_78
; %bb.77:
	v_mov_b32_e32 v71, 4
	ds_write2_b32 v67, v52, v53 offset0:5 offset1:6
	s_waitcnt vmcnt(0)
	ds_write2_b32 v67, v64, v65 offset0:7 offset1:8
	ds_write2_b32 v67, v54, v55 offset0:9 offset1:10
	;; [unrolled: 1-line block ×27, first 2 shown]
.LBB120_78:
	s_or_b64 exec, exec, s[0:1]
	v_cmp_lt_i32_e32 vcc, 4, v71
	s_waitcnt lgkmcnt(0)
	s_barrier
	s_and_saveexec_b64 s[0:1], vcc
	s_cbranch_execz .LBB120_80
; %bb.79:
	ds_read2_b32 v[74:75], v67 offset0:5 offset1:6
	v_mul_f32_e32 v68, v73, v57
	v_mov_b32_e32 v57, v68
	s_waitcnt lgkmcnt(0)
	v_pk_fma_f32 v[52:53], v[68:69], v[74:75], v[52:53] op_sel_hi:[0,1,1] neg_lo:[1,0,0] neg_hi:[1,0,0]
	ds_read2_b32 v[74:75], v67 offset0:7 offset1:8
	s_waitcnt vmcnt(0) lgkmcnt(0)
	v_pk_fma_f32 v[64:65], v[68:69], v[74:75], v[64:65] op_sel_hi:[0,1,1] neg_lo:[1,0,0] neg_hi:[1,0,0]
	ds_read2_b32 v[74:75], v67 offset0:9 offset1:10
	s_waitcnt lgkmcnt(0)
	v_pk_fma_f32 v[54:55], v[68:69], v[74:75], v[54:55] op_sel_hi:[0,1,1] neg_lo:[1,0,0] neg_hi:[1,0,0]
	ds_read2_b32 v[74:75], v67 offset0:11 offset1:12
	s_waitcnt lgkmcnt(0)
	;; [unrolled: 3-line block ×26, first 2 shown]
	v_pk_fma_f32 v[12:13], v[68:69], v[74:75], v[12:13] op_sel_hi:[0,1,1] neg_lo:[1,0,0] neg_hi:[1,0,0]
.LBB120_80:
	s_or_b64 exec, exec, s[0:1]
	v_lshl_add_u32 v68, v71, 2, v67
	s_barrier
	ds_write_b32 v68, v52
	s_waitcnt lgkmcnt(0)
	s_barrier
	ds_read_b32 v73, v67 offset:20
	s_cmp_lt_i32 s22, 7
	v_mov_b32_e32 v68, 5
	s_cbranch_scc1 .LBB120_83
; %bb.81:
	v_add3_u32 v74, v70, 0, 24
	v_mov_b32_e32 v68, 5
	s_mov_b32 s0, 6
.LBB120_82:                             ; =>This Inner Loop Header: Depth=1
	ds_read_b32 v75, v74
	v_mov_b32_e32 v76, s0
	s_add_i32 s0, s0, 1
	v_add_u32_e32 v74, 4, v74
	s_cmp_lg_u32 s22, s0
	s_waitcnt lgkmcnt(0)
	v_cmp_lt_f32_e64 vcc, |v73|, |v75|
	s_nop 1
	v_cndmask_b32_e32 v73, v73, v75, vcc
	v_cndmask_b32_e32 v68, v68, v76, vcc
	s_cbranch_scc1 .LBB120_82
.LBB120_83:
	s_waitcnt lgkmcnt(0)
	v_cmp_eq_f32_e32 vcc, 0, v73
	s_and_saveexec_b64 s[0:1], vcc
	s_xor_b64 s[0:1], exec, s[0:1]
; %bb.84:
	v_cmp_ne_u32_e32 vcc, 0, v72
	s_nop 1
	v_cndmask_b32_e32 v72, 6, v72, vcc
; %bb.85:
	s_andn2_saveexec_b64 s[0:1], s[0:1]
	s_cbranch_execz .LBB120_87
; %bb.86:
	v_div_scale_f32 v74, s[2:3], v73, v73, 1.0
	v_rcp_f32_e32 v75, v74
	v_div_scale_f32 v76, vcc, 1.0, v73, 1.0
	v_fma_f32 v77, -v74, v75, 1.0
	v_fmac_f32_e32 v75, v77, v75
	v_mul_f32_e32 v77, v76, v75
	v_fma_f32 v78, -v74, v77, v76
	v_fmac_f32_e32 v77, v78, v75
	v_fma_f32 v74, -v74, v77, v76
	v_div_fmas_f32 v74, v74, v75, v77
	v_div_fixup_f32 v73, v74, v73, 1.0
.LBB120_87:
	s_or_b64 exec, exec, s[0:1]
	v_cmp_ne_u32_e32 vcc, v71, v68
	s_and_saveexec_b64 s[0:1], vcc
	s_xor_b64 s[0:1], exec, s[0:1]
	s_cbranch_execz .LBB120_93
; %bb.88:
	v_cmp_eq_u32_e32 vcc, 5, v71
	s_and_saveexec_b64 s[2:3], vcc
	s_cbranch_execz .LBB120_92
; %bb.89:
	v_cmp_ne_u32_e32 vcc, 5, v68
	s_xor_b64 s[12:13], s[20:21], -1
	s_and_b64 s[14:15], s[12:13], vcc
	s_and_saveexec_b64 s[12:13], s[14:15]
	s_cbranch_execz .LBB120_91
; %bb.90:
	v_ashrrev_i32_e32 v69, 31, v68
	v_lshl_add_u64 v[74:75], v[68:69], 2, v[4:5]
	global_load_dword v69, v[74:75], off
	global_load_dword v71, v[4:5], off offset:20
	s_waitcnt vmcnt(1)
	global_store_dword v[4:5], v69, off offset:20
	s_waitcnt vmcnt(1)
	global_store_dword v[74:75], v71, off
.LBB120_91:
	s_or_b64 exec, exec, s[12:13]
	v_mov_b32_e32 v69, v68
	v_mov_b32_e32 v71, v68
.LBB120_92:
	s_or_b64 exec, exec, s[2:3]
.LBB120_93:
	s_andn2_saveexec_b64 s[0:1], s[0:1]
	s_cbranch_execz .LBB120_95
; %bb.94:
	s_waitcnt vmcnt(0)
	v_pk_mov_b32 v[74:75], v[52:53], v[64:65] op_sel:[1,0]
	ds_write2_b32 v67, v74, v75 offset0:6 offset1:7
	v_pk_mov_b32 v[74:75], v[64:65], v[54:55] op_sel:[1,0]
	ds_write2_b32 v67, v74, v75 offset0:8 offset1:9
	;; [unrolled: 2-line block ×26, first 2 shown]
	v_pk_mov_b32 v[74:75], v[0:1], v[12:13] op_sel:[1,0]
	v_mov_b32_e32 v71, 5
	ds_write2_b32 v67, v74, v75 offset0:58 offset1:59
	ds_write_b32 v67, v13 offset:240
.LBB120_95:
	s_or_b64 exec, exec, s[0:1]
	v_cmp_lt_i32_e32 vcc, 5, v71
	s_waitcnt lgkmcnt(0)
	s_barrier
	s_and_saveexec_b64 s[0:1], vcc
	s_cbranch_execz .LBB120_97
; %bb.96:
	ds_read_b32 v68, v67 offset:24
	ds_read2_b32 v[74:75], v67 offset0:7 offset1:8
	v_mul_f32_e32 v52, v73, v52
	s_waitcnt lgkmcnt(1)
	v_fma_f32 v53, -v52, v68, v53
	s_waitcnt vmcnt(0) lgkmcnt(0)
	v_pk_fma_f32 v[64:65], v[52:53], v[74:75], v[64:65] op_sel_hi:[0,1,1] neg_lo:[1,0,0] neg_hi:[1,0,0]
	ds_read2_b32 v[74:75], v67 offset0:9 offset1:10
	s_waitcnt lgkmcnt(0)
	v_pk_fma_f32 v[54:55], v[52:53], v[74:75], v[54:55] op_sel_hi:[0,1,1] neg_lo:[1,0,0] neg_hi:[1,0,0]
	ds_read2_b32 v[74:75], v67 offset0:11 offset1:12
	s_waitcnt lgkmcnt(0)
	;; [unrolled: 3-line block ×26, first 2 shown]
	v_pk_fma_f32 v[12:13], v[52:53], v[74:75], v[12:13] op_sel_hi:[0,1,1] neg_lo:[1,0,0] neg_hi:[1,0,0]
.LBB120_97:
	s_or_b64 exec, exec, s[0:1]
	v_lshl_add_u32 v68, v71, 2, v67
	s_barrier
	ds_write_b32 v68, v53
	s_waitcnt lgkmcnt(0)
	s_barrier
	ds_read_b32 v73, v67 offset:24
	s_cmp_lt_i32 s22, 8
	v_mov_b32_e32 v68, 6
	s_cbranch_scc1 .LBB120_100
; %bb.98:
	v_add3_u32 v74, v70, 0, 28
	v_mov_b32_e32 v68, 6
	s_mov_b32 s0, 7
.LBB120_99:                             ; =>This Inner Loop Header: Depth=1
	ds_read_b32 v75, v74
	v_mov_b32_e32 v76, s0
	s_add_i32 s0, s0, 1
	v_add_u32_e32 v74, 4, v74
	s_cmp_lg_u32 s22, s0
	s_waitcnt lgkmcnt(0)
	v_cmp_lt_f32_e64 vcc, |v73|, |v75|
	s_nop 1
	v_cndmask_b32_e32 v73, v73, v75, vcc
	v_cndmask_b32_e32 v68, v68, v76, vcc
	s_cbranch_scc1 .LBB120_99
.LBB120_100:
	s_waitcnt lgkmcnt(0)
	v_cmp_eq_f32_e32 vcc, 0, v73
	s_and_saveexec_b64 s[0:1], vcc
	s_xor_b64 s[0:1], exec, s[0:1]
; %bb.101:
	v_cmp_ne_u32_e32 vcc, 0, v72
	s_nop 1
	v_cndmask_b32_e32 v72, 7, v72, vcc
; %bb.102:
	s_andn2_saveexec_b64 s[0:1], s[0:1]
	s_cbranch_execz .LBB120_104
; %bb.103:
	v_div_scale_f32 v74, s[2:3], v73, v73, 1.0
	v_rcp_f32_e32 v75, v74
	v_div_scale_f32 v76, vcc, 1.0, v73, 1.0
	v_fma_f32 v77, -v74, v75, 1.0
	v_fmac_f32_e32 v75, v77, v75
	v_mul_f32_e32 v77, v76, v75
	v_fma_f32 v78, -v74, v77, v76
	v_fmac_f32_e32 v77, v78, v75
	v_fma_f32 v74, -v74, v77, v76
	v_div_fmas_f32 v74, v74, v75, v77
	v_div_fixup_f32 v73, v74, v73, 1.0
.LBB120_104:
	s_or_b64 exec, exec, s[0:1]
	v_cmp_ne_u32_e32 vcc, v71, v68
	s_and_saveexec_b64 s[0:1], vcc
	s_xor_b64 s[0:1], exec, s[0:1]
	s_cbranch_execz .LBB120_110
; %bb.105:
	v_cmp_eq_u32_e32 vcc, 6, v71
	s_and_saveexec_b64 s[2:3], vcc
	s_cbranch_execz .LBB120_109
; %bb.106:
	v_cmp_ne_u32_e32 vcc, 6, v68
	s_xor_b64 s[12:13], s[20:21], -1
	s_and_b64 s[14:15], s[12:13], vcc
	s_and_saveexec_b64 s[12:13], s[14:15]
	s_cbranch_execz .LBB120_108
; %bb.107:
	v_ashrrev_i32_e32 v69, 31, v68
	v_lshl_add_u64 v[74:75], v[68:69], 2, v[4:5]
	global_load_dword v69, v[74:75], off
	global_load_dword v71, v[4:5], off offset:24
	s_waitcnt vmcnt(1)
	global_store_dword v[4:5], v69, off offset:24
	s_waitcnt vmcnt(1)
	global_store_dword v[74:75], v71, off
.LBB120_108:
	s_or_b64 exec, exec, s[12:13]
	v_mov_b32_e32 v69, v68
	v_mov_b32_e32 v71, v68
.LBB120_109:
	s_or_b64 exec, exec, s[2:3]
.LBB120_110:
	s_andn2_saveexec_b64 s[0:1], s[0:1]
	s_cbranch_execz .LBB120_112
; %bb.111:
	v_mov_b32_e32 v71, 6
	s_waitcnt vmcnt(0)
	ds_write2_b32 v67, v64, v65 offset0:7 offset1:8
	ds_write2_b32 v67, v54, v55 offset0:9 offset1:10
	;; [unrolled: 1-line block ×27, first 2 shown]
.LBB120_112:
	s_or_b64 exec, exec, s[0:1]
	v_cmp_lt_i32_e32 vcc, 6, v71
	s_waitcnt lgkmcnt(0)
	s_barrier
	s_and_saveexec_b64 s[0:1], vcc
	s_cbranch_execz .LBB120_114
; %bb.113:
	ds_read2_b32 v[74:75], v67 offset0:7 offset1:8
	v_mul_f32_e32 v68, v73, v53
	v_mov_b32_e32 v53, v68
	s_waitcnt vmcnt(0) lgkmcnt(0)
	v_pk_fma_f32 v[64:65], v[68:69], v[74:75], v[64:65] op_sel_hi:[0,1,1] neg_lo:[1,0,0] neg_hi:[1,0,0]
	ds_read2_b32 v[74:75], v67 offset0:9 offset1:10
	s_waitcnt lgkmcnt(0)
	v_pk_fma_f32 v[54:55], v[68:69], v[74:75], v[54:55] op_sel_hi:[0,1,1] neg_lo:[1,0,0] neg_hi:[1,0,0]
	ds_read2_b32 v[74:75], v67 offset0:11 offset1:12
	s_waitcnt lgkmcnt(0)
	;; [unrolled: 3-line block ×26, first 2 shown]
	v_pk_fma_f32 v[12:13], v[68:69], v[74:75], v[12:13] op_sel_hi:[0,1,1] neg_lo:[1,0,0] neg_hi:[1,0,0]
.LBB120_114:
	s_or_b64 exec, exec, s[0:1]
	v_lshl_add_u32 v68, v71, 2, v67
	s_barrier
	ds_write_b32 v68, v64
	s_waitcnt lgkmcnt(0)
	s_barrier
	ds_read_b32 v73, v67 offset:28
	s_cmp_lt_i32 s22, 9
	v_mov_b32_e32 v68, 7
	s_cbranch_scc1 .LBB120_117
; %bb.115:
	v_add3_u32 v74, v70, 0, 32
	v_mov_b32_e32 v68, 7
	s_mov_b32 s0, 8
.LBB120_116:                            ; =>This Inner Loop Header: Depth=1
	ds_read_b32 v75, v74
	v_mov_b32_e32 v76, s0
	s_add_i32 s0, s0, 1
	v_add_u32_e32 v74, 4, v74
	s_cmp_lg_u32 s22, s0
	s_waitcnt lgkmcnt(0)
	v_cmp_lt_f32_e64 vcc, |v73|, |v75|
	s_nop 1
	v_cndmask_b32_e32 v73, v73, v75, vcc
	v_cndmask_b32_e32 v68, v68, v76, vcc
	s_cbranch_scc1 .LBB120_116
.LBB120_117:
	s_waitcnt lgkmcnt(0)
	v_cmp_eq_f32_e32 vcc, 0, v73
	s_and_saveexec_b64 s[0:1], vcc
	s_xor_b64 s[0:1], exec, s[0:1]
; %bb.118:
	v_cmp_ne_u32_e32 vcc, 0, v72
	s_nop 1
	v_cndmask_b32_e32 v72, 8, v72, vcc
; %bb.119:
	s_andn2_saveexec_b64 s[0:1], s[0:1]
	s_cbranch_execz .LBB120_121
; %bb.120:
	v_div_scale_f32 v74, s[2:3], v73, v73, 1.0
	v_rcp_f32_e32 v75, v74
	v_div_scale_f32 v76, vcc, 1.0, v73, 1.0
	v_fma_f32 v77, -v74, v75, 1.0
	v_fmac_f32_e32 v75, v77, v75
	v_mul_f32_e32 v77, v76, v75
	v_fma_f32 v78, -v74, v77, v76
	v_fmac_f32_e32 v77, v78, v75
	v_fma_f32 v74, -v74, v77, v76
	v_div_fmas_f32 v74, v74, v75, v77
	v_div_fixup_f32 v73, v74, v73, 1.0
.LBB120_121:
	s_or_b64 exec, exec, s[0:1]
	v_cmp_ne_u32_e32 vcc, v71, v68
	s_and_saveexec_b64 s[0:1], vcc
	s_xor_b64 s[0:1], exec, s[0:1]
	s_cbranch_execz .LBB120_127
; %bb.122:
	v_cmp_eq_u32_e32 vcc, 7, v71
	s_and_saveexec_b64 s[2:3], vcc
	s_cbranch_execz .LBB120_126
; %bb.123:
	v_cmp_ne_u32_e32 vcc, 7, v68
	s_xor_b64 s[12:13], s[20:21], -1
	s_and_b64 s[14:15], s[12:13], vcc
	s_and_saveexec_b64 s[12:13], s[14:15]
	s_cbranch_execz .LBB120_125
; %bb.124:
	v_ashrrev_i32_e32 v69, 31, v68
	v_lshl_add_u64 v[74:75], v[68:69], 2, v[4:5]
	global_load_dword v69, v[74:75], off
	global_load_dword v71, v[4:5], off offset:28
	s_waitcnt vmcnt(1)
	global_store_dword v[4:5], v69, off offset:28
	s_waitcnt vmcnt(1)
	global_store_dword v[74:75], v71, off
.LBB120_125:
	s_or_b64 exec, exec, s[12:13]
	v_mov_b32_e32 v69, v68
	v_mov_b32_e32 v71, v68
.LBB120_126:
	s_or_b64 exec, exec, s[2:3]
.LBB120_127:
	s_andn2_saveexec_b64 s[0:1], s[0:1]
	s_cbranch_execz .LBB120_129
; %bb.128:
	s_waitcnt vmcnt(0)
	v_pk_mov_b32 v[74:75], v[64:65], v[54:55] op_sel:[1,0]
	ds_write2_b32 v67, v74, v75 offset0:8 offset1:9
	v_pk_mov_b32 v[74:75], v[54:55], v[50:51] op_sel:[1,0]
	ds_write2_b32 v67, v74, v75 offset0:10 offset1:11
	;; [unrolled: 2-line block ×25, first 2 shown]
	v_pk_mov_b32 v[74:75], v[0:1], v[12:13] op_sel:[1,0]
	v_mov_b32_e32 v71, 7
	ds_write2_b32 v67, v74, v75 offset0:58 offset1:59
	ds_write_b32 v67, v13 offset:240
.LBB120_129:
	s_or_b64 exec, exec, s[0:1]
	v_cmp_lt_i32_e32 vcc, 7, v71
	s_waitcnt lgkmcnt(0)
	s_barrier
	s_and_saveexec_b64 s[0:1], vcc
	s_cbranch_execz .LBB120_131
; %bb.130:
	ds_read_b32 v68, v67 offset:32
	ds_read2_b32 v[74:75], v67 offset0:9 offset1:10
	v_mul_f32_e32 v64, v73, v64
	s_waitcnt vmcnt(0) lgkmcnt(1)
	v_fma_f32 v65, -v64, v68, v65
	s_waitcnt lgkmcnt(0)
	v_pk_fma_f32 v[54:55], v[64:65], v[74:75], v[54:55] op_sel_hi:[0,1,1] neg_lo:[1,0,0] neg_hi:[1,0,0]
	ds_read2_b32 v[74:75], v67 offset0:11 offset1:12
	s_waitcnt lgkmcnt(0)
	v_pk_fma_f32 v[50:51], v[64:65], v[74:75], v[50:51] op_sel_hi:[0,1,1] neg_lo:[1,0,0] neg_hi:[1,0,0]
	ds_read2_b32 v[74:75], v67 offset0:13 offset1:14
	;; [unrolled: 3-line block ×25, first 2 shown]
	s_waitcnt lgkmcnt(0)
	v_pk_fma_f32 v[12:13], v[64:65], v[74:75], v[12:13] op_sel_hi:[0,1,1] neg_lo:[1,0,0] neg_hi:[1,0,0]
.LBB120_131:
	s_or_b64 exec, exec, s[0:1]
	v_lshl_add_u32 v68, v71, 2, v67
	s_barrier
	s_waitcnt vmcnt(0)
	ds_write_b32 v68, v65
	s_waitcnt lgkmcnt(0)
	s_barrier
	ds_read_b32 v73, v67 offset:32
	s_cmp_lt_i32 s22, 10
	v_mov_b32_e32 v68, 8
	s_cbranch_scc1 .LBB120_134
; %bb.132:
	v_add3_u32 v74, v70, 0, 36
	v_mov_b32_e32 v68, 8
	s_mov_b32 s0, 9
.LBB120_133:                            ; =>This Inner Loop Header: Depth=1
	ds_read_b32 v75, v74
	v_mov_b32_e32 v76, s0
	s_add_i32 s0, s0, 1
	v_add_u32_e32 v74, 4, v74
	s_cmp_lg_u32 s22, s0
	s_waitcnt lgkmcnt(0)
	v_cmp_lt_f32_e64 vcc, |v73|, |v75|
	s_nop 1
	v_cndmask_b32_e32 v73, v73, v75, vcc
	v_cndmask_b32_e32 v68, v68, v76, vcc
	s_cbranch_scc1 .LBB120_133
.LBB120_134:
	s_waitcnt lgkmcnt(0)
	v_cmp_eq_f32_e32 vcc, 0, v73
	s_and_saveexec_b64 s[0:1], vcc
	s_xor_b64 s[0:1], exec, s[0:1]
; %bb.135:
	v_cmp_ne_u32_e32 vcc, 0, v72
	s_nop 1
	v_cndmask_b32_e32 v72, 9, v72, vcc
; %bb.136:
	s_andn2_saveexec_b64 s[0:1], s[0:1]
	s_cbranch_execz .LBB120_138
; %bb.137:
	v_div_scale_f32 v74, s[2:3], v73, v73, 1.0
	v_rcp_f32_e32 v75, v74
	v_div_scale_f32 v76, vcc, 1.0, v73, 1.0
	v_fma_f32 v77, -v74, v75, 1.0
	v_fmac_f32_e32 v75, v77, v75
	v_mul_f32_e32 v77, v76, v75
	v_fma_f32 v78, -v74, v77, v76
	v_fmac_f32_e32 v77, v78, v75
	v_fma_f32 v74, -v74, v77, v76
	v_div_fmas_f32 v74, v74, v75, v77
	v_div_fixup_f32 v73, v74, v73, 1.0
.LBB120_138:
	s_or_b64 exec, exec, s[0:1]
	v_cmp_ne_u32_e32 vcc, v71, v68
	s_and_saveexec_b64 s[0:1], vcc
	s_xor_b64 s[0:1], exec, s[0:1]
	s_cbranch_execz .LBB120_144
; %bb.139:
	v_cmp_eq_u32_e32 vcc, 8, v71
	s_and_saveexec_b64 s[2:3], vcc
	s_cbranch_execz .LBB120_143
; %bb.140:
	v_cmp_ne_u32_e32 vcc, 8, v68
	s_xor_b64 s[12:13], s[20:21], -1
	s_and_b64 s[14:15], s[12:13], vcc
	s_and_saveexec_b64 s[12:13], s[14:15]
	s_cbranch_execz .LBB120_142
; %bb.141:
	v_ashrrev_i32_e32 v69, 31, v68
	v_lshl_add_u64 v[74:75], v[68:69], 2, v[4:5]
	global_load_dword v69, v[74:75], off
	global_load_dword v71, v[4:5], off offset:32
	s_waitcnt vmcnt(1)
	global_store_dword v[4:5], v69, off offset:32
	s_waitcnt vmcnt(1)
	global_store_dword v[74:75], v71, off
.LBB120_142:
	s_or_b64 exec, exec, s[12:13]
	v_mov_b32_e32 v69, v68
	v_mov_b32_e32 v71, v68
.LBB120_143:
	s_or_b64 exec, exec, s[2:3]
.LBB120_144:
	s_andn2_saveexec_b64 s[0:1], s[0:1]
	s_cbranch_execz .LBB120_146
; %bb.145:
	v_mov_b32_e32 v71, 8
	ds_write2_b32 v67, v54, v55 offset0:9 offset1:10
	ds_write2_b32 v67, v50, v51 offset0:11 offset1:12
	;; [unrolled: 1-line block ×26, first 2 shown]
.LBB120_146:
	s_or_b64 exec, exec, s[0:1]
	v_cmp_lt_i32_e32 vcc, 8, v71
	s_waitcnt lgkmcnt(0)
	s_barrier
	s_and_saveexec_b64 s[0:1], vcc
	s_cbranch_execz .LBB120_148
; %bb.147:
	ds_read2_b32 v[74:75], v67 offset0:9 offset1:10
	v_mul_f32_e32 v68, v73, v65
	v_mov_b32_e32 v65, v68
	s_waitcnt lgkmcnt(0)
	v_pk_fma_f32 v[54:55], v[68:69], v[74:75], v[54:55] op_sel_hi:[0,1,1] neg_lo:[1,0,0] neg_hi:[1,0,0]
	ds_read2_b32 v[74:75], v67 offset0:11 offset1:12
	s_waitcnt lgkmcnt(0)
	v_pk_fma_f32 v[50:51], v[68:69], v[74:75], v[50:51] op_sel_hi:[0,1,1] neg_lo:[1,0,0] neg_hi:[1,0,0]
	ds_read2_b32 v[74:75], v67 offset0:13 offset1:14
	;; [unrolled: 3-line block ×25, first 2 shown]
	s_waitcnt lgkmcnt(0)
	v_pk_fma_f32 v[12:13], v[68:69], v[74:75], v[12:13] op_sel_hi:[0,1,1] neg_lo:[1,0,0] neg_hi:[1,0,0]
.LBB120_148:
	s_or_b64 exec, exec, s[0:1]
	v_lshl_add_u32 v68, v71, 2, v67
	s_barrier
	ds_write_b32 v68, v54
	s_waitcnt lgkmcnt(0)
	s_barrier
	ds_read_b32 v73, v67 offset:36
	s_cmp_lt_i32 s22, 11
	v_mov_b32_e32 v68, 9
	s_cbranch_scc1 .LBB120_151
; %bb.149:
	v_add3_u32 v74, v70, 0, 40
	v_mov_b32_e32 v68, 9
	s_mov_b32 s0, 10
.LBB120_150:                            ; =>This Inner Loop Header: Depth=1
	ds_read_b32 v75, v74
	v_mov_b32_e32 v76, s0
	s_add_i32 s0, s0, 1
	v_add_u32_e32 v74, 4, v74
	s_cmp_lg_u32 s22, s0
	s_waitcnt lgkmcnt(0)
	v_cmp_lt_f32_e64 vcc, |v73|, |v75|
	s_nop 1
	v_cndmask_b32_e32 v73, v73, v75, vcc
	v_cndmask_b32_e32 v68, v68, v76, vcc
	s_cbranch_scc1 .LBB120_150
.LBB120_151:
	s_waitcnt lgkmcnt(0)
	v_cmp_eq_f32_e32 vcc, 0, v73
	s_and_saveexec_b64 s[0:1], vcc
	s_xor_b64 s[0:1], exec, s[0:1]
; %bb.152:
	v_cmp_ne_u32_e32 vcc, 0, v72
	s_nop 1
	v_cndmask_b32_e32 v72, 10, v72, vcc
; %bb.153:
	s_andn2_saveexec_b64 s[0:1], s[0:1]
	s_cbranch_execz .LBB120_155
; %bb.154:
	v_div_scale_f32 v74, s[2:3], v73, v73, 1.0
	v_rcp_f32_e32 v75, v74
	v_div_scale_f32 v76, vcc, 1.0, v73, 1.0
	v_fma_f32 v77, -v74, v75, 1.0
	v_fmac_f32_e32 v75, v77, v75
	v_mul_f32_e32 v77, v76, v75
	v_fma_f32 v78, -v74, v77, v76
	v_fmac_f32_e32 v77, v78, v75
	v_fma_f32 v74, -v74, v77, v76
	v_div_fmas_f32 v74, v74, v75, v77
	v_div_fixup_f32 v73, v74, v73, 1.0
.LBB120_155:
	s_or_b64 exec, exec, s[0:1]
	v_cmp_ne_u32_e32 vcc, v71, v68
	s_and_saveexec_b64 s[0:1], vcc
	s_xor_b64 s[0:1], exec, s[0:1]
	s_cbranch_execz .LBB120_161
; %bb.156:
	v_cmp_eq_u32_e32 vcc, 9, v71
	s_and_saveexec_b64 s[2:3], vcc
	s_cbranch_execz .LBB120_160
; %bb.157:
	v_cmp_ne_u32_e32 vcc, 9, v68
	s_xor_b64 s[12:13], s[20:21], -1
	s_and_b64 s[14:15], s[12:13], vcc
	s_and_saveexec_b64 s[12:13], s[14:15]
	s_cbranch_execz .LBB120_159
; %bb.158:
	v_ashrrev_i32_e32 v69, 31, v68
	v_lshl_add_u64 v[74:75], v[68:69], 2, v[4:5]
	global_load_dword v69, v[74:75], off
	global_load_dword v71, v[4:5], off offset:36
	s_waitcnt vmcnt(1)
	global_store_dword v[4:5], v69, off offset:36
	s_waitcnt vmcnt(1)
	global_store_dword v[74:75], v71, off
.LBB120_159:
	s_or_b64 exec, exec, s[12:13]
	v_mov_b32_e32 v69, v68
	v_mov_b32_e32 v71, v68
.LBB120_160:
	s_or_b64 exec, exec, s[2:3]
.LBB120_161:
	s_andn2_saveexec_b64 s[0:1], s[0:1]
	s_cbranch_execz .LBB120_163
; %bb.162:
	v_pk_mov_b32 v[74:75], v[54:55], v[50:51] op_sel:[1,0]
	ds_write2_b32 v67, v74, v75 offset0:10 offset1:11
	v_pk_mov_b32 v[74:75], v[50:51], v[62:63] op_sel:[1,0]
	ds_write2_b32 v67, v74, v75 offset0:12 offset1:13
	;; [unrolled: 2-line block ×24, first 2 shown]
	v_pk_mov_b32 v[74:75], v[0:1], v[12:13] op_sel:[1,0]
	v_mov_b32_e32 v71, 9
	ds_write2_b32 v67, v74, v75 offset0:58 offset1:59
	ds_write_b32 v67, v13 offset:240
.LBB120_163:
	s_or_b64 exec, exec, s[0:1]
	v_cmp_lt_i32_e32 vcc, 9, v71
	s_waitcnt lgkmcnt(0)
	s_barrier
	s_and_saveexec_b64 s[0:1], vcc
	s_cbranch_execz .LBB120_165
; %bb.164:
	ds_read_b32 v68, v67 offset:40
	ds_read2_b32 v[74:75], v67 offset0:11 offset1:12
	v_mul_f32_e32 v54, v73, v54
	s_waitcnt lgkmcnt(1)
	v_fma_f32 v55, -v54, v68, v55
	s_waitcnt lgkmcnt(0)
	v_pk_fma_f32 v[50:51], v[54:55], v[74:75], v[50:51] op_sel_hi:[0,1,1] neg_lo:[1,0,0] neg_hi:[1,0,0]
	ds_read2_b32 v[74:75], v67 offset0:13 offset1:14
	s_waitcnt lgkmcnt(0)
	v_pk_fma_f32 v[62:63], v[54:55], v[74:75], v[62:63] op_sel_hi:[0,1,1] neg_lo:[1,0,0] neg_hi:[1,0,0]
	ds_read2_b32 v[74:75], v67 offset0:15 offset1:16
	;; [unrolled: 3-line block ×24, first 2 shown]
	s_waitcnt lgkmcnt(0)
	v_pk_fma_f32 v[12:13], v[54:55], v[74:75], v[12:13] op_sel_hi:[0,1,1] neg_lo:[1,0,0] neg_hi:[1,0,0]
.LBB120_165:
	s_or_b64 exec, exec, s[0:1]
	v_lshl_add_u32 v68, v71, 2, v67
	s_barrier
	ds_write_b32 v68, v55
	s_waitcnt lgkmcnt(0)
	s_barrier
	ds_read_b32 v73, v67 offset:40
	s_cmp_lt_i32 s22, 12
	v_mov_b32_e32 v68, 10
	s_cbranch_scc1 .LBB120_168
; %bb.166:
	v_add3_u32 v74, v70, 0, 44
	v_mov_b32_e32 v68, 10
	s_mov_b32 s0, 11
.LBB120_167:                            ; =>This Inner Loop Header: Depth=1
	ds_read_b32 v75, v74
	v_mov_b32_e32 v76, s0
	s_add_i32 s0, s0, 1
	v_add_u32_e32 v74, 4, v74
	s_cmp_lg_u32 s22, s0
	s_waitcnt lgkmcnt(0)
	v_cmp_lt_f32_e64 vcc, |v73|, |v75|
	s_nop 1
	v_cndmask_b32_e32 v73, v73, v75, vcc
	v_cndmask_b32_e32 v68, v68, v76, vcc
	s_cbranch_scc1 .LBB120_167
.LBB120_168:
	s_waitcnt lgkmcnt(0)
	v_cmp_eq_f32_e32 vcc, 0, v73
	s_and_saveexec_b64 s[0:1], vcc
	s_xor_b64 s[0:1], exec, s[0:1]
; %bb.169:
	v_cmp_ne_u32_e32 vcc, 0, v72
	s_nop 1
	v_cndmask_b32_e32 v72, 11, v72, vcc
; %bb.170:
	s_andn2_saveexec_b64 s[0:1], s[0:1]
	s_cbranch_execz .LBB120_172
; %bb.171:
	v_div_scale_f32 v74, s[2:3], v73, v73, 1.0
	v_rcp_f32_e32 v75, v74
	v_div_scale_f32 v76, vcc, 1.0, v73, 1.0
	v_fma_f32 v77, -v74, v75, 1.0
	v_fmac_f32_e32 v75, v77, v75
	v_mul_f32_e32 v77, v76, v75
	v_fma_f32 v78, -v74, v77, v76
	v_fmac_f32_e32 v77, v78, v75
	v_fma_f32 v74, -v74, v77, v76
	v_div_fmas_f32 v74, v74, v75, v77
	v_div_fixup_f32 v73, v74, v73, 1.0
.LBB120_172:
	s_or_b64 exec, exec, s[0:1]
	v_cmp_ne_u32_e32 vcc, v71, v68
	s_and_saveexec_b64 s[0:1], vcc
	s_xor_b64 s[0:1], exec, s[0:1]
	s_cbranch_execz .LBB120_178
; %bb.173:
	v_cmp_eq_u32_e32 vcc, 10, v71
	s_and_saveexec_b64 s[2:3], vcc
	s_cbranch_execz .LBB120_177
; %bb.174:
	v_cmp_ne_u32_e32 vcc, 10, v68
	s_xor_b64 s[12:13], s[20:21], -1
	s_and_b64 s[14:15], s[12:13], vcc
	s_and_saveexec_b64 s[12:13], s[14:15]
	s_cbranch_execz .LBB120_176
; %bb.175:
	v_ashrrev_i32_e32 v69, 31, v68
	v_lshl_add_u64 v[74:75], v[68:69], 2, v[4:5]
	global_load_dword v69, v[74:75], off
	global_load_dword v71, v[4:5], off offset:40
	s_waitcnt vmcnt(1)
	global_store_dword v[4:5], v69, off offset:40
	s_waitcnt vmcnt(1)
	global_store_dword v[74:75], v71, off
.LBB120_176:
	s_or_b64 exec, exec, s[12:13]
	v_mov_b32_e32 v69, v68
	v_mov_b32_e32 v71, v68
.LBB120_177:
	s_or_b64 exec, exec, s[2:3]
.LBB120_178:
	s_andn2_saveexec_b64 s[0:1], s[0:1]
	s_cbranch_execz .LBB120_180
; %bb.179:
	v_mov_b32_e32 v71, 10
	ds_write2_b32 v67, v50, v51 offset0:11 offset1:12
	ds_write2_b32 v67, v62, v63 offset0:13 offset1:14
	;; [unrolled: 1-line block ×25, first 2 shown]
.LBB120_180:
	s_or_b64 exec, exec, s[0:1]
	v_cmp_lt_i32_e32 vcc, 10, v71
	s_waitcnt lgkmcnt(0)
	s_barrier
	s_and_saveexec_b64 s[0:1], vcc
	s_cbranch_execz .LBB120_182
; %bb.181:
	ds_read2_b32 v[74:75], v67 offset0:11 offset1:12
	v_mul_f32_e32 v68, v73, v55
	v_mov_b32_e32 v55, v68
	s_waitcnt lgkmcnt(0)
	v_pk_fma_f32 v[50:51], v[68:69], v[74:75], v[50:51] op_sel_hi:[0,1,1] neg_lo:[1,0,0] neg_hi:[1,0,0]
	ds_read2_b32 v[74:75], v67 offset0:13 offset1:14
	s_waitcnt lgkmcnt(0)
	v_pk_fma_f32 v[62:63], v[68:69], v[74:75], v[62:63] op_sel_hi:[0,1,1] neg_lo:[1,0,0] neg_hi:[1,0,0]
	ds_read2_b32 v[74:75], v67 offset0:15 offset1:16
	s_waitcnt lgkmcnt(0)
	v_pk_fma_f32 v[60:61], v[68:69], v[74:75], v[60:61] op_sel_hi:[0,1,1] neg_lo:[1,0,0] neg_hi:[1,0,0]
	ds_read2_b32 v[74:75], v67 offset0:17 offset1:18
	s_waitcnt lgkmcnt(0)
	v_pk_fma_f32 v[48:49], v[68:69], v[74:75], v[48:49] op_sel_hi:[0,1,1] neg_lo:[1,0,0] neg_hi:[1,0,0]
	ds_read2_b32 v[74:75], v67 offset0:19 offset1:20
	s_waitcnt lgkmcnt(0)
	v_pk_fma_f32 v[44:45], v[68:69], v[74:75], v[44:45] op_sel_hi:[0,1,1] neg_lo:[1,0,0] neg_hi:[1,0,0]
	ds_read2_b32 v[74:75], v67 offset0:21 offset1:22
	s_waitcnt lgkmcnt(0)
	v_pk_fma_f32 v[38:39], v[68:69], v[74:75], v[38:39] op_sel_hi:[0,1,1] neg_lo:[1,0,0] neg_hi:[1,0,0]
	ds_read2_b32 v[74:75], v67 offset0:23 offset1:24
	s_waitcnt lgkmcnt(0)
	v_pk_fma_f32 v[30:31], v[68:69], v[74:75], v[30:31] op_sel_hi:[0,1,1] neg_lo:[1,0,0] neg_hi:[1,0,0]
	ds_read2_b32 v[74:75], v67 offset0:25 offset1:26
	s_waitcnt lgkmcnt(0)
	v_pk_fma_f32 v[46:47], v[68:69], v[74:75], v[46:47] op_sel_hi:[0,1,1] neg_lo:[1,0,0] neg_hi:[1,0,0]
	ds_read2_b32 v[74:75], v67 offset0:27 offset1:28
	s_waitcnt lgkmcnt(0)
	v_pk_fma_f32 v[40:41], v[68:69], v[74:75], v[40:41] op_sel_hi:[0,1,1] neg_lo:[1,0,0] neg_hi:[1,0,0]
	ds_read2_b32 v[74:75], v67 offset0:29 offset1:30
	s_waitcnt lgkmcnt(0)
	v_pk_fma_f32 v[32:33], v[68:69], v[74:75], v[32:33] op_sel_hi:[0,1,1] neg_lo:[1,0,0] neg_hi:[1,0,0]
	ds_read2_b32 v[74:75], v67 offset0:31 offset1:32
	s_waitcnt lgkmcnt(0)
	v_pk_fma_f32 v[24:25], v[68:69], v[74:75], v[24:25] op_sel_hi:[0,1,1] neg_lo:[1,0,0] neg_hi:[1,0,0]
	ds_read2_b32 v[74:75], v67 offset0:33 offset1:34
	s_waitcnt lgkmcnt(0)
	v_pk_fma_f32 v[42:43], v[68:69], v[74:75], v[42:43] op_sel_hi:[0,1,1] neg_lo:[1,0,0] neg_hi:[1,0,0]
	ds_read2_b32 v[74:75], v67 offset0:35 offset1:36
	s_waitcnt lgkmcnt(0)
	v_pk_fma_f32 v[34:35], v[68:69], v[74:75], v[34:35] op_sel_hi:[0,1,1] neg_lo:[1,0,0] neg_hi:[1,0,0]
	ds_read2_b32 v[74:75], v67 offset0:37 offset1:38
	s_waitcnt lgkmcnt(0)
	v_pk_fma_f32 v[26:27], v[68:69], v[74:75], v[26:27] op_sel_hi:[0,1,1] neg_lo:[1,0,0] neg_hi:[1,0,0]
	ds_read2_b32 v[74:75], v67 offset0:39 offset1:40
	s_waitcnt lgkmcnt(0)
	v_pk_fma_f32 v[18:19], v[68:69], v[74:75], v[18:19] op_sel_hi:[0,1,1] neg_lo:[1,0,0] neg_hi:[1,0,0]
	ds_read2_b32 v[74:75], v67 offset0:41 offset1:42
	s_waitcnt lgkmcnt(0)
	v_pk_fma_f32 v[36:37], v[68:69], v[74:75], v[36:37] op_sel_hi:[0,1,1] neg_lo:[1,0,0] neg_hi:[1,0,0]
	ds_read2_b32 v[74:75], v67 offset0:43 offset1:44
	s_waitcnt lgkmcnt(0)
	v_pk_fma_f32 v[28:29], v[68:69], v[74:75], v[28:29] op_sel_hi:[0,1,1] neg_lo:[1,0,0] neg_hi:[1,0,0]
	ds_read2_b32 v[74:75], v67 offset0:45 offset1:46
	s_waitcnt lgkmcnt(0)
	v_pk_fma_f32 v[20:21], v[68:69], v[74:75], v[20:21] op_sel_hi:[0,1,1] neg_lo:[1,0,0] neg_hi:[1,0,0]
	ds_read2_b32 v[74:75], v67 offset0:47 offset1:48
	s_waitcnt lgkmcnt(0)
	v_pk_fma_f32 v[10:11], v[68:69], v[74:75], v[10:11] op_sel_hi:[0,1,1] neg_lo:[1,0,0] neg_hi:[1,0,0]
	ds_read2_b32 v[74:75], v67 offset0:49 offset1:50
	s_waitcnt lgkmcnt(0)
	v_pk_fma_f32 v[22:23], v[68:69], v[74:75], v[22:23] op_sel_hi:[0,1,1] neg_lo:[1,0,0] neg_hi:[1,0,0]
	ds_read2_b32 v[74:75], v67 offset0:51 offset1:52
	s_waitcnt lgkmcnt(0)
	v_pk_fma_f32 v[14:15], v[68:69], v[74:75], v[14:15] op_sel_hi:[0,1,1] neg_lo:[1,0,0] neg_hi:[1,0,0]
	ds_read2_b32 v[74:75], v67 offset0:53 offset1:54
	s_waitcnt lgkmcnt(0)
	v_pk_fma_f32 v[16:17], v[68:69], v[74:75], v[16:17] op_sel_hi:[0,1,1] neg_lo:[1,0,0] neg_hi:[1,0,0]
	ds_read2_b32 v[74:75], v67 offset0:55 offset1:56
	s_waitcnt lgkmcnt(0)
	v_pk_fma_f32 v[8:9], v[68:69], v[74:75], v[8:9] op_sel_hi:[0,1,1] neg_lo:[1,0,0] neg_hi:[1,0,0]
	ds_read2_b32 v[74:75], v67 offset0:57 offset1:58
	s_waitcnt lgkmcnt(0)
	v_pk_fma_f32 v[0:1], v[68:69], v[74:75], v[0:1] op_sel_hi:[0,1,1] neg_lo:[1,0,0] neg_hi:[1,0,0]
	ds_read2_b32 v[74:75], v67 offset0:59 offset1:60
	s_waitcnt lgkmcnt(0)
	v_pk_fma_f32 v[12:13], v[68:69], v[74:75], v[12:13] op_sel_hi:[0,1,1] neg_lo:[1,0,0] neg_hi:[1,0,0]
.LBB120_182:
	s_or_b64 exec, exec, s[0:1]
	v_lshl_add_u32 v68, v71, 2, v67
	s_barrier
	ds_write_b32 v68, v50
	s_waitcnt lgkmcnt(0)
	s_barrier
	ds_read_b32 v73, v67 offset:44
	s_cmp_lt_i32 s22, 13
	v_mov_b32_e32 v68, 11
	s_cbranch_scc1 .LBB120_185
; %bb.183:
	v_add3_u32 v74, v70, 0, 48
	v_mov_b32_e32 v68, 11
	s_mov_b32 s0, 12
.LBB120_184:                            ; =>This Inner Loop Header: Depth=1
	ds_read_b32 v75, v74
	v_mov_b32_e32 v76, s0
	s_add_i32 s0, s0, 1
	v_add_u32_e32 v74, 4, v74
	s_cmp_lg_u32 s22, s0
	s_waitcnt lgkmcnt(0)
	v_cmp_lt_f32_e64 vcc, |v73|, |v75|
	s_nop 1
	v_cndmask_b32_e32 v73, v73, v75, vcc
	v_cndmask_b32_e32 v68, v68, v76, vcc
	s_cbranch_scc1 .LBB120_184
.LBB120_185:
	s_waitcnt lgkmcnt(0)
	v_cmp_eq_f32_e32 vcc, 0, v73
	s_and_saveexec_b64 s[0:1], vcc
	s_xor_b64 s[0:1], exec, s[0:1]
; %bb.186:
	v_cmp_ne_u32_e32 vcc, 0, v72
	s_nop 1
	v_cndmask_b32_e32 v72, 12, v72, vcc
; %bb.187:
	s_andn2_saveexec_b64 s[0:1], s[0:1]
	s_cbranch_execz .LBB120_189
; %bb.188:
	v_div_scale_f32 v74, s[2:3], v73, v73, 1.0
	v_rcp_f32_e32 v75, v74
	v_div_scale_f32 v76, vcc, 1.0, v73, 1.0
	v_fma_f32 v77, -v74, v75, 1.0
	v_fmac_f32_e32 v75, v77, v75
	v_mul_f32_e32 v77, v76, v75
	v_fma_f32 v78, -v74, v77, v76
	v_fmac_f32_e32 v77, v78, v75
	v_fma_f32 v74, -v74, v77, v76
	v_div_fmas_f32 v74, v74, v75, v77
	v_div_fixup_f32 v73, v74, v73, 1.0
.LBB120_189:
	s_or_b64 exec, exec, s[0:1]
	v_cmp_ne_u32_e32 vcc, v71, v68
	s_and_saveexec_b64 s[0:1], vcc
	s_xor_b64 s[0:1], exec, s[0:1]
	s_cbranch_execz .LBB120_195
; %bb.190:
	v_cmp_eq_u32_e32 vcc, 11, v71
	s_and_saveexec_b64 s[2:3], vcc
	s_cbranch_execz .LBB120_194
; %bb.191:
	v_cmp_ne_u32_e32 vcc, 11, v68
	s_xor_b64 s[12:13], s[20:21], -1
	s_and_b64 s[14:15], s[12:13], vcc
	s_and_saveexec_b64 s[12:13], s[14:15]
	s_cbranch_execz .LBB120_193
; %bb.192:
	v_ashrrev_i32_e32 v69, 31, v68
	v_lshl_add_u64 v[74:75], v[68:69], 2, v[4:5]
	global_load_dword v69, v[74:75], off
	global_load_dword v71, v[4:5], off offset:44
	s_waitcnt vmcnt(1)
	global_store_dword v[4:5], v69, off offset:44
	s_waitcnt vmcnt(1)
	global_store_dword v[74:75], v71, off
.LBB120_193:
	s_or_b64 exec, exec, s[12:13]
	v_mov_b32_e32 v69, v68
	v_mov_b32_e32 v71, v68
.LBB120_194:
	s_or_b64 exec, exec, s[2:3]
.LBB120_195:
	s_andn2_saveexec_b64 s[0:1], s[0:1]
	s_cbranch_execz .LBB120_197
; %bb.196:
	v_pk_mov_b32 v[74:75], v[50:51], v[62:63] op_sel:[1,0]
	ds_write2_b32 v67, v74, v75 offset0:12 offset1:13
	v_pk_mov_b32 v[74:75], v[62:63], v[60:61] op_sel:[1,0]
	ds_write2_b32 v67, v74, v75 offset0:14 offset1:15
	;; [unrolled: 2-line block ×23, first 2 shown]
	v_pk_mov_b32 v[74:75], v[0:1], v[12:13] op_sel:[1,0]
	v_mov_b32_e32 v71, 11
	ds_write2_b32 v67, v74, v75 offset0:58 offset1:59
	ds_write_b32 v67, v13 offset:240
.LBB120_197:
	s_or_b64 exec, exec, s[0:1]
	v_cmp_lt_i32_e32 vcc, 11, v71
	s_waitcnt lgkmcnt(0)
	s_barrier
	s_and_saveexec_b64 s[0:1], vcc
	s_cbranch_execz .LBB120_199
; %bb.198:
	ds_read_b32 v68, v67 offset:48
	ds_read2_b32 v[74:75], v67 offset0:13 offset1:14
	v_mul_f32_e32 v50, v73, v50
	s_waitcnt lgkmcnt(1)
	v_fma_f32 v51, -v50, v68, v51
	s_waitcnt lgkmcnt(0)
	v_pk_fma_f32 v[62:63], v[50:51], v[74:75], v[62:63] op_sel_hi:[0,1,1] neg_lo:[1,0,0] neg_hi:[1,0,0]
	ds_read2_b32 v[74:75], v67 offset0:15 offset1:16
	s_waitcnt lgkmcnt(0)
	v_pk_fma_f32 v[60:61], v[50:51], v[74:75], v[60:61] op_sel_hi:[0,1,1] neg_lo:[1,0,0] neg_hi:[1,0,0]
	ds_read2_b32 v[74:75], v67 offset0:17 offset1:18
	;; [unrolled: 3-line block ×23, first 2 shown]
	s_waitcnt lgkmcnt(0)
	v_pk_fma_f32 v[12:13], v[50:51], v[74:75], v[12:13] op_sel_hi:[0,1,1] neg_lo:[1,0,0] neg_hi:[1,0,0]
.LBB120_199:
	s_or_b64 exec, exec, s[0:1]
	v_lshl_add_u32 v68, v71, 2, v67
	s_barrier
	ds_write_b32 v68, v51
	s_waitcnt lgkmcnt(0)
	s_barrier
	ds_read_b32 v73, v67 offset:48
	s_cmp_lt_i32 s22, 14
	v_mov_b32_e32 v68, 12
	s_cbranch_scc1 .LBB120_202
; %bb.200:
	v_add3_u32 v74, v70, 0, 52
	v_mov_b32_e32 v68, 12
	s_mov_b32 s0, 13
.LBB120_201:                            ; =>This Inner Loop Header: Depth=1
	ds_read_b32 v75, v74
	v_mov_b32_e32 v76, s0
	s_add_i32 s0, s0, 1
	v_add_u32_e32 v74, 4, v74
	s_cmp_lg_u32 s22, s0
	s_waitcnt lgkmcnt(0)
	v_cmp_lt_f32_e64 vcc, |v73|, |v75|
	s_nop 1
	v_cndmask_b32_e32 v73, v73, v75, vcc
	v_cndmask_b32_e32 v68, v68, v76, vcc
	s_cbranch_scc1 .LBB120_201
.LBB120_202:
	s_waitcnt lgkmcnt(0)
	v_cmp_eq_f32_e32 vcc, 0, v73
	s_and_saveexec_b64 s[0:1], vcc
	s_xor_b64 s[0:1], exec, s[0:1]
; %bb.203:
	v_cmp_ne_u32_e32 vcc, 0, v72
	s_nop 1
	v_cndmask_b32_e32 v72, 13, v72, vcc
; %bb.204:
	s_andn2_saveexec_b64 s[0:1], s[0:1]
	s_cbranch_execz .LBB120_206
; %bb.205:
	v_div_scale_f32 v74, s[2:3], v73, v73, 1.0
	v_rcp_f32_e32 v75, v74
	v_div_scale_f32 v76, vcc, 1.0, v73, 1.0
	v_fma_f32 v77, -v74, v75, 1.0
	v_fmac_f32_e32 v75, v77, v75
	v_mul_f32_e32 v77, v76, v75
	v_fma_f32 v78, -v74, v77, v76
	v_fmac_f32_e32 v77, v78, v75
	v_fma_f32 v74, -v74, v77, v76
	v_div_fmas_f32 v74, v74, v75, v77
	v_div_fixup_f32 v73, v74, v73, 1.0
.LBB120_206:
	s_or_b64 exec, exec, s[0:1]
	v_cmp_ne_u32_e32 vcc, v71, v68
	s_and_saveexec_b64 s[0:1], vcc
	s_xor_b64 s[0:1], exec, s[0:1]
	s_cbranch_execz .LBB120_212
; %bb.207:
	v_cmp_eq_u32_e32 vcc, 12, v71
	s_and_saveexec_b64 s[2:3], vcc
	s_cbranch_execz .LBB120_211
; %bb.208:
	v_cmp_ne_u32_e32 vcc, 12, v68
	s_xor_b64 s[12:13], s[20:21], -1
	s_and_b64 s[14:15], s[12:13], vcc
	s_and_saveexec_b64 s[12:13], s[14:15]
	s_cbranch_execz .LBB120_210
; %bb.209:
	v_ashrrev_i32_e32 v69, 31, v68
	v_lshl_add_u64 v[74:75], v[68:69], 2, v[4:5]
	global_load_dword v69, v[74:75], off
	global_load_dword v71, v[4:5], off offset:48
	s_waitcnt vmcnt(1)
	global_store_dword v[4:5], v69, off offset:48
	s_waitcnt vmcnt(1)
	global_store_dword v[74:75], v71, off
.LBB120_210:
	s_or_b64 exec, exec, s[12:13]
	v_mov_b32_e32 v69, v68
	v_mov_b32_e32 v71, v68
.LBB120_211:
	s_or_b64 exec, exec, s[2:3]
.LBB120_212:
	s_andn2_saveexec_b64 s[0:1], s[0:1]
	s_cbranch_execz .LBB120_214
; %bb.213:
	v_mov_b32_e32 v71, 12
	ds_write2_b32 v67, v62, v63 offset0:13 offset1:14
	ds_write2_b32 v67, v60, v61 offset0:15 offset1:16
	;; [unrolled: 1-line block ×24, first 2 shown]
.LBB120_214:
	s_or_b64 exec, exec, s[0:1]
	v_cmp_lt_i32_e32 vcc, 12, v71
	s_waitcnt lgkmcnt(0)
	s_barrier
	s_and_saveexec_b64 s[0:1], vcc
	s_cbranch_execz .LBB120_216
; %bb.215:
	ds_read2_b32 v[74:75], v67 offset0:13 offset1:14
	v_mul_f32_e32 v68, v73, v51
	v_mov_b32_e32 v51, v68
	s_waitcnt lgkmcnt(0)
	v_pk_fma_f32 v[62:63], v[68:69], v[74:75], v[62:63] op_sel_hi:[0,1,1] neg_lo:[1,0,0] neg_hi:[1,0,0]
	ds_read2_b32 v[74:75], v67 offset0:15 offset1:16
	s_waitcnt lgkmcnt(0)
	v_pk_fma_f32 v[60:61], v[68:69], v[74:75], v[60:61] op_sel_hi:[0,1,1] neg_lo:[1,0,0] neg_hi:[1,0,0]
	ds_read2_b32 v[74:75], v67 offset0:17 offset1:18
	;; [unrolled: 3-line block ×23, first 2 shown]
	s_waitcnt lgkmcnt(0)
	v_pk_fma_f32 v[12:13], v[68:69], v[74:75], v[12:13] op_sel_hi:[0,1,1] neg_lo:[1,0,0] neg_hi:[1,0,0]
.LBB120_216:
	s_or_b64 exec, exec, s[0:1]
	v_lshl_add_u32 v68, v71, 2, v67
	s_barrier
	ds_write_b32 v68, v62
	s_waitcnt lgkmcnt(0)
	s_barrier
	ds_read_b32 v73, v67 offset:52
	s_cmp_lt_i32 s22, 15
	v_mov_b32_e32 v68, 13
	s_cbranch_scc1 .LBB120_219
; %bb.217:
	v_add3_u32 v74, v70, 0, 56
	v_mov_b32_e32 v68, 13
	s_mov_b32 s0, 14
.LBB120_218:                            ; =>This Inner Loop Header: Depth=1
	ds_read_b32 v75, v74
	v_mov_b32_e32 v76, s0
	s_add_i32 s0, s0, 1
	v_add_u32_e32 v74, 4, v74
	s_cmp_lg_u32 s22, s0
	s_waitcnt lgkmcnt(0)
	v_cmp_lt_f32_e64 vcc, |v73|, |v75|
	s_nop 1
	v_cndmask_b32_e32 v73, v73, v75, vcc
	v_cndmask_b32_e32 v68, v68, v76, vcc
	s_cbranch_scc1 .LBB120_218
.LBB120_219:
	s_waitcnt lgkmcnt(0)
	v_cmp_eq_f32_e32 vcc, 0, v73
	s_and_saveexec_b64 s[0:1], vcc
	s_xor_b64 s[0:1], exec, s[0:1]
; %bb.220:
	v_cmp_ne_u32_e32 vcc, 0, v72
	s_nop 1
	v_cndmask_b32_e32 v72, 14, v72, vcc
; %bb.221:
	s_andn2_saveexec_b64 s[0:1], s[0:1]
	s_cbranch_execz .LBB120_223
; %bb.222:
	v_div_scale_f32 v74, s[2:3], v73, v73, 1.0
	v_rcp_f32_e32 v75, v74
	v_div_scale_f32 v76, vcc, 1.0, v73, 1.0
	v_fma_f32 v77, -v74, v75, 1.0
	v_fmac_f32_e32 v75, v77, v75
	v_mul_f32_e32 v77, v76, v75
	v_fma_f32 v78, -v74, v77, v76
	v_fmac_f32_e32 v77, v78, v75
	v_fma_f32 v74, -v74, v77, v76
	v_div_fmas_f32 v74, v74, v75, v77
	v_div_fixup_f32 v73, v74, v73, 1.0
.LBB120_223:
	s_or_b64 exec, exec, s[0:1]
	v_cmp_ne_u32_e32 vcc, v71, v68
	s_and_saveexec_b64 s[0:1], vcc
	s_xor_b64 s[0:1], exec, s[0:1]
	s_cbranch_execz .LBB120_229
; %bb.224:
	v_cmp_eq_u32_e32 vcc, 13, v71
	s_and_saveexec_b64 s[2:3], vcc
	s_cbranch_execz .LBB120_228
; %bb.225:
	v_cmp_ne_u32_e32 vcc, 13, v68
	s_xor_b64 s[12:13], s[20:21], -1
	s_and_b64 s[14:15], s[12:13], vcc
	s_and_saveexec_b64 s[12:13], s[14:15]
	s_cbranch_execz .LBB120_227
; %bb.226:
	v_ashrrev_i32_e32 v69, 31, v68
	v_lshl_add_u64 v[74:75], v[68:69], 2, v[4:5]
	global_load_dword v69, v[74:75], off
	global_load_dword v71, v[4:5], off offset:52
	s_waitcnt vmcnt(1)
	global_store_dword v[4:5], v69, off offset:52
	s_waitcnt vmcnt(1)
	global_store_dword v[74:75], v71, off
.LBB120_227:
	s_or_b64 exec, exec, s[12:13]
	v_mov_b32_e32 v69, v68
	v_mov_b32_e32 v71, v68
.LBB120_228:
	s_or_b64 exec, exec, s[2:3]
.LBB120_229:
	s_andn2_saveexec_b64 s[0:1], s[0:1]
	s_cbranch_execz .LBB120_231
; %bb.230:
	v_pk_mov_b32 v[74:75], v[62:63], v[60:61] op_sel:[1,0]
	ds_write2_b32 v67, v74, v75 offset0:14 offset1:15
	v_pk_mov_b32 v[74:75], v[60:61], v[48:49] op_sel:[1,0]
	ds_write2_b32 v67, v74, v75 offset0:16 offset1:17
	;; [unrolled: 2-line block ×22, first 2 shown]
	v_pk_mov_b32 v[74:75], v[0:1], v[12:13] op_sel:[1,0]
	v_mov_b32_e32 v71, 13
	ds_write2_b32 v67, v74, v75 offset0:58 offset1:59
	ds_write_b32 v67, v13 offset:240
.LBB120_231:
	s_or_b64 exec, exec, s[0:1]
	v_cmp_lt_i32_e32 vcc, 13, v71
	s_waitcnt lgkmcnt(0)
	s_barrier
	s_and_saveexec_b64 s[0:1], vcc
	s_cbranch_execz .LBB120_233
; %bb.232:
	ds_read_b32 v68, v67 offset:56
	ds_read2_b32 v[74:75], v67 offset0:15 offset1:16
	v_mul_f32_e32 v62, v73, v62
	s_waitcnt lgkmcnt(1)
	v_fma_f32 v63, -v62, v68, v63
	s_waitcnt lgkmcnt(0)
	v_pk_fma_f32 v[60:61], v[62:63], v[74:75], v[60:61] op_sel_hi:[0,1,1] neg_lo:[1,0,0] neg_hi:[1,0,0]
	ds_read2_b32 v[74:75], v67 offset0:17 offset1:18
	s_waitcnt lgkmcnt(0)
	v_pk_fma_f32 v[48:49], v[62:63], v[74:75], v[48:49] op_sel_hi:[0,1,1] neg_lo:[1,0,0] neg_hi:[1,0,0]
	ds_read2_b32 v[74:75], v67 offset0:19 offset1:20
	;; [unrolled: 3-line block ×22, first 2 shown]
	s_waitcnt lgkmcnt(0)
	v_pk_fma_f32 v[12:13], v[62:63], v[74:75], v[12:13] op_sel_hi:[0,1,1] neg_lo:[1,0,0] neg_hi:[1,0,0]
.LBB120_233:
	s_or_b64 exec, exec, s[0:1]
	v_lshl_add_u32 v68, v71, 2, v67
	s_barrier
	ds_write_b32 v68, v63
	s_waitcnt lgkmcnt(0)
	s_barrier
	ds_read_b32 v73, v67 offset:56
	s_cmp_lt_i32 s22, 16
	v_mov_b32_e32 v68, 14
	s_cbranch_scc1 .LBB120_236
; %bb.234:
	v_add3_u32 v74, v70, 0, 60
	v_mov_b32_e32 v68, 14
	s_mov_b32 s0, 15
.LBB120_235:                            ; =>This Inner Loop Header: Depth=1
	ds_read_b32 v75, v74
	v_mov_b32_e32 v76, s0
	s_add_i32 s0, s0, 1
	v_add_u32_e32 v74, 4, v74
	s_cmp_lg_u32 s22, s0
	s_waitcnt lgkmcnt(0)
	v_cmp_lt_f32_e64 vcc, |v73|, |v75|
	s_nop 1
	v_cndmask_b32_e32 v73, v73, v75, vcc
	v_cndmask_b32_e32 v68, v68, v76, vcc
	s_cbranch_scc1 .LBB120_235
.LBB120_236:
	s_waitcnt lgkmcnt(0)
	v_cmp_eq_f32_e32 vcc, 0, v73
	s_and_saveexec_b64 s[0:1], vcc
	s_xor_b64 s[0:1], exec, s[0:1]
; %bb.237:
	v_cmp_ne_u32_e32 vcc, 0, v72
	s_nop 1
	v_cndmask_b32_e32 v72, 15, v72, vcc
; %bb.238:
	s_andn2_saveexec_b64 s[0:1], s[0:1]
	s_cbranch_execz .LBB120_240
; %bb.239:
	v_div_scale_f32 v74, s[2:3], v73, v73, 1.0
	v_rcp_f32_e32 v75, v74
	v_div_scale_f32 v76, vcc, 1.0, v73, 1.0
	v_fma_f32 v77, -v74, v75, 1.0
	v_fmac_f32_e32 v75, v77, v75
	v_mul_f32_e32 v77, v76, v75
	v_fma_f32 v78, -v74, v77, v76
	v_fmac_f32_e32 v77, v78, v75
	v_fma_f32 v74, -v74, v77, v76
	v_div_fmas_f32 v74, v74, v75, v77
	v_div_fixup_f32 v73, v74, v73, 1.0
.LBB120_240:
	s_or_b64 exec, exec, s[0:1]
	v_cmp_ne_u32_e32 vcc, v71, v68
	s_and_saveexec_b64 s[0:1], vcc
	s_xor_b64 s[0:1], exec, s[0:1]
	s_cbranch_execz .LBB120_246
; %bb.241:
	v_cmp_eq_u32_e32 vcc, 14, v71
	s_and_saveexec_b64 s[2:3], vcc
	s_cbranch_execz .LBB120_245
; %bb.242:
	v_cmp_ne_u32_e32 vcc, 14, v68
	s_xor_b64 s[12:13], s[20:21], -1
	s_and_b64 s[14:15], s[12:13], vcc
	s_and_saveexec_b64 s[12:13], s[14:15]
	s_cbranch_execz .LBB120_244
; %bb.243:
	v_ashrrev_i32_e32 v69, 31, v68
	v_lshl_add_u64 v[74:75], v[68:69], 2, v[4:5]
	global_load_dword v69, v[74:75], off
	global_load_dword v71, v[4:5], off offset:56
	s_waitcnt vmcnt(1)
	global_store_dword v[4:5], v69, off offset:56
	s_waitcnt vmcnt(1)
	global_store_dword v[74:75], v71, off
.LBB120_244:
	s_or_b64 exec, exec, s[12:13]
	v_mov_b32_e32 v69, v68
	v_mov_b32_e32 v71, v68
.LBB120_245:
	s_or_b64 exec, exec, s[2:3]
.LBB120_246:
	s_andn2_saveexec_b64 s[0:1], s[0:1]
	s_cbranch_execz .LBB120_248
; %bb.247:
	v_mov_b32_e32 v71, 14
	ds_write2_b32 v67, v60, v61 offset0:15 offset1:16
	ds_write2_b32 v67, v48, v49 offset0:17 offset1:18
	;; [unrolled: 1-line block ×23, first 2 shown]
.LBB120_248:
	s_or_b64 exec, exec, s[0:1]
	v_cmp_lt_i32_e32 vcc, 14, v71
	s_waitcnt lgkmcnt(0)
	s_barrier
	s_and_saveexec_b64 s[0:1], vcc
	s_cbranch_execz .LBB120_250
; %bb.249:
	ds_read2_b32 v[74:75], v67 offset0:15 offset1:16
	v_mul_f32_e32 v68, v73, v63
	v_mov_b32_e32 v63, v68
	s_waitcnt lgkmcnt(0)
	v_pk_fma_f32 v[60:61], v[68:69], v[74:75], v[60:61] op_sel_hi:[0,1,1] neg_lo:[1,0,0] neg_hi:[1,0,0]
	ds_read2_b32 v[74:75], v67 offset0:17 offset1:18
	s_waitcnt lgkmcnt(0)
	v_pk_fma_f32 v[48:49], v[68:69], v[74:75], v[48:49] op_sel_hi:[0,1,1] neg_lo:[1,0,0] neg_hi:[1,0,0]
	ds_read2_b32 v[74:75], v67 offset0:19 offset1:20
	;; [unrolled: 3-line block ×22, first 2 shown]
	s_waitcnt lgkmcnt(0)
	v_pk_fma_f32 v[12:13], v[68:69], v[74:75], v[12:13] op_sel_hi:[0,1,1] neg_lo:[1,0,0] neg_hi:[1,0,0]
.LBB120_250:
	s_or_b64 exec, exec, s[0:1]
	v_lshl_add_u32 v68, v71, 2, v67
	s_barrier
	ds_write_b32 v68, v60
	s_waitcnt lgkmcnt(0)
	s_barrier
	ds_read_b32 v73, v67 offset:60
	s_cmp_lt_i32 s22, 17
	v_mov_b32_e32 v68, 15
	s_cbranch_scc1 .LBB120_253
; %bb.251:
	v_add3_u32 v70, v70, 0, 64
	v_mov_b32_e32 v68, 15
	s_mov_b32 s0, 16
.LBB120_252:                            ; =>This Inner Loop Header: Depth=1
	ds_read_b32 v74, v70
	v_mov_b32_e32 v75, s0
	s_add_i32 s0, s0, 1
	v_add_u32_e32 v70, 4, v70
	s_cmp_lg_u32 s22, s0
	s_waitcnt lgkmcnt(0)
	v_cmp_lt_f32_e64 vcc, |v73|, |v74|
	s_nop 1
	v_cndmask_b32_e32 v73, v73, v74, vcc
	v_cndmask_b32_e32 v68, v68, v75, vcc
	s_cbranch_scc1 .LBB120_252
.LBB120_253:
	s_waitcnt lgkmcnt(0)
	v_cmp_eq_f32_e32 vcc, 0, v73
	s_and_saveexec_b64 s[0:1], vcc
	s_xor_b64 s[0:1], exec, s[0:1]
; %bb.254:
	v_cmp_ne_u32_e32 vcc, 0, v72
	s_nop 1
	v_cndmask_b32_e32 v72, 16, v72, vcc
; %bb.255:
	s_andn2_saveexec_b64 s[0:1], s[0:1]
	s_cbranch_execz .LBB120_257
; %bb.256:
	v_div_scale_f32 v70, s[2:3], v73, v73, 1.0
	v_rcp_f32_e32 v74, v70
	v_div_scale_f32 v75, vcc, 1.0, v73, 1.0
	v_fma_f32 v76, -v70, v74, 1.0
	v_fmac_f32_e32 v74, v76, v74
	v_mul_f32_e32 v76, v75, v74
	v_fma_f32 v77, -v70, v76, v75
	v_fmac_f32_e32 v76, v77, v74
	v_fma_f32 v70, -v70, v76, v75
	v_div_fmas_f32 v70, v70, v74, v76
	v_div_fixup_f32 v73, v70, v73, 1.0
.LBB120_257:
	s_or_b64 exec, exec, s[0:1]
	v_cmp_ne_u32_e32 vcc, v71, v68
	s_and_saveexec_b64 s[0:1], vcc
	s_xor_b64 s[0:1], exec, s[0:1]
	s_cbranch_execz .LBB120_263
; %bb.258:
	v_cmp_eq_u32_e32 vcc, 15, v71
	s_and_saveexec_b64 s[2:3], vcc
	s_cbranch_execz .LBB120_262
; %bb.259:
	v_cmp_ne_u32_e32 vcc, 15, v68
	s_xor_b64 s[12:13], s[20:21], -1
	s_and_b64 s[14:15], s[12:13], vcc
	s_and_saveexec_b64 s[12:13], s[14:15]
	s_cbranch_execz .LBB120_261
; %bb.260:
	v_ashrrev_i32_e32 v69, 31, v68
	v_lshl_add_u64 v[70:71], v[68:69], 2, v[4:5]
	global_load_dword v69, v[70:71], off
	global_load_dword v74, v[4:5], off offset:60
	s_waitcnt vmcnt(1)
	global_store_dword v[4:5], v69, off offset:60
	s_waitcnt vmcnt(1)
	global_store_dword v[70:71], v74, off
.LBB120_261:
	s_or_b64 exec, exec, s[12:13]
	v_mov_b32_e32 v69, v68
	v_mov_b32_e32 v71, v68
.LBB120_262:
	s_or_b64 exec, exec, s[2:3]
.LBB120_263:
	s_andn2_saveexec_b64 s[0:1], s[0:1]
	s_cbranch_execz .LBB120_265
; %bb.264:
	v_pk_mov_b32 v[70:71], v[60:61], v[48:49] op_sel:[1,0]
	ds_write2_b32 v67, v70, v71 offset0:16 offset1:17
	v_pk_mov_b32 v[70:71], v[48:49], v[44:45] op_sel:[1,0]
	ds_write2_b32 v67, v70, v71 offset0:18 offset1:19
	v_pk_mov_b32 v[70:71], v[44:45], v[38:39] op_sel:[1,0]
	ds_write2_b32 v67, v70, v71 offset0:20 offset1:21
	v_pk_mov_b32 v[70:71], v[38:39], v[30:31] op_sel:[1,0]
	ds_write2_b32 v67, v70, v71 offset0:22 offset1:23
	v_pk_mov_b32 v[70:71], v[30:31], v[46:47] op_sel:[1,0]
	ds_write2_b32 v67, v70, v71 offset0:24 offset1:25
	v_pk_mov_b32 v[70:71], v[46:47], v[40:41] op_sel:[1,0]
	ds_write2_b32 v67, v70, v71 offset0:26 offset1:27
	v_pk_mov_b32 v[70:71], v[40:41], v[32:33] op_sel:[1,0]
	ds_write2_b32 v67, v70, v71 offset0:28 offset1:29
	v_pk_mov_b32 v[70:71], v[32:33], v[24:25] op_sel:[1,0]
	ds_write2_b32 v67, v70, v71 offset0:30 offset1:31
	v_pk_mov_b32 v[70:71], v[24:25], v[42:43] op_sel:[1,0]
	ds_write2_b32 v67, v70, v71 offset0:32 offset1:33
	v_pk_mov_b32 v[70:71], v[42:43], v[34:35] op_sel:[1,0]
	ds_write2_b32 v67, v70, v71 offset0:34 offset1:35
	v_pk_mov_b32 v[70:71], v[34:35], v[26:27] op_sel:[1,0]
	ds_write2_b32 v67, v70, v71 offset0:36 offset1:37
	v_pk_mov_b32 v[70:71], v[26:27], v[18:19] op_sel:[1,0]
	ds_write2_b32 v67, v70, v71 offset0:38 offset1:39
	v_pk_mov_b32 v[70:71], v[18:19], v[36:37] op_sel:[1,0]
	ds_write2_b32 v67, v70, v71 offset0:40 offset1:41
	v_pk_mov_b32 v[70:71], v[36:37], v[28:29] op_sel:[1,0]
	ds_write2_b32 v67, v70, v71 offset0:42 offset1:43
	v_pk_mov_b32 v[70:71], v[28:29], v[20:21] op_sel:[1,0]
	ds_write2_b32 v67, v70, v71 offset0:44 offset1:45
	v_pk_mov_b32 v[70:71], v[20:21], v[10:11] op_sel:[1,0]
	ds_write2_b32 v67, v70, v71 offset0:46 offset1:47
	v_pk_mov_b32 v[70:71], v[10:11], v[22:23] op_sel:[1,0]
	ds_write2_b32 v67, v70, v71 offset0:48 offset1:49
	v_pk_mov_b32 v[70:71], v[22:23], v[14:15] op_sel:[1,0]
	ds_write2_b32 v67, v70, v71 offset0:50 offset1:51
	v_pk_mov_b32 v[70:71], v[14:15], v[16:17] op_sel:[1,0]
	ds_write2_b32 v67, v70, v71 offset0:52 offset1:53
	v_pk_mov_b32 v[70:71], v[16:17], v[8:9] op_sel:[1,0]
	ds_write2_b32 v67, v70, v71 offset0:54 offset1:55
	v_pk_mov_b32 v[70:71], v[8:9], v[0:1] op_sel:[1,0]
	ds_write2_b32 v67, v70, v71 offset0:56 offset1:57
	v_pk_mov_b32 v[70:71], v[0:1], v[12:13] op_sel:[1,0]
	ds_write2_b32 v67, v70, v71 offset0:58 offset1:59
	ds_write_b32 v67, v13 offset:240
	v_mov_b32_e32 v71, 15
.LBB120_265:
	s_or_b64 exec, exec, s[0:1]
	v_cmp_lt_i32_e32 vcc, 15, v71
	s_waitcnt lgkmcnt(0)
	s_barrier
	s_and_saveexec_b64 s[0:1], vcc
	s_cbranch_execz .LBB120_267
; %bb.266:
	ds_read_b32 v68, v67 offset:64
	ds_read2_b32 v[74:75], v67 offset0:17 offset1:18
	v_mul_f32_e32 v60, v73, v60
	s_waitcnt lgkmcnt(1)
	v_fma_f32 v61, -v60, v68, v61
	s_waitcnt lgkmcnt(0)
	v_pk_fma_f32 v[48:49], v[60:61], v[74:75], v[48:49] op_sel_hi:[0,1,1] neg_lo:[1,0,0] neg_hi:[1,0,0]
	ds_read2_b32 v[74:75], v67 offset0:19 offset1:20
	s_waitcnt lgkmcnt(0)
	v_pk_fma_f32 v[44:45], v[60:61], v[74:75], v[44:45] op_sel_hi:[0,1,1] neg_lo:[1,0,0] neg_hi:[1,0,0]
	ds_read2_b32 v[74:75], v67 offset0:21 offset1:22
	;; [unrolled: 3-line block ×21, first 2 shown]
	s_waitcnt lgkmcnt(0)
	v_pk_fma_f32 v[12:13], v[60:61], v[74:75], v[12:13] op_sel_hi:[0,1,1] neg_lo:[1,0,0] neg_hi:[1,0,0]
.LBB120_267:
	s_or_b64 exec, exec, s[0:1]
	v_lshl_add_u32 v68, v71, 2, v67
	s_barrier
	ds_write_b32 v68, v61
	s_waitcnt lgkmcnt(0)
	s_barrier
	ds_read_b32 v70, v67 offset:64
	s_cmp_lt_i32 s22, 18
	v_mov_b32_e32 v68, 16
	s_cbranch_scc1 .LBB120_270
; %bb.268:
	v_add_u32_e32 v73, 0x44, v67
	v_mov_b32_e32 v68, 16
	s_mov_b32 s0, 17
.LBB120_269:                            ; =>This Inner Loop Header: Depth=1
	ds_read_b32 v74, v73
	v_mov_b32_e32 v75, s0
	s_add_i32 s0, s0, 1
	v_add_u32_e32 v73, 4, v73
	s_cmp_lg_u32 s22, s0
	s_waitcnt lgkmcnt(0)
	v_cmp_lt_f32_e64 vcc, |v70|, |v74|
	s_nop 1
	v_cndmask_b32_e32 v70, v70, v74, vcc
	v_cndmask_b32_e32 v68, v68, v75, vcc
	s_cbranch_scc1 .LBB120_269
.LBB120_270:
	s_waitcnt lgkmcnt(0)
	v_cmp_eq_f32_e32 vcc, 0, v70
	s_and_saveexec_b64 s[0:1], vcc
	s_xor_b64 s[0:1], exec, s[0:1]
; %bb.271:
	v_cmp_ne_u32_e32 vcc, 0, v72
	s_nop 1
	v_cndmask_b32_e32 v72, 17, v72, vcc
; %bb.272:
	s_andn2_saveexec_b64 s[0:1], s[0:1]
	s_cbranch_execz .LBB120_274
; %bb.273:
	v_div_scale_f32 v73, s[2:3], v70, v70, 1.0
	v_rcp_f32_e32 v74, v73
	v_div_scale_f32 v75, vcc, 1.0, v70, 1.0
	v_fma_f32 v76, -v73, v74, 1.0
	v_fmac_f32_e32 v74, v76, v74
	v_mul_f32_e32 v76, v75, v74
	v_fma_f32 v77, -v73, v76, v75
	v_fmac_f32_e32 v76, v77, v74
	v_fma_f32 v73, -v73, v76, v75
	v_div_fmas_f32 v73, v73, v74, v76
	v_div_fixup_f32 v70, v73, v70, 1.0
.LBB120_274:
	s_or_b64 exec, exec, s[0:1]
	v_cmp_ne_u32_e32 vcc, v71, v68
	s_and_saveexec_b64 s[0:1], vcc
	s_xor_b64 s[0:1], exec, s[0:1]
	s_cbranch_execz .LBB120_280
; %bb.275:
	v_cmp_eq_u32_e32 vcc, 16, v71
	s_and_saveexec_b64 s[2:3], vcc
	s_cbranch_execz .LBB120_279
; %bb.276:
	v_cmp_ne_u32_e32 vcc, 16, v68
	s_xor_b64 s[12:13], s[20:21], -1
	s_and_b64 s[14:15], s[12:13], vcc
	s_and_saveexec_b64 s[12:13], s[14:15]
	s_cbranch_execz .LBB120_278
; %bb.277:
	v_ashrrev_i32_e32 v69, 31, v68
	v_lshl_add_u64 v[74:75], v[68:69], 2, v[4:5]
	global_load_dword v69, v[74:75], off
	global_load_dword v71, v[4:5], off offset:64
	s_waitcnt vmcnt(1)
	global_store_dword v[4:5], v69, off offset:64
	s_waitcnt vmcnt(1)
	global_store_dword v[74:75], v71, off
.LBB120_278:
	s_or_b64 exec, exec, s[12:13]
	v_mov_b32_e32 v69, v68
	v_mov_b32_e32 v71, v68
.LBB120_279:
	s_or_b64 exec, exec, s[2:3]
.LBB120_280:
	s_andn2_saveexec_b64 s[0:1], s[0:1]
	s_cbranch_execz .LBB120_282
; %bb.281:
	v_mov_b32_e32 v71, 16
	ds_write2_b32 v67, v48, v49 offset0:17 offset1:18
	ds_write2_b32 v67, v44, v45 offset0:19 offset1:20
	;; [unrolled: 1-line block ×22, first 2 shown]
.LBB120_282:
	s_or_b64 exec, exec, s[0:1]
	v_cmp_lt_i32_e32 vcc, 16, v71
	s_waitcnt lgkmcnt(0)
	s_barrier
	s_and_saveexec_b64 s[0:1], vcc
	s_cbranch_execz .LBB120_284
; %bb.283:
	ds_read2_b32 v[74:75], v67 offset0:17 offset1:18
	v_mul_f32_e32 v68, v70, v61
	v_mov_b32_e32 v61, v68
	s_waitcnt lgkmcnt(0)
	v_pk_fma_f32 v[48:49], v[68:69], v[74:75], v[48:49] op_sel_hi:[0,1,1] neg_lo:[1,0,0] neg_hi:[1,0,0]
	ds_read2_b32 v[74:75], v67 offset0:19 offset1:20
	s_waitcnt lgkmcnt(0)
	v_pk_fma_f32 v[44:45], v[68:69], v[74:75], v[44:45] op_sel_hi:[0,1,1] neg_lo:[1,0,0] neg_hi:[1,0,0]
	ds_read2_b32 v[74:75], v67 offset0:21 offset1:22
	;; [unrolled: 3-line block ×21, first 2 shown]
	s_waitcnt lgkmcnt(0)
	v_pk_fma_f32 v[12:13], v[68:69], v[74:75], v[12:13] op_sel_hi:[0,1,1] neg_lo:[1,0,0] neg_hi:[1,0,0]
.LBB120_284:
	s_or_b64 exec, exec, s[0:1]
	v_lshl_add_u32 v68, v71, 2, v67
	s_barrier
	ds_write_b32 v68, v48
	s_waitcnt lgkmcnt(0)
	s_barrier
	ds_read_b32 v70, v67 offset:68
	s_cmp_lt_i32 s22, 19
	v_mov_b32_e32 v68, 17
	s_cbranch_scc1 .LBB120_287
; %bb.285:
	v_add_u32_e32 v73, 0x48, v67
	v_mov_b32_e32 v68, 17
	s_mov_b32 s0, 18
.LBB120_286:                            ; =>This Inner Loop Header: Depth=1
	ds_read_b32 v74, v73
	v_mov_b32_e32 v75, s0
	s_add_i32 s0, s0, 1
	v_add_u32_e32 v73, 4, v73
	s_cmp_lg_u32 s22, s0
	s_waitcnt lgkmcnt(0)
	v_cmp_lt_f32_e64 vcc, |v70|, |v74|
	s_nop 1
	v_cndmask_b32_e32 v70, v70, v74, vcc
	v_cndmask_b32_e32 v68, v68, v75, vcc
	s_cbranch_scc1 .LBB120_286
.LBB120_287:
	s_waitcnt lgkmcnt(0)
	v_cmp_eq_f32_e32 vcc, 0, v70
	s_and_saveexec_b64 s[0:1], vcc
	s_xor_b64 s[0:1], exec, s[0:1]
; %bb.288:
	v_cmp_ne_u32_e32 vcc, 0, v72
	s_nop 1
	v_cndmask_b32_e32 v72, 18, v72, vcc
; %bb.289:
	s_andn2_saveexec_b64 s[0:1], s[0:1]
	s_cbranch_execz .LBB120_291
; %bb.290:
	v_div_scale_f32 v73, s[2:3], v70, v70, 1.0
	v_rcp_f32_e32 v74, v73
	v_div_scale_f32 v75, vcc, 1.0, v70, 1.0
	v_fma_f32 v76, -v73, v74, 1.0
	v_fmac_f32_e32 v74, v76, v74
	v_mul_f32_e32 v76, v75, v74
	v_fma_f32 v77, -v73, v76, v75
	v_fmac_f32_e32 v76, v77, v74
	v_fma_f32 v73, -v73, v76, v75
	v_div_fmas_f32 v73, v73, v74, v76
	v_div_fixup_f32 v70, v73, v70, 1.0
.LBB120_291:
	s_or_b64 exec, exec, s[0:1]
	v_cmp_ne_u32_e32 vcc, v71, v68
	s_and_saveexec_b64 s[0:1], vcc
	s_xor_b64 s[0:1], exec, s[0:1]
	s_cbranch_execz .LBB120_297
; %bb.292:
	v_cmp_eq_u32_e32 vcc, 17, v71
	s_and_saveexec_b64 s[2:3], vcc
	s_cbranch_execz .LBB120_296
; %bb.293:
	v_cmp_ne_u32_e32 vcc, 17, v68
	s_xor_b64 s[12:13], s[20:21], -1
	s_and_b64 s[14:15], s[12:13], vcc
	s_and_saveexec_b64 s[12:13], s[14:15]
	s_cbranch_execz .LBB120_295
; %bb.294:
	v_ashrrev_i32_e32 v69, 31, v68
	v_lshl_add_u64 v[74:75], v[68:69], 2, v[4:5]
	global_load_dword v69, v[74:75], off
	global_load_dword v71, v[4:5], off offset:68
	s_waitcnt vmcnt(1)
	global_store_dword v[4:5], v69, off offset:68
	s_waitcnt vmcnt(1)
	global_store_dword v[74:75], v71, off
.LBB120_295:
	s_or_b64 exec, exec, s[12:13]
	v_mov_b32_e32 v69, v68
	v_mov_b32_e32 v71, v68
.LBB120_296:
	s_or_b64 exec, exec, s[2:3]
.LBB120_297:
	s_andn2_saveexec_b64 s[0:1], s[0:1]
	s_cbranch_execz .LBB120_299
; %bb.298:
	v_pk_mov_b32 v[74:75], v[48:49], v[44:45] op_sel:[1,0]
	ds_write2_b32 v67, v74, v75 offset0:18 offset1:19
	v_pk_mov_b32 v[74:75], v[44:45], v[38:39] op_sel:[1,0]
	ds_write2_b32 v67, v74, v75 offset0:20 offset1:21
	;; [unrolled: 2-line block ×20, first 2 shown]
	v_pk_mov_b32 v[74:75], v[0:1], v[12:13] op_sel:[1,0]
	v_mov_b32_e32 v71, 17
	ds_write2_b32 v67, v74, v75 offset0:58 offset1:59
	ds_write_b32 v67, v13 offset:240
.LBB120_299:
	s_or_b64 exec, exec, s[0:1]
	v_cmp_lt_i32_e32 vcc, 17, v71
	s_waitcnt lgkmcnt(0)
	s_barrier
	s_and_saveexec_b64 s[0:1], vcc
	s_cbranch_execz .LBB120_301
; %bb.300:
	ds_read_b32 v68, v67 offset:72
	ds_read2_b32 v[74:75], v67 offset0:19 offset1:20
	v_mul_f32_e32 v48, v70, v48
	s_waitcnt lgkmcnt(1)
	v_fma_f32 v49, -v48, v68, v49
	s_waitcnt lgkmcnt(0)
	v_pk_fma_f32 v[44:45], v[48:49], v[74:75], v[44:45] op_sel_hi:[0,1,1] neg_lo:[1,0,0] neg_hi:[1,0,0]
	ds_read2_b32 v[74:75], v67 offset0:21 offset1:22
	s_waitcnt lgkmcnt(0)
	v_pk_fma_f32 v[38:39], v[48:49], v[74:75], v[38:39] op_sel_hi:[0,1,1] neg_lo:[1,0,0] neg_hi:[1,0,0]
	ds_read2_b32 v[74:75], v67 offset0:23 offset1:24
	;; [unrolled: 3-line block ×20, first 2 shown]
	s_waitcnt lgkmcnt(0)
	v_pk_fma_f32 v[12:13], v[48:49], v[74:75], v[12:13] op_sel_hi:[0,1,1] neg_lo:[1,0,0] neg_hi:[1,0,0]
.LBB120_301:
	s_or_b64 exec, exec, s[0:1]
	v_lshl_add_u32 v68, v71, 2, v67
	s_barrier
	ds_write_b32 v68, v49
	s_waitcnt lgkmcnt(0)
	s_barrier
	ds_read_b32 v70, v67 offset:72
	s_cmp_lt_i32 s22, 20
	v_mov_b32_e32 v68, 18
	s_cbranch_scc1 .LBB120_304
; %bb.302:
	v_add_u32_e32 v73, 0x4c, v67
	v_mov_b32_e32 v68, 18
	s_mov_b32 s0, 19
.LBB120_303:                            ; =>This Inner Loop Header: Depth=1
	ds_read_b32 v74, v73
	v_mov_b32_e32 v75, s0
	s_add_i32 s0, s0, 1
	v_add_u32_e32 v73, 4, v73
	s_cmp_lg_u32 s22, s0
	s_waitcnt lgkmcnt(0)
	v_cmp_lt_f32_e64 vcc, |v70|, |v74|
	s_nop 1
	v_cndmask_b32_e32 v70, v70, v74, vcc
	v_cndmask_b32_e32 v68, v68, v75, vcc
	s_cbranch_scc1 .LBB120_303
.LBB120_304:
	s_waitcnt lgkmcnt(0)
	v_cmp_eq_f32_e32 vcc, 0, v70
	s_and_saveexec_b64 s[0:1], vcc
	s_xor_b64 s[0:1], exec, s[0:1]
; %bb.305:
	v_cmp_ne_u32_e32 vcc, 0, v72
	s_nop 1
	v_cndmask_b32_e32 v72, 19, v72, vcc
; %bb.306:
	s_andn2_saveexec_b64 s[0:1], s[0:1]
	s_cbranch_execz .LBB120_308
; %bb.307:
	v_div_scale_f32 v73, s[2:3], v70, v70, 1.0
	v_rcp_f32_e32 v74, v73
	v_div_scale_f32 v75, vcc, 1.0, v70, 1.0
	v_fma_f32 v76, -v73, v74, 1.0
	v_fmac_f32_e32 v74, v76, v74
	v_mul_f32_e32 v76, v75, v74
	v_fma_f32 v77, -v73, v76, v75
	v_fmac_f32_e32 v76, v77, v74
	v_fma_f32 v73, -v73, v76, v75
	v_div_fmas_f32 v73, v73, v74, v76
	v_div_fixup_f32 v70, v73, v70, 1.0
.LBB120_308:
	s_or_b64 exec, exec, s[0:1]
	v_cmp_ne_u32_e32 vcc, v71, v68
	s_and_saveexec_b64 s[0:1], vcc
	s_xor_b64 s[0:1], exec, s[0:1]
	s_cbranch_execz .LBB120_314
; %bb.309:
	v_cmp_eq_u32_e32 vcc, 18, v71
	s_and_saveexec_b64 s[2:3], vcc
	s_cbranch_execz .LBB120_313
; %bb.310:
	v_cmp_ne_u32_e32 vcc, 18, v68
	s_xor_b64 s[12:13], s[20:21], -1
	s_and_b64 s[14:15], s[12:13], vcc
	s_and_saveexec_b64 s[12:13], s[14:15]
	s_cbranch_execz .LBB120_312
; %bb.311:
	v_ashrrev_i32_e32 v69, 31, v68
	v_lshl_add_u64 v[74:75], v[68:69], 2, v[4:5]
	global_load_dword v69, v[74:75], off
	global_load_dword v71, v[4:5], off offset:72
	s_waitcnt vmcnt(1)
	global_store_dword v[4:5], v69, off offset:72
	s_waitcnt vmcnt(1)
	global_store_dword v[74:75], v71, off
.LBB120_312:
	s_or_b64 exec, exec, s[12:13]
	v_mov_b32_e32 v69, v68
	v_mov_b32_e32 v71, v68
.LBB120_313:
	s_or_b64 exec, exec, s[2:3]
.LBB120_314:
	s_andn2_saveexec_b64 s[0:1], s[0:1]
	s_cbranch_execz .LBB120_316
; %bb.315:
	v_mov_b32_e32 v71, 18
	ds_write2_b32 v67, v44, v45 offset0:19 offset1:20
	ds_write2_b32 v67, v38, v39 offset0:21 offset1:22
	;; [unrolled: 1-line block ×21, first 2 shown]
.LBB120_316:
	s_or_b64 exec, exec, s[0:1]
	v_cmp_lt_i32_e32 vcc, 18, v71
	s_waitcnt lgkmcnt(0)
	s_barrier
	s_and_saveexec_b64 s[0:1], vcc
	s_cbranch_execz .LBB120_318
; %bb.317:
	ds_read2_b32 v[74:75], v67 offset0:19 offset1:20
	v_mul_f32_e32 v68, v70, v49
	v_mov_b32_e32 v49, v68
	s_waitcnt lgkmcnt(0)
	v_pk_fma_f32 v[44:45], v[68:69], v[74:75], v[44:45] op_sel_hi:[0,1,1] neg_lo:[1,0,0] neg_hi:[1,0,0]
	ds_read2_b32 v[74:75], v67 offset0:21 offset1:22
	s_waitcnt lgkmcnt(0)
	v_pk_fma_f32 v[38:39], v[68:69], v[74:75], v[38:39] op_sel_hi:[0,1,1] neg_lo:[1,0,0] neg_hi:[1,0,0]
	ds_read2_b32 v[74:75], v67 offset0:23 offset1:24
	;; [unrolled: 3-line block ×20, first 2 shown]
	s_waitcnt lgkmcnt(0)
	v_pk_fma_f32 v[12:13], v[68:69], v[74:75], v[12:13] op_sel_hi:[0,1,1] neg_lo:[1,0,0] neg_hi:[1,0,0]
.LBB120_318:
	s_or_b64 exec, exec, s[0:1]
	v_lshl_add_u32 v68, v71, 2, v67
	s_barrier
	ds_write_b32 v68, v44
	s_waitcnt lgkmcnt(0)
	s_barrier
	ds_read_b32 v70, v67 offset:76
	s_cmp_lt_i32 s22, 21
	v_mov_b32_e32 v68, 19
	s_cbranch_scc1 .LBB120_321
; %bb.319:
	v_add_u32_e32 v73, 0x50, v67
	v_mov_b32_e32 v68, 19
	s_mov_b32 s0, 20
.LBB120_320:                            ; =>This Inner Loop Header: Depth=1
	ds_read_b32 v74, v73
	v_mov_b32_e32 v75, s0
	s_add_i32 s0, s0, 1
	v_add_u32_e32 v73, 4, v73
	s_cmp_lg_u32 s22, s0
	s_waitcnt lgkmcnt(0)
	v_cmp_lt_f32_e64 vcc, |v70|, |v74|
	s_nop 1
	v_cndmask_b32_e32 v70, v70, v74, vcc
	v_cndmask_b32_e32 v68, v68, v75, vcc
	s_cbranch_scc1 .LBB120_320
.LBB120_321:
	s_waitcnt lgkmcnt(0)
	v_cmp_eq_f32_e32 vcc, 0, v70
	s_and_saveexec_b64 s[0:1], vcc
	s_xor_b64 s[0:1], exec, s[0:1]
; %bb.322:
	v_cmp_ne_u32_e32 vcc, 0, v72
	s_nop 1
	v_cndmask_b32_e32 v72, 20, v72, vcc
; %bb.323:
	s_andn2_saveexec_b64 s[0:1], s[0:1]
	s_cbranch_execz .LBB120_325
; %bb.324:
	v_div_scale_f32 v73, s[2:3], v70, v70, 1.0
	v_rcp_f32_e32 v74, v73
	v_div_scale_f32 v75, vcc, 1.0, v70, 1.0
	v_fma_f32 v76, -v73, v74, 1.0
	v_fmac_f32_e32 v74, v76, v74
	v_mul_f32_e32 v76, v75, v74
	v_fma_f32 v77, -v73, v76, v75
	v_fmac_f32_e32 v76, v77, v74
	v_fma_f32 v73, -v73, v76, v75
	v_div_fmas_f32 v73, v73, v74, v76
	v_div_fixup_f32 v70, v73, v70, 1.0
.LBB120_325:
	s_or_b64 exec, exec, s[0:1]
	v_cmp_ne_u32_e32 vcc, v71, v68
	s_and_saveexec_b64 s[0:1], vcc
	s_xor_b64 s[0:1], exec, s[0:1]
	s_cbranch_execz .LBB120_331
; %bb.326:
	v_cmp_eq_u32_e32 vcc, 19, v71
	s_and_saveexec_b64 s[2:3], vcc
	s_cbranch_execz .LBB120_330
; %bb.327:
	v_cmp_ne_u32_e32 vcc, 19, v68
	s_xor_b64 s[12:13], s[20:21], -1
	s_and_b64 s[14:15], s[12:13], vcc
	s_and_saveexec_b64 s[12:13], s[14:15]
	s_cbranch_execz .LBB120_329
; %bb.328:
	v_ashrrev_i32_e32 v69, 31, v68
	v_lshl_add_u64 v[74:75], v[68:69], 2, v[4:5]
	global_load_dword v69, v[74:75], off
	global_load_dword v71, v[4:5], off offset:76
	s_waitcnt vmcnt(1)
	global_store_dword v[4:5], v69, off offset:76
	s_waitcnt vmcnt(1)
	global_store_dword v[74:75], v71, off
.LBB120_329:
	s_or_b64 exec, exec, s[12:13]
	v_mov_b32_e32 v69, v68
	v_mov_b32_e32 v71, v68
.LBB120_330:
	s_or_b64 exec, exec, s[2:3]
.LBB120_331:
	s_andn2_saveexec_b64 s[0:1], s[0:1]
	s_cbranch_execz .LBB120_333
; %bb.332:
	v_pk_mov_b32 v[74:75], v[44:45], v[38:39] op_sel:[1,0]
	ds_write2_b32 v67, v74, v75 offset0:20 offset1:21
	v_pk_mov_b32 v[74:75], v[38:39], v[30:31] op_sel:[1,0]
	ds_write2_b32 v67, v74, v75 offset0:22 offset1:23
	;; [unrolled: 2-line block ×19, first 2 shown]
	v_pk_mov_b32 v[74:75], v[0:1], v[12:13] op_sel:[1,0]
	v_mov_b32_e32 v71, 19
	ds_write2_b32 v67, v74, v75 offset0:58 offset1:59
	ds_write_b32 v67, v13 offset:240
.LBB120_333:
	s_or_b64 exec, exec, s[0:1]
	v_cmp_lt_i32_e32 vcc, 19, v71
	s_waitcnt lgkmcnt(0)
	s_barrier
	s_and_saveexec_b64 s[0:1], vcc
	s_cbranch_execz .LBB120_335
; %bb.334:
	ds_read_b32 v68, v67 offset:80
	ds_read2_b32 v[74:75], v67 offset0:21 offset1:22
	v_mul_f32_e32 v44, v70, v44
	s_waitcnt lgkmcnt(1)
	v_fma_f32 v45, -v44, v68, v45
	s_waitcnt lgkmcnt(0)
	v_pk_fma_f32 v[38:39], v[44:45], v[74:75], v[38:39] op_sel_hi:[0,1,1] neg_lo:[1,0,0] neg_hi:[1,0,0]
	ds_read2_b32 v[74:75], v67 offset0:23 offset1:24
	s_waitcnt lgkmcnt(0)
	v_pk_fma_f32 v[30:31], v[44:45], v[74:75], v[30:31] op_sel_hi:[0,1,1] neg_lo:[1,0,0] neg_hi:[1,0,0]
	ds_read2_b32 v[74:75], v67 offset0:25 offset1:26
	;; [unrolled: 3-line block ×19, first 2 shown]
	s_waitcnt lgkmcnt(0)
	v_pk_fma_f32 v[12:13], v[44:45], v[74:75], v[12:13] op_sel_hi:[0,1,1] neg_lo:[1,0,0] neg_hi:[1,0,0]
.LBB120_335:
	s_or_b64 exec, exec, s[0:1]
	v_lshl_add_u32 v68, v71, 2, v67
	s_barrier
	ds_write_b32 v68, v45
	s_waitcnt lgkmcnt(0)
	s_barrier
	ds_read_b32 v70, v67 offset:80
	s_cmp_lt_i32 s22, 22
	v_mov_b32_e32 v68, 20
	s_cbranch_scc1 .LBB120_338
; %bb.336:
	v_add_u32_e32 v73, 0x54, v67
	v_mov_b32_e32 v68, 20
	s_mov_b32 s0, 21
.LBB120_337:                            ; =>This Inner Loop Header: Depth=1
	ds_read_b32 v74, v73
	v_mov_b32_e32 v75, s0
	s_add_i32 s0, s0, 1
	v_add_u32_e32 v73, 4, v73
	s_cmp_lg_u32 s22, s0
	s_waitcnt lgkmcnt(0)
	v_cmp_lt_f32_e64 vcc, |v70|, |v74|
	s_nop 1
	v_cndmask_b32_e32 v70, v70, v74, vcc
	v_cndmask_b32_e32 v68, v68, v75, vcc
	s_cbranch_scc1 .LBB120_337
.LBB120_338:
	s_waitcnt lgkmcnt(0)
	v_cmp_eq_f32_e32 vcc, 0, v70
	s_and_saveexec_b64 s[0:1], vcc
	s_xor_b64 s[0:1], exec, s[0:1]
; %bb.339:
	v_cmp_ne_u32_e32 vcc, 0, v72
	s_nop 1
	v_cndmask_b32_e32 v72, 21, v72, vcc
; %bb.340:
	s_andn2_saveexec_b64 s[0:1], s[0:1]
	s_cbranch_execz .LBB120_342
; %bb.341:
	v_div_scale_f32 v73, s[2:3], v70, v70, 1.0
	v_rcp_f32_e32 v74, v73
	v_div_scale_f32 v75, vcc, 1.0, v70, 1.0
	v_fma_f32 v76, -v73, v74, 1.0
	v_fmac_f32_e32 v74, v76, v74
	v_mul_f32_e32 v76, v75, v74
	v_fma_f32 v77, -v73, v76, v75
	v_fmac_f32_e32 v76, v77, v74
	v_fma_f32 v73, -v73, v76, v75
	v_div_fmas_f32 v73, v73, v74, v76
	v_div_fixup_f32 v70, v73, v70, 1.0
.LBB120_342:
	s_or_b64 exec, exec, s[0:1]
	v_cmp_ne_u32_e32 vcc, v71, v68
	s_and_saveexec_b64 s[0:1], vcc
	s_xor_b64 s[0:1], exec, s[0:1]
	s_cbranch_execz .LBB120_348
; %bb.343:
	v_cmp_eq_u32_e32 vcc, 20, v71
	s_and_saveexec_b64 s[2:3], vcc
	s_cbranch_execz .LBB120_347
; %bb.344:
	v_cmp_ne_u32_e32 vcc, 20, v68
	s_xor_b64 s[12:13], s[20:21], -1
	s_and_b64 s[14:15], s[12:13], vcc
	s_and_saveexec_b64 s[12:13], s[14:15]
	s_cbranch_execz .LBB120_346
; %bb.345:
	v_ashrrev_i32_e32 v69, 31, v68
	v_lshl_add_u64 v[74:75], v[68:69], 2, v[4:5]
	global_load_dword v69, v[74:75], off
	global_load_dword v71, v[4:5], off offset:80
	s_waitcnt vmcnt(1)
	global_store_dword v[4:5], v69, off offset:80
	s_waitcnt vmcnt(1)
	global_store_dword v[74:75], v71, off
.LBB120_346:
	s_or_b64 exec, exec, s[12:13]
	v_mov_b32_e32 v69, v68
	v_mov_b32_e32 v71, v68
.LBB120_347:
	s_or_b64 exec, exec, s[2:3]
.LBB120_348:
	s_andn2_saveexec_b64 s[0:1], s[0:1]
	s_cbranch_execz .LBB120_350
; %bb.349:
	v_mov_b32_e32 v71, 20
	ds_write2_b32 v67, v38, v39 offset0:21 offset1:22
	ds_write2_b32 v67, v30, v31 offset0:23 offset1:24
	;; [unrolled: 1-line block ×20, first 2 shown]
.LBB120_350:
	s_or_b64 exec, exec, s[0:1]
	v_cmp_lt_i32_e32 vcc, 20, v71
	s_waitcnt lgkmcnt(0)
	s_barrier
	s_and_saveexec_b64 s[0:1], vcc
	s_cbranch_execz .LBB120_352
; %bb.351:
	ds_read2_b32 v[74:75], v67 offset0:21 offset1:22
	v_mul_f32_e32 v68, v70, v45
	v_mov_b32_e32 v45, v68
	s_waitcnt lgkmcnt(0)
	v_pk_fma_f32 v[38:39], v[68:69], v[74:75], v[38:39] op_sel_hi:[0,1,1] neg_lo:[1,0,0] neg_hi:[1,0,0]
	ds_read2_b32 v[74:75], v67 offset0:23 offset1:24
	s_waitcnt lgkmcnt(0)
	v_pk_fma_f32 v[30:31], v[68:69], v[74:75], v[30:31] op_sel_hi:[0,1,1] neg_lo:[1,0,0] neg_hi:[1,0,0]
	ds_read2_b32 v[74:75], v67 offset0:25 offset1:26
	;; [unrolled: 3-line block ×19, first 2 shown]
	s_waitcnt lgkmcnt(0)
	v_pk_fma_f32 v[12:13], v[68:69], v[74:75], v[12:13] op_sel_hi:[0,1,1] neg_lo:[1,0,0] neg_hi:[1,0,0]
.LBB120_352:
	s_or_b64 exec, exec, s[0:1]
	v_lshl_add_u32 v68, v71, 2, v67
	s_barrier
	ds_write_b32 v68, v38
	s_waitcnt lgkmcnt(0)
	s_barrier
	ds_read_b32 v70, v67 offset:84
	s_cmp_lt_i32 s22, 23
	v_mov_b32_e32 v68, 21
	s_cbranch_scc1 .LBB120_355
; %bb.353:
	v_add_u32_e32 v73, 0x58, v67
	v_mov_b32_e32 v68, 21
	s_mov_b32 s0, 22
.LBB120_354:                            ; =>This Inner Loop Header: Depth=1
	ds_read_b32 v74, v73
	v_mov_b32_e32 v75, s0
	s_add_i32 s0, s0, 1
	v_add_u32_e32 v73, 4, v73
	s_cmp_lg_u32 s22, s0
	s_waitcnt lgkmcnt(0)
	v_cmp_lt_f32_e64 vcc, |v70|, |v74|
	s_nop 1
	v_cndmask_b32_e32 v70, v70, v74, vcc
	v_cndmask_b32_e32 v68, v68, v75, vcc
	s_cbranch_scc1 .LBB120_354
.LBB120_355:
	s_waitcnt lgkmcnt(0)
	v_cmp_eq_f32_e32 vcc, 0, v70
	s_and_saveexec_b64 s[0:1], vcc
	s_xor_b64 s[0:1], exec, s[0:1]
; %bb.356:
	v_cmp_ne_u32_e32 vcc, 0, v72
	s_nop 1
	v_cndmask_b32_e32 v72, 22, v72, vcc
; %bb.357:
	s_andn2_saveexec_b64 s[0:1], s[0:1]
	s_cbranch_execz .LBB120_359
; %bb.358:
	v_div_scale_f32 v73, s[2:3], v70, v70, 1.0
	v_rcp_f32_e32 v74, v73
	v_div_scale_f32 v75, vcc, 1.0, v70, 1.0
	v_fma_f32 v76, -v73, v74, 1.0
	v_fmac_f32_e32 v74, v76, v74
	v_mul_f32_e32 v76, v75, v74
	v_fma_f32 v77, -v73, v76, v75
	v_fmac_f32_e32 v76, v77, v74
	v_fma_f32 v73, -v73, v76, v75
	v_div_fmas_f32 v73, v73, v74, v76
	v_div_fixup_f32 v70, v73, v70, 1.0
.LBB120_359:
	s_or_b64 exec, exec, s[0:1]
	v_cmp_ne_u32_e32 vcc, v71, v68
	s_and_saveexec_b64 s[0:1], vcc
	s_xor_b64 s[0:1], exec, s[0:1]
	s_cbranch_execz .LBB120_365
; %bb.360:
	v_cmp_eq_u32_e32 vcc, 21, v71
	s_and_saveexec_b64 s[2:3], vcc
	s_cbranch_execz .LBB120_364
; %bb.361:
	v_cmp_ne_u32_e32 vcc, 21, v68
	s_xor_b64 s[12:13], s[20:21], -1
	s_and_b64 s[14:15], s[12:13], vcc
	s_and_saveexec_b64 s[12:13], s[14:15]
	s_cbranch_execz .LBB120_363
; %bb.362:
	v_ashrrev_i32_e32 v69, 31, v68
	v_lshl_add_u64 v[74:75], v[68:69], 2, v[4:5]
	global_load_dword v69, v[74:75], off
	global_load_dword v71, v[4:5], off offset:84
	s_waitcnt vmcnt(1)
	global_store_dword v[4:5], v69, off offset:84
	s_waitcnt vmcnt(1)
	global_store_dword v[74:75], v71, off
.LBB120_363:
	s_or_b64 exec, exec, s[12:13]
	v_mov_b32_e32 v69, v68
	v_mov_b32_e32 v71, v68
.LBB120_364:
	s_or_b64 exec, exec, s[2:3]
.LBB120_365:
	s_andn2_saveexec_b64 s[0:1], s[0:1]
	s_cbranch_execz .LBB120_367
; %bb.366:
	v_pk_mov_b32 v[74:75], v[38:39], v[30:31] op_sel:[1,0]
	ds_write2_b32 v67, v74, v75 offset0:22 offset1:23
	v_pk_mov_b32 v[74:75], v[30:31], v[46:47] op_sel:[1,0]
	ds_write2_b32 v67, v74, v75 offset0:24 offset1:25
	v_pk_mov_b32 v[74:75], v[46:47], v[40:41] op_sel:[1,0]
	ds_write2_b32 v67, v74, v75 offset0:26 offset1:27
	v_pk_mov_b32 v[74:75], v[40:41], v[32:33] op_sel:[1,0]
	ds_write2_b32 v67, v74, v75 offset0:28 offset1:29
	v_pk_mov_b32 v[74:75], v[32:33], v[24:25] op_sel:[1,0]
	ds_write2_b32 v67, v74, v75 offset0:30 offset1:31
	v_pk_mov_b32 v[74:75], v[24:25], v[42:43] op_sel:[1,0]
	ds_write2_b32 v67, v74, v75 offset0:32 offset1:33
	v_pk_mov_b32 v[74:75], v[42:43], v[34:35] op_sel:[1,0]
	ds_write2_b32 v67, v74, v75 offset0:34 offset1:35
	v_pk_mov_b32 v[74:75], v[34:35], v[26:27] op_sel:[1,0]
	ds_write2_b32 v67, v74, v75 offset0:36 offset1:37
	v_pk_mov_b32 v[74:75], v[26:27], v[18:19] op_sel:[1,0]
	ds_write2_b32 v67, v74, v75 offset0:38 offset1:39
	v_pk_mov_b32 v[74:75], v[18:19], v[36:37] op_sel:[1,0]
	ds_write2_b32 v67, v74, v75 offset0:40 offset1:41
	v_pk_mov_b32 v[74:75], v[36:37], v[28:29] op_sel:[1,0]
	ds_write2_b32 v67, v74, v75 offset0:42 offset1:43
	v_pk_mov_b32 v[74:75], v[28:29], v[20:21] op_sel:[1,0]
	ds_write2_b32 v67, v74, v75 offset0:44 offset1:45
	v_pk_mov_b32 v[74:75], v[20:21], v[10:11] op_sel:[1,0]
	ds_write2_b32 v67, v74, v75 offset0:46 offset1:47
	v_pk_mov_b32 v[74:75], v[10:11], v[22:23] op_sel:[1,0]
	ds_write2_b32 v67, v74, v75 offset0:48 offset1:49
	v_pk_mov_b32 v[74:75], v[22:23], v[14:15] op_sel:[1,0]
	ds_write2_b32 v67, v74, v75 offset0:50 offset1:51
	v_pk_mov_b32 v[74:75], v[14:15], v[16:17] op_sel:[1,0]
	ds_write2_b32 v67, v74, v75 offset0:52 offset1:53
	v_pk_mov_b32 v[74:75], v[16:17], v[8:9] op_sel:[1,0]
	ds_write2_b32 v67, v74, v75 offset0:54 offset1:55
	v_pk_mov_b32 v[74:75], v[8:9], v[0:1] op_sel:[1,0]
	ds_write2_b32 v67, v74, v75 offset0:56 offset1:57
	v_pk_mov_b32 v[74:75], v[0:1], v[12:13] op_sel:[1,0]
	v_mov_b32_e32 v71, 21
	ds_write2_b32 v67, v74, v75 offset0:58 offset1:59
	ds_write_b32 v67, v13 offset:240
.LBB120_367:
	s_or_b64 exec, exec, s[0:1]
	v_cmp_lt_i32_e32 vcc, 21, v71
	s_waitcnt lgkmcnt(0)
	s_barrier
	s_and_saveexec_b64 s[0:1], vcc
	s_cbranch_execz .LBB120_369
; %bb.368:
	ds_read_b32 v68, v67 offset:88
	ds_read2_b32 v[74:75], v67 offset0:23 offset1:24
	v_mul_f32_e32 v38, v70, v38
	s_waitcnt lgkmcnt(1)
	v_fma_f32 v39, -v38, v68, v39
	s_waitcnt lgkmcnt(0)
	v_pk_fma_f32 v[30:31], v[38:39], v[74:75], v[30:31] op_sel_hi:[0,1,1] neg_lo:[1,0,0] neg_hi:[1,0,0]
	ds_read2_b32 v[74:75], v67 offset0:25 offset1:26
	s_waitcnt lgkmcnt(0)
	v_pk_fma_f32 v[46:47], v[38:39], v[74:75], v[46:47] op_sel_hi:[0,1,1] neg_lo:[1,0,0] neg_hi:[1,0,0]
	ds_read2_b32 v[74:75], v67 offset0:27 offset1:28
	;; [unrolled: 3-line block ×18, first 2 shown]
	s_waitcnt lgkmcnt(0)
	v_pk_fma_f32 v[12:13], v[38:39], v[74:75], v[12:13] op_sel_hi:[0,1,1] neg_lo:[1,0,0] neg_hi:[1,0,0]
.LBB120_369:
	s_or_b64 exec, exec, s[0:1]
	v_lshl_add_u32 v68, v71, 2, v67
	s_barrier
	ds_write_b32 v68, v39
	s_waitcnt lgkmcnt(0)
	s_barrier
	ds_read_b32 v70, v67 offset:88
	s_cmp_lt_i32 s22, 24
	v_mov_b32_e32 v68, 22
	s_cbranch_scc1 .LBB120_372
; %bb.370:
	v_add_u32_e32 v73, 0x5c, v67
	v_mov_b32_e32 v68, 22
	s_mov_b32 s0, 23
.LBB120_371:                            ; =>This Inner Loop Header: Depth=1
	ds_read_b32 v74, v73
	v_mov_b32_e32 v75, s0
	s_add_i32 s0, s0, 1
	v_add_u32_e32 v73, 4, v73
	s_cmp_lg_u32 s22, s0
	s_waitcnt lgkmcnt(0)
	v_cmp_lt_f32_e64 vcc, |v70|, |v74|
	s_nop 1
	v_cndmask_b32_e32 v70, v70, v74, vcc
	v_cndmask_b32_e32 v68, v68, v75, vcc
	s_cbranch_scc1 .LBB120_371
.LBB120_372:
	s_waitcnt lgkmcnt(0)
	v_cmp_eq_f32_e32 vcc, 0, v70
	s_and_saveexec_b64 s[0:1], vcc
	s_xor_b64 s[0:1], exec, s[0:1]
; %bb.373:
	v_cmp_ne_u32_e32 vcc, 0, v72
	s_nop 1
	v_cndmask_b32_e32 v72, 23, v72, vcc
; %bb.374:
	s_andn2_saveexec_b64 s[0:1], s[0:1]
	s_cbranch_execz .LBB120_376
; %bb.375:
	v_div_scale_f32 v73, s[2:3], v70, v70, 1.0
	v_rcp_f32_e32 v74, v73
	v_div_scale_f32 v75, vcc, 1.0, v70, 1.0
	v_fma_f32 v76, -v73, v74, 1.0
	v_fmac_f32_e32 v74, v76, v74
	v_mul_f32_e32 v76, v75, v74
	v_fma_f32 v77, -v73, v76, v75
	v_fmac_f32_e32 v76, v77, v74
	v_fma_f32 v73, -v73, v76, v75
	v_div_fmas_f32 v73, v73, v74, v76
	v_div_fixup_f32 v70, v73, v70, 1.0
.LBB120_376:
	s_or_b64 exec, exec, s[0:1]
	v_cmp_ne_u32_e32 vcc, v71, v68
	s_and_saveexec_b64 s[0:1], vcc
	s_xor_b64 s[0:1], exec, s[0:1]
	s_cbranch_execz .LBB120_382
; %bb.377:
	v_cmp_eq_u32_e32 vcc, 22, v71
	s_and_saveexec_b64 s[2:3], vcc
	s_cbranch_execz .LBB120_381
; %bb.378:
	v_cmp_ne_u32_e32 vcc, 22, v68
	s_xor_b64 s[12:13], s[20:21], -1
	s_and_b64 s[14:15], s[12:13], vcc
	s_and_saveexec_b64 s[12:13], s[14:15]
	s_cbranch_execz .LBB120_380
; %bb.379:
	v_ashrrev_i32_e32 v69, 31, v68
	v_lshl_add_u64 v[74:75], v[68:69], 2, v[4:5]
	global_load_dword v69, v[74:75], off
	global_load_dword v71, v[4:5], off offset:88
	s_waitcnt vmcnt(1)
	global_store_dword v[4:5], v69, off offset:88
	s_waitcnt vmcnt(1)
	global_store_dword v[74:75], v71, off
.LBB120_380:
	s_or_b64 exec, exec, s[12:13]
	v_mov_b32_e32 v69, v68
	v_mov_b32_e32 v71, v68
.LBB120_381:
	s_or_b64 exec, exec, s[2:3]
.LBB120_382:
	s_andn2_saveexec_b64 s[0:1], s[0:1]
	s_cbranch_execz .LBB120_384
; %bb.383:
	v_mov_b32_e32 v71, 22
	ds_write2_b32 v67, v30, v31 offset0:23 offset1:24
	ds_write2_b32 v67, v46, v47 offset0:25 offset1:26
	;; [unrolled: 1-line block ×19, first 2 shown]
.LBB120_384:
	s_or_b64 exec, exec, s[0:1]
	v_cmp_lt_i32_e32 vcc, 22, v71
	s_waitcnt lgkmcnt(0)
	s_barrier
	s_and_saveexec_b64 s[0:1], vcc
	s_cbranch_execz .LBB120_386
; %bb.385:
	ds_read2_b32 v[74:75], v67 offset0:23 offset1:24
	v_mul_f32_e32 v68, v70, v39
	v_mov_b32_e32 v39, v68
	s_waitcnt lgkmcnt(0)
	v_pk_fma_f32 v[30:31], v[68:69], v[74:75], v[30:31] op_sel_hi:[0,1,1] neg_lo:[1,0,0] neg_hi:[1,0,0]
	ds_read2_b32 v[74:75], v67 offset0:25 offset1:26
	s_waitcnt lgkmcnt(0)
	v_pk_fma_f32 v[46:47], v[68:69], v[74:75], v[46:47] op_sel_hi:[0,1,1] neg_lo:[1,0,0] neg_hi:[1,0,0]
	ds_read2_b32 v[74:75], v67 offset0:27 offset1:28
	s_waitcnt lgkmcnt(0)
	v_pk_fma_f32 v[40:41], v[68:69], v[74:75], v[40:41] op_sel_hi:[0,1,1] neg_lo:[1,0,0] neg_hi:[1,0,0]
	ds_read2_b32 v[74:75], v67 offset0:29 offset1:30
	s_waitcnt lgkmcnt(0)
	v_pk_fma_f32 v[32:33], v[68:69], v[74:75], v[32:33] op_sel_hi:[0,1,1] neg_lo:[1,0,0] neg_hi:[1,0,0]
	ds_read2_b32 v[74:75], v67 offset0:31 offset1:32
	s_waitcnt lgkmcnt(0)
	v_pk_fma_f32 v[24:25], v[68:69], v[74:75], v[24:25] op_sel_hi:[0,1,1] neg_lo:[1,0,0] neg_hi:[1,0,0]
	ds_read2_b32 v[74:75], v67 offset0:33 offset1:34
	s_waitcnt lgkmcnt(0)
	v_pk_fma_f32 v[42:43], v[68:69], v[74:75], v[42:43] op_sel_hi:[0,1,1] neg_lo:[1,0,0] neg_hi:[1,0,0]
	ds_read2_b32 v[74:75], v67 offset0:35 offset1:36
	s_waitcnt lgkmcnt(0)
	v_pk_fma_f32 v[34:35], v[68:69], v[74:75], v[34:35] op_sel_hi:[0,1,1] neg_lo:[1,0,0] neg_hi:[1,0,0]
	ds_read2_b32 v[74:75], v67 offset0:37 offset1:38
	s_waitcnt lgkmcnt(0)
	v_pk_fma_f32 v[26:27], v[68:69], v[74:75], v[26:27] op_sel_hi:[0,1,1] neg_lo:[1,0,0] neg_hi:[1,0,0]
	ds_read2_b32 v[74:75], v67 offset0:39 offset1:40
	s_waitcnt lgkmcnt(0)
	v_pk_fma_f32 v[18:19], v[68:69], v[74:75], v[18:19] op_sel_hi:[0,1,1] neg_lo:[1,0,0] neg_hi:[1,0,0]
	ds_read2_b32 v[74:75], v67 offset0:41 offset1:42
	s_waitcnt lgkmcnt(0)
	v_pk_fma_f32 v[36:37], v[68:69], v[74:75], v[36:37] op_sel_hi:[0,1,1] neg_lo:[1,0,0] neg_hi:[1,0,0]
	ds_read2_b32 v[74:75], v67 offset0:43 offset1:44
	s_waitcnt lgkmcnt(0)
	v_pk_fma_f32 v[28:29], v[68:69], v[74:75], v[28:29] op_sel_hi:[0,1,1] neg_lo:[1,0,0] neg_hi:[1,0,0]
	ds_read2_b32 v[74:75], v67 offset0:45 offset1:46
	s_waitcnt lgkmcnt(0)
	v_pk_fma_f32 v[20:21], v[68:69], v[74:75], v[20:21] op_sel_hi:[0,1,1] neg_lo:[1,0,0] neg_hi:[1,0,0]
	ds_read2_b32 v[74:75], v67 offset0:47 offset1:48
	s_waitcnt lgkmcnt(0)
	v_pk_fma_f32 v[10:11], v[68:69], v[74:75], v[10:11] op_sel_hi:[0,1,1] neg_lo:[1,0,0] neg_hi:[1,0,0]
	ds_read2_b32 v[74:75], v67 offset0:49 offset1:50
	s_waitcnt lgkmcnt(0)
	v_pk_fma_f32 v[22:23], v[68:69], v[74:75], v[22:23] op_sel_hi:[0,1,1] neg_lo:[1,0,0] neg_hi:[1,0,0]
	ds_read2_b32 v[74:75], v67 offset0:51 offset1:52
	s_waitcnt lgkmcnt(0)
	v_pk_fma_f32 v[14:15], v[68:69], v[74:75], v[14:15] op_sel_hi:[0,1,1] neg_lo:[1,0,0] neg_hi:[1,0,0]
	ds_read2_b32 v[74:75], v67 offset0:53 offset1:54
	s_waitcnt lgkmcnt(0)
	v_pk_fma_f32 v[16:17], v[68:69], v[74:75], v[16:17] op_sel_hi:[0,1,1] neg_lo:[1,0,0] neg_hi:[1,0,0]
	ds_read2_b32 v[74:75], v67 offset0:55 offset1:56
	s_waitcnt lgkmcnt(0)
	v_pk_fma_f32 v[8:9], v[68:69], v[74:75], v[8:9] op_sel_hi:[0,1,1] neg_lo:[1,0,0] neg_hi:[1,0,0]
	ds_read2_b32 v[74:75], v67 offset0:57 offset1:58
	s_waitcnt lgkmcnt(0)
	v_pk_fma_f32 v[0:1], v[68:69], v[74:75], v[0:1] op_sel_hi:[0,1,1] neg_lo:[1,0,0] neg_hi:[1,0,0]
	ds_read2_b32 v[74:75], v67 offset0:59 offset1:60
	s_waitcnt lgkmcnt(0)
	v_pk_fma_f32 v[12:13], v[68:69], v[74:75], v[12:13] op_sel_hi:[0,1,1] neg_lo:[1,0,0] neg_hi:[1,0,0]
.LBB120_386:
	s_or_b64 exec, exec, s[0:1]
	v_lshl_add_u32 v68, v71, 2, v67
	s_barrier
	ds_write_b32 v68, v30
	s_waitcnt lgkmcnt(0)
	s_barrier
	ds_read_b32 v70, v67 offset:92
	s_cmp_lt_i32 s22, 25
	v_mov_b32_e32 v68, 23
	s_cbranch_scc1 .LBB120_389
; %bb.387:
	v_add_u32_e32 v73, 0x60, v67
	v_mov_b32_e32 v68, 23
	s_mov_b32 s0, 24
.LBB120_388:                            ; =>This Inner Loop Header: Depth=1
	ds_read_b32 v74, v73
	v_mov_b32_e32 v75, s0
	s_add_i32 s0, s0, 1
	v_add_u32_e32 v73, 4, v73
	s_cmp_lg_u32 s22, s0
	s_waitcnt lgkmcnt(0)
	v_cmp_lt_f32_e64 vcc, |v70|, |v74|
	s_nop 1
	v_cndmask_b32_e32 v70, v70, v74, vcc
	v_cndmask_b32_e32 v68, v68, v75, vcc
	s_cbranch_scc1 .LBB120_388
.LBB120_389:
	s_waitcnt lgkmcnt(0)
	v_cmp_eq_f32_e32 vcc, 0, v70
	s_and_saveexec_b64 s[0:1], vcc
	s_xor_b64 s[0:1], exec, s[0:1]
; %bb.390:
	v_cmp_ne_u32_e32 vcc, 0, v72
	s_nop 1
	v_cndmask_b32_e32 v72, 24, v72, vcc
; %bb.391:
	s_andn2_saveexec_b64 s[0:1], s[0:1]
	s_cbranch_execz .LBB120_393
; %bb.392:
	v_div_scale_f32 v73, s[2:3], v70, v70, 1.0
	v_rcp_f32_e32 v74, v73
	v_div_scale_f32 v75, vcc, 1.0, v70, 1.0
	v_fma_f32 v76, -v73, v74, 1.0
	v_fmac_f32_e32 v74, v76, v74
	v_mul_f32_e32 v76, v75, v74
	v_fma_f32 v77, -v73, v76, v75
	v_fmac_f32_e32 v76, v77, v74
	v_fma_f32 v73, -v73, v76, v75
	v_div_fmas_f32 v73, v73, v74, v76
	v_div_fixup_f32 v70, v73, v70, 1.0
.LBB120_393:
	s_or_b64 exec, exec, s[0:1]
	v_cmp_ne_u32_e32 vcc, v71, v68
	s_and_saveexec_b64 s[0:1], vcc
	s_xor_b64 s[0:1], exec, s[0:1]
	s_cbranch_execz .LBB120_399
; %bb.394:
	v_cmp_eq_u32_e32 vcc, 23, v71
	s_and_saveexec_b64 s[2:3], vcc
	s_cbranch_execz .LBB120_398
; %bb.395:
	v_cmp_ne_u32_e32 vcc, 23, v68
	s_xor_b64 s[12:13], s[20:21], -1
	s_and_b64 s[14:15], s[12:13], vcc
	s_and_saveexec_b64 s[12:13], s[14:15]
	s_cbranch_execz .LBB120_397
; %bb.396:
	v_ashrrev_i32_e32 v69, 31, v68
	v_lshl_add_u64 v[74:75], v[68:69], 2, v[4:5]
	global_load_dword v69, v[74:75], off
	global_load_dword v71, v[4:5], off offset:92
	s_waitcnt vmcnt(1)
	global_store_dword v[4:5], v69, off offset:92
	s_waitcnt vmcnt(1)
	global_store_dword v[74:75], v71, off
.LBB120_397:
	s_or_b64 exec, exec, s[12:13]
	v_mov_b32_e32 v69, v68
	v_mov_b32_e32 v71, v68
.LBB120_398:
	s_or_b64 exec, exec, s[2:3]
.LBB120_399:
	s_andn2_saveexec_b64 s[0:1], s[0:1]
	s_cbranch_execz .LBB120_401
; %bb.400:
	v_pk_mov_b32 v[74:75], v[30:31], v[46:47] op_sel:[1,0]
	ds_write2_b32 v67, v74, v75 offset0:24 offset1:25
	v_pk_mov_b32 v[74:75], v[46:47], v[40:41] op_sel:[1,0]
	ds_write2_b32 v67, v74, v75 offset0:26 offset1:27
	;; [unrolled: 2-line block ×17, first 2 shown]
	v_pk_mov_b32 v[74:75], v[0:1], v[12:13] op_sel:[1,0]
	v_mov_b32_e32 v71, 23
	ds_write2_b32 v67, v74, v75 offset0:58 offset1:59
	ds_write_b32 v67, v13 offset:240
.LBB120_401:
	s_or_b64 exec, exec, s[0:1]
	v_cmp_lt_i32_e32 vcc, 23, v71
	s_waitcnt lgkmcnt(0)
	s_barrier
	s_and_saveexec_b64 s[0:1], vcc
	s_cbranch_execz .LBB120_403
; %bb.402:
	ds_read_b32 v68, v67 offset:96
	ds_read2_b32 v[74:75], v67 offset0:25 offset1:26
	v_mul_f32_e32 v30, v70, v30
	s_waitcnt lgkmcnt(1)
	v_fma_f32 v31, -v30, v68, v31
	s_waitcnt lgkmcnt(0)
	v_pk_fma_f32 v[46:47], v[30:31], v[74:75], v[46:47] op_sel_hi:[0,1,1] neg_lo:[1,0,0] neg_hi:[1,0,0]
	ds_read2_b32 v[74:75], v67 offset0:27 offset1:28
	s_waitcnt lgkmcnt(0)
	v_pk_fma_f32 v[40:41], v[30:31], v[74:75], v[40:41] op_sel_hi:[0,1,1] neg_lo:[1,0,0] neg_hi:[1,0,0]
	ds_read2_b32 v[74:75], v67 offset0:29 offset1:30
	;; [unrolled: 3-line block ×17, first 2 shown]
	s_waitcnt lgkmcnt(0)
	v_pk_fma_f32 v[12:13], v[30:31], v[74:75], v[12:13] op_sel_hi:[0,1,1] neg_lo:[1,0,0] neg_hi:[1,0,0]
.LBB120_403:
	s_or_b64 exec, exec, s[0:1]
	v_lshl_add_u32 v68, v71, 2, v67
	s_barrier
	ds_write_b32 v68, v31
	s_waitcnt lgkmcnt(0)
	s_barrier
	ds_read_b32 v70, v67 offset:96
	s_cmp_lt_i32 s22, 26
	v_mov_b32_e32 v68, 24
	s_cbranch_scc1 .LBB120_406
; %bb.404:
	v_add_u32_e32 v73, 0x64, v67
	v_mov_b32_e32 v68, 24
	s_mov_b32 s0, 25
.LBB120_405:                            ; =>This Inner Loop Header: Depth=1
	ds_read_b32 v74, v73
	v_mov_b32_e32 v75, s0
	s_add_i32 s0, s0, 1
	v_add_u32_e32 v73, 4, v73
	s_cmp_lg_u32 s22, s0
	s_waitcnt lgkmcnt(0)
	v_cmp_lt_f32_e64 vcc, |v70|, |v74|
	s_nop 1
	v_cndmask_b32_e32 v70, v70, v74, vcc
	v_cndmask_b32_e32 v68, v68, v75, vcc
	s_cbranch_scc1 .LBB120_405
.LBB120_406:
	s_waitcnt lgkmcnt(0)
	v_cmp_eq_f32_e32 vcc, 0, v70
	s_and_saveexec_b64 s[0:1], vcc
	s_xor_b64 s[0:1], exec, s[0:1]
; %bb.407:
	v_cmp_ne_u32_e32 vcc, 0, v72
	s_nop 1
	v_cndmask_b32_e32 v72, 25, v72, vcc
; %bb.408:
	s_andn2_saveexec_b64 s[0:1], s[0:1]
	s_cbranch_execz .LBB120_410
; %bb.409:
	v_div_scale_f32 v73, s[2:3], v70, v70, 1.0
	v_rcp_f32_e32 v74, v73
	v_div_scale_f32 v75, vcc, 1.0, v70, 1.0
	v_fma_f32 v76, -v73, v74, 1.0
	v_fmac_f32_e32 v74, v76, v74
	v_mul_f32_e32 v76, v75, v74
	v_fma_f32 v77, -v73, v76, v75
	v_fmac_f32_e32 v76, v77, v74
	v_fma_f32 v73, -v73, v76, v75
	v_div_fmas_f32 v73, v73, v74, v76
	v_div_fixup_f32 v70, v73, v70, 1.0
.LBB120_410:
	s_or_b64 exec, exec, s[0:1]
	v_cmp_ne_u32_e32 vcc, v71, v68
	s_and_saveexec_b64 s[0:1], vcc
	s_xor_b64 s[0:1], exec, s[0:1]
	s_cbranch_execz .LBB120_416
; %bb.411:
	v_cmp_eq_u32_e32 vcc, 24, v71
	s_and_saveexec_b64 s[2:3], vcc
	s_cbranch_execz .LBB120_415
; %bb.412:
	v_cmp_ne_u32_e32 vcc, 24, v68
	s_xor_b64 s[12:13], s[20:21], -1
	s_and_b64 s[14:15], s[12:13], vcc
	s_and_saveexec_b64 s[12:13], s[14:15]
	s_cbranch_execz .LBB120_414
; %bb.413:
	v_ashrrev_i32_e32 v69, 31, v68
	v_lshl_add_u64 v[74:75], v[68:69], 2, v[4:5]
	global_load_dword v69, v[74:75], off
	global_load_dword v71, v[4:5], off offset:96
	s_waitcnt vmcnt(1)
	global_store_dword v[4:5], v69, off offset:96
	s_waitcnt vmcnt(1)
	global_store_dword v[74:75], v71, off
.LBB120_414:
	s_or_b64 exec, exec, s[12:13]
	v_mov_b32_e32 v69, v68
	v_mov_b32_e32 v71, v68
.LBB120_415:
	s_or_b64 exec, exec, s[2:3]
.LBB120_416:
	s_andn2_saveexec_b64 s[0:1], s[0:1]
	s_cbranch_execz .LBB120_418
; %bb.417:
	v_mov_b32_e32 v71, 24
	ds_write2_b32 v67, v46, v47 offset0:25 offset1:26
	ds_write2_b32 v67, v40, v41 offset0:27 offset1:28
	;; [unrolled: 1-line block ×18, first 2 shown]
.LBB120_418:
	s_or_b64 exec, exec, s[0:1]
	v_cmp_lt_i32_e32 vcc, 24, v71
	s_waitcnt lgkmcnt(0)
	s_barrier
	s_and_saveexec_b64 s[0:1], vcc
	s_cbranch_execz .LBB120_420
; %bb.419:
	ds_read2_b32 v[74:75], v67 offset0:25 offset1:26
	v_mul_f32_e32 v68, v70, v31
	v_mov_b32_e32 v31, v68
	s_waitcnt lgkmcnt(0)
	v_pk_fma_f32 v[46:47], v[68:69], v[74:75], v[46:47] op_sel_hi:[0,1,1] neg_lo:[1,0,0] neg_hi:[1,0,0]
	ds_read2_b32 v[74:75], v67 offset0:27 offset1:28
	s_waitcnt lgkmcnt(0)
	v_pk_fma_f32 v[40:41], v[68:69], v[74:75], v[40:41] op_sel_hi:[0,1,1] neg_lo:[1,0,0] neg_hi:[1,0,0]
	ds_read2_b32 v[74:75], v67 offset0:29 offset1:30
	;; [unrolled: 3-line block ×17, first 2 shown]
	s_waitcnt lgkmcnt(0)
	v_pk_fma_f32 v[12:13], v[68:69], v[74:75], v[12:13] op_sel_hi:[0,1,1] neg_lo:[1,0,0] neg_hi:[1,0,0]
.LBB120_420:
	s_or_b64 exec, exec, s[0:1]
	v_lshl_add_u32 v68, v71, 2, v67
	s_barrier
	ds_write_b32 v68, v46
	s_waitcnt lgkmcnt(0)
	s_barrier
	ds_read_b32 v70, v67 offset:100
	s_cmp_lt_i32 s22, 27
	v_mov_b32_e32 v68, 25
	s_cbranch_scc1 .LBB120_423
; %bb.421:
	v_add_u32_e32 v73, 0x68, v67
	v_mov_b32_e32 v68, 25
	s_mov_b32 s0, 26
.LBB120_422:                            ; =>This Inner Loop Header: Depth=1
	ds_read_b32 v74, v73
	v_mov_b32_e32 v75, s0
	s_add_i32 s0, s0, 1
	v_add_u32_e32 v73, 4, v73
	s_cmp_lg_u32 s22, s0
	s_waitcnt lgkmcnt(0)
	v_cmp_lt_f32_e64 vcc, |v70|, |v74|
	s_nop 1
	v_cndmask_b32_e32 v70, v70, v74, vcc
	v_cndmask_b32_e32 v68, v68, v75, vcc
	s_cbranch_scc1 .LBB120_422
.LBB120_423:
	s_waitcnt lgkmcnt(0)
	v_cmp_eq_f32_e32 vcc, 0, v70
	s_and_saveexec_b64 s[0:1], vcc
	s_xor_b64 s[0:1], exec, s[0:1]
; %bb.424:
	v_cmp_ne_u32_e32 vcc, 0, v72
	s_nop 1
	v_cndmask_b32_e32 v72, 26, v72, vcc
; %bb.425:
	s_andn2_saveexec_b64 s[0:1], s[0:1]
	s_cbranch_execz .LBB120_427
; %bb.426:
	v_div_scale_f32 v73, s[2:3], v70, v70, 1.0
	v_rcp_f32_e32 v74, v73
	v_div_scale_f32 v75, vcc, 1.0, v70, 1.0
	v_fma_f32 v76, -v73, v74, 1.0
	v_fmac_f32_e32 v74, v76, v74
	v_mul_f32_e32 v76, v75, v74
	v_fma_f32 v77, -v73, v76, v75
	v_fmac_f32_e32 v76, v77, v74
	v_fma_f32 v73, -v73, v76, v75
	v_div_fmas_f32 v73, v73, v74, v76
	v_div_fixup_f32 v70, v73, v70, 1.0
.LBB120_427:
	s_or_b64 exec, exec, s[0:1]
	v_cmp_ne_u32_e32 vcc, v71, v68
	s_and_saveexec_b64 s[0:1], vcc
	s_xor_b64 s[0:1], exec, s[0:1]
	s_cbranch_execz .LBB120_433
; %bb.428:
	v_cmp_eq_u32_e32 vcc, 25, v71
	s_and_saveexec_b64 s[2:3], vcc
	s_cbranch_execz .LBB120_432
; %bb.429:
	v_cmp_ne_u32_e32 vcc, 25, v68
	s_xor_b64 s[12:13], s[20:21], -1
	s_and_b64 s[14:15], s[12:13], vcc
	s_and_saveexec_b64 s[12:13], s[14:15]
	s_cbranch_execz .LBB120_431
; %bb.430:
	v_ashrrev_i32_e32 v69, 31, v68
	v_lshl_add_u64 v[74:75], v[68:69], 2, v[4:5]
	global_load_dword v69, v[74:75], off
	global_load_dword v71, v[4:5], off offset:100
	s_waitcnt vmcnt(1)
	global_store_dword v[4:5], v69, off offset:100
	s_waitcnt vmcnt(1)
	global_store_dword v[74:75], v71, off
.LBB120_431:
	s_or_b64 exec, exec, s[12:13]
	v_mov_b32_e32 v69, v68
	v_mov_b32_e32 v71, v68
.LBB120_432:
	s_or_b64 exec, exec, s[2:3]
.LBB120_433:
	s_andn2_saveexec_b64 s[0:1], s[0:1]
	s_cbranch_execz .LBB120_435
; %bb.434:
	v_pk_mov_b32 v[74:75], v[46:47], v[40:41] op_sel:[1,0]
	ds_write2_b32 v67, v74, v75 offset0:26 offset1:27
	v_pk_mov_b32 v[74:75], v[40:41], v[32:33] op_sel:[1,0]
	ds_write2_b32 v67, v74, v75 offset0:28 offset1:29
	;; [unrolled: 2-line block ×16, first 2 shown]
	v_pk_mov_b32 v[74:75], v[0:1], v[12:13] op_sel:[1,0]
	v_mov_b32_e32 v71, 25
	ds_write2_b32 v67, v74, v75 offset0:58 offset1:59
	ds_write_b32 v67, v13 offset:240
.LBB120_435:
	s_or_b64 exec, exec, s[0:1]
	v_cmp_lt_i32_e32 vcc, 25, v71
	s_waitcnt lgkmcnt(0)
	s_barrier
	s_and_saveexec_b64 s[0:1], vcc
	s_cbranch_execz .LBB120_437
; %bb.436:
	ds_read_b32 v68, v67 offset:104
	ds_read2_b32 v[74:75], v67 offset0:27 offset1:28
	v_mul_f32_e32 v46, v70, v46
	s_waitcnt lgkmcnt(1)
	v_fma_f32 v47, -v46, v68, v47
	s_waitcnt lgkmcnt(0)
	v_pk_fma_f32 v[40:41], v[46:47], v[74:75], v[40:41] op_sel_hi:[0,1,1] neg_lo:[1,0,0] neg_hi:[1,0,0]
	ds_read2_b32 v[74:75], v67 offset0:29 offset1:30
	s_waitcnt lgkmcnt(0)
	v_pk_fma_f32 v[32:33], v[46:47], v[74:75], v[32:33] op_sel_hi:[0,1,1] neg_lo:[1,0,0] neg_hi:[1,0,0]
	ds_read2_b32 v[74:75], v67 offset0:31 offset1:32
	;; [unrolled: 3-line block ×16, first 2 shown]
	s_waitcnt lgkmcnt(0)
	v_pk_fma_f32 v[12:13], v[46:47], v[74:75], v[12:13] op_sel_hi:[0,1,1] neg_lo:[1,0,0] neg_hi:[1,0,0]
.LBB120_437:
	s_or_b64 exec, exec, s[0:1]
	v_lshl_add_u32 v68, v71, 2, v67
	s_barrier
	ds_write_b32 v68, v47
	s_waitcnt lgkmcnt(0)
	s_barrier
	ds_read_b32 v70, v67 offset:104
	s_cmp_lt_i32 s22, 28
	v_mov_b32_e32 v68, 26
	s_cbranch_scc1 .LBB120_440
; %bb.438:
	v_add_u32_e32 v73, 0x6c, v67
	v_mov_b32_e32 v68, 26
	s_mov_b32 s0, 27
.LBB120_439:                            ; =>This Inner Loop Header: Depth=1
	ds_read_b32 v74, v73
	v_mov_b32_e32 v75, s0
	s_add_i32 s0, s0, 1
	v_add_u32_e32 v73, 4, v73
	s_cmp_lg_u32 s22, s0
	s_waitcnt lgkmcnt(0)
	v_cmp_lt_f32_e64 vcc, |v70|, |v74|
	s_nop 1
	v_cndmask_b32_e32 v70, v70, v74, vcc
	v_cndmask_b32_e32 v68, v68, v75, vcc
	s_cbranch_scc1 .LBB120_439
.LBB120_440:
	s_waitcnt lgkmcnt(0)
	v_cmp_eq_f32_e32 vcc, 0, v70
	s_and_saveexec_b64 s[0:1], vcc
	s_xor_b64 s[0:1], exec, s[0:1]
; %bb.441:
	v_cmp_ne_u32_e32 vcc, 0, v72
	s_nop 1
	v_cndmask_b32_e32 v72, 27, v72, vcc
; %bb.442:
	s_andn2_saveexec_b64 s[0:1], s[0:1]
	s_cbranch_execz .LBB120_444
; %bb.443:
	v_div_scale_f32 v73, s[2:3], v70, v70, 1.0
	v_rcp_f32_e32 v74, v73
	v_div_scale_f32 v75, vcc, 1.0, v70, 1.0
	v_fma_f32 v76, -v73, v74, 1.0
	v_fmac_f32_e32 v74, v76, v74
	v_mul_f32_e32 v76, v75, v74
	v_fma_f32 v77, -v73, v76, v75
	v_fmac_f32_e32 v76, v77, v74
	v_fma_f32 v73, -v73, v76, v75
	v_div_fmas_f32 v73, v73, v74, v76
	v_div_fixup_f32 v70, v73, v70, 1.0
.LBB120_444:
	s_or_b64 exec, exec, s[0:1]
	v_cmp_ne_u32_e32 vcc, v71, v68
	s_and_saveexec_b64 s[0:1], vcc
	s_xor_b64 s[0:1], exec, s[0:1]
	s_cbranch_execz .LBB120_450
; %bb.445:
	v_cmp_eq_u32_e32 vcc, 26, v71
	s_and_saveexec_b64 s[2:3], vcc
	s_cbranch_execz .LBB120_449
; %bb.446:
	v_cmp_ne_u32_e32 vcc, 26, v68
	s_xor_b64 s[12:13], s[20:21], -1
	s_and_b64 s[14:15], s[12:13], vcc
	s_and_saveexec_b64 s[12:13], s[14:15]
	s_cbranch_execz .LBB120_448
; %bb.447:
	v_ashrrev_i32_e32 v69, 31, v68
	v_lshl_add_u64 v[74:75], v[68:69], 2, v[4:5]
	global_load_dword v69, v[74:75], off
	global_load_dword v71, v[4:5], off offset:104
	s_waitcnt vmcnt(1)
	global_store_dword v[4:5], v69, off offset:104
	s_waitcnt vmcnt(1)
	global_store_dword v[74:75], v71, off
.LBB120_448:
	s_or_b64 exec, exec, s[12:13]
	v_mov_b32_e32 v69, v68
	v_mov_b32_e32 v71, v68
.LBB120_449:
	s_or_b64 exec, exec, s[2:3]
.LBB120_450:
	s_andn2_saveexec_b64 s[0:1], s[0:1]
	s_cbranch_execz .LBB120_452
; %bb.451:
	v_mov_b32_e32 v71, 26
	ds_write2_b32 v67, v40, v41 offset0:27 offset1:28
	ds_write2_b32 v67, v32, v33 offset0:29 offset1:30
	;; [unrolled: 1-line block ×17, first 2 shown]
.LBB120_452:
	s_or_b64 exec, exec, s[0:1]
	v_cmp_lt_i32_e32 vcc, 26, v71
	s_waitcnt lgkmcnt(0)
	s_barrier
	s_and_saveexec_b64 s[0:1], vcc
	s_cbranch_execz .LBB120_454
; %bb.453:
	ds_read2_b32 v[74:75], v67 offset0:27 offset1:28
	v_mul_f32_e32 v68, v70, v47
	v_mov_b32_e32 v47, v68
	s_waitcnt lgkmcnt(0)
	v_pk_fma_f32 v[40:41], v[68:69], v[74:75], v[40:41] op_sel_hi:[0,1,1] neg_lo:[1,0,0] neg_hi:[1,0,0]
	ds_read2_b32 v[74:75], v67 offset0:29 offset1:30
	s_waitcnt lgkmcnt(0)
	v_pk_fma_f32 v[32:33], v[68:69], v[74:75], v[32:33] op_sel_hi:[0,1,1] neg_lo:[1,0,0] neg_hi:[1,0,0]
	ds_read2_b32 v[74:75], v67 offset0:31 offset1:32
	;; [unrolled: 3-line block ×16, first 2 shown]
	s_waitcnt lgkmcnt(0)
	v_pk_fma_f32 v[12:13], v[68:69], v[74:75], v[12:13] op_sel_hi:[0,1,1] neg_lo:[1,0,0] neg_hi:[1,0,0]
.LBB120_454:
	s_or_b64 exec, exec, s[0:1]
	v_lshl_add_u32 v68, v71, 2, v67
	s_barrier
	ds_write_b32 v68, v40
	s_waitcnt lgkmcnt(0)
	s_barrier
	ds_read_b32 v70, v67 offset:108
	s_cmp_lt_i32 s22, 29
	v_mov_b32_e32 v68, 27
	s_cbranch_scc1 .LBB120_457
; %bb.455:
	v_add_u32_e32 v73, 0x70, v67
	v_mov_b32_e32 v68, 27
	s_mov_b32 s0, 28
.LBB120_456:                            ; =>This Inner Loop Header: Depth=1
	ds_read_b32 v74, v73
	v_mov_b32_e32 v75, s0
	s_add_i32 s0, s0, 1
	v_add_u32_e32 v73, 4, v73
	s_cmp_lg_u32 s22, s0
	s_waitcnt lgkmcnt(0)
	v_cmp_lt_f32_e64 vcc, |v70|, |v74|
	s_nop 1
	v_cndmask_b32_e32 v70, v70, v74, vcc
	v_cndmask_b32_e32 v68, v68, v75, vcc
	s_cbranch_scc1 .LBB120_456
.LBB120_457:
	s_waitcnt lgkmcnt(0)
	v_cmp_eq_f32_e32 vcc, 0, v70
	s_and_saveexec_b64 s[0:1], vcc
	s_xor_b64 s[0:1], exec, s[0:1]
; %bb.458:
	v_cmp_ne_u32_e32 vcc, 0, v72
	s_nop 1
	v_cndmask_b32_e32 v72, 28, v72, vcc
; %bb.459:
	s_andn2_saveexec_b64 s[0:1], s[0:1]
	s_cbranch_execz .LBB120_461
; %bb.460:
	v_div_scale_f32 v73, s[2:3], v70, v70, 1.0
	v_rcp_f32_e32 v74, v73
	v_div_scale_f32 v75, vcc, 1.0, v70, 1.0
	v_fma_f32 v76, -v73, v74, 1.0
	v_fmac_f32_e32 v74, v76, v74
	v_mul_f32_e32 v76, v75, v74
	v_fma_f32 v77, -v73, v76, v75
	v_fmac_f32_e32 v76, v77, v74
	v_fma_f32 v73, -v73, v76, v75
	v_div_fmas_f32 v73, v73, v74, v76
	v_div_fixup_f32 v70, v73, v70, 1.0
.LBB120_461:
	s_or_b64 exec, exec, s[0:1]
	v_cmp_ne_u32_e32 vcc, v71, v68
	s_and_saveexec_b64 s[0:1], vcc
	s_xor_b64 s[0:1], exec, s[0:1]
	s_cbranch_execz .LBB120_467
; %bb.462:
	v_cmp_eq_u32_e32 vcc, 27, v71
	s_and_saveexec_b64 s[2:3], vcc
	s_cbranch_execz .LBB120_466
; %bb.463:
	v_cmp_ne_u32_e32 vcc, 27, v68
	s_xor_b64 s[12:13], s[20:21], -1
	s_and_b64 s[14:15], s[12:13], vcc
	s_and_saveexec_b64 s[12:13], s[14:15]
	s_cbranch_execz .LBB120_465
; %bb.464:
	v_ashrrev_i32_e32 v69, 31, v68
	v_lshl_add_u64 v[74:75], v[68:69], 2, v[4:5]
	global_load_dword v69, v[74:75], off
	global_load_dword v71, v[4:5], off offset:108
	s_waitcnt vmcnt(1)
	global_store_dword v[4:5], v69, off offset:108
	s_waitcnt vmcnt(1)
	global_store_dword v[74:75], v71, off
.LBB120_465:
	s_or_b64 exec, exec, s[12:13]
	v_mov_b32_e32 v69, v68
	v_mov_b32_e32 v71, v68
.LBB120_466:
	s_or_b64 exec, exec, s[2:3]
.LBB120_467:
	s_andn2_saveexec_b64 s[0:1], s[0:1]
	s_cbranch_execz .LBB120_469
; %bb.468:
	v_pk_mov_b32 v[74:75], v[40:41], v[32:33] op_sel:[1,0]
	ds_write2_b32 v67, v74, v75 offset0:28 offset1:29
	v_pk_mov_b32 v[74:75], v[32:33], v[24:25] op_sel:[1,0]
	ds_write2_b32 v67, v74, v75 offset0:30 offset1:31
	;; [unrolled: 2-line block ×15, first 2 shown]
	v_pk_mov_b32 v[74:75], v[0:1], v[12:13] op_sel:[1,0]
	v_mov_b32_e32 v71, 27
	ds_write2_b32 v67, v74, v75 offset0:58 offset1:59
	ds_write_b32 v67, v13 offset:240
.LBB120_469:
	s_or_b64 exec, exec, s[0:1]
	v_cmp_lt_i32_e32 vcc, 27, v71
	s_waitcnt lgkmcnt(0)
	s_barrier
	s_and_saveexec_b64 s[0:1], vcc
	s_cbranch_execz .LBB120_471
; %bb.470:
	ds_read_b32 v68, v67 offset:112
	ds_read2_b32 v[74:75], v67 offset0:29 offset1:30
	v_mul_f32_e32 v40, v70, v40
	s_waitcnt lgkmcnt(1)
	v_fma_f32 v41, -v40, v68, v41
	s_waitcnt lgkmcnt(0)
	v_pk_fma_f32 v[32:33], v[40:41], v[74:75], v[32:33] op_sel_hi:[0,1,1] neg_lo:[1,0,0] neg_hi:[1,0,0]
	ds_read2_b32 v[74:75], v67 offset0:31 offset1:32
	s_waitcnt lgkmcnt(0)
	v_pk_fma_f32 v[24:25], v[40:41], v[74:75], v[24:25] op_sel_hi:[0,1,1] neg_lo:[1,0,0] neg_hi:[1,0,0]
	ds_read2_b32 v[74:75], v67 offset0:33 offset1:34
	;; [unrolled: 3-line block ×15, first 2 shown]
	s_waitcnt lgkmcnt(0)
	v_pk_fma_f32 v[12:13], v[40:41], v[74:75], v[12:13] op_sel_hi:[0,1,1] neg_lo:[1,0,0] neg_hi:[1,0,0]
.LBB120_471:
	s_or_b64 exec, exec, s[0:1]
	v_lshl_add_u32 v68, v71, 2, v67
	s_barrier
	ds_write_b32 v68, v41
	s_waitcnt lgkmcnt(0)
	s_barrier
	ds_read_b32 v70, v67 offset:112
	s_cmp_lt_i32 s22, 30
	v_mov_b32_e32 v68, 28
	s_cbranch_scc1 .LBB120_474
; %bb.472:
	v_add_u32_e32 v73, 0x74, v67
	v_mov_b32_e32 v68, 28
	s_mov_b32 s0, 29
.LBB120_473:                            ; =>This Inner Loop Header: Depth=1
	ds_read_b32 v74, v73
	v_mov_b32_e32 v75, s0
	s_add_i32 s0, s0, 1
	v_add_u32_e32 v73, 4, v73
	s_cmp_lg_u32 s22, s0
	s_waitcnt lgkmcnt(0)
	v_cmp_lt_f32_e64 vcc, |v70|, |v74|
	s_nop 1
	v_cndmask_b32_e32 v70, v70, v74, vcc
	v_cndmask_b32_e32 v68, v68, v75, vcc
	s_cbranch_scc1 .LBB120_473
.LBB120_474:
	s_waitcnt lgkmcnt(0)
	v_cmp_eq_f32_e32 vcc, 0, v70
	s_and_saveexec_b64 s[0:1], vcc
	s_xor_b64 s[0:1], exec, s[0:1]
; %bb.475:
	v_cmp_ne_u32_e32 vcc, 0, v72
	s_nop 1
	v_cndmask_b32_e32 v72, 29, v72, vcc
; %bb.476:
	s_andn2_saveexec_b64 s[0:1], s[0:1]
	s_cbranch_execz .LBB120_478
; %bb.477:
	v_div_scale_f32 v73, s[2:3], v70, v70, 1.0
	v_rcp_f32_e32 v74, v73
	v_div_scale_f32 v75, vcc, 1.0, v70, 1.0
	v_fma_f32 v76, -v73, v74, 1.0
	v_fmac_f32_e32 v74, v76, v74
	v_mul_f32_e32 v76, v75, v74
	v_fma_f32 v77, -v73, v76, v75
	v_fmac_f32_e32 v76, v77, v74
	v_fma_f32 v73, -v73, v76, v75
	v_div_fmas_f32 v73, v73, v74, v76
	v_div_fixup_f32 v70, v73, v70, 1.0
.LBB120_478:
	s_or_b64 exec, exec, s[0:1]
	v_cmp_ne_u32_e32 vcc, v71, v68
	s_and_saveexec_b64 s[0:1], vcc
	s_xor_b64 s[0:1], exec, s[0:1]
	s_cbranch_execz .LBB120_484
; %bb.479:
	v_cmp_eq_u32_e32 vcc, 28, v71
	s_and_saveexec_b64 s[2:3], vcc
	s_cbranch_execz .LBB120_483
; %bb.480:
	v_cmp_ne_u32_e32 vcc, 28, v68
	s_xor_b64 s[12:13], s[20:21], -1
	s_and_b64 s[14:15], s[12:13], vcc
	s_and_saveexec_b64 s[12:13], s[14:15]
	s_cbranch_execz .LBB120_482
; %bb.481:
	v_ashrrev_i32_e32 v69, 31, v68
	v_lshl_add_u64 v[74:75], v[68:69], 2, v[4:5]
	global_load_dword v69, v[74:75], off
	global_load_dword v71, v[4:5], off offset:112
	s_waitcnt vmcnt(1)
	global_store_dword v[4:5], v69, off offset:112
	s_waitcnt vmcnt(1)
	global_store_dword v[74:75], v71, off
.LBB120_482:
	s_or_b64 exec, exec, s[12:13]
	v_mov_b32_e32 v69, v68
	v_mov_b32_e32 v71, v68
.LBB120_483:
	s_or_b64 exec, exec, s[2:3]
.LBB120_484:
	s_andn2_saveexec_b64 s[0:1], s[0:1]
	s_cbranch_execz .LBB120_486
; %bb.485:
	v_mov_b32_e32 v71, 28
	ds_write2_b32 v67, v32, v33 offset0:29 offset1:30
	ds_write2_b32 v67, v24, v25 offset0:31 offset1:32
	;; [unrolled: 1-line block ×16, first 2 shown]
.LBB120_486:
	s_or_b64 exec, exec, s[0:1]
	v_cmp_lt_i32_e32 vcc, 28, v71
	s_waitcnt lgkmcnt(0)
	s_barrier
	s_and_saveexec_b64 s[0:1], vcc
	s_cbranch_execz .LBB120_488
; %bb.487:
	ds_read2_b32 v[74:75], v67 offset0:29 offset1:30
	v_mul_f32_e32 v68, v70, v41
	v_mov_b32_e32 v41, v68
	s_waitcnt lgkmcnt(0)
	v_pk_fma_f32 v[32:33], v[68:69], v[74:75], v[32:33] op_sel_hi:[0,1,1] neg_lo:[1,0,0] neg_hi:[1,0,0]
	ds_read2_b32 v[74:75], v67 offset0:31 offset1:32
	s_waitcnt lgkmcnt(0)
	v_pk_fma_f32 v[24:25], v[68:69], v[74:75], v[24:25] op_sel_hi:[0,1,1] neg_lo:[1,0,0] neg_hi:[1,0,0]
	ds_read2_b32 v[74:75], v67 offset0:33 offset1:34
	;; [unrolled: 3-line block ×15, first 2 shown]
	s_waitcnt lgkmcnt(0)
	v_pk_fma_f32 v[12:13], v[68:69], v[74:75], v[12:13] op_sel_hi:[0,1,1] neg_lo:[1,0,0] neg_hi:[1,0,0]
.LBB120_488:
	s_or_b64 exec, exec, s[0:1]
	v_lshl_add_u32 v68, v71, 2, v67
	s_barrier
	ds_write_b32 v68, v32
	s_waitcnt lgkmcnt(0)
	s_barrier
	ds_read_b32 v70, v67 offset:116
	s_cmp_lt_i32 s22, 31
	v_mov_b32_e32 v68, 29
	s_cbranch_scc1 .LBB120_491
; %bb.489:
	v_add_u32_e32 v73, 0x78, v67
	v_mov_b32_e32 v68, 29
	s_mov_b32 s0, 30
.LBB120_490:                            ; =>This Inner Loop Header: Depth=1
	ds_read_b32 v74, v73
	v_mov_b32_e32 v75, s0
	s_add_i32 s0, s0, 1
	v_add_u32_e32 v73, 4, v73
	s_cmp_lg_u32 s22, s0
	s_waitcnt lgkmcnt(0)
	v_cmp_lt_f32_e64 vcc, |v70|, |v74|
	s_nop 1
	v_cndmask_b32_e32 v70, v70, v74, vcc
	v_cndmask_b32_e32 v68, v68, v75, vcc
	s_cbranch_scc1 .LBB120_490
.LBB120_491:
	s_waitcnt lgkmcnt(0)
	v_cmp_eq_f32_e32 vcc, 0, v70
	s_and_saveexec_b64 s[0:1], vcc
	s_xor_b64 s[0:1], exec, s[0:1]
; %bb.492:
	v_cmp_ne_u32_e32 vcc, 0, v72
	s_nop 1
	v_cndmask_b32_e32 v72, 30, v72, vcc
; %bb.493:
	s_andn2_saveexec_b64 s[0:1], s[0:1]
	s_cbranch_execz .LBB120_495
; %bb.494:
	v_div_scale_f32 v73, s[2:3], v70, v70, 1.0
	v_rcp_f32_e32 v74, v73
	v_div_scale_f32 v75, vcc, 1.0, v70, 1.0
	v_fma_f32 v76, -v73, v74, 1.0
	v_fmac_f32_e32 v74, v76, v74
	v_mul_f32_e32 v76, v75, v74
	v_fma_f32 v77, -v73, v76, v75
	v_fmac_f32_e32 v76, v77, v74
	v_fma_f32 v73, -v73, v76, v75
	v_div_fmas_f32 v73, v73, v74, v76
	v_div_fixup_f32 v70, v73, v70, 1.0
.LBB120_495:
	s_or_b64 exec, exec, s[0:1]
	v_cmp_ne_u32_e32 vcc, v71, v68
	s_and_saveexec_b64 s[0:1], vcc
	s_xor_b64 s[0:1], exec, s[0:1]
	s_cbranch_execz .LBB120_501
; %bb.496:
	v_cmp_eq_u32_e32 vcc, 29, v71
	s_and_saveexec_b64 s[2:3], vcc
	s_cbranch_execz .LBB120_500
; %bb.497:
	v_cmp_ne_u32_e32 vcc, 29, v68
	s_xor_b64 s[12:13], s[20:21], -1
	s_and_b64 s[14:15], s[12:13], vcc
	s_and_saveexec_b64 s[12:13], s[14:15]
	s_cbranch_execz .LBB120_499
; %bb.498:
	v_ashrrev_i32_e32 v69, 31, v68
	v_lshl_add_u64 v[74:75], v[68:69], 2, v[4:5]
	global_load_dword v69, v[74:75], off
	global_load_dword v71, v[4:5], off offset:116
	s_waitcnt vmcnt(1)
	global_store_dword v[4:5], v69, off offset:116
	s_waitcnt vmcnt(1)
	global_store_dword v[74:75], v71, off
.LBB120_499:
	s_or_b64 exec, exec, s[12:13]
	v_mov_b32_e32 v69, v68
	v_mov_b32_e32 v71, v68
.LBB120_500:
	s_or_b64 exec, exec, s[2:3]
.LBB120_501:
	s_andn2_saveexec_b64 s[0:1], s[0:1]
	s_cbranch_execz .LBB120_503
; %bb.502:
	v_pk_mov_b32 v[74:75], v[32:33], v[24:25] op_sel:[1,0]
	ds_write2_b32 v67, v74, v75 offset0:30 offset1:31
	v_pk_mov_b32 v[74:75], v[24:25], v[42:43] op_sel:[1,0]
	ds_write2_b32 v67, v74, v75 offset0:32 offset1:33
	;; [unrolled: 2-line block ×14, first 2 shown]
	v_pk_mov_b32 v[74:75], v[0:1], v[12:13] op_sel:[1,0]
	v_mov_b32_e32 v71, 29
	ds_write2_b32 v67, v74, v75 offset0:58 offset1:59
	ds_write_b32 v67, v13 offset:240
.LBB120_503:
	s_or_b64 exec, exec, s[0:1]
	v_cmp_lt_i32_e32 vcc, 29, v71
	s_waitcnt lgkmcnt(0)
	s_barrier
	s_and_saveexec_b64 s[0:1], vcc
	s_cbranch_execz .LBB120_505
; %bb.504:
	ds_read_b32 v68, v67 offset:120
	ds_read2_b32 v[74:75], v67 offset0:31 offset1:32
	v_mul_f32_e32 v32, v70, v32
	s_waitcnt lgkmcnt(1)
	v_fma_f32 v33, -v32, v68, v33
	s_waitcnt lgkmcnt(0)
	v_pk_fma_f32 v[24:25], v[32:33], v[74:75], v[24:25] op_sel_hi:[0,1,1] neg_lo:[1,0,0] neg_hi:[1,0,0]
	ds_read2_b32 v[74:75], v67 offset0:33 offset1:34
	s_waitcnt lgkmcnt(0)
	v_pk_fma_f32 v[42:43], v[32:33], v[74:75], v[42:43] op_sel_hi:[0,1,1] neg_lo:[1,0,0] neg_hi:[1,0,0]
	ds_read2_b32 v[74:75], v67 offset0:35 offset1:36
	;; [unrolled: 3-line block ×14, first 2 shown]
	s_waitcnt lgkmcnt(0)
	v_pk_fma_f32 v[12:13], v[32:33], v[74:75], v[12:13] op_sel_hi:[0,1,1] neg_lo:[1,0,0] neg_hi:[1,0,0]
.LBB120_505:
	s_or_b64 exec, exec, s[0:1]
	v_lshl_add_u32 v68, v71, 2, v67
	s_barrier
	ds_write_b32 v68, v33
	s_waitcnt lgkmcnt(0)
	s_barrier
	ds_read_b32 v70, v67 offset:120
	s_cmp_lt_i32 s22, 32
	v_mov_b32_e32 v68, 30
	s_cbranch_scc1 .LBB120_508
; %bb.506:
	v_add_u32_e32 v73, 0x7c, v67
	v_mov_b32_e32 v68, 30
	s_mov_b32 s0, 31
.LBB120_507:                            ; =>This Inner Loop Header: Depth=1
	ds_read_b32 v74, v73
	v_mov_b32_e32 v75, s0
	s_add_i32 s0, s0, 1
	v_add_u32_e32 v73, 4, v73
	s_cmp_lg_u32 s22, s0
	s_waitcnt lgkmcnt(0)
	v_cmp_lt_f32_e64 vcc, |v70|, |v74|
	s_nop 1
	v_cndmask_b32_e32 v70, v70, v74, vcc
	v_cndmask_b32_e32 v68, v68, v75, vcc
	s_cbranch_scc1 .LBB120_507
.LBB120_508:
	s_waitcnt lgkmcnt(0)
	v_cmp_eq_f32_e32 vcc, 0, v70
	s_and_saveexec_b64 s[0:1], vcc
	s_xor_b64 s[0:1], exec, s[0:1]
; %bb.509:
	v_cmp_ne_u32_e32 vcc, 0, v72
	s_nop 1
	v_cndmask_b32_e32 v72, 31, v72, vcc
; %bb.510:
	s_andn2_saveexec_b64 s[0:1], s[0:1]
	s_cbranch_execz .LBB120_512
; %bb.511:
	v_div_scale_f32 v73, s[2:3], v70, v70, 1.0
	v_rcp_f32_e32 v74, v73
	v_div_scale_f32 v75, vcc, 1.0, v70, 1.0
	v_fma_f32 v76, -v73, v74, 1.0
	v_fmac_f32_e32 v74, v76, v74
	v_mul_f32_e32 v76, v75, v74
	v_fma_f32 v77, -v73, v76, v75
	v_fmac_f32_e32 v76, v77, v74
	v_fma_f32 v73, -v73, v76, v75
	v_div_fmas_f32 v73, v73, v74, v76
	v_div_fixup_f32 v70, v73, v70, 1.0
.LBB120_512:
	s_or_b64 exec, exec, s[0:1]
	v_cmp_ne_u32_e32 vcc, v71, v68
	s_and_saveexec_b64 s[0:1], vcc
	s_xor_b64 s[0:1], exec, s[0:1]
	s_cbranch_execz .LBB120_518
; %bb.513:
	v_cmp_eq_u32_e32 vcc, 30, v71
	s_and_saveexec_b64 s[2:3], vcc
	s_cbranch_execz .LBB120_517
; %bb.514:
	v_cmp_ne_u32_e32 vcc, 30, v68
	s_xor_b64 s[12:13], s[20:21], -1
	s_and_b64 s[14:15], s[12:13], vcc
	s_and_saveexec_b64 s[12:13], s[14:15]
	s_cbranch_execz .LBB120_516
; %bb.515:
	v_ashrrev_i32_e32 v69, 31, v68
	v_lshl_add_u64 v[74:75], v[68:69], 2, v[4:5]
	global_load_dword v69, v[74:75], off
	global_load_dword v71, v[4:5], off offset:120
	s_waitcnt vmcnt(1)
	global_store_dword v[4:5], v69, off offset:120
	s_waitcnt vmcnt(1)
	global_store_dword v[74:75], v71, off
.LBB120_516:
	s_or_b64 exec, exec, s[12:13]
	v_mov_b32_e32 v69, v68
	v_mov_b32_e32 v71, v68
.LBB120_517:
	s_or_b64 exec, exec, s[2:3]
.LBB120_518:
	s_andn2_saveexec_b64 s[0:1], s[0:1]
	s_cbranch_execz .LBB120_520
; %bb.519:
	v_mov_b32_e32 v71, 30
	ds_write2_b32 v67, v24, v25 offset0:31 offset1:32
	ds_write2_b32 v67, v42, v43 offset0:33 offset1:34
	ds_write2_b32 v67, v34, v35 offset0:35 offset1:36
	ds_write2_b32 v67, v26, v27 offset0:37 offset1:38
	ds_write2_b32 v67, v18, v19 offset0:39 offset1:40
	ds_write2_b32 v67, v36, v37 offset0:41 offset1:42
	ds_write2_b32 v67, v28, v29 offset0:43 offset1:44
	ds_write2_b32 v67, v20, v21 offset0:45 offset1:46
	ds_write2_b32 v67, v10, v11 offset0:47 offset1:48
	ds_write2_b32 v67, v22, v23 offset0:49 offset1:50
	ds_write2_b32 v67, v14, v15 offset0:51 offset1:52
	ds_write2_b32 v67, v16, v17 offset0:53 offset1:54
	ds_write2_b32 v67, v8, v9 offset0:55 offset1:56
	ds_write2_b32 v67, v0, v1 offset0:57 offset1:58
	ds_write2_b32 v67, v12, v13 offset0:59 offset1:60
.LBB120_520:
	s_or_b64 exec, exec, s[0:1]
	v_cmp_lt_i32_e32 vcc, 30, v71
	s_waitcnt lgkmcnt(0)
	s_barrier
	s_and_saveexec_b64 s[0:1], vcc
	s_cbranch_execz .LBB120_522
; %bb.521:
	ds_read2_b32 v[74:75], v67 offset0:31 offset1:32
	v_mul_f32_e32 v68, v70, v33
	v_mov_b32_e32 v33, v68
	s_waitcnt lgkmcnt(0)
	v_pk_fma_f32 v[24:25], v[68:69], v[74:75], v[24:25] op_sel_hi:[0,1,1] neg_lo:[1,0,0] neg_hi:[1,0,0]
	ds_read2_b32 v[74:75], v67 offset0:33 offset1:34
	s_waitcnt lgkmcnt(0)
	v_pk_fma_f32 v[42:43], v[68:69], v[74:75], v[42:43] op_sel_hi:[0,1,1] neg_lo:[1,0,0] neg_hi:[1,0,0]
	ds_read2_b32 v[74:75], v67 offset0:35 offset1:36
	;; [unrolled: 3-line block ×14, first 2 shown]
	s_waitcnt lgkmcnt(0)
	v_pk_fma_f32 v[12:13], v[68:69], v[74:75], v[12:13] op_sel_hi:[0,1,1] neg_lo:[1,0,0] neg_hi:[1,0,0]
.LBB120_522:
	s_or_b64 exec, exec, s[0:1]
	v_lshl_add_u32 v68, v71, 2, v67
	s_barrier
	ds_write_b32 v68, v24
	s_waitcnt lgkmcnt(0)
	s_barrier
	ds_read_b32 v70, v67 offset:124
	s_cmp_lt_i32 s22, 33
	v_mov_b32_e32 v68, 31
	s_cbranch_scc1 .LBB120_525
; %bb.523:
	v_add_u32_e32 v73, 0x80, v67
	v_mov_b32_e32 v68, 31
	s_mov_b32 s0, 32
.LBB120_524:                            ; =>This Inner Loop Header: Depth=1
	ds_read_b32 v74, v73
	v_mov_b32_e32 v75, s0
	s_add_i32 s0, s0, 1
	v_add_u32_e32 v73, 4, v73
	s_cmp_lg_u32 s22, s0
	s_waitcnt lgkmcnt(0)
	v_cmp_lt_f32_e64 vcc, |v70|, |v74|
	s_nop 1
	v_cndmask_b32_e32 v70, v70, v74, vcc
	v_cndmask_b32_e32 v68, v68, v75, vcc
	s_cbranch_scc1 .LBB120_524
.LBB120_525:
	s_waitcnt lgkmcnt(0)
	v_cmp_eq_f32_e32 vcc, 0, v70
	s_and_saveexec_b64 s[0:1], vcc
	s_xor_b64 s[0:1], exec, s[0:1]
; %bb.526:
	v_cmp_ne_u32_e32 vcc, 0, v72
	s_nop 1
	v_cndmask_b32_e32 v72, 32, v72, vcc
; %bb.527:
	s_andn2_saveexec_b64 s[0:1], s[0:1]
	s_cbranch_execz .LBB120_529
; %bb.528:
	v_div_scale_f32 v73, s[2:3], v70, v70, 1.0
	v_rcp_f32_e32 v74, v73
	v_div_scale_f32 v75, vcc, 1.0, v70, 1.0
	v_fma_f32 v76, -v73, v74, 1.0
	v_fmac_f32_e32 v74, v76, v74
	v_mul_f32_e32 v76, v75, v74
	v_fma_f32 v77, -v73, v76, v75
	v_fmac_f32_e32 v76, v77, v74
	v_fma_f32 v73, -v73, v76, v75
	v_div_fmas_f32 v73, v73, v74, v76
	v_div_fixup_f32 v70, v73, v70, 1.0
.LBB120_529:
	s_or_b64 exec, exec, s[0:1]
	v_cmp_ne_u32_e32 vcc, v71, v68
	s_and_saveexec_b64 s[0:1], vcc
	s_xor_b64 s[0:1], exec, s[0:1]
	s_cbranch_execz .LBB120_535
; %bb.530:
	v_cmp_eq_u32_e32 vcc, 31, v71
	s_and_saveexec_b64 s[2:3], vcc
	s_cbranch_execz .LBB120_534
; %bb.531:
	v_cmp_ne_u32_e32 vcc, 31, v68
	s_xor_b64 s[12:13], s[20:21], -1
	s_and_b64 s[14:15], s[12:13], vcc
	s_and_saveexec_b64 s[12:13], s[14:15]
	s_cbranch_execz .LBB120_533
; %bb.532:
	v_ashrrev_i32_e32 v69, 31, v68
	v_lshl_add_u64 v[74:75], v[68:69], 2, v[4:5]
	global_load_dword v69, v[74:75], off
	global_load_dword v71, v[4:5], off offset:124
	s_waitcnt vmcnt(1)
	global_store_dword v[4:5], v69, off offset:124
	s_waitcnt vmcnt(1)
	global_store_dword v[74:75], v71, off
.LBB120_533:
	s_or_b64 exec, exec, s[12:13]
	v_mov_b32_e32 v69, v68
	v_mov_b32_e32 v71, v68
.LBB120_534:
	s_or_b64 exec, exec, s[2:3]
.LBB120_535:
	s_andn2_saveexec_b64 s[0:1], s[0:1]
	s_cbranch_execz .LBB120_537
; %bb.536:
	v_pk_mov_b32 v[74:75], v[24:25], v[42:43] op_sel:[1,0]
	ds_write2_b32 v67, v74, v75 offset0:32 offset1:33
	v_pk_mov_b32 v[74:75], v[42:43], v[34:35] op_sel:[1,0]
	ds_write2_b32 v67, v74, v75 offset0:34 offset1:35
	;; [unrolled: 2-line block ×13, first 2 shown]
	v_pk_mov_b32 v[74:75], v[0:1], v[12:13] op_sel:[1,0]
	v_mov_b32_e32 v71, 31
	ds_write2_b32 v67, v74, v75 offset0:58 offset1:59
	ds_write_b32 v67, v13 offset:240
.LBB120_537:
	s_or_b64 exec, exec, s[0:1]
	v_cmp_lt_i32_e32 vcc, 31, v71
	s_waitcnt lgkmcnt(0)
	s_barrier
	s_and_saveexec_b64 s[0:1], vcc
	s_cbranch_execz .LBB120_539
; %bb.538:
	ds_read_b32 v68, v67 offset:128
	ds_read2_b32 v[74:75], v67 offset0:33 offset1:34
	v_mul_f32_e32 v24, v70, v24
	s_waitcnt lgkmcnt(1)
	v_fma_f32 v25, -v24, v68, v25
	s_waitcnt lgkmcnt(0)
	v_pk_fma_f32 v[42:43], v[24:25], v[74:75], v[42:43] op_sel_hi:[0,1,1] neg_lo:[1,0,0] neg_hi:[1,0,0]
	ds_read2_b32 v[74:75], v67 offset0:35 offset1:36
	s_waitcnt lgkmcnt(0)
	v_pk_fma_f32 v[34:35], v[24:25], v[74:75], v[34:35] op_sel_hi:[0,1,1] neg_lo:[1,0,0] neg_hi:[1,0,0]
	ds_read2_b32 v[74:75], v67 offset0:37 offset1:38
	;; [unrolled: 3-line block ×13, first 2 shown]
	s_waitcnt lgkmcnt(0)
	v_pk_fma_f32 v[12:13], v[24:25], v[74:75], v[12:13] op_sel_hi:[0,1,1] neg_lo:[1,0,0] neg_hi:[1,0,0]
.LBB120_539:
	s_or_b64 exec, exec, s[0:1]
	v_lshl_add_u32 v68, v71, 2, v67
	s_barrier
	ds_write_b32 v68, v25
	s_waitcnt lgkmcnt(0)
	s_barrier
	ds_read_b32 v70, v67 offset:128
	s_cmp_lt_i32 s22, 34
	v_mov_b32_e32 v68, 32
	s_cbranch_scc1 .LBB120_542
; %bb.540:
	v_add_u32_e32 v73, 0x84, v67
	v_mov_b32_e32 v68, 32
	s_mov_b32 s0, 33
.LBB120_541:                            ; =>This Inner Loop Header: Depth=1
	ds_read_b32 v74, v73
	v_mov_b32_e32 v75, s0
	s_add_i32 s0, s0, 1
	v_add_u32_e32 v73, 4, v73
	s_cmp_lg_u32 s22, s0
	s_waitcnt lgkmcnt(0)
	v_cmp_lt_f32_e64 vcc, |v70|, |v74|
	s_nop 1
	v_cndmask_b32_e32 v70, v70, v74, vcc
	v_cndmask_b32_e32 v68, v68, v75, vcc
	s_cbranch_scc1 .LBB120_541
.LBB120_542:
	s_waitcnt lgkmcnt(0)
	v_cmp_eq_f32_e32 vcc, 0, v70
	s_and_saveexec_b64 s[0:1], vcc
	s_xor_b64 s[0:1], exec, s[0:1]
; %bb.543:
	v_cmp_ne_u32_e32 vcc, 0, v72
	s_nop 1
	v_cndmask_b32_e32 v72, 33, v72, vcc
; %bb.544:
	s_andn2_saveexec_b64 s[0:1], s[0:1]
	s_cbranch_execz .LBB120_546
; %bb.545:
	v_div_scale_f32 v73, s[2:3], v70, v70, 1.0
	v_rcp_f32_e32 v74, v73
	v_div_scale_f32 v75, vcc, 1.0, v70, 1.0
	v_fma_f32 v76, -v73, v74, 1.0
	v_fmac_f32_e32 v74, v76, v74
	v_mul_f32_e32 v76, v75, v74
	v_fma_f32 v77, -v73, v76, v75
	v_fmac_f32_e32 v76, v77, v74
	v_fma_f32 v73, -v73, v76, v75
	v_div_fmas_f32 v73, v73, v74, v76
	v_div_fixup_f32 v70, v73, v70, 1.0
.LBB120_546:
	s_or_b64 exec, exec, s[0:1]
	v_cmp_ne_u32_e32 vcc, v71, v68
	s_and_saveexec_b64 s[0:1], vcc
	s_xor_b64 s[0:1], exec, s[0:1]
	s_cbranch_execz .LBB120_552
; %bb.547:
	v_cmp_eq_u32_e32 vcc, 32, v71
	s_and_saveexec_b64 s[2:3], vcc
	s_cbranch_execz .LBB120_551
; %bb.548:
	v_cmp_ne_u32_e32 vcc, 32, v68
	s_xor_b64 s[12:13], s[20:21], -1
	s_and_b64 s[14:15], s[12:13], vcc
	s_and_saveexec_b64 s[12:13], s[14:15]
	s_cbranch_execz .LBB120_550
; %bb.549:
	v_ashrrev_i32_e32 v69, 31, v68
	v_lshl_add_u64 v[74:75], v[68:69], 2, v[4:5]
	global_load_dword v69, v[74:75], off
	global_load_dword v71, v[4:5], off offset:128
	s_waitcnt vmcnt(1)
	global_store_dword v[4:5], v69, off offset:128
	s_waitcnt vmcnt(1)
	global_store_dword v[74:75], v71, off
.LBB120_550:
	s_or_b64 exec, exec, s[12:13]
	v_mov_b32_e32 v69, v68
	v_mov_b32_e32 v71, v68
.LBB120_551:
	s_or_b64 exec, exec, s[2:3]
.LBB120_552:
	s_andn2_saveexec_b64 s[0:1], s[0:1]
	s_cbranch_execz .LBB120_554
; %bb.553:
	v_mov_b32_e32 v71, 32
	ds_write2_b32 v67, v42, v43 offset0:33 offset1:34
	ds_write2_b32 v67, v34, v35 offset0:35 offset1:36
	;; [unrolled: 1-line block ×14, first 2 shown]
.LBB120_554:
	s_or_b64 exec, exec, s[0:1]
	v_cmp_lt_i32_e32 vcc, 32, v71
	s_waitcnt lgkmcnt(0)
	s_barrier
	s_and_saveexec_b64 s[0:1], vcc
	s_cbranch_execz .LBB120_556
; %bb.555:
	ds_read2_b32 v[74:75], v67 offset0:33 offset1:34
	v_mul_f32_e32 v68, v70, v25
	v_mov_b32_e32 v25, v68
	s_waitcnt lgkmcnt(0)
	v_pk_fma_f32 v[42:43], v[68:69], v[74:75], v[42:43] op_sel_hi:[0,1,1] neg_lo:[1,0,0] neg_hi:[1,0,0]
	ds_read2_b32 v[74:75], v67 offset0:35 offset1:36
	s_waitcnt lgkmcnt(0)
	v_pk_fma_f32 v[34:35], v[68:69], v[74:75], v[34:35] op_sel_hi:[0,1,1] neg_lo:[1,0,0] neg_hi:[1,0,0]
	ds_read2_b32 v[74:75], v67 offset0:37 offset1:38
	;; [unrolled: 3-line block ×13, first 2 shown]
	s_waitcnt lgkmcnt(0)
	v_pk_fma_f32 v[12:13], v[68:69], v[74:75], v[12:13] op_sel_hi:[0,1,1] neg_lo:[1,0,0] neg_hi:[1,0,0]
.LBB120_556:
	s_or_b64 exec, exec, s[0:1]
	v_lshl_add_u32 v68, v71, 2, v67
	s_barrier
	ds_write_b32 v68, v42
	s_waitcnt lgkmcnt(0)
	s_barrier
	ds_read_b32 v70, v67 offset:132
	s_cmp_lt_i32 s22, 35
	v_mov_b32_e32 v68, 33
	s_cbranch_scc1 .LBB120_559
; %bb.557:
	v_add_u32_e32 v73, 0x88, v67
	v_mov_b32_e32 v68, 33
	s_mov_b32 s0, 34
.LBB120_558:                            ; =>This Inner Loop Header: Depth=1
	ds_read_b32 v74, v73
	v_mov_b32_e32 v75, s0
	s_add_i32 s0, s0, 1
	v_add_u32_e32 v73, 4, v73
	s_cmp_lg_u32 s22, s0
	s_waitcnt lgkmcnt(0)
	v_cmp_lt_f32_e64 vcc, |v70|, |v74|
	s_nop 1
	v_cndmask_b32_e32 v70, v70, v74, vcc
	v_cndmask_b32_e32 v68, v68, v75, vcc
	s_cbranch_scc1 .LBB120_558
.LBB120_559:
	s_waitcnt lgkmcnt(0)
	v_cmp_eq_f32_e32 vcc, 0, v70
	s_and_saveexec_b64 s[0:1], vcc
	s_xor_b64 s[0:1], exec, s[0:1]
; %bb.560:
	v_cmp_ne_u32_e32 vcc, 0, v72
	s_nop 1
	v_cndmask_b32_e32 v72, 34, v72, vcc
; %bb.561:
	s_andn2_saveexec_b64 s[0:1], s[0:1]
	s_cbranch_execz .LBB120_563
; %bb.562:
	v_div_scale_f32 v73, s[2:3], v70, v70, 1.0
	v_rcp_f32_e32 v74, v73
	v_div_scale_f32 v75, vcc, 1.0, v70, 1.0
	v_fma_f32 v76, -v73, v74, 1.0
	v_fmac_f32_e32 v74, v76, v74
	v_mul_f32_e32 v76, v75, v74
	v_fma_f32 v77, -v73, v76, v75
	v_fmac_f32_e32 v76, v77, v74
	v_fma_f32 v73, -v73, v76, v75
	v_div_fmas_f32 v73, v73, v74, v76
	v_div_fixup_f32 v70, v73, v70, 1.0
.LBB120_563:
	s_or_b64 exec, exec, s[0:1]
	v_cmp_ne_u32_e32 vcc, v71, v68
	s_and_saveexec_b64 s[0:1], vcc
	s_xor_b64 s[0:1], exec, s[0:1]
	s_cbranch_execz .LBB120_569
; %bb.564:
	v_cmp_eq_u32_e32 vcc, 33, v71
	s_and_saveexec_b64 s[2:3], vcc
	s_cbranch_execz .LBB120_568
; %bb.565:
	v_cmp_ne_u32_e32 vcc, 33, v68
	s_xor_b64 s[12:13], s[20:21], -1
	s_and_b64 s[14:15], s[12:13], vcc
	s_and_saveexec_b64 s[12:13], s[14:15]
	s_cbranch_execz .LBB120_567
; %bb.566:
	v_ashrrev_i32_e32 v69, 31, v68
	v_lshl_add_u64 v[74:75], v[68:69], 2, v[4:5]
	global_load_dword v69, v[74:75], off
	global_load_dword v71, v[4:5], off offset:132
	s_waitcnt vmcnt(1)
	global_store_dword v[4:5], v69, off offset:132
	s_waitcnt vmcnt(1)
	global_store_dword v[74:75], v71, off
.LBB120_567:
	s_or_b64 exec, exec, s[12:13]
	v_mov_b32_e32 v69, v68
	v_mov_b32_e32 v71, v68
.LBB120_568:
	s_or_b64 exec, exec, s[2:3]
.LBB120_569:
	s_andn2_saveexec_b64 s[0:1], s[0:1]
	s_cbranch_execz .LBB120_571
; %bb.570:
	v_pk_mov_b32 v[74:75], v[42:43], v[34:35] op_sel:[1,0]
	ds_write2_b32 v67, v74, v75 offset0:34 offset1:35
	v_pk_mov_b32 v[74:75], v[34:35], v[26:27] op_sel:[1,0]
	ds_write2_b32 v67, v74, v75 offset0:36 offset1:37
	;; [unrolled: 2-line block ×12, first 2 shown]
	v_pk_mov_b32 v[74:75], v[0:1], v[12:13] op_sel:[1,0]
	v_mov_b32_e32 v71, 33
	ds_write2_b32 v67, v74, v75 offset0:58 offset1:59
	ds_write_b32 v67, v13 offset:240
.LBB120_571:
	s_or_b64 exec, exec, s[0:1]
	v_cmp_lt_i32_e32 vcc, 33, v71
	s_waitcnt lgkmcnt(0)
	s_barrier
	s_and_saveexec_b64 s[0:1], vcc
	s_cbranch_execz .LBB120_573
; %bb.572:
	ds_read_b32 v68, v67 offset:136
	ds_read2_b32 v[74:75], v67 offset0:35 offset1:36
	v_mul_f32_e32 v42, v70, v42
	s_waitcnt lgkmcnt(1)
	v_fma_f32 v43, -v42, v68, v43
	s_waitcnt lgkmcnt(0)
	v_pk_fma_f32 v[34:35], v[42:43], v[74:75], v[34:35] op_sel_hi:[0,1,1] neg_lo:[1,0,0] neg_hi:[1,0,0]
	ds_read2_b32 v[74:75], v67 offset0:37 offset1:38
	s_waitcnt lgkmcnt(0)
	v_pk_fma_f32 v[26:27], v[42:43], v[74:75], v[26:27] op_sel_hi:[0,1,1] neg_lo:[1,0,0] neg_hi:[1,0,0]
	ds_read2_b32 v[74:75], v67 offset0:39 offset1:40
	;; [unrolled: 3-line block ×12, first 2 shown]
	s_waitcnt lgkmcnt(0)
	v_pk_fma_f32 v[12:13], v[42:43], v[74:75], v[12:13] op_sel_hi:[0,1,1] neg_lo:[1,0,0] neg_hi:[1,0,0]
.LBB120_573:
	s_or_b64 exec, exec, s[0:1]
	v_lshl_add_u32 v68, v71, 2, v67
	s_barrier
	ds_write_b32 v68, v43
	s_waitcnt lgkmcnt(0)
	s_barrier
	ds_read_b32 v70, v67 offset:136
	s_cmp_lt_i32 s22, 36
	v_mov_b32_e32 v68, 34
	s_cbranch_scc1 .LBB120_576
; %bb.574:
	v_add_u32_e32 v73, 0x8c, v67
	v_mov_b32_e32 v68, 34
	s_mov_b32 s0, 35
.LBB120_575:                            ; =>This Inner Loop Header: Depth=1
	ds_read_b32 v74, v73
	v_mov_b32_e32 v75, s0
	s_add_i32 s0, s0, 1
	v_add_u32_e32 v73, 4, v73
	s_cmp_lg_u32 s22, s0
	s_waitcnt lgkmcnt(0)
	v_cmp_lt_f32_e64 vcc, |v70|, |v74|
	s_nop 1
	v_cndmask_b32_e32 v70, v70, v74, vcc
	v_cndmask_b32_e32 v68, v68, v75, vcc
	s_cbranch_scc1 .LBB120_575
.LBB120_576:
	s_waitcnt lgkmcnt(0)
	v_cmp_eq_f32_e32 vcc, 0, v70
	s_and_saveexec_b64 s[0:1], vcc
	s_xor_b64 s[0:1], exec, s[0:1]
; %bb.577:
	v_cmp_ne_u32_e32 vcc, 0, v72
	s_nop 1
	v_cndmask_b32_e32 v72, 35, v72, vcc
; %bb.578:
	s_andn2_saveexec_b64 s[0:1], s[0:1]
	s_cbranch_execz .LBB120_580
; %bb.579:
	v_div_scale_f32 v73, s[2:3], v70, v70, 1.0
	v_rcp_f32_e32 v74, v73
	v_div_scale_f32 v75, vcc, 1.0, v70, 1.0
	v_fma_f32 v76, -v73, v74, 1.0
	v_fmac_f32_e32 v74, v76, v74
	v_mul_f32_e32 v76, v75, v74
	v_fma_f32 v77, -v73, v76, v75
	v_fmac_f32_e32 v76, v77, v74
	v_fma_f32 v73, -v73, v76, v75
	v_div_fmas_f32 v73, v73, v74, v76
	v_div_fixup_f32 v70, v73, v70, 1.0
.LBB120_580:
	s_or_b64 exec, exec, s[0:1]
	v_cmp_ne_u32_e32 vcc, v71, v68
	s_and_saveexec_b64 s[0:1], vcc
	s_xor_b64 s[0:1], exec, s[0:1]
	s_cbranch_execz .LBB120_586
; %bb.581:
	v_cmp_eq_u32_e32 vcc, 34, v71
	s_and_saveexec_b64 s[2:3], vcc
	s_cbranch_execz .LBB120_585
; %bb.582:
	v_cmp_ne_u32_e32 vcc, 34, v68
	s_xor_b64 s[12:13], s[20:21], -1
	s_and_b64 s[14:15], s[12:13], vcc
	s_and_saveexec_b64 s[12:13], s[14:15]
	s_cbranch_execz .LBB120_584
; %bb.583:
	v_ashrrev_i32_e32 v69, 31, v68
	v_lshl_add_u64 v[74:75], v[68:69], 2, v[4:5]
	global_load_dword v69, v[74:75], off
	global_load_dword v71, v[4:5], off offset:136
	s_waitcnt vmcnt(1)
	global_store_dword v[4:5], v69, off offset:136
	s_waitcnt vmcnt(1)
	global_store_dword v[74:75], v71, off
.LBB120_584:
	s_or_b64 exec, exec, s[12:13]
	v_mov_b32_e32 v69, v68
	v_mov_b32_e32 v71, v68
.LBB120_585:
	s_or_b64 exec, exec, s[2:3]
.LBB120_586:
	s_andn2_saveexec_b64 s[0:1], s[0:1]
	s_cbranch_execz .LBB120_588
; %bb.587:
	v_mov_b32_e32 v71, 34
	ds_write2_b32 v67, v34, v35 offset0:35 offset1:36
	ds_write2_b32 v67, v26, v27 offset0:37 offset1:38
	;; [unrolled: 1-line block ×13, first 2 shown]
.LBB120_588:
	s_or_b64 exec, exec, s[0:1]
	v_cmp_lt_i32_e32 vcc, 34, v71
	s_waitcnt lgkmcnt(0)
	s_barrier
	s_and_saveexec_b64 s[0:1], vcc
	s_cbranch_execz .LBB120_590
; %bb.589:
	ds_read2_b32 v[74:75], v67 offset0:35 offset1:36
	v_mul_f32_e32 v68, v70, v43
	v_mov_b32_e32 v43, v68
	s_waitcnt lgkmcnt(0)
	v_pk_fma_f32 v[34:35], v[68:69], v[74:75], v[34:35] op_sel_hi:[0,1,1] neg_lo:[1,0,0] neg_hi:[1,0,0]
	ds_read2_b32 v[74:75], v67 offset0:37 offset1:38
	s_waitcnt lgkmcnt(0)
	v_pk_fma_f32 v[26:27], v[68:69], v[74:75], v[26:27] op_sel_hi:[0,1,1] neg_lo:[1,0,0] neg_hi:[1,0,0]
	ds_read2_b32 v[74:75], v67 offset0:39 offset1:40
	;; [unrolled: 3-line block ×12, first 2 shown]
	s_waitcnt lgkmcnt(0)
	v_pk_fma_f32 v[12:13], v[68:69], v[74:75], v[12:13] op_sel_hi:[0,1,1] neg_lo:[1,0,0] neg_hi:[1,0,0]
.LBB120_590:
	s_or_b64 exec, exec, s[0:1]
	v_lshl_add_u32 v68, v71, 2, v67
	s_barrier
	ds_write_b32 v68, v34
	s_waitcnt lgkmcnt(0)
	s_barrier
	ds_read_b32 v70, v67 offset:140
	s_cmp_lt_i32 s22, 37
	v_mov_b32_e32 v68, 35
	s_cbranch_scc1 .LBB120_593
; %bb.591:
	v_add_u32_e32 v73, 0x90, v67
	v_mov_b32_e32 v68, 35
	s_mov_b32 s0, 36
.LBB120_592:                            ; =>This Inner Loop Header: Depth=1
	ds_read_b32 v74, v73
	v_mov_b32_e32 v75, s0
	s_add_i32 s0, s0, 1
	v_add_u32_e32 v73, 4, v73
	s_cmp_lg_u32 s22, s0
	s_waitcnt lgkmcnt(0)
	v_cmp_lt_f32_e64 vcc, |v70|, |v74|
	s_nop 1
	v_cndmask_b32_e32 v70, v70, v74, vcc
	v_cndmask_b32_e32 v68, v68, v75, vcc
	s_cbranch_scc1 .LBB120_592
.LBB120_593:
	s_waitcnt lgkmcnt(0)
	v_cmp_eq_f32_e32 vcc, 0, v70
	s_and_saveexec_b64 s[0:1], vcc
	s_xor_b64 s[0:1], exec, s[0:1]
; %bb.594:
	v_cmp_ne_u32_e32 vcc, 0, v72
	s_nop 1
	v_cndmask_b32_e32 v72, 36, v72, vcc
; %bb.595:
	s_andn2_saveexec_b64 s[0:1], s[0:1]
	s_cbranch_execz .LBB120_597
; %bb.596:
	v_div_scale_f32 v73, s[2:3], v70, v70, 1.0
	v_rcp_f32_e32 v74, v73
	v_div_scale_f32 v75, vcc, 1.0, v70, 1.0
	v_fma_f32 v76, -v73, v74, 1.0
	v_fmac_f32_e32 v74, v76, v74
	v_mul_f32_e32 v76, v75, v74
	v_fma_f32 v77, -v73, v76, v75
	v_fmac_f32_e32 v76, v77, v74
	v_fma_f32 v73, -v73, v76, v75
	v_div_fmas_f32 v73, v73, v74, v76
	v_div_fixup_f32 v70, v73, v70, 1.0
.LBB120_597:
	s_or_b64 exec, exec, s[0:1]
	v_cmp_ne_u32_e32 vcc, v71, v68
	s_and_saveexec_b64 s[0:1], vcc
	s_xor_b64 s[0:1], exec, s[0:1]
	s_cbranch_execz .LBB120_603
; %bb.598:
	v_cmp_eq_u32_e32 vcc, 35, v71
	s_and_saveexec_b64 s[2:3], vcc
	s_cbranch_execz .LBB120_602
; %bb.599:
	v_cmp_ne_u32_e32 vcc, 35, v68
	s_xor_b64 s[12:13], s[20:21], -1
	s_and_b64 s[14:15], s[12:13], vcc
	s_and_saveexec_b64 s[12:13], s[14:15]
	s_cbranch_execz .LBB120_601
; %bb.600:
	v_ashrrev_i32_e32 v69, 31, v68
	v_lshl_add_u64 v[74:75], v[68:69], 2, v[4:5]
	global_load_dword v69, v[74:75], off
	global_load_dword v71, v[4:5], off offset:140
	s_waitcnt vmcnt(1)
	global_store_dword v[4:5], v69, off offset:140
	s_waitcnt vmcnt(1)
	global_store_dword v[74:75], v71, off
.LBB120_601:
	s_or_b64 exec, exec, s[12:13]
	v_mov_b32_e32 v69, v68
	v_mov_b32_e32 v71, v68
.LBB120_602:
	s_or_b64 exec, exec, s[2:3]
.LBB120_603:
	s_andn2_saveexec_b64 s[0:1], s[0:1]
	s_cbranch_execz .LBB120_605
; %bb.604:
	v_pk_mov_b32 v[74:75], v[34:35], v[26:27] op_sel:[1,0]
	ds_write2_b32 v67, v74, v75 offset0:36 offset1:37
	v_pk_mov_b32 v[74:75], v[26:27], v[18:19] op_sel:[1,0]
	ds_write2_b32 v67, v74, v75 offset0:38 offset1:39
	;; [unrolled: 2-line block ×11, first 2 shown]
	v_pk_mov_b32 v[74:75], v[0:1], v[12:13] op_sel:[1,0]
	v_mov_b32_e32 v71, 35
	ds_write2_b32 v67, v74, v75 offset0:58 offset1:59
	ds_write_b32 v67, v13 offset:240
.LBB120_605:
	s_or_b64 exec, exec, s[0:1]
	v_cmp_lt_i32_e32 vcc, 35, v71
	s_waitcnt lgkmcnt(0)
	s_barrier
	s_and_saveexec_b64 s[0:1], vcc
	s_cbranch_execz .LBB120_607
; %bb.606:
	ds_read_b32 v68, v67 offset:144
	ds_read2_b32 v[74:75], v67 offset0:37 offset1:38
	v_mul_f32_e32 v34, v70, v34
	s_waitcnt lgkmcnt(1)
	v_fma_f32 v35, -v34, v68, v35
	s_waitcnt lgkmcnt(0)
	v_pk_fma_f32 v[26:27], v[34:35], v[74:75], v[26:27] op_sel_hi:[0,1,1] neg_lo:[1,0,0] neg_hi:[1,0,0]
	ds_read2_b32 v[74:75], v67 offset0:39 offset1:40
	s_waitcnt lgkmcnt(0)
	v_pk_fma_f32 v[18:19], v[34:35], v[74:75], v[18:19] op_sel_hi:[0,1,1] neg_lo:[1,0,0] neg_hi:[1,0,0]
	ds_read2_b32 v[74:75], v67 offset0:41 offset1:42
	;; [unrolled: 3-line block ×11, first 2 shown]
	s_waitcnt lgkmcnt(0)
	v_pk_fma_f32 v[12:13], v[34:35], v[74:75], v[12:13] op_sel_hi:[0,1,1] neg_lo:[1,0,0] neg_hi:[1,0,0]
.LBB120_607:
	s_or_b64 exec, exec, s[0:1]
	v_lshl_add_u32 v68, v71, 2, v67
	s_barrier
	ds_write_b32 v68, v35
	s_waitcnt lgkmcnt(0)
	s_barrier
	ds_read_b32 v70, v67 offset:144
	s_cmp_lt_i32 s22, 38
	v_mov_b32_e32 v68, 36
	s_cbranch_scc1 .LBB120_610
; %bb.608:
	v_add_u32_e32 v73, 0x94, v67
	v_mov_b32_e32 v68, 36
	s_mov_b32 s0, 37
.LBB120_609:                            ; =>This Inner Loop Header: Depth=1
	ds_read_b32 v74, v73
	v_mov_b32_e32 v75, s0
	s_add_i32 s0, s0, 1
	v_add_u32_e32 v73, 4, v73
	s_cmp_lg_u32 s22, s0
	s_waitcnt lgkmcnt(0)
	v_cmp_lt_f32_e64 vcc, |v70|, |v74|
	s_nop 1
	v_cndmask_b32_e32 v70, v70, v74, vcc
	v_cndmask_b32_e32 v68, v68, v75, vcc
	s_cbranch_scc1 .LBB120_609
.LBB120_610:
	s_waitcnt lgkmcnt(0)
	v_cmp_eq_f32_e32 vcc, 0, v70
	s_and_saveexec_b64 s[0:1], vcc
	s_xor_b64 s[0:1], exec, s[0:1]
; %bb.611:
	v_cmp_ne_u32_e32 vcc, 0, v72
	s_nop 1
	v_cndmask_b32_e32 v72, 37, v72, vcc
; %bb.612:
	s_andn2_saveexec_b64 s[0:1], s[0:1]
	s_cbranch_execz .LBB120_614
; %bb.613:
	v_div_scale_f32 v73, s[2:3], v70, v70, 1.0
	v_rcp_f32_e32 v74, v73
	v_div_scale_f32 v75, vcc, 1.0, v70, 1.0
	v_fma_f32 v76, -v73, v74, 1.0
	v_fmac_f32_e32 v74, v76, v74
	v_mul_f32_e32 v76, v75, v74
	v_fma_f32 v77, -v73, v76, v75
	v_fmac_f32_e32 v76, v77, v74
	v_fma_f32 v73, -v73, v76, v75
	v_div_fmas_f32 v73, v73, v74, v76
	v_div_fixup_f32 v70, v73, v70, 1.0
.LBB120_614:
	s_or_b64 exec, exec, s[0:1]
	v_cmp_ne_u32_e32 vcc, v71, v68
	s_and_saveexec_b64 s[0:1], vcc
	s_xor_b64 s[0:1], exec, s[0:1]
	s_cbranch_execz .LBB120_620
; %bb.615:
	v_cmp_eq_u32_e32 vcc, 36, v71
	s_and_saveexec_b64 s[2:3], vcc
	s_cbranch_execz .LBB120_619
; %bb.616:
	v_cmp_ne_u32_e32 vcc, 36, v68
	s_xor_b64 s[12:13], s[20:21], -1
	s_and_b64 s[14:15], s[12:13], vcc
	s_and_saveexec_b64 s[12:13], s[14:15]
	s_cbranch_execz .LBB120_618
; %bb.617:
	v_ashrrev_i32_e32 v69, 31, v68
	v_lshl_add_u64 v[74:75], v[68:69], 2, v[4:5]
	global_load_dword v69, v[74:75], off
	global_load_dword v71, v[4:5], off offset:144
	s_waitcnt vmcnt(1)
	global_store_dword v[4:5], v69, off offset:144
	s_waitcnt vmcnt(1)
	global_store_dword v[74:75], v71, off
.LBB120_618:
	s_or_b64 exec, exec, s[12:13]
	v_mov_b32_e32 v69, v68
	v_mov_b32_e32 v71, v68
.LBB120_619:
	s_or_b64 exec, exec, s[2:3]
.LBB120_620:
	s_andn2_saveexec_b64 s[0:1], s[0:1]
	s_cbranch_execz .LBB120_622
; %bb.621:
	v_mov_b32_e32 v71, 36
	ds_write2_b32 v67, v26, v27 offset0:37 offset1:38
	ds_write2_b32 v67, v18, v19 offset0:39 offset1:40
	;; [unrolled: 1-line block ×12, first 2 shown]
.LBB120_622:
	s_or_b64 exec, exec, s[0:1]
	v_cmp_lt_i32_e32 vcc, 36, v71
	s_waitcnt lgkmcnt(0)
	s_barrier
	s_and_saveexec_b64 s[0:1], vcc
	s_cbranch_execz .LBB120_624
; %bb.623:
	ds_read2_b32 v[74:75], v67 offset0:37 offset1:38
	v_mul_f32_e32 v68, v70, v35
	v_mov_b32_e32 v35, v68
	s_waitcnt lgkmcnt(0)
	v_pk_fma_f32 v[26:27], v[68:69], v[74:75], v[26:27] op_sel_hi:[0,1,1] neg_lo:[1,0,0] neg_hi:[1,0,0]
	ds_read2_b32 v[74:75], v67 offset0:39 offset1:40
	s_waitcnt lgkmcnt(0)
	v_pk_fma_f32 v[18:19], v[68:69], v[74:75], v[18:19] op_sel_hi:[0,1,1] neg_lo:[1,0,0] neg_hi:[1,0,0]
	ds_read2_b32 v[74:75], v67 offset0:41 offset1:42
	;; [unrolled: 3-line block ×11, first 2 shown]
	s_waitcnt lgkmcnt(0)
	v_pk_fma_f32 v[12:13], v[68:69], v[74:75], v[12:13] op_sel_hi:[0,1,1] neg_lo:[1,0,0] neg_hi:[1,0,0]
.LBB120_624:
	s_or_b64 exec, exec, s[0:1]
	v_lshl_add_u32 v68, v71, 2, v67
	s_barrier
	ds_write_b32 v68, v26
	s_waitcnt lgkmcnt(0)
	s_barrier
	ds_read_b32 v70, v67 offset:148
	s_cmp_lt_i32 s22, 39
	v_mov_b32_e32 v68, 37
	s_cbranch_scc1 .LBB120_627
; %bb.625:
	v_add_u32_e32 v73, 0x98, v67
	v_mov_b32_e32 v68, 37
	s_mov_b32 s0, 38
.LBB120_626:                            ; =>This Inner Loop Header: Depth=1
	ds_read_b32 v74, v73
	v_mov_b32_e32 v75, s0
	s_add_i32 s0, s0, 1
	v_add_u32_e32 v73, 4, v73
	s_cmp_lg_u32 s22, s0
	s_waitcnt lgkmcnt(0)
	v_cmp_lt_f32_e64 vcc, |v70|, |v74|
	s_nop 1
	v_cndmask_b32_e32 v70, v70, v74, vcc
	v_cndmask_b32_e32 v68, v68, v75, vcc
	s_cbranch_scc1 .LBB120_626
.LBB120_627:
	s_waitcnt lgkmcnt(0)
	v_cmp_eq_f32_e32 vcc, 0, v70
	s_and_saveexec_b64 s[0:1], vcc
	s_xor_b64 s[0:1], exec, s[0:1]
; %bb.628:
	v_cmp_ne_u32_e32 vcc, 0, v72
	s_nop 1
	v_cndmask_b32_e32 v72, 38, v72, vcc
; %bb.629:
	s_andn2_saveexec_b64 s[0:1], s[0:1]
	s_cbranch_execz .LBB120_631
; %bb.630:
	v_div_scale_f32 v73, s[2:3], v70, v70, 1.0
	v_rcp_f32_e32 v74, v73
	v_div_scale_f32 v75, vcc, 1.0, v70, 1.0
	v_fma_f32 v76, -v73, v74, 1.0
	v_fmac_f32_e32 v74, v76, v74
	v_mul_f32_e32 v76, v75, v74
	v_fma_f32 v77, -v73, v76, v75
	v_fmac_f32_e32 v76, v77, v74
	v_fma_f32 v73, -v73, v76, v75
	v_div_fmas_f32 v73, v73, v74, v76
	v_div_fixup_f32 v70, v73, v70, 1.0
.LBB120_631:
	s_or_b64 exec, exec, s[0:1]
	v_cmp_ne_u32_e32 vcc, v71, v68
	s_and_saveexec_b64 s[0:1], vcc
	s_xor_b64 s[0:1], exec, s[0:1]
	s_cbranch_execz .LBB120_637
; %bb.632:
	v_cmp_eq_u32_e32 vcc, 37, v71
	s_and_saveexec_b64 s[2:3], vcc
	s_cbranch_execz .LBB120_636
; %bb.633:
	v_cmp_ne_u32_e32 vcc, 37, v68
	s_xor_b64 s[12:13], s[20:21], -1
	s_and_b64 s[14:15], s[12:13], vcc
	s_and_saveexec_b64 s[12:13], s[14:15]
	s_cbranch_execz .LBB120_635
; %bb.634:
	v_ashrrev_i32_e32 v69, 31, v68
	v_lshl_add_u64 v[74:75], v[68:69], 2, v[4:5]
	global_load_dword v69, v[74:75], off
	global_load_dword v71, v[4:5], off offset:148
	s_waitcnt vmcnt(1)
	global_store_dword v[4:5], v69, off offset:148
	s_waitcnt vmcnt(1)
	global_store_dword v[74:75], v71, off
.LBB120_635:
	s_or_b64 exec, exec, s[12:13]
	v_mov_b32_e32 v69, v68
	v_mov_b32_e32 v71, v68
.LBB120_636:
	s_or_b64 exec, exec, s[2:3]
.LBB120_637:
	s_andn2_saveexec_b64 s[0:1], s[0:1]
	s_cbranch_execz .LBB120_639
; %bb.638:
	v_pk_mov_b32 v[74:75], v[26:27], v[18:19] op_sel:[1,0]
	ds_write2_b32 v67, v74, v75 offset0:38 offset1:39
	v_pk_mov_b32 v[74:75], v[18:19], v[36:37] op_sel:[1,0]
	ds_write2_b32 v67, v74, v75 offset0:40 offset1:41
	;; [unrolled: 2-line block ×10, first 2 shown]
	v_pk_mov_b32 v[74:75], v[0:1], v[12:13] op_sel:[1,0]
	v_mov_b32_e32 v71, 37
	ds_write2_b32 v67, v74, v75 offset0:58 offset1:59
	ds_write_b32 v67, v13 offset:240
.LBB120_639:
	s_or_b64 exec, exec, s[0:1]
	v_cmp_lt_i32_e32 vcc, 37, v71
	s_waitcnt lgkmcnt(0)
	s_barrier
	s_and_saveexec_b64 s[0:1], vcc
	s_cbranch_execz .LBB120_641
; %bb.640:
	ds_read_b32 v68, v67 offset:152
	ds_read2_b32 v[74:75], v67 offset0:39 offset1:40
	v_mul_f32_e32 v26, v70, v26
	s_waitcnt lgkmcnt(1)
	v_fma_f32 v27, -v26, v68, v27
	s_waitcnt lgkmcnt(0)
	v_pk_fma_f32 v[18:19], v[26:27], v[74:75], v[18:19] op_sel_hi:[0,1,1] neg_lo:[1,0,0] neg_hi:[1,0,0]
	ds_read2_b32 v[74:75], v67 offset0:41 offset1:42
	s_waitcnt lgkmcnt(0)
	v_pk_fma_f32 v[36:37], v[26:27], v[74:75], v[36:37] op_sel_hi:[0,1,1] neg_lo:[1,0,0] neg_hi:[1,0,0]
	ds_read2_b32 v[74:75], v67 offset0:43 offset1:44
	;; [unrolled: 3-line block ×10, first 2 shown]
	s_waitcnt lgkmcnt(0)
	v_pk_fma_f32 v[12:13], v[26:27], v[74:75], v[12:13] op_sel_hi:[0,1,1] neg_lo:[1,0,0] neg_hi:[1,0,0]
.LBB120_641:
	s_or_b64 exec, exec, s[0:1]
	v_lshl_add_u32 v68, v71, 2, v67
	s_barrier
	ds_write_b32 v68, v27
	s_waitcnt lgkmcnt(0)
	s_barrier
	ds_read_b32 v70, v67 offset:152
	s_cmp_lt_i32 s22, 40
	v_mov_b32_e32 v68, 38
	s_cbranch_scc1 .LBB120_644
; %bb.642:
	v_add_u32_e32 v73, 0x9c, v67
	v_mov_b32_e32 v68, 38
	s_mov_b32 s0, 39
.LBB120_643:                            ; =>This Inner Loop Header: Depth=1
	ds_read_b32 v74, v73
	v_mov_b32_e32 v75, s0
	s_add_i32 s0, s0, 1
	v_add_u32_e32 v73, 4, v73
	s_cmp_lg_u32 s22, s0
	s_waitcnt lgkmcnt(0)
	v_cmp_lt_f32_e64 vcc, |v70|, |v74|
	s_nop 1
	v_cndmask_b32_e32 v70, v70, v74, vcc
	v_cndmask_b32_e32 v68, v68, v75, vcc
	s_cbranch_scc1 .LBB120_643
.LBB120_644:
	s_waitcnt lgkmcnt(0)
	v_cmp_eq_f32_e32 vcc, 0, v70
	s_and_saveexec_b64 s[0:1], vcc
	s_xor_b64 s[0:1], exec, s[0:1]
; %bb.645:
	v_cmp_ne_u32_e32 vcc, 0, v72
	s_nop 1
	v_cndmask_b32_e32 v72, 39, v72, vcc
; %bb.646:
	s_andn2_saveexec_b64 s[0:1], s[0:1]
	s_cbranch_execz .LBB120_648
; %bb.647:
	v_div_scale_f32 v73, s[2:3], v70, v70, 1.0
	v_rcp_f32_e32 v74, v73
	v_div_scale_f32 v75, vcc, 1.0, v70, 1.0
	v_fma_f32 v76, -v73, v74, 1.0
	v_fmac_f32_e32 v74, v76, v74
	v_mul_f32_e32 v76, v75, v74
	v_fma_f32 v77, -v73, v76, v75
	v_fmac_f32_e32 v76, v77, v74
	v_fma_f32 v73, -v73, v76, v75
	v_div_fmas_f32 v73, v73, v74, v76
	v_div_fixup_f32 v70, v73, v70, 1.0
.LBB120_648:
	s_or_b64 exec, exec, s[0:1]
	v_cmp_ne_u32_e32 vcc, v71, v68
	s_and_saveexec_b64 s[0:1], vcc
	s_xor_b64 s[0:1], exec, s[0:1]
	s_cbranch_execz .LBB120_654
; %bb.649:
	v_cmp_eq_u32_e32 vcc, 38, v71
	s_and_saveexec_b64 s[2:3], vcc
	s_cbranch_execz .LBB120_653
; %bb.650:
	v_cmp_ne_u32_e32 vcc, 38, v68
	s_xor_b64 s[12:13], s[20:21], -1
	s_and_b64 s[14:15], s[12:13], vcc
	s_and_saveexec_b64 s[12:13], s[14:15]
	s_cbranch_execz .LBB120_652
; %bb.651:
	v_ashrrev_i32_e32 v69, 31, v68
	v_lshl_add_u64 v[74:75], v[68:69], 2, v[4:5]
	global_load_dword v69, v[74:75], off
	global_load_dword v71, v[4:5], off offset:152
	s_waitcnt vmcnt(1)
	global_store_dword v[4:5], v69, off offset:152
	s_waitcnt vmcnt(1)
	global_store_dword v[74:75], v71, off
.LBB120_652:
	s_or_b64 exec, exec, s[12:13]
	v_mov_b32_e32 v69, v68
	v_mov_b32_e32 v71, v68
.LBB120_653:
	s_or_b64 exec, exec, s[2:3]
.LBB120_654:
	s_andn2_saveexec_b64 s[0:1], s[0:1]
	s_cbranch_execz .LBB120_656
; %bb.655:
	v_mov_b32_e32 v71, 38
	ds_write2_b32 v67, v18, v19 offset0:39 offset1:40
	ds_write2_b32 v67, v36, v37 offset0:41 offset1:42
	;; [unrolled: 1-line block ×11, first 2 shown]
.LBB120_656:
	s_or_b64 exec, exec, s[0:1]
	v_cmp_lt_i32_e32 vcc, 38, v71
	s_waitcnt lgkmcnt(0)
	s_barrier
	s_and_saveexec_b64 s[0:1], vcc
	s_cbranch_execz .LBB120_658
; %bb.657:
	ds_read2_b32 v[74:75], v67 offset0:39 offset1:40
	v_mul_f32_e32 v68, v70, v27
	v_mov_b32_e32 v27, v68
	s_waitcnt lgkmcnt(0)
	v_pk_fma_f32 v[18:19], v[68:69], v[74:75], v[18:19] op_sel_hi:[0,1,1] neg_lo:[1,0,0] neg_hi:[1,0,0]
	ds_read2_b32 v[74:75], v67 offset0:41 offset1:42
	s_waitcnt lgkmcnt(0)
	v_pk_fma_f32 v[36:37], v[68:69], v[74:75], v[36:37] op_sel_hi:[0,1,1] neg_lo:[1,0,0] neg_hi:[1,0,0]
	ds_read2_b32 v[74:75], v67 offset0:43 offset1:44
	;; [unrolled: 3-line block ×10, first 2 shown]
	s_waitcnt lgkmcnt(0)
	v_pk_fma_f32 v[12:13], v[68:69], v[74:75], v[12:13] op_sel_hi:[0,1,1] neg_lo:[1,0,0] neg_hi:[1,0,0]
.LBB120_658:
	s_or_b64 exec, exec, s[0:1]
	v_lshl_add_u32 v68, v71, 2, v67
	s_barrier
	ds_write_b32 v68, v18
	s_waitcnt lgkmcnt(0)
	s_barrier
	ds_read_b32 v70, v67 offset:156
	s_cmp_lt_i32 s22, 41
	v_mov_b32_e32 v68, 39
	s_cbranch_scc1 .LBB120_661
; %bb.659:
	v_add_u32_e32 v73, 0xa0, v67
	v_mov_b32_e32 v68, 39
	s_mov_b32 s0, 40
.LBB120_660:                            ; =>This Inner Loop Header: Depth=1
	ds_read_b32 v74, v73
	v_mov_b32_e32 v75, s0
	s_add_i32 s0, s0, 1
	v_add_u32_e32 v73, 4, v73
	s_cmp_lg_u32 s22, s0
	s_waitcnt lgkmcnt(0)
	v_cmp_lt_f32_e64 vcc, |v70|, |v74|
	s_nop 1
	v_cndmask_b32_e32 v70, v70, v74, vcc
	v_cndmask_b32_e32 v68, v68, v75, vcc
	s_cbranch_scc1 .LBB120_660
.LBB120_661:
	s_waitcnt lgkmcnt(0)
	v_cmp_eq_f32_e32 vcc, 0, v70
	s_and_saveexec_b64 s[0:1], vcc
	s_xor_b64 s[0:1], exec, s[0:1]
; %bb.662:
	v_cmp_ne_u32_e32 vcc, 0, v72
	s_nop 1
	v_cndmask_b32_e32 v72, 40, v72, vcc
; %bb.663:
	s_andn2_saveexec_b64 s[0:1], s[0:1]
	s_cbranch_execz .LBB120_665
; %bb.664:
	v_div_scale_f32 v73, s[2:3], v70, v70, 1.0
	v_rcp_f32_e32 v74, v73
	v_div_scale_f32 v75, vcc, 1.0, v70, 1.0
	v_fma_f32 v76, -v73, v74, 1.0
	v_fmac_f32_e32 v74, v76, v74
	v_mul_f32_e32 v76, v75, v74
	v_fma_f32 v77, -v73, v76, v75
	v_fmac_f32_e32 v76, v77, v74
	v_fma_f32 v73, -v73, v76, v75
	v_div_fmas_f32 v73, v73, v74, v76
	v_div_fixup_f32 v70, v73, v70, 1.0
.LBB120_665:
	s_or_b64 exec, exec, s[0:1]
	v_cmp_ne_u32_e32 vcc, v71, v68
	s_and_saveexec_b64 s[0:1], vcc
	s_xor_b64 s[0:1], exec, s[0:1]
	s_cbranch_execz .LBB120_671
; %bb.666:
	v_cmp_eq_u32_e32 vcc, 39, v71
	s_and_saveexec_b64 s[2:3], vcc
	s_cbranch_execz .LBB120_670
; %bb.667:
	v_cmp_ne_u32_e32 vcc, 39, v68
	s_xor_b64 s[12:13], s[20:21], -1
	s_and_b64 s[14:15], s[12:13], vcc
	s_and_saveexec_b64 s[12:13], s[14:15]
	s_cbranch_execz .LBB120_669
; %bb.668:
	v_ashrrev_i32_e32 v69, 31, v68
	v_lshl_add_u64 v[74:75], v[68:69], 2, v[4:5]
	global_load_dword v69, v[74:75], off
	global_load_dword v71, v[4:5], off offset:156
	s_waitcnt vmcnt(1)
	global_store_dword v[4:5], v69, off offset:156
	s_waitcnt vmcnt(1)
	global_store_dword v[74:75], v71, off
.LBB120_669:
	s_or_b64 exec, exec, s[12:13]
	v_mov_b32_e32 v69, v68
	v_mov_b32_e32 v71, v68
.LBB120_670:
	s_or_b64 exec, exec, s[2:3]
.LBB120_671:
	s_andn2_saveexec_b64 s[0:1], s[0:1]
	s_cbranch_execz .LBB120_673
; %bb.672:
	v_pk_mov_b32 v[74:75], v[18:19], v[36:37] op_sel:[1,0]
	ds_write2_b32 v67, v74, v75 offset0:40 offset1:41
	v_pk_mov_b32 v[74:75], v[36:37], v[28:29] op_sel:[1,0]
	ds_write2_b32 v67, v74, v75 offset0:42 offset1:43
	;; [unrolled: 2-line block ×9, first 2 shown]
	v_pk_mov_b32 v[74:75], v[0:1], v[12:13] op_sel:[1,0]
	v_mov_b32_e32 v71, 39
	ds_write2_b32 v67, v74, v75 offset0:58 offset1:59
	ds_write_b32 v67, v13 offset:240
.LBB120_673:
	s_or_b64 exec, exec, s[0:1]
	v_cmp_lt_i32_e32 vcc, 39, v71
	s_waitcnt lgkmcnt(0)
	s_barrier
	s_and_saveexec_b64 s[0:1], vcc
	s_cbranch_execz .LBB120_675
; %bb.674:
	ds_read_b32 v68, v67 offset:160
	ds_read2_b32 v[74:75], v67 offset0:41 offset1:42
	v_mul_f32_e32 v18, v70, v18
	s_waitcnt lgkmcnt(1)
	v_fma_f32 v19, -v18, v68, v19
	s_waitcnt lgkmcnt(0)
	v_pk_fma_f32 v[36:37], v[18:19], v[74:75], v[36:37] op_sel_hi:[0,1,1] neg_lo:[1,0,0] neg_hi:[1,0,0]
	ds_read2_b32 v[74:75], v67 offset0:43 offset1:44
	s_waitcnt lgkmcnt(0)
	v_pk_fma_f32 v[28:29], v[18:19], v[74:75], v[28:29] op_sel_hi:[0,1,1] neg_lo:[1,0,0] neg_hi:[1,0,0]
	ds_read2_b32 v[74:75], v67 offset0:45 offset1:46
	;; [unrolled: 3-line block ×9, first 2 shown]
	s_waitcnt lgkmcnt(0)
	v_pk_fma_f32 v[12:13], v[18:19], v[74:75], v[12:13] op_sel_hi:[0,1,1] neg_lo:[1,0,0] neg_hi:[1,0,0]
.LBB120_675:
	s_or_b64 exec, exec, s[0:1]
	v_lshl_add_u32 v68, v71, 2, v67
	s_barrier
	ds_write_b32 v68, v19
	s_waitcnt lgkmcnt(0)
	s_barrier
	ds_read_b32 v70, v67 offset:160
	s_cmp_lt_i32 s22, 42
	v_mov_b32_e32 v68, 40
	s_cbranch_scc1 .LBB120_678
; %bb.676:
	v_add_u32_e32 v73, 0xa4, v67
	v_mov_b32_e32 v68, 40
	s_mov_b32 s0, 41
.LBB120_677:                            ; =>This Inner Loop Header: Depth=1
	ds_read_b32 v74, v73
	v_mov_b32_e32 v75, s0
	s_add_i32 s0, s0, 1
	v_add_u32_e32 v73, 4, v73
	s_cmp_lg_u32 s22, s0
	s_waitcnt lgkmcnt(0)
	v_cmp_lt_f32_e64 vcc, |v70|, |v74|
	s_nop 1
	v_cndmask_b32_e32 v70, v70, v74, vcc
	v_cndmask_b32_e32 v68, v68, v75, vcc
	s_cbranch_scc1 .LBB120_677
.LBB120_678:
	s_waitcnt lgkmcnt(0)
	v_cmp_eq_f32_e32 vcc, 0, v70
	s_and_saveexec_b64 s[0:1], vcc
	s_xor_b64 s[0:1], exec, s[0:1]
; %bb.679:
	v_cmp_ne_u32_e32 vcc, 0, v72
	s_nop 1
	v_cndmask_b32_e32 v72, 41, v72, vcc
; %bb.680:
	s_andn2_saveexec_b64 s[0:1], s[0:1]
	s_cbranch_execz .LBB120_682
; %bb.681:
	v_div_scale_f32 v73, s[2:3], v70, v70, 1.0
	v_rcp_f32_e32 v74, v73
	v_div_scale_f32 v75, vcc, 1.0, v70, 1.0
	v_fma_f32 v76, -v73, v74, 1.0
	v_fmac_f32_e32 v74, v76, v74
	v_mul_f32_e32 v76, v75, v74
	v_fma_f32 v77, -v73, v76, v75
	v_fmac_f32_e32 v76, v77, v74
	v_fma_f32 v73, -v73, v76, v75
	v_div_fmas_f32 v73, v73, v74, v76
	v_div_fixup_f32 v70, v73, v70, 1.0
.LBB120_682:
	s_or_b64 exec, exec, s[0:1]
	v_cmp_ne_u32_e32 vcc, v71, v68
	s_and_saveexec_b64 s[0:1], vcc
	s_xor_b64 s[0:1], exec, s[0:1]
	s_cbranch_execz .LBB120_688
; %bb.683:
	v_cmp_eq_u32_e32 vcc, 40, v71
	s_and_saveexec_b64 s[2:3], vcc
	s_cbranch_execz .LBB120_687
; %bb.684:
	v_cmp_ne_u32_e32 vcc, 40, v68
	s_xor_b64 s[12:13], s[20:21], -1
	s_and_b64 s[14:15], s[12:13], vcc
	s_and_saveexec_b64 s[12:13], s[14:15]
	s_cbranch_execz .LBB120_686
; %bb.685:
	v_ashrrev_i32_e32 v69, 31, v68
	v_lshl_add_u64 v[74:75], v[68:69], 2, v[4:5]
	global_load_dword v69, v[74:75], off
	global_load_dword v71, v[4:5], off offset:160
	s_waitcnt vmcnt(1)
	global_store_dword v[4:5], v69, off offset:160
	s_waitcnt vmcnt(1)
	global_store_dword v[74:75], v71, off
.LBB120_686:
	s_or_b64 exec, exec, s[12:13]
	v_mov_b32_e32 v69, v68
	v_mov_b32_e32 v71, v68
.LBB120_687:
	s_or_b64 exec, exec, s[2:3]
.LBB120_688:
	s_andn2_saveexec_b64 s[0:1], s[0:1]
	s_cbranch_execz .LBB120_690
; %bb.689:
	v_mov_b32_e32 v71, 40
	ds_write2_b32 v67, v36, v37 offset0:41 offset1:42
	ds_write2_b32 v67, v28, v29 offset0:43 offset1:44
	;; [unrolled: 1-line block ×10, first 2 shown]
.LBB120_690:
	s_or_b64 exec, exec, s[0:1]
	v_cmp_lt_i32_e32 vcc, 40, v71
	s_waitcnt lgkmcnt(0)
	s_barrier
	s_and_saveexec_b64 s[0:1], vcc
	s_cbranch_execz .LBB120_692
; %bb.691:
	ds_read2_b32 v[74:75], v67 offset0:41 offset1:42
	v_mul_f32_e32 v68, v70, v19
	v_mov_b32_e32 v19, v68
	s_waitcnt lgkmcnt(0)
	v_pk_fma_f32 v[36:37], v[68:69], v[74:75], v[36:37] op_sel_hi:[0,1,1] neg_lo:[1,0,0] neg_hi:[1,0,0]
	ds_read2_b32 v[74:75], v67 offset0:43 offset1:44
	s_waitcnt lgkmcnt(0)
	v_pk_fma_f32 v[28:29], v[68:69], v[74:75], v[28:29] op_sel_hi:[0,1,1] neg_lo:[1,0,0] neg_hi:[1,0,0]
	ds_read2_b32 v[74:75], v67 offset0:45 offset1:46
	;; [unrolled: 3-line block ×9, first 2 shown]
	s_waitcnt lgkmcnt(0)
	v_pk_fma_f32 v[12:13], v[68:69], v[74:75], v[12:13] op_sel_hi:[0,1,1] neg_lo:[1,0,0] neg_hi:[1,0,0]
.LBB120_692:
	s_or_b64 exec, exec, s[0:1]
	v_lshl_add_u32 v68, v71, 2, v67
	s_barrier
	ds_write_b32 v68, v36
	s_waitcnt lgkmcnt(0)
	s_barrier
	ds_read_b32 v70, v67 offset:164
	s_cmp_lt_i32 s22, 43
	v_mov_b32_e32 v68, 41
	s_cbranch_scc1 .LBB120_695
; %bb.693:
	v_add_u32_e32 v73, 0xa8, v67
	v_mov_b32_e32 v68, 41
	s_mov_b32 s0, 42
.LBB120_694:                            ; =>This Inner Loop Header: Depth=1
	ds_read_b32 v74, v73
	v_mov_b32_e32 v75, s0
	s_add_i32 s0, s0, 1
	v_add_u32_e32 v73, 4, v73
	s_cmp_lg_u32 s22, s0
	s_waitcnt lgkmcnt(0)
	v_cmp_lt_f32_e64 vcc, |v70|, |v74|
	s_nop 1
	v_cndmask_b32_e32 v70, v70, v74, vcc
	v_cndmask_b32_e32 v68, v68, v75, vcc
	s_cbranch_scc1 .LBB120_694
.LBB120_695:
	s_waitcnt lgkmcnt(0)
	v_cmp_eq_f32_e32 vcc, 0, v70
	s_and_saveexec_b64 s[0:1], vcc
	s_xor_b64 s[0:1], exec, s[0:1]
; %bb.696:
	v_cmp_ne_u32_e32 vcc, 0, v72
	s_nop 1
	v_cndmask_b32_e32 v72, 42, v72, vcc
; %bb.697:
	s_andn2_saveexec_b64 s[0:1], s[0:1]
	s_cbranch_execz .LBB120_699
; %bb.698:
	v_div_scale_f32 v73, s[2:3], v70, v70, 1.0
	v_rcp_f32_e32 v74, v73
	v_div_scale_f32 v75, vcc, 1.0, v70, 1.0
	v_fma_f32 v76, -v73, v74, 1.0
	v_fmac_f32_e32 v74, v76, v74
	v_mul_f32_e32 v76, v75, v74
	v_fma_f32 v77, -v73, v76, v75
	v_fmac_f32_e32 v76, v77, v74
	v_fma_f32 v73, -v73, v76, v75
	v_div_fmas_f32 v73, v73, v74, v76
	v_div_fixup_f32 v70, v73, v70, 1.0
.LBB120_699:
	s_or_b64 exec, exec, s[0:1]
	v_cmp_ne_u32_e32 vcc, v71, v68
	s_and_saveexec_b64 s[0:1], vcc
	s_xor_b64 s[0:1], exec, s[0:1]
	s_cbranch_execz .LBB120_705
; %bb.700:
	v_cmp_eq_u32_e32 vcc, 41, v71
	s_and_saveexec_b64 s[2:3], vcc
	s_cbranch_execz .LBB120_704
; %bb.701:
	v_cmp_ne_u32_e32 vcc, 41, v68
	s_xor_b64 s[12:13], s[20:21], -1
	s_and_b64 s[14:15], s[12:13], vcc
	s_and_saveexec_b64 s[12:13], s[14:15]
	s_cbranch_execz .LBB120_703
; %bb.702:
	v_ashrrev_i32_e32 v69, 31, v68
	v_lshl_add_u64 v[74:75], v[68:69], 2, v[4:5]
	global_load_dword v69, v[74:75], off
	global_load_dword v71, v[4:5], off offset:164
	s_waitcnt vmcnt(1)
	global_store_dword v[4:5], v69, off offset:164
	s_waitcnt vmcnt(1)
	global_store_dword v[74:75], v71, off
.LBB120_703:
	s_or_b64 exec, exec, s[12:13]
	v_mov_b32_e32 v69, v68
	v_mov_b32_e32 v71, v68
.LBB120_704:
	s_or_b64 exec, exec, s[2:3]
.LBB120_705:
	s_andn2_saveexec_b64 s[0:1], s[0:1]
	s_cbranch_execz .LBB120_707
; %bb.706:
	v_pk_mov_b32 v[74:75], v[36:37], v[28:29] op_sel:[1,0]
	ds_write2_b32 v67, v74, v75 offset0:42 offset1:43
	v_pk_mov_b32 v[74:75], v[28:29], v[20:21] op_sel:[1,0]
	ds_write2_b32 v67, v74, v75 offset0:44 offset1:45
	;; [unrolled: 2-line block ×8, first 2 shown]
	v_pk_mov_b32 v[74:75], v[0:1], v[12:13] op_sel:[1,0]
	v_mov_b32_e32 v71, 41
	ds_write2_b32 v67, v74, v75 offset0:58 offset1:59
	ds_write_b32 v67, v13 offset:240
.LBB120_707:
	s_or_b64 exec, exec, s[0:1]
	v_cmp_lt_i32_e32 vcc, 41, v71
	s_waitcnt lgkmcnt(0)
	s_barrier
	s_and_saveexec_b64 s[0:1], vcc
	s_cbranch_execz .LBB120_709
; %bb.708:
	ds_read_b32 v68, v67 offset:168
	ds_read2_b32 v[74:75], v67 offset0:43 offset1:44
	v_mul_f32_e32 v36, v70, v36
	s_waitcnt lgkmcnt(1)
	v_fma_f32 v37, -v36, v68, v37
	s_waitcnt lgkmcnt(0)
	v_pk_fma_f32 v[28:29], v[36:37], v[74:75], v[28:29] op_sel_hi:[0,1,1] neg_lo:[1,0,0] neg_hi:[1,0,0]
	ds_read2_b32 v[74:75], v67 offset0:45 offset1:46
	s_waitcnt lgkmcnt(0)
	v_pk_fma_f32 v[20:21], v[36:37], v[74:75], v[20:21] op_sel_hi:[0,1,1] neg_lo:[1,0,0] neg_hi:[1,0,0]
	ds_read2_b32 v[74:75], v67 offset0:47 offset1:48
	;; [unrolled: 3-line block ×8, first 2 shown]
	s_waitcnt lgkmcnt(0)
	v_pk_fma_f32 v[12:13], v[36:37], v[74:75], v[12:13] op_sel_hi:[0,1,1] neg_lo:[1,0,0] neg_hi:[1,0,0]
.LBB120_709:
	s_or_b64 exec, exec, s[0:1]
	v_lshl_add_u32 v68, v71, 2, v67
	s_barrier
	ds_write_b32 v68, v37
	s_waitcnt lgkmcnt(0)
	s_barrier
	ds_read_b32 v70, v67 offset:168
	s_cmp_lt_i32 s22, 44
	v_mov_b32_e32 v68, 42
	s_cbranch_scc1 .LBB120_712
; %bb.710:
	v_add_u32_e32 v73, 0xac, v67
	v_mov_b32_e32 v68, 42
	s_mov_b32 s0, 43
.LBB120_711:                            ; =>This Inner Loop Header: Depth=1
	ds_read_b32 v74, v73
	v_mov_b32_e32 v75, s0
	s_add_i32 s0, s0, 1
	v_add_u32_e32 v73, 4, v73
	s_cmp_lg_u32 s22, s0
	s_waitcnt lgkmcnt(0)
	v_cmp_lt_f32_e64 vcc, |v70|, |v74|
	s_nop 1
	v_cndmask_b32_e32 v70, v70, v74, vcc
	v_cndmask_b32_e32 v68, v68, v75, vcc
	s_cbranch_scc1 .LBB120_711
.LBB120_712:
	s_waitcnt lgkmcnt(0)
	v_cmp_eq_f32_e32 vcc, 0, v70
	s_and_saveexec_b64 s[0:1], vcc
	s_xor_b64 s[0:1], exec, s[0:1]
; %bb.713:
	v_cmp_ne_u32_e32 vcc, 0, v72
	s_nop 1
	v_cndmask_b32_e32 v72, 43, v72, vcc
; %bb.714:
	s_andn2_saveexec_b64 s[0:1], s[0:1]
	s_cbranch_execz .LBB120_716
; %bb.715:
	v_div_scale_f32 v73, s[2:3], v70, v70, 1.0
	v_rcp_f32_e32 v74, v73
	v_div_scale_f32 v75, vcc, 1.0, v70, 1.0
	v_fma_f32 v76, -v73, v74, 1.0
	v_fmac_f32_e32 v74, v76, v74
	v_mul_f32_e32 v76, v75, v74
	v_fma_f32 v77, -v73, v76, v75
	v_fmac_f32_e32 v76, v77, v74
	v_fma_f32 v73, -v73, v76, v75
	v_div_fmas_f32 v73, v73, v74, v76
	v_div_fixup_f32 v70, v73, v70, 1.0
.LBB120_716:
	s_or_b64 exec, exec, s[0:1]
	v_cmp_ne_u32_e32 vcc, v71, v68
	s_and_saveexec_b64 s[0:1], vcc
	s_xor_b64 s[0:1], exec, s[0:1]
	s_cbranch_execz .LBB120_722
; %bb.717:
	v_cmp_eq_u32_e32 vcc, 42, v71
	s_and_saveexec_b64 s[2:3], vcc
	s_cbranch_execz .LBB120_721
; %bb.718:
	v_cmp_ne_u32_e32 vcc, 42, v68
	s_xor_b64 s[12:13], s[20:21], -1
	s_and_b64 s[14:15], s[12:13], vcc
	s_and_saveexec_b64 s[12:13], s[14:15]
	s_cbranch_execz .LBB120_720
; %bb.719:
	v_ashrrev_i32_e32 v69, 31, v68
	v_lshl_add_u64 v[74:75], v[68:69], 2, v[4:5]
	global_load_dword v69, v[74:75], off
	global_load_dword v71, v[4:5], off offset:168
	s_waitcnt vmcnt(1)
	global_store_dword v[4:5], v69, off offset:168
	s_waitcnt vmcnt(1)
	global_store_dword v[74:75], v71, off
.LBB120_720:
	s_or_b64 exec, exec, s[12:13]
	v_mov_b32_e32 v69, v68
	v_mov_b32_e32 v71, v68
.LBB120_721:
	s_or_b64 exec, exec, s[2:3]
.LBB120_722:
	s_andn2_saveexec_b64 s[0:1], s[0:1]
	s_cbranch_execz .LBB120_724
; %bb.723:
	v_mov_b32_e32 v71, 42
	ds_write2_b32 v67, v28, v29 offset0:43 offset1:44
	ds_write2_b32 v67, v20, v21 offset0:45 offset1:46
	;; [unrolled: 1-line block ×9, first 2 shown]
.LBB120_724:
	s_or_b64 exec, exec, s[0:1]
	v_cmp_lt_i32_e32 vcc, 42, v71
	s_waitcnt lgkmcnt(0)
	s_barrier
	s_and_saveexec_b64 s[0:1], vcc
	s_cbranch_execz .LBB120_726
; %bb.725:
	ds_read2_b32 v[74:75], v67 offset0:43 offset1:44
	v_mul_f32_e32 v68, v70, v37
	v_mov_b32_e32 v37, v68
	s_waitcnt lgkmcnt(0)
	v_pk_fma_f32 v[28:29], v[68:69], v[74:75], v[28:29] op_sel_hi:[0,1,1] neg_lo:[1,0,0] neg_hi:[1,0,0]
	ds_read2_b32 v[74:75], v67 offset0:45 offset1:46
	s_waitcnt lgkmcnt(0)
	v_pk_fma_f32 v[20:21], v[68:69], v[74:75], v[20:21] op_sel_hi:[0,1,1] neg_lo:[1,0,0] neg_hi:[1,0,0]
	ds_read2_b32 v[74:75], v67 offset0:47 offset1:48
	;; [unrolled: 3-line block ×8, first 2 shown]
	s_waitcnt lgkmcnt(0)
	v_pk_fma_f32 v[12:13], v[68:69], v[74:75], v[12:13] op_sel_hi:[0,1,1] neg_lo:[1,0,0] neg_hi:[1,0,0]
.LBB120_726:
	s_or_b64 exec, exec, s[0:1]
	v_lshl_add_u32 v68, v71, 2, v67
	s_barrier
	ds_write_b32 v68, v28
	s_waitcnt lgkmcnt(0)
	s_barrier
	ds_read_b32 v70, v67 offset:172
	s_cmp_lt_i32 s22, 45
	v_mov_b32_e32 v68, 43
	s_cbranch_scc1 .LBB120_729
; %bb.727:
	v_add_u32_e32 v73, 0xb0, v67
	v_mov_b32_e32 v68, 43
	s_mov_b32 s0, 44
.LBB120_728:                            ; =>This Inner Loop Header: Depth=1
	ds_read_b32 v74, v73
	v_mov_b32_e32 v75, s0
	s_add_i32 s0, s0, 1
	v_add_u32_e32 v73, 4, v73
	s_cmp_lg_u32 s22, s0
	s_waitcnt lgkmcnt(0)
	v_cmp_lt_f32_e64 vcc, |v70|, |v74|
	s_nop 1
	v_cndmask_b32_e32 v70, v70, v74, vcc
	v_cndmask_b32_e32 v68, v68, v75, vcc
	s_cbranch_scc1 .LBB120_728
.LBB120_729:
	s_waitcnt lgkmcnt(0)
	v_cmp_eq_f32_e32 vcc, 0, v70
	s_and_saveexec_b64 s[0:1], vcc
	s_xor_b64 s[0:1], exec, s[0:1]
; %bb.730:
	v_cmp_ne_u32_e32 vcc, 0, v72
	s_nop 1
	v_cndmask_b32_e32 v72, 44, v72, vcc
; %bb.731:
	s_andn2_saveexec_b64 s[0:1], s[0:1]
	s_cbranch_execz .LBB120_733
; %bb.732:
	v_div_scale_f32 v73, s[2:3], v70, v70, 1.0
	v_rcp_f32_e32 v74, v73
	v_div_scale_f32 v75, vcc, 1.0, v70, 1.0
	v_fma_f32 v76, -v73, v74, 1.0
	v_fmac_f32_e32 v74, v76, v74
	v_mul_f32_e32 v76, v75, v74
	v_fma_f32 v77, -v73, v76, v75
	v_fmac_f32_e32 v76, v77, v74
	v_fma_f32 v73, -v73, v76, v75
	v_div_fmas_f32 v73, v73, v74, v76
	v_div_fixup_f32 v70, v73, v70, 1.0
.LBB120_733:
	s_or_b64 exec, exec, s[0:1]
	v_cmp_ne_u32_e32 vcc, v71, v68
	s_and_saveexec_b64 s[0:1], vcc
	s_xor_b64 s[0:1], exec, s[0:1]
	s_cbranch_execz .LBB120_739
; %bb.734:
	v_cmp_eq_u32_e32 vcc, 43, v71
	s_and_saveexec_b64 s[2:3], vcc
	s_cbranch_execz .LBB120_738
; %bb.735:
	v_cmp_ne_u32_e32 vcc, 43, v68
	s_xor_b64 s[12:13], s[20:21], -1
	s_and_b64 s[14:15], s[12:13], vcc
	s_and_saveexec_b64 s[12:13], s[14:15]
	s_cbranch_execz .LBB120_737
; %bb.736:
	v_ashrrev_i32_e32 v69, 31, v68
	v_lshl_add_u64 v[74:75], v[68:69], 2, v[4:5]
	global_load_dword v69, v[74:75], off
	global_load_dword v71, v[4:5], off offset:172
	s_waitcnt vmcnt(1)
	global_store_dword v[4:5], v69, off offset:172
	s_waitcnt vmcnt(1)
	global_store_dword v[74:75], v71, off
.LBB120_737:
	s_or_b64 exec, exec, s[12:13]
	v_mov_b32_e32 v69, v68
	v_mov_b32_e32 v71, v68
.LBB120_738:
	s_or_b64 exec, exec, s[2:3]
.LBB120_739:
	s_andn2_saveexec_b64 s[0:1], s[0:1]
	s_cbranch_execz .LBB120_741
; %bb.740:
	v_pk_mov_b32 v[74:75], v[28:29], v[20:21] op_sel:[1,0]
	ds_write2_b32 v67, v74, v75 offset0:44 offset1:45
	v_pk_mov_b32 v[74:75], v[20:21], v[10:11] op_sel:[1,0]
	ds_write2_b32 v67, v74, v75 offset0:46 offset1:47
	;; [unrolled: 2-line block ×7, first 2 shown]
	v_pk_mov_b32 v[74:75], v[0:1], v[12:13] op_sel:[1,0]
	v_mov_b32_e32 v71, 43
	ds_write2_b32 v67, v74, v75 offset0:58 offset1:59
	ds_write_b32 v67, v13 offset:240
.LBB120_741:
	s_or_b64 exec, exec, s[0:1]
	v_cmp_lt_i32_e32 vcc, 43, v71
	s_waitcnt lgkmcnt(0)
	s_barrier
	s_and_saveexec_b64 s[0:1], vcc
	s_cbranch_execz .LBB120_743
; %bb.742:
	ds_read_b32 v68, v67 offset:176
	ds_read2_b32 v[74:75], v67 offset0:45 offset1:46
	v_mul_f32_e32 v28, v70, v28
	s_waitcnt lgkmcnt(1)
	v_fma_f32 v29, -v28, v68, v29
	s_waitcnt lgkmcnt(0)
	v_pk_fma_f32 v[20:21], v[28:29], v[74:75], v[20:21] op_sel_hi:[0,1,1] neg_lo:[1,0,0] neg_hi:[1,0,0]
	ds_read2_b32 v[74:75], v67 offset0:47 offset1:48
	s_waitcnt lgkmcnt(0)
	v_pk_fma_f32 v[10:11], v[28:29], v[74:75], v[10:11] op_sel_hi:[0,1,1] neg_lo:[1,0,0] neg_hi:[1,0,0]
	ds_read2_b32 v[74:75], v67 offset0:49 offset1:50
	;; [unrolled: 3-line block ×7, first 2 shown]
	s_waitcnt lgkmcnt(0)
	v_pk_fma_f32 v[12:13], v[28:29], v[74:75], v[12:13] op_sel_hi:[0,1,1] neg_lo:[1,0,0] neg_hi:[1,0,0]
.LBB120_743:
	s_or_b64 exec, exec, s[0:1]
	v_lshl_add_u32 v68, v71, 2, v67
	s_barrier
	ds_write_b32 v68, v29
	s_waitcnt lgkmcnt(0)
	s_barrier
	ds_read_b32 v70, v67 offset:176
	s_cmp_lt_i32 s22, 46
	v_mov_b32_e32 v68, 44
	s_cbranch_scc1 .LBB120_746
; %bb.744:
	v_add_u32_e32 v73, 0xb4, v67
	v_mov_b32_e32 v68, 44
	s_mov_b32 s0, 45
.LBB120_745:                            ; =>This Inner Loop Header: Depth=1
	ds_read_b32 v74, v73
	v_mov_b32_e32 v75, s0
	s_add_i32 s0, s0, 1
	v_add_u32_e32 v73, 4, v73
	s_cmp_lg_u32 s22, s0
	s_waitcnt lgkmcnt(0)
	v_cmp_lt_f32_e64 vcc, |v70|, |v74|
	s_nop 1
	v_cndmask_b32_e32 v70, v70, v74, vcc
	v_cndmask_b32_e32 v68, v68, v75, vcc
	s_cbranch_scc1 .LBB120_745
.LBB120_746:
	s_waitcnt lgkmcnt(0)
	v_cmp_eq_f32_e32 vcc, 0, v70
	s_and_saveexec_b64 s[0:1], vcc
	s_xor_b64 s[0:1], exec, s[0:1]
; %bb.747:
	v_cmp_ne_u32_e32 vcc, 0, v72
	s_nop 1
	v_cndmask_b32_e32 v72, 45, v72, vcc
; %bb.748:
	s_andn2_saveexec_b64 s[0:1], s[0:1]
	s_cbranch_execz .LBB120_750
; %bb.749:
	v_div_scale_f32 v73, s[2:3], v70, v70, 1.0
	v_rcp_f32_e32 v74, v73
	v_div_scale_f32 v75, vcc, 1.0, v70, 1.0
	v_fma_f32 v76, -v73, v74, 1.0
	v_fmac_f32_e32 v74, v76, v74
	v_mul_f32_e32 v76, v75, v74
	v_fma_f32 v77, -v73, v76, v75
	v_fmac_f32_e32 v76, v77, v74
	v_fma_f32 v73, -v73, v76, v75
	v_div_fmas_f32 v73, v73, v74, v76
	v_div_fixup_f32 v70, v73, v70, 1.0
.LBB120_750:
	s_or_b64 exec, exec, s[0:1]
	v_cmp_ne_u32_e32 vcc, v71, v68
	s_and_saveexec_b64 s[0:1], vcc
	s_xor_b64 s[0:1], exec, s[0:1]
	s_cbranch_execz .LBB120_756
; %bb.751:
	v_cmp_eq_u32_e32 vcc, 44, v71
	s_and_saveexec_b64 s[2:3], vcc
	s_cbranch_execz .LBB120_755
; %bb.752:
	v_cmp_ne_u32_e32 vcc, 44, v68
	s_xor_b64 s[12:13], s[20:21], -1
	s_and_b64 s[14:15], s[12:13], vcc
	s_and_saveexec_b64 s[12:13], s[14:15]
	s_cbranch_execz .LBB120_754
; %bb.753:
	v_ashrrev_i32_e32 v69, 31, v68
	v_lshl_add_u64 v[74:75], v[68:69], 2, v[4:5]
	global_load_dword v69, v[74:75], off
	global_load_dword v71, v[4:5], off offset:176
	s_waitcnt vmcnt(1)
	global_store_dword v[4:5], v69, off offset:176
	s_waitcnt vmcnt(1)
	global_store_dword v[74:75], v71, off
.LBB120_754:
	s_or_b64 exec, exec, s[12:13]
	v_mov_b32_e32 v69, v68
	v_mov_b32_e32 v71, v68
.LBB120_755:
	s_or_b64 exec, exec, s[2:3]
.LBB120_756:
	s_andn2_saveexec_b64 s[0:1], s[0:1]
	s_cbranch_execz .LBB120_758
; %bb.757:
	v_mov_b32_e32 v71, 44
	ds_write2_b32 v67, v20, v21 offset0:45 offset1:46
	ds_write2_b32 v67, v10, v11 offset0:47 offset1:48
	;; [unrolled: 1-line block ×8, first 2 shown]
.LBB120_758:
	s_or_b64 exec, exec, s[0:1]
	v_cmp_lt_i32_e32 vcc, 44, v71
	s_waitcnt lgkmcnt(0)
	s_barrier
	s_and_saveexec_b64 s[0:1], vcc
	s_cbranch_execz .LBB120_760
; %bb.759:
	ds_read2_b32 v[74:75], v67 offset0:45 offset1:46
	v_mul_f32_e32 v68, v70, v29
	v_mov_b32_e32 v29, v68
	s_waitcnt lgkmcnt(0)
	v_pk_fma_f32 v[20:21], v[68:69], v[74:75], v[20:21] op_sel_hi:[0,1,1] neg_lo:[1,0,0] neg_hi:[1,0,0]
	ds_read2_b32 v[74:75], v67 offset0:47 offset1:48
	s_waitcnt lgkmcnt(0)
	v_pk_fma_f32 v[10:11], v[68:69], v[74:75], v[10:11] op_sel_hi:[0,1,1] neg_lo:[1,0,0] neg_hi:[1,0,0]
	ds_read2_b32 v[74:75], v67 offset0:49 offset1:50
	;; [unrolled: 3-line block ×7, first 2 shown]
	s_waitcnt lgkmcnt(0)
	v_pk_fma_f32 v[12:13], v[68:69], v[74:75], v[12:13] op_sel_hi:[0,1,1] neg_lo:[1,0,0] neg_hi:[1,0,0]
.LBB120_760:
	s_or_b64 exec, exec, s[0:1]
	v_lshl_add_u32 v68, v71, 2, v67
	s_barrier
	ds_write_b32 v68, v20
	s_waitcnt lgkmcnt(0)
	s_barrier
	ds_read_b32 v70, v67 offset:180
	s_cmp_lt_i32 s22, 47
	v_mov_b32_e32 v68, 45
	s_cbranch_scc1 .LBB120_763
; %bb.761:
	v_add_u32_e32 v73, 0xb8, v67
	v_mov_b32_e32 v68, 45
	s_mov_b32 s0, 46
.LBB120_762:                            ; =>This Inner Loop Header: Depth=1
	ds_read_b32 v74, v73
	v_mov_b32_e32 v75, s0
	s_add_i32 s0, s0, 1
	v_add_u32_e32 v73, 4, v73
	s_cmp_lg_u32 s22, s0
	s_waitcnt lgkmcnt(0)
	v_cmp_lt_f32_e64 vcc, |v70|, |v74|
	s_nop 1
	v_cndmask_b32_e32 v70, v70, v74, vcc
	v_cndmask_b32_e32 v68, v68, v75, vcc
	s_cbranch_scc1 .LBB120_762
.LBB120_763:
	s_waitcnt lgkmcnt(0)
	v_cmp_eq_f32_e32 vcc, 0, v70
	s_and_saveexec_b64 s[0:1], vcc
	s_xor_b64 s[0:1], exec, s[0:1]
; %bb.764:
	v_cmp_ne_u32_e32 vcc, 0, v72
	s_nop 1
	v_cndmask_b32_e32 v72, 46, v72, vcc
; %bb.765:
	s_andn2_saveexec_b64 s[0:1], s[0:1]
	s_cbranch_execz .LBB120_767
; %bb.766:
	v_div_scale_f32 v73, s[2:3], v70, v70, 1.0
	v_rcp_f32_e32 v74, v73
	v_div_scale_f32 v75, vcc, 1.0, v70, 1.0
	v_fma_f32 v76, -v73, v74, 1.0
	v_fmac_f32_e32 v74, v76, v74
	v_mul_f32_e32 v76, v75, v74
	v_fma_f32 v77, -v73, v76, v75
	v_fmac_f32_e32 v76, v77, v74
	v_fma_f32 v73, -v73, v76, v75
	v_div_fmas_f32 v73, v73, v74, v76
	v_div_fixup_f32 v70, v73, v70, 1.0
.LBB120_767:
	s_or_b64 exec, exec, s[0:1]
	v_cmp_ne_u32_e32 vcc, v71, v68
	s_and_saveexec_b64 s[0:1], vcc
	s_xor_b64 s[0:1], exec, s[0:1]
	s_cbranch_execz .LBB120_773
; %bb.768:
	v_cmp_eq_u32_e32 vcc, 45, v71
	s_and_saveexec_b64 s[2:3], vcc
	s_cbranch_execz .LBB120_772
; %bb.769:
	v_cmp_ne_u32_e32 vcc, 45, v68
	s_xor_b64 s[12:13], s[20:21], -1
	s_and_b64 s[14:15], s[12:13], vcc
	s_and_saveexec_b64 s[12:13], s[14:15]
	s_cbranch_execz .LBB120_771
; %bb.770:
	v_ashrrev_i32_e32 v69, 31, v68
	v_lshl_add_u64 v[74:75], v[68:69], 2, v[4:5]
	global_load_dword v69, v[74:75], off
	global_load_dword v71, v[4:5], off offset:180
	s_waitcnt vmcnt(1)
	global_store_dword v[4:5], v69, off offset:180
	s_waitcnt vmcnt(1)
	global_store_dword v[74:75], v71, off
.LBB120_771:
	s_or_b64 exec, exec, s[12:13]
	v_mov_b32_e32 v69, v68
	v_mov_b32_e32 v71, v68
.LBB120_772:
	s_or_b64 exec, exec, s[2:3]
.LBB120_773:
	s_andn2_saveexec_b64 s[0:1], s[0:1]
	s_cbranch_execz .LBB120_775
; %bb.774:
	v_pk_mov_b32 v[74:75], v[20:21], v[10:11] op_sel:[1,0]
	ds_write2_b32 v67, v74, v75 offset0:46 offset1:47
	v_pk_mov_b32 v[74:75], v[10:11], v[22:23] op_sel:[1,0]
	ds_write2_b32 v67, v74, v75 offset0:48 offset1:49
	;; [unrolled: 2-line block ×6, first 2 shown]
	v_pk_mov_b32 v[74:75], v[0:1], v[12:13] op_sel:[1,0]
	v_mov_b32_e32 v71, 45
	ds_write2_b32 v67, v74, v75 offset0:58 offset1:59
	ds_write_b32 v67, v13 offset:240
.LBB120_775:
	s_or_b64 exec, exec, s[0:1]
	v_cmp_lt_i32_e32 vcc, 45, v71
	s_waitcnt lgkmcnt(0)
	s_barrier
	s_and_saveexec_b64 s[0:1], vcc
	s_cbranch_execz .LBB120_777
; %bb.776:
	ds_read_b32 v68, v67 offset:184
	ds_read2_b32 v[74:75], v67 offset0:47 offset1:48
	v_mul_f32_e32 v20, v70, v20
	s_waitcnt lgkmcnt(1)
	v_fma_f32 v21, -v20, v68, v21
	s_waitcnt lgkmcnt(0)
	v_pk_fma_f32 v[10:11], v[20:21], v[74:75], v[10:11] op_sel_hi:[0,1,1] neg_lo:[1,0,0] neg_hi:[1,0,0]
	ds_read2_b32 v[74:75], v67 offset0:49 offset1:50
	s_waitcnt lgkmcnt(0)
	v_pk_fma_f32 v[22:23], v[20:21], v[74:75], v[22:23] op_sel_hi:[0,1,1] neg_lo:[1,0,0] neg_hi:[1,0,0]
	ds_read2_b32 v[74:75], v67 offset0:51 offset1:52
	;; [unrolled: 3-line block ×6, first 2 shown]
	s_waitcnt lgkmcnt(0)
	v_pk_fma_f32 v[12:13], v[20:21], v[74:75], v[12:13] op_sel_hi:[0,1,1] neg_lo:[1,0,0] neg_hi:[1,0,0]
.LBB120_777:
	s_or_b64 exec, exec, s[0:1]
	v_lshl_add_u32 v68, v71, 2, v67
	s_barrier
	ds_write_b32 v68, v21
	s_waitcnt lgkmcnt(0)
	s_barrier
	ds_read_b32 v70, v67 offset:184
	s_cmp_lt_i32 s22, 48
	v_mov_b32_e32 v68, 46
	s_cbranch_scc1 .LBB120_780
; %bb.778:
	v_add_u32_e32 v73, 0xbc, v67
	v_mov_b32_e32 v68, 46
	s_mov_b32 s0, 47
.LBB120_779:                            ; =>This Inner Loop Header: Depth=1
	ds_read_b32 v74, v73
	v_mov_b32_e32 v75, s0
	s_add_i32 s0, s0, 1
	v_add_u32_e32 v73, 4, v73
	s_cmp_lg_u32 s22, s0
	s_waitcnt lgkmcnt(0)
	v_cmp_lt_f32_e64 vcc, |v70|, |v74|
	s_nop 1
	v_cndmask_b32_e32 v70, v70, v74, vcc
	v_cndmask_b32_e32 v68, v68, v75, vcc
	s_cbranch_scc1 .LBB120_779
.LBB120_780:
	s_waitcnt lgkmcnt(0)
	v_cmp_eq_f32_e32 vcc, 0, v70
	s_and_saveexec_b64 s[0:1], vcc
	s_xor_b64 s[0:1], exec, s[0:1]
; %bb.781:
	v_cmp_ne_u32_e32 vcc, 0, v72
	s_nop 1
	v_cndmask_b32_e32 v72, 47, v72, vcc
; %bb.782:
	s_andn2_saveexec_b64 s[0:1], s[0:1]
	s_cbranch_execz .LBB120_784
; %bb.783:
	v_div_scale_f32 v73, s[2:3], v70, v70, 1.0
	v_rcp_f32_e32 v74, v73
	v_div_scale_f32 v75, vcc, 1.0, v70, 1.0
	v_fma_f32 v76, -v73, v74, 1.0
	v_fmac_f32_e32 v74, v76, v74
	v_mul_f32_e32 v76, v75, v74
	v_fma_f32 v77, -v73, v76, v75
	v_fmac_f32_e32 v76, v77, v74
	v_fma_f32 v73, -v73, v76, v75
	v_div_fmas_f32 v73, v73, v74, v76
	v_div_fixup_f32 v70, v73, v70, 1.0
.LBB120_784:
	s_or_b64 exec, exec, s[0:1]
	v_cmp_ne_u32_e32 vcc, v71, v68
	s_and_saveexec_b64 s[0:1], vcc
	s_xor_b64 s[0:1], exec, s[0:1]
	s_cbranch_execz .LBB120_790
; %bb.785:
	v_cmp_eq_u32_e32 vcc, 46, v71
	s_and_saveexec_b64 s[2:3], vcc
	s_cbranch_execz .LBB120_789
; %bb.786:
	v_cmp_ne_u32_e32 vcc, 46, v68
	s_xor_b64 s[12:13], s[20:21], -1
	s_and_b64 s[14:15], s[12:13], vcc
	s_and_saveexec_b64 s[12:13], s[14:15]
	s_cbranch_execz .LBB120_788
; %bb.787:
	v_ashrrev_i32_e32 v69, 31, v68
	v_lshl_add_u64 v[74:75], v[68:69], 2, v[4:5]
	global_load_dword v69, v[74:75], off
	global_load_dword v71, v[4:5], off offset:184
	s_waitcnt vmcnt(1)
	global_store_dword v[4:5], v69, off offset:184
	s_waitcnt vmcnt(1)
	global_store_dword v[74:75], v71, off
.LBB120_788:
	s_or_b64 exec, exec, s[12:13]
	v_mov_b32_e32 v69, v68
	v_mov_b32_e32 v71, v68
.LBB120_789:
	s_or_b64 exec, exec, s[2:3]
.LBB120_790:
	s_andn2_saveexec_b64 s[0:1], s[0:1]
	s_cbranch_execz .LBB120_792
; %bb.791:
	v_mov_b32_e32 v71, 46
	ds_write2_b32 v67, v10, v11 offset0:47 offset1:48
	ds_write2_b32 v67, v22, v23 offset0:49 offset1:50
	ds_write2_b32 v67, v14, v15 offset0:51 offset1:52
	ds_write2_b32 v67, v16, v17 offset0:53 offset1:54
	ds_write2_b32 v67, v8, v9 offset0:55 offset1:56
	ds_write2_b32 v67, v0, v1 offset0:57 offset1:58
	ds_write2_b32 v67, v12, v13 offset0:59 offset1:60
.LBB120_792:
	s_or_b64 exec, exec, s[0:1]
	v_cmp_lt_i32_e32 vcc, 46, v71
	s_waitcnt lgkmcnt(0)
	s_barrier
	s_and_saveexec_b64 s[0:1], vcc
	s_cbranch_execz .LBB120_794
; %bb.793:
	ds_read2_b32 v[74:75], v67 offset0:47 offset1:48
	v_mul_f32_e32 v68, v70, v21
	v_mov_b32_e32 v21, v68
	s_waitcnt lgkmcnt(0)
	v_pk_fma_f32 v[10:11], v[68:69], v[74:75], v[10:11] op_sel_hi:[0,1,1] neg_lo:[1,0,0] neg_hi:[1,0,0]
	ds_read2_b32 v[74:75], v67 offset0:49 offset1:50
	s_waitcnt lgkmcnt(0)
	v_pk_fma_f32 v[22:23], v[68:69], v[74:75], v[22:23] op_sel_hi:[0,1,1] neg_lo:[1,0,0] neg_hi:[1,0,0]
	ds_read2_b32 v[74:75], v67 offset0:51 offset1:52
	;; [unrolled: 3-line block ×6, first 2 shown]
	s_waitcnt lgkmcnt(0)
	v_pk_fma_f32 v[12:13], v[68:69], v[74:75], v[12:13] op_sel_hi:[0,1,1] neg_lo:[1,0,0] neg_hi:[1,0,0]
.LBB120_794:
	s_or_b64 exec, exec, s[0:1]
	v_lshl_add_u32 v68, v71, 2, v67
	s_barrier
	ds_write_b32 v68, v10
	s_waitcnt lgkmcnt(0)
	s_barrier
	ds_read_b32 v70, v67 offset:188
	s_cmp_lt_i32 s22, 49
	v_mov_b32_e32 v68, 47
	s_cbranch_scc1 .LBB120_797
; %bb.795:
	v_add_u32_e32 v73, 0xc0, v67
	v_mov_b32_e32 v68, 47
	s_mov_b32 s0, 48
.LBB120_796:                            ; =>This Inner Loop Header: Depth=1
	ds_read_b32 v74, v73
	v_mov_b32_e32 v75, s0
	s_add_i32 s0, s0, 1
	v_add_u32_e32 v73, 4, v73
	s_cmp_lg_u32 s22, s0
	s_waitcnt lgkmcnt(0)
	v_cmp_lt_f32_e64 vcc, |v70|, |v74|
	s_nop 1
	v_cndmask_b32_e32 v70, v70, v74, vcc
	v_cndmask_b32_e32 v68, v68, v75, vcc
	s_cbranch_scc1 .LBB120_796
.LBB120_797:
	s_waitcnt lgkmcnt(0)
	v_cmp_eq_f32_e32 vcc, 0, v70
	s_and_saveexec_b64 s[0:1], vcc
	s_xor_b64 s[0:1], exec, s[0:1]
; %bb.798:
	v_cmp_ne_u32_e32 vcc, 0, v72
	s_nop 1
	v_cndmask_b32_e32 v72, 48, v72, vcc
; %bb.799:
	s_andn2_saveexec_b64 s[0:1], s[0:1]
	s_cbranch_execz .LBB120_801
; %bb.800:
	v_div_scale_f32 v73, s[2:3], v70, v70, 1.0
	v_rcp_f32_e32 v74, v73
	v_div_scale_f32 v75, vcc, 1.0, v70, 1.0
	v_fma_f32 v76, -v73, v74, 1.0
	v_fmac_f32_e32 v74, v76, v74
	v_mul_f32_e32 v76, v75, v74
	v_fma_f32 v77, -v73, v76, v75
	v_fmac_f32_e32 v76, v77, v74
	v_fma_f32 v73, -v73, v76, v75
	v_div_fmas_f32 v73, v73, v74, v76
	v_div_fixup_f32 v70, v73, v70, 1.0
.LBB120_801:
	s_or_b64 exec, exec, s[0:1]
	v_cmp_ne_u32_e32 vcc, v71, v68
	s_and_saveexec_b64 s[0:1], vcc
	s_xor_b64 s[0:1], exec, s[0:1]
	s_cbranch_execz .LBB120_807
; %bb.802:
	v_cmp_eq_u32_e32 vcc, 47, v71
	s_and_saveexec_b64 s[2:3], vcc
	s_cbranch_execz .LBB120_806
; %bb.803:
	v_cmp_ne_u32_e32 vcc, 47, v68
	s_xor_b64 s[12:13], s[20:21], -1
	s_and_b64 s[14:15], s[12:13], vcc
	s_and_saveexec_b64 s[12:13], s[14:15]
	s_cbranch_execz .LBB120_805
; %bb.804:
	v_ashrrev_i32_e32 v69, 31, v68
	v_lshl_add_u64 v[74:75], v[68:69], 2, v[4:5]
	global_load_dword v69, v[74:75], off
	global_load_dword v71, v[4:5], off offset:188
	s_waitcnt vmcnt(1)
	global_store_dword v[4:5], v69, off offset:188
	s_waitcnt vmcnt(1)
	global_store_dword v[74:75], v71, off
.LBB120_805:
	s_or_b64 exec, exec, s[12:13]
	v_mov_b32_e32 v69, v68
	v_mov_b32_e32 v71, v68
.LBB120_806:
	s_or_b64 exec, exec, s[2:3]
.LBB120_807:
	s_andn2_saveexec_b64 s[0:1], s[0:1]
	s_cbranch_execz .LBB120_809
; %bb.808:
	v_pk_mov_b32 v[74:75], v[10:11], v[22:23] op_sel:[1,0]
	ds_write2_b32 v67, v74, v75 offset0:48 offset1:49
	v_pk_mov_b32 v[74:75], v[22:23], v[14:15] op_sel:[1,0]
	ds_write2_b32 v67, v74, v75 offset0:50 offset1:51
	;; [unrolled: 2-line block ×5, first 2 shown]
	v_pk_mov_b32 v[74:75], v[0:1], v[12:13] op_sel:[1,0]
	v_mov_b32_e32 v71, 47
	ds_write2_b32 v67, v74, v75 offset0:58 offset1:59
	ds_write_b32 v67, v13 offset:240
.LBB120_809:
	s_or_b64 exec, exec, s[0:1]
	v_cmp_lt_i32_e32 vcc, 47, v71
	s_waitcnt lgkmcnt(0)
	s_barrier
	s_and_saveexec_b64 s[0:1], vcc
	s_cbranch_execz .LBB120_811
; %bb.810:
	ds_read_b32 v68, v67 offset:192
	ds_read2_b32 v[74:75], v67 offset0:49 offset1:50
	v_mul_f32_e32 v10, v70, v10
	s_waitcnt lgkmcnt(1)
	v_fma_f32 v11, -v10, v68, v11
	s_waitcnt lgkmcnt(0)
	v_pk_fma_f32 v[22:23], v[10:11], v[74:75], v[22:23] op_sel_hi:[0,1,1] neg_lo:[1,0,0] neg_hi:[1,0,0]
	ds_read2_b32 v[74:75], v67 offset0:51 offset1:52
	s_waitcnt lgkmcnt(0)
	v_pk_fma_f32 v[14:15], v[10:11], v[74:75], v[14:15] op_sel_hi:[0,1,1] neg_lo:[1,0,0] neg_hi:[1,0,0]
	ds_read2_b32 v[74:75], v67 offset0:53 offset1:54
	s_waitcnt lgkmcnt(0)
	v_pk_fma_f32 v[16:17], v[10:11], v[74:75], v[16:17] op_sel_hi:[0,1,1] neg_lo:[1,0,0] neg_hi:[1,0,0]
	ds_read2_b32 v[74:75], v67 offset0:55 offset1:56
	s_waitcnt lgkmcnt(0)
	v_pk_fma_f32 v[8:9], v[10:11], v[74:75], v[8:9] op_sel_hi:[0,1,1] neg_lo:[1,0,0] neg_hi:[1,0,0]
	ds_read2_b32 v[74:75], v67 offset0:57 offset1:58
	s_waitcnt lgkmcnt(0)
	v_pk_fma_f32 v[0:1], v[10:11], v[74:75], v[0:1] op_sel_hi:[0,1,1] neg_lo:[1,0,0] neg_hi:[1,0,0]
	ds_read2_b32 v[74:75], v67 offset0:59 offset1:60
	s_waitcnt lgkmcnt(0)
	v_pk_fma_f32 v[12:13], v[10:11], v[74:75], v[12:13] op_sel_hi:[0,1,1] neg_lo:[1,0,0] neg_hi:[1,0,0]
.LBB120_811:
	s_or_b64 exec, exec, s[0:1]
	v_lshl_add_u32 v68, v71, 2, v67
	s_barrier
	ds_write_b32 v68, v11
	s_waitcnt lgkmcnt(0)
	s_barrier
	ds_read_b32 v70, v67 offset:192
	s_cmp_lt_i32 s22, 50
	v_mov_b32_e32 v68, 48
	s_cbranch_scc1 .LBB120_814
; %bb.812:
	v_add_u32_e32 v73, 0xc4, v67
	v_mov_b32_e32 v68, 48
	s_mov_b32 s0, 49
.LBB120_813:                            ; =>This Inner Loop Header: Depth=1
	ds_read_b32 v74, v73
	v_mov_b32_e32 v75, s0
	s_add_i32 s0, s0, 1
	v_add_u32_e32 v73, 4, v73
	s_cmp_lg_u32 s22, s0
	s_waitcnt lgkmcnt(0)
	v_cmp_lt_f32_e64 vcc, |v70|, |v74|
	s_nop 1
	v_cndmask_b32_e32 v70, v70, v74, vcc
	v_cndmask_b32_e32 v68, v68, v75, vcc
	s_cbranch_scc1 .LBB120_813
.LBB120_814:
	s_waitcnt lgkmcnt(0)
	v_cmp_eq_f32_e32 vcc, 0, v70
	s_and_saveexec_b64 s[0:1], vcc
	s_xor_b64 s[0:1], exec, s[0:1]
; %bb.815:
	v_cmp_ne_u32_e32 vcc, 0, v72
	s_nop 1
	v_cndmask_b32_e32 v72, 49, v72, vcc
; %bb.816:
	s_andn2_saveexec_b64 s[0:1], s[0:1]
	s_cbranch_execz .LBB120_818
; %bb.817:
	v_div_scale_f32 v73, s[2:3], v70, v70, 1.0
	v_rcp_f32_e32 v74, v73
	v_div_scale_f32 v75, vcc, 1.0, v70, 1.0
	v_fma_f32 v76, -v73, v74, 1.0
	v_fmac_f32_e32 v74, v76, v74
	v_mul_f32_e32 v76, v75, v74
	v_fma_f32 v77, -v73, v76, v75
	v_fmac_f32_e32 v76, v77, v74
	v_fma_f32 v73, -v73, v76, v75
	v_div_fmas_f32 v73, v73, v74, v76
	v_div_fixup_f32 v70, v73, v70, 1.0
.LBB120_818:
	s_or_b64 exec, exec, s[0:1]
	v_cmp_ne_u32_e32 vcc, v71, v68
	s_and_saveexec_b64 s[0:1], vcc
	s_xor_b64 s[0:1], exec, s[0:1]
	s_cbranch_execz .LBB120_824
; %bb.819:
	v_cmp_eq_u32_e32 vcc, 48, v71
	s_and_saveexec_b64 s[2:3], vcc
	s_cbranch_execz .LBB120_823
; %bb.820:
	v_cmp_ne_u32_e32 vcc, 48, v68
	s_xor_b64 s[12:13], s[20:21], -1
	s_and_b64 s[14:15], s[12:13], vcc
	s_and_saveexec_b64 s[12:13], s[14:15]
	s_cbranch_execz .LBB120_822
; %bb.821:
	v_ashrrev_i32_e32 v69, 31, v68
	v_lshl_add_u64 v[74:75], v[68:69], 2, v[4:5]
	global_load_dword v69, v[74:75], off
	global_load_dword v71, v[4:5], off offset:192
	s_waitcnt vmcnt(1)
	global_store_dword v[4:5], v69, off offset:192
	s_waitcnt vmcnt(1)
	global_store_dword v[74:75], v71, off
.LBB120_822:
	s_or_b64 exec, exec, s[12:13]
	v_mov_b32_e32 v69, v68
	v_mov_b32_e32 v71, v68
.LBB120_823:
	s_or_b64 exec, exec, s[2:3]
.LBB120_824:
	s_andn2_saveexec_b64 s[0:1], s[0:1]
	s_cbranch_execz .LBB120_826
; %bb.825:
	v_mov_b32_e32 v71, 48
	ds_write2_b32 v67, v22, v23 offset0:49 offset1:50
	ds_write2_b32 v67, v14, v15 offset0:51 offset1:52
	;; [unrolled: 1-line block ×6, first 2 shown]
.LBB120_826:
	s_or_b64 exec, exec, s[0:1]
	v_cmp_lt_i32_e32 vcc, 48, v71
	s_waitcnt lgkmcnt(0)
	s_barrier
	s_and_saveexec_b64 s[0:1], vcc
	s_cbranch_execz .LBB120_828
; %bb.827:
	ds_read2_b32 v[74:75], v67 offset0:49 offset1:50
	v_mul_f32_e32 v68, v70, v11
	v_mov_b32_e32 v11, v68
	s_waitcnt lgkmcnt(0)
	v_pk_fma_f32 v[22:23], v[68:69], v[74:75], v[22:23] op_sel_hi:[0,1,1] neg_lo:[1,0,0] neg_hi:[1,0,0]
	ds_read2_b32 v[74:75], v67 offset0:51 offset1:52
	s_waitcnt lgkmcnt(0)
	v_pk_fma_f32 v[14:15], v[68:69], v[74:75], v[14:15] op_sel_hi:[0,1,1] neg_lo:[1,0,0] neg_hi:[1,0,0]
	ds_read2_b32 v[74:75], v67 offset0:53 offset1:54
	;; [unrolled: 3-line block ×5, first 2 shown]
	s_waitcnt lgkmcnt(0)
	v_pk_fma_f32 v[12:13], v[68:69], v[74:75], v[12:13] op_sel_hi:[0,1,1] neg_lo:[1,0,0] neg_hi:[1,0,0]
.LBB120_828:
	s_or_b64 exec, exec, s[0:1]
	v_lshl_add_u32 v68, v71, 2, v67
	s_barrier
	ds_write_b32 v68, v22
	s_waitcnt lgkmcnt(0)
	s_barrier
	ds_read_b32 v70, v67 offset:196
	s_cmp_lt_i32 s22, 51
	v_mov_b32_e32 v68, 49
	s_cbranch_scc1 .LBB120_831
; %bb.829:
	v_add_u32_e32 v73, 0xc8, v67
	v_mov_b32_e32 v68, 49
	s_mov_b32 s0, 50
.LBB120_830:                            ; =>This Inner Loop Header: Depth=1
	ds_read_b32 v74, v73
	v_mov_b32_e32 v75, s0
	s_add_i32 s0, s0, 1
	v_add_u32_e32 v73, 4, v73
	s_cmp_lg_u32 s22, s0
	s_waitcnt lgkmcnt(0)
	v_cmp_lt_f32_e64 vcc, |v70|, |v74|
	s_nop 1
	v_cndmask_b32_e32 v70, v70, v74, vcc
	v_cndmask_b32_e32 v68, v68, v75, vcc
	s_cbranch_scc1 .LBB120_830
.LBB120_831:
	s_waitcnt lgkmcnt(0)
	v_cmp_eq_f32_e32 vcc, 0, v70
	s_and_saveexec_b64 s[0:1], vcc
	s_xor_b64 s[0:1], exec, s[0:1]
; %bb.832:
	v_cmp_ne_u32_e32 vcc, 0, v72
	s_nop 1
	v_cndmask_b32_e32 v72, 50, v72, vcc
; %bb.833:
	s_andn2_saveexec_b64 s[0:1], s[0:1]
	s_cbranch_execz .LBB120_835
; %bb.834:
	v_div_scale_f32 v73, s[2:3], v70, v70, 1.0
	v_rcp_f32_e32 v74, v73
	v_div_scale_f32 v75, vcc, 1.0, v70, 1.0
	v_fma_f32 v76, -v73, v74, 1.0
	v_fmac_f32_e32 v74, v76, v74
	v_mul_f32_e32 v76, v75, v74
	v_fma_f32 v77, -v73, v76, v75
	v_fmac_f32_e32 v76, v77, v74
	v_fma_f32 v73, -v73, v76, v75
	v_div_fmas_f32 v73, v73, v74, v76
	v_div_fixup_f32 v70, v73, v70, 1.0
.LBB120_835:
	s_or_b64 exec, exec, s[0:1]
	v_cmp_ne_u32_e32 vcc, v71, v68
	s_and_saveexec_b64 s[0:1], vcc
	s_xor_b64 s[0:1], exec, s[0:1]
	s_cbranch_execz .LBB120_841
; %bb.836:
	v_cmp_eq_u32_e32 vcc, 49, v71
	s_and_saveexec_b64 s[2:3], vcc
	s_cbranch_execz .LBB120_840
; %bb.837:
	v_cmp_ne_u32_e32 vcc, 49, v68
	s_xor_b64 s[12:13], s[20:21], -1
	s_and_b64 s[14:15], s[12:13], vcc
	s_and_saveexec_b64 s[12:13], s[14:15]
	s_cbranch_execz .LBB120_839
; %bb.838:
	v_ashrrev_i32_e32 v69, 31, v68
	v_lshl_add_u64 v[74:75], v[68:69], 2, v[4:5]
	global_load_dword v69, v[74:75], off
	global_load_dword v71, v[4:5], off offset:196
	s_waitcnt vmcnt(1)
	global_store_dword v[4:5], v69, off offset:196
	s_waitcnt vmcnt(1)
	global_store_dword v[74:75], v71, off
.LBB120_839:
	s_or_b64 exec, exec, s[12:13]
	v_mov_b32_e32 v69, v68
	v_mov_b32_e32 v71, v68
.LBB120_840:
	s_or_b64 exec, exec, s[2:3]
.LBB120_841:
	s_andn2_saveexec_b64 s[0:1], s[0:1]
	s_cbranch_execz .LBB120_843
; %bb.842:
	v_pk_mov_b32 v[74:75], v[22:23], v[14:15] op_sel:[1,0]
	ds_write2_b32 v67, v74, v75 offset0:50 offset1:51
	v_pk_mov_b32 v[74:75], v[14:15], v[16:17] op_sel:[1,0]
	ds_write2_b32 v67, v74, v75 offset0:52 offset1:53
	;; [unrolled: 2-line block ×4, first 2 shown]
	v_pk_mov_b32 v[74:75], v[0:1], v[12:13] op_sel:[1,0]
	v_mov_b32_e32 v71, 49
	ds_write2_b32 v67, v74, v75 offset0:58 offset1:59
	ds_write_b32 v67, v13 offset:240
.LBB120_843:
	s_or_b64 exec, exec, s[0:1]
	v_cmp_lt_i32_e32 vcc, 49, v71
	s_waitcnt lgkmcnt(0)
	s_barrier
	s_and_saveexec_b64 s[0:1], vcc
	s_cbranch_execz .LBB120_845
; %bb.844:
	ds_read_b32 v68, v67 offset:200
	ds_read2_b32 v[74:75], v67 offset0:51 offset1:52
	v_mul_f32_e32 v22, v70, v22
	s_waitcnt lgkmcnt(1)
	v_fma_f32 v23, -v22, v68, v23
	s_waitcnt lgkmcnt(0)
	v_pk_fma_f32 v[14:15], v[22:23], v[74:75], v[14:15] op_sel_hi:[0,1,1] neg_lo:[1,0,0] neg_hi:[1,0,0]
	ds_read2_b32 v[74:75], v67 offset0:53 offset1:54
	s_waitcnt lgkmcnt(0)
	v_pk_fma_f32 v[16:17], v[22:23], v[74:75], v[16:17] op_sel_hi:[0,1,1] neg_lo:[1,0,0] neg_hi:[1,0,0]
	ds_read2_b32 v[74:75], v67 offset0:55 offset1:56
	;; [unrolled: 3-line block ×4, first 2 shown]
	s_waitcnt lgkmcnt(0)
	v_pk_fma_f32 v[12:13], v[22:23], v[74:75], v[12:13] op_sel_hi:[0,1,1] neg_lo:[1,0,0] neg_hi:[1,0,0]
.LBB120_845:
	s_or_b64 exec, exec, s[0:1]
	v_lshl_add_u32 v68, v71, 2, v67
	s_barrier
	ds_write_b32 v68, v23
	s_waitcnt lgkmcnt(0)
	s_barrier
	ds_read_b32 v70, v67 offset:200
	s_cmp_lt_i32 s22, 52
	v_mov_b32_e32 v68, 50
	s_cbranch_scc1 .LBB120_848
; %bb.846:
	v_add_u32_e32 v73, 0xcc, v67
	v_mov_b32_e32 v68, 50
	s_mov_b32 s0, 51
.LBB120_847:                            ; =>This Inner Loop Header: Depth=1
	ds_read_b32 v74, v73
	v_mov_b32_e32 v75, s0
	s_add_i32 s0, s0, 1
	v_add_u32_e32 v73, 4, v73
	s_cmp_lg_u32 s22, s0
	s_waitcnt lgkmcnt(0)
	v_cmp_lt_f32_e64 vcc, |v70|, |v74|
	s_nop 1
	v_cndmask_b32_e32 v70, v70, v74, vcc
	v_cndmask_b32_e32 v68, v68, v75, vcc
	s_cbranch_scc1 .LBB120_847
.LBB120_848:
	s_waitcnt lgkmcnt(0)
	v_cmp_eq_f32_e32 vcc, 0, v70
	s_and_saveexec_b64 s[0:1], vcc
	s_xor_b64 s[0:1], exec, s[0:1]
; %bb.849:
	v_cmp_ne_u32_e32 vcc, 0, v72
	s_nop 1
	v_cndmask_b32_e32 v72, 51, v72, vcc
; %bb.850:
	s_andn2_saveexec_b64 s[0:1], s[0:1]
	s_cbranch_execz .LBB120_852
; %bb.851:
	v_div_scale_f32 v73, s[2:3], v70, v70, 1.0
	v_rcp_f32_e32 v74, v73
	v_div_scale_f32 v75, vcc, 1.0, v70, 1.0
	v_fma_f32 v76, -v73, v74, 1.0
	v_fmac_f32_e32 v74, v76, v74
	v_mul_f32_e32 v76, v75, v74
	v_fma_f32 v77, -v73, v76, v75
	v_fmac_f32_e32 v76, v77, v74
	v_fma_f32 v73, -v73, v76, v75
	v_div_fmas_f32 v73, v73, v74, v76
	v_div_fixup_f32 v70, v73, v70, 1.0
.LBB120_852:
	s_or_b64 exec, exec, s[0:1]
	v_cmp_ne_u32_e32 vcc, v71, v68
	s_and_saveexec_b64 s[0:1], vcc
	s_xor_b64 s[0:1], exec, s[0:1]
	s_cbranch_execz .LBB120_858
; %bb.853:
	v_cmp_eq_u32_e32 vcc, 50, v71
	s_and_saveexec_b64 s[2:3], vcc
	s_cbranch_execz .LBB120_857
; %bb.854:
	v_cmp_ne_u32_e32 vcc, 50, v68
	s_xor_b64 s[12:13], s[20:21], -1
	s_and_b64 s[14:15], s[12:13], vcc
	s_and_saveexec_b64 s[12:13], s[14:15]
	s_cbranch_execz .LBB120_856
; %bb.855:
	v_ashrrev_i32_e32 v69, 31, v68
	v_lshl_add_u64 v[74:75], v[68:69], 2, v[4:5]
	global_load_dword v69, v[74:75], off
	global_load_dword v71, v[4:5], off offset:200
	s_waitcnt vmcnt(1)
	global_store_dword v[4:5], v69, off offset:200
	s_waitcnt vmcnt(1)
	global_store_dword v[74:75], v71, off
.LBB120_856:
	s_or_b64 exec, exec, s[12:13]
	v_mov_b32_e32 v69, v68
	v_mov_b32_e32 v71, v68
.LBB120_857:
	s_or_b64 exec, exec, s[2:3]
.LBB120_858:
	s_andn2_saveexec_b64 s[0:1], s[0:1]
	s_cbranch_execz .LBB120_860
; %bb.859:
	v_mov_b32_e32 v71, 50
	ds_write2_b32 v67, v14, v15 offset0:51 offset1:52
	ds_write2_b32 v67, v16, v17 offset0:53 offset1:54
	ds_write2_b32 v67, v8, v9 offset0:55 offset1:56
	ds_write2_b32 v67, v0, v1 offset0:57 offset1:58
	ds_write2_b32 v67, v12, v13 offset0:59 offset1:60
.LBB120_860:
	s_or_b64 exec, exec, s[0:1]
	v_cmp_lt_i32_e32 vcc, 50, v71
	s_waitcnt lgkmcnt(0)
	s_barrier
	s_and_saveexec_b64 s[0:1], vcc
	s_cbranch_execz .LBB120_862
; %bb.861:
	ds_read2_b32 v[74:75], v67 offset0:51 offset1:52
	v_mul_f32_e32 v68, v70, v23
	v_mov_b32_e32 v23, v68
	s_waitcnt lgkmcnt(0)
	v_pk_fma_f32 v[14:15], v[68:69], v[74:75], v[14:15] op_sel_hi:[0,1,1] neg_lo:[1,0,0] neg_hi:[1,0,0]
	ds_read2_b32 v[74:75], v67 offset0:53 offset1:54
	s_waitcnt lgkmcnt(0)
	v_pk_fma_f32 v[16:17], v[68:69], v[74:75], v[16:17] op_sel_hi:[0,1,1] neg_lo:[1,0,0] neg_hi:[1,0,0]
	ds_read2_b32 v[74:75], v67 offset0:55 offset1:56
	;; [unrolled: 3-line block ×4, first 2 shown]
	s_waitcnt lgkmcnt(0)
	v_pk_fma_f32 v[12:13], v[68:69], v[74:75], v[12:13] op_sel_hi:[0,1,1] neg_lo:[1,0,0] neg_hi:[1,0,0]
.LBB120_862:
	s_or_b64 exec, exec, s[0:1]
	v_lshl_add_u32 v68, v71, 2, v67
	s_barrier
	ds_write_b32 v68, v14
	s_waitcnt lgkmcnt(0)
	s_barrier
	ds_read_b32 v70, v67 offset:204
	s_cmp_lt_i32 s22, 53
	v_mov_b32_e32 v68, 51
	s_cbranch_scc1 .LBB120_865
; %bb.863:
	v_add_u32_e32 v73, 0xd0, v67
	v_mov_b32_e32 v68, 51
	s_mov_b32 s0, 52
.LBB120_864:                            ; =>This Inner Loop Header: Depth=1
	ds_read_b32 v74, v73
	v_mov_b32_e32 v75, s0
	s_add_i32 s0, s0, 1
	v_add_u32_e32 v73, 4, v73
	s_cmp_lg_u32 s22, s0
	s_waitcnt lgkmcnt(0)
	v_cmp_lt_f32_e64 vcc, |v70|, |v74|
	s_nop 1
	v_cndmask_b32_e32 v70, v70, v74, vcc
	v_cndmask_b32_e32 v68, v68, v75, vcc
	s_cbranch_scc1 .LBB120_864
.LBB120_865:
	s_waitcnt lgkmcnt(0)
	v_cmp_eq_f32_e32 vcc, 0, v70
	s_and_saveexec_b64 s[0:1], vcc
	s_xor_b64 s[0:1], exec, s[0:1]
; %bb.866:
	v_cmp_ne_u32_e32 vcc, 0, v72
	s_nop 1
	v_cndmask_b32_e32 v72, 52, v72, vcc
; %bb.867:
	s_andn2_saveexec_b64 s[0:1], s[0:1]
	s_cbranch_execz .LBB120_869
; %bb.868:
	v_div_scale_f32 v73, s[2:3], v70, v70, 1.0
	v_rcp_f32_e32 v74, v73
	v_div_scale_f32 v75, vcc, 1.0, v70, 1.0
	v_fma_f32 v76, -v73, v74, 1.0
	v_fmac_f32_e32 v74, v76, v74
	v_mul_f32_e32 v76, v75, v74
	v_fma_f32 v77, -v73, v76, v75
	v_fmac_f32_e32 v76, v77, v74
	v_fma_f32 v73, -v73, v76, v75
	v_div_fmas_f32 v73, v73, v74, v76
	v_div_fixup_f32 v70, v73, v70, 1.0
.LBB120_869:
	s_or_b64 exec, exec, s[0:1]
	v_cmp_ne_u32_e32 vcc, v71, v68
	s_and_saveexec_b64 s[0:1], vcc
	s_xor_b64 s[0:1], exec, s[0:1]
	s_cbranch_execz .LBB120_875
; %bb.870:
	v_cmp_eq_u32_e32 vcc, 51, v71
	s_and_saveexec_b64 s[2:3], vcc
	s_cbranch_execz .LBB120_874
; %bb.871:
	v_cmp_ne_u32_e32 vcc, 51, v68
	s_xor_b64 s[12:13], s[20:21], -1
	s_and_b64 s[14:15], s[12:13], vcc
	s_and_saveexec_b64 s[12:13], s[14:15]
	s_cbranch_execz .LBB120_873
; %bb.872:
	v_ashrrev_i32_e32 v69, 31, v68
	v_lshl_add_u64 v[74:75], v[68:69], 2, v[4:5]
	global_load_dword v69, v[74:75], off
	global_load_dword v71, v[4:5], off offset:204
	s_waitcnt vmcnt(1)
	global_store_dword v[4:5], v69, off offset:204
	s_waitcnt vmcnt(1)
	global_store_dword v[74:75], v71, off
.LBB120_873:
	s_or_b64 exec, exec, s[12:13]
	v_mov_b32_e32 v69, v68
	v_mov_b32_e32 v71, v68
.LBB120_874:
	s_or_b64 exec, exec, s[2:3]
.LBB120_875:
	s_andn2_saveexec_b64 s[0:1], s[0:1]
	s_cbranch_execz .LBB120_877
; %bb.876:
	v_pk_mov_b32 v[74:75], v[14:15], v[16:17] op_sel:[1,0]
	ds_write2_b32 v67, v74, v75 offset0:52 offset1:53
	v_pk_mov_b32 v[74:75], v[16:17], v[8:9] op_sel:[1,0]
	ds_write2_b32 v67, v74, v75 offset0:54 offset1:55
	;; [unrolled: 2-line block ×3, first 2 shown]
	v_pk_mov_b32 v[74:75], v[0:1], v[12:13] op_sel:[1,0]
	v_mov_b32_e32 v71, 51
	ds_write2_b32 v67, v74, v75 offset0:58 offset1:59
	ds_write_b32 v67, v13 offset:240
.LBB120_877:
	s_or_b64 exec, exec, s[0:1]
	v_cmp_lt_i32_e32 vcc, 51, v71
	s_waitcnt lgkmcnt(0)
	s_barrier
	s_and_saveexec_b64 s[0:1], vcc
	s_cbranch_execz .LBB120_879
; %bb.878:
	ds_read_b32 v68, v67 offset:208
	ds_read2_b32 v[74:75], v67 offset0:53 offset1:54
	ds_read2_b32 v[76:77], v67 offset0:55 offset1:56
	;; [unrolled: 1-line block ×4, first 2 shown]
	v_mul_f32_e32 v14, v70, v14
	s_waitcnt lgkmcnt(4)
	v_fma_f32 v15, -v14, v68, v15
	s_waitcnt lgkmcnt(3)
	v_pk_fma_f32 v[16:17], v[14:15], v[74:75], v[16:17] op_sel_hi:[0,1,1] neg_lo:[1,0,0] neg_hi:[1,0,0]
	s_waitcnt lgkmcnt(2)
	v_pk_fma_f32 v[8:9], v[14:15], v[76:77], v[8:9] op_sel_hi:[0,1,1] neg_lo:[1,0,0] neg_hi:[1,0,0]
	;; [unrolled: 2-line block ×4, first 2 shown]
.LBB120_879:
	s_or_b64 exec, exec, s[0:1]
	v_lshl_add_u32 v68, v71, 2, v67
	s_barrier
	ds_write_b32 v68, v15
	s_waitcnt lgkmcnt(0)
	s_barrier
	ds_read_b32 v70, v67 offset:208
	s_cmp_lt_i32 s22, 54
	v_mov_b32_e32 v68, 52
	s_cbranch_scc1 .LBB120_882
; %bb.880:
	v_add_u32_e32 v73, 0xd4, v67
	v_mov_b32_e32 v68, 52
	s_mov_b32 s0, 53
.LBB120_881:                            ; =>This Inner Loop Header: Depth=1
	ds_read_b32 v74, v73
	v_mov_b32_e32 v75, s0
	s_add_i32 s0, s0, 1
	v_add_u32_e32 v73, 4, v73
	s_cmp_lg_u32 s22, s0
	s_waitcnt lgkmcnt(0)
	v_cmp_lt_f32_e64 vcc, |v70|, |v74|
	s_nop 1
	v_cndmask_b32_e32 v70, v70, v74, vcc
	v_cndmask_b32_e32 v68, v68, v75, vcc
	s_cbranch_scc1 .LBB120_881
.LBB120_882:
	s_waitcnt lgkmcnt(0)
	v_cmp_eq_f32_e32 vcc, 0, v70
	s_and_saveexec_b64 s[0:1], vcc
	s_xor_b64 s[0:1], exec, s[0:1]
; %bb.883:
	v_cmp_ne_u32_e32 vcc, 0, v72
	s_nop 1
	v_cndmask_b32_e32 v72, 53, v72, vcc
; %bb.884:
	s_andn2_saveexec_b64 s[0:1], s[0:1]
	s_cbranch_execz .LBB120_886
; %bb.885:
	v_div_scale_f32 v73, s[2:3], v70, v70, 1.0
	v_rcp_f32_e32 v74, v73
	v_div_scale_f32 v75, vcc, 1.0, v70, 1.0
	v_fma_f32 v76, -v73, v74, 1.0
	v_fmac_f32_e32 v74, v76, v74
	v_mul_f32_e32 v76, v75, v74
	v_fma_f32 v77, -v73, v76, v75
	v_fmac_f32_e32 v76, v77, v74
	v_fma_f32 v73, -v73, v76, v75
	v_div_fmas_f32 v73, v73, v74, v76
	v_div_fixup_f32 v70, v73, v70, 1.0
.LBB120_886:
	s_or_b64 exec, exec, s[0:1]
	v_cmp_ne_u32_e32 vcc, v71, v68
	s_and_saveexec_b64 s[0:1], vcc
	s_xor_b64 s[0:1], exec, s[0:1]
	s_cbranch_execz .LBB120_892
; %bb.887:
	v_cmp_eq_u32_e32 vcc, 52, v71
	s_and_saveexec_b64 s[2:3], vcc
	s_cbranch_execz .LBB120_891
; %bb.888:
	v_cmp_ne_u32_e32 vcc, 52, v68
	s_xor_b64 s[12:13], s[20:21], -1
	s_and_b64 s[14:15], s[12:13], vcc
	s_and_saveexec_b64 s[12:13], s[14:15]
	s_cbranch_execz .LBB120_890
; %bb.889:
	v_ashrrev_i32_e32 v69, 31, v68
	v_lshl_add_u64 v[74:75], v[68:69], 2, v[4:5]
	global_load_dword v69, v[74:75], off
	global_load_dword v71, v[4:5], off offset:208
	s_waitcnt vmcnt(1)
	global_store_dword v[4:5], v69, off offset:208
	s_waitcnt vmcnt(1)
	global_store_dword v[74:75], v71, off
.LBB120_890:
	s_or_b64 exec, exec, s[12:13]
	v_mov_b32_e32 v69, v68
	v_mov_b32_e32 v71, v68
.LBB120_891:
	s_or_b64 exec, exec, s[2:3]
.LBB120_892:
	s_andn2_saveexec_b64 s[0:1], s[0:1]
	s_cbranch_execz .LBB120_894
; %bb.893:
	v_mov_b32_e32 v71, 52
	ds_write2_b32 v67, v16, v17 offset0:53 offset1:54
	ds_write2_b32 v67, v8, v9 offset0:55 offset1:56
	;; [unrolled: 1-line block ×4, first 2 shown]
.LBB120_894:
	s_or_b64 exec, exec, s[0:1]
	v_cmp_lt_i32_e32 vcc, 52, v71
	s_waitcnt lgkmcnt(0)
	s_barrier
	s_and_saveexec_b64 s[0:1], vcc
	s_cbranch_execz .LBB120_896
; %bb.895:
	ds_read2_b32 v[74:75], v67 offset0:53 offset1:54
	v_mul_f32_e32 v68, v70, v15
	v_mov_b32_e32 v15, v68
	s_waitcnt lgkmcnt(0)
	v_pk_fma_f32 v[16:17], v[68:69], v[74:75], v[16:17] op_sel_hi:[0,1,1] neg_lo:[1,0,0] neg_hi:[1,0,0]
	ds_read2_b32 v[74:75], v67 offset0:55 offset1:56
	s_waitcnt lgkmcnt(0)
	v_pk_fma_f32 v[8:9], v[68:69], v[74:75], v[8:9] op_sel_hi:[0,1,1] neg_lo:[1,0,0] neg_hi:[1,0,0]
	ds_read2_b32 v[74:75], v67 offset0:57 offset1:58
	;; [unrolled: 3-line block ×3, first 2 shown]
	s_waitcnt lgkmcnt(0)
	v_pk_fma_f32 v[12:13], v[68:69], v[74:75], v[12:13] op_sel_hi:[0,1,1] neg_lo:[1,0,0] neg_hi:[1,0,0]
.LBB120_896:
	s_or_b64 exec, exec, s[0:1]
	v_lshl_add_u32 v68, v71, 2, v67
	s_barrier
	ds_write_b32 v68, v16
	s_waitcnt lgkmcnt(0)
	s_barrier
	ds_read_b32 v70, v67 offset:212
	s_cmp_lt_i32 s22, 55
	v_mov_b32_e32 v68, 53
	s_cbranch_scc1 .LBB120_899
; %bb.897:
	v_add_u32_e32 v73, 0xd8, v67
	v_mov_b32_e32 v68, 53
	s_mov_b32 s0, 54
.LBB120_898:                            ; =>This Inner Loop Header: Depth=1
	ds_read_b32 v74, v73
	v_mov_b32_e32 v75, s0
	s_add_i32 s0, s0, 1
	v_add_u32_e32 v73, 4, v73
	s_cmp_lg_u32 s22, s0
	s_waitcnt lgkmcnt(0)
	v_cmp_lt_f32_e64 vcc, |v70|, |v74|
	s_nop 1
	v_cndmask_b32_e32 v70, v70, v74, vcc
	v_cndmask_b32_e32 v68, v68, v75, vcc
	s_cbranch_scc1 .LBB120_898
.LBB120_899:
	s_waitcnt lgkmcnt(0)
	v_cmp_eq_f32_e32 vcc, 0, v70
	s_and_saveexec_b64 s[0:1], vcc
	s_xor_b64 s[0:1], exec, s[0:1]
; %bb.900:
	v_cmp_ne_u32_e32 vcc, 0, v72
	s_nop 1
	v_cndmask_b32_e32 v72, 54, v72, vcc
; %bb.901:
	s_andn2_saveexec_b64 s[0:1], s[0:1]
	s_cbranch_execz .LBB120_903
; %bb.902:
	v_div_scale_f32 v73, s[2:3], v70, v70, 1.0
	v_rcp_f32_e32 v74, v73
	v_div_scale_f32 v75, vcc, 1.0, v70, 1.0
	v_fma_f32 v76, -v73, v74, 1.0
	v_fmac_f32_e32 v74, v76, v74
	v_mul_f32_e32 v76, v75, v74
	v_fma_f32 v77, -v73, v76, v75
	v_fmac_f32_e32 v76, v77, v74
	v_fma_f32 v73, -v73, v76, v75
	v_div_fmas_f32 v73, v73, v74, v76
	v_div_fixup_f32 v70, v73, v70, 1.0
.LBB120_903:
	s_or_b64 exec, exec, s[0:1]
	v_cmp_ne_u32_e32 vcc, v71, v68
	s_and_saveexec_b64 s[0:1], vcc
	s_xor_b64 s[0:1], exec, s[0:1]
	s_cbranch_execz .LBB120_909
; %bb.904:
	v_cmp_eq_u32_e32 vcc, 53, v71
	s_and_saveexec_b64 s[2:3], vcc
	s_cbranch_execz .LBB120_908
; %bb.905:
	v_cmp_ne_u32_e32 vcc, 53, v68
	s_xor_b64 s[12:13], s[20:21], -1
	s_and_b64 s[14:15], s[12:13], vcc
	s_and_saveexec_b64 s[12:13], s[14:15]
	s_cbranch_execz .LBB120_907
; %bb.906:
	v_ashrrev_i32_e32 v69, 31, v68
	v_lshl_add_u64 v[74:75], v[68:69], 2, v[4:5]
	global_load_dword v69, v[74:75], off
	global_load_dword v71, v[4:5], off offset:212
	s_waitcnt vmcnt(1)
	global_store_dword v[4:5], v69, off offset:212
	s_waitcnt vmcnt(1)
	global_store_dword v[74:75], v71, off
.LBB120_907:
	s_or_b64 exec, exec, s[12:13]
	v_mov_b32_e32 v69, v68
	v_mov_b32_e32 v71, v68
.LBB120_908:
	s_or_b64 exec, exec, s[2:3]
.LBB120_909:
	s_andn2_saveexec_b64 s[0:1], s[0:1]
	s_cbranch_execz .LBB120_911
; %bb.910:
	v_pk_mov_b32 v[74:75], v[16:17], v[8:9] op_sel:[1,0]
	ds_write2_b32 v67, v74, v75 offset0:54 offset1:55
	v_pk_mov_b32 v[74:75], v[8:9], v[0:1] op_sel:[1,0]
	ds_write2_b32 v67, v74, v75 offset0:56 offset1:57
	v_pk_mov_b32 v[74:75], v[0:1], v[12:13] op_sel:[1,0]
	v_mov_b32_e32 v71, 53
	ds_write2_b32 v67, v74, v75 offset0:58 offset1:59
	ds_write_b32 v67, v13 offset:240
.LBB120_911:
	s_or_b64 exec, exec, s[0:1]
	v_cmp_lt_i32_e32 vcc, 53, v71
	s_waitcnt lgkmcnt(0)
	s_barrier
	s_and_saveexec_b64 s[0:1], vcc
	s_cbranch_execz .LBB120_913
; %bb.912:
	ds_read_b32 v68, v67 offset:216
	ds_read2_b32 v[74:75], v67 offset0:55 offset1:56
	ds_read2_b32 v[76:77], v67 offset0:57 offset1:58
	;; [unrolled: 1-line block ×3, first 2 shown]
	v_mul_f32_e32 v16, v70, v16
	s_waitcnt lgkmcnt(3)
	v_fma_f32 v17, -v16, v68, v17
	s_waitcnt lgkmcnt(2)
	v_pk_fma_f32 v[8:9], v[16:17], v[74:75], v[8:9] op_sel_hi:[0,1,1] neg_lo:[1,0,0] neg_hi:[1,0,0]
	s_waitcnt lgkmcnt(1)
	v_pk_fma_f32 v[0:1], v[16:17], v[76:77], v[0:1] op_sel_hi:[0,1,1] neg_lo:[1,0,0] neg_hi:[1,0,0]
	;; [unrolled: 2-line block ×3, first 2 shown]
.LBB120_913:
	s_or_b64 exec, exec, s[0:1]
	v_lshl_add_u32 v68, v71, 2, v67
	s_barrier
	ds_write_b32 v68, v17
	s_waitcnt lgkmcnt(0)
	s_barrier
	ds_read_b32 v70, v67 offset:216
	s_cmp_lt_i32 s22, 56
	v_mov_b32_e32 v68, 54
	s_cbranch_scc1 .LBB120_916
; %bb.914:
	v_add_u32_e32 v73, 0xdc, v67
	v_mov_b32_e32 v68, 54
	s_mov_b32 s0, 55
.LBB120_915:                            ; =>This Inner Loop Header: Depth=1
	ds_read_b32 v74, v73
	v_mov_b32_e32 v75, s0
	s_add_i32 s0, s0, 1
	v_add_u32_e32 v73, 4, v73
	s_cmp_lg_u32 s22, s0
	s_waitcnt lgkmcnt(0)
	v_cmp_lt_f32_e64 vcc, |v70|, |v74|
	s_nop 1
	v_cndmask_b32_e32 v70, v70, v74, vcc
	v_cndmask_b32_e32 v68, v68, v75, vcc
	s_cbranch_scc1 .LBB120_915
.LBB120_916:
	s_waitcnt lgkmcnt(0)
	v_cmp_eq_f32_e32 vcc, 0, v70
	s_and_saveexec_b64 s[0:1], vcc
	s_xor_b64 s[0:1], exec, s[0:1]
; %bb.917:
	v_cmp_ne_u32_e32 vcc, 0, v72
	s_nop 1
	v_cndmask_b32_e32 v72, 55, v72, vcc
; %bb.918:
	s_andn2_saveexec_b64 s[0:1], s[0:1]
	s_cbranch_execz .LBB120_920
; %bb.919:
	v_div_scale_f32 v73, s[2:3], v70, v70, 1.0
	v_rcp_f32_e32 v74, v73
	v_div_scale_f32 v75, vcc, 1.0, v70, 1.0
	v_fma_f32 v76, -v73, v74, 1.0
	v_fmac_f32_e32 v74, v76, v74
	v_mul_f32_e32 v76, v75, v74
	v_fma_f32 v77, -v73, v76, v75
	v_fmac_f32_e32 v76, v77, v74
	v_fma_f32 v73, -v73, v76, v75
	v_div_fmas_f32 v73, v73, v74, v76
	v_div_fixup_f32 v70, v73, v70, 1.0
.LBB120_920:
	s_or_b64 exec, exec, s[0:1]
	v_cmp_ne_u32_e32 vcc, v71, v68
	s_and_saveexec_b64 s[0:1], vcc
	s_xor_b64 s[0:1], exec, s[0:1]
	s_cbranch_execz .LBB120_926
; %bb.921:
	v_cmp_eq_u32_e32 vcc, 54, v71
	s_and_saveexec_b64 s[2:3], vcc
	s_cbranch_execz .LBB120_925
; %bb.922:
	v_cmp_ne_u32_e32 vcc, 54, v68
	s_xor_b64 s[12:13], s[20:21], -1
	s_and_b64 s[14:15], s[12:13], vcc
	s_and_saveexec_b64 s[12:13], s[14:15]
	s_cbranch_execz .LBB120_924
; %bb.923:
	v_ashrrev_i32_e32 v69, 31, v68
	v_lshl_add_u64 v[74:75], v[68:69], 2, v[4:5]
	global_load_dword v69, v[74:75], off
	global_load_dword v71, v[4:5], off offset:216
	s_waitcnt vmcnt(1)
	global_store_dword v[4:5], v69, off offset:216
	s_waitcnt vmcnt(1)
	global_store_dword v[74:75], v71, off
.LBB120_924:
	s_or_b64 exec, exec, s[12:13]
	v_mov_b32_e32 v69, v68
	v_mov_b32_e32 v71, v68
.LBB120_925:
	s_or_b64 exec, exec, s[2:3]
.LBB120_926:
	s_andn2_saveexec_b64 s[0:1], s[0:1]
	s_cbranch_execz .LBB120_928
; %bb.927:
	v_mov_b32_e32 v71, 54
	ds_write2_b32 v67, v8, v9 offset0:55 offset1:56
	ds_write2_b32 v67, v0, v1 offset0:57 offset1:58
	;; [unrolled: 1-line block ×3, first 2 shown]
.LBB120_928:
	s_or_b64 exec, exec, s[0:1]
	v_cmp_lt_i32_e32 vcc, 54, v71
	s_waitcnt lgkmcnt(0)
	s_barrier
	s_and_saveexec_b64 s[0:1], vcc
	s_cbranch_execz .LBB120_930
; %bb.929:
	ds_read2_b32 v[74:75], v67 offset0:55 offset1:56
	ds_read2_b32 v[76:77], v67 offset0:57 offset1:58
	;; [unrolled: 1-line block ×3, first 2 shown]
	v_mul_f32_e32 v68, v70, v17
	v_mov_b32_e32 v17, v68
	s_waitcnt lgkmcnt(2)
	v_pk_fma_f32 v[8:9], v[68:69], v[74:75], v[8:9] op_sel_hi:[0,1,1] neg_lo:[1,0,0] neg_hi:[1,0,0]
	s_waitcnt lgkmcnt(1)
	v_pk_fma_f32 v[0:1], v[68:69], v[76:77], v[0:1] op_sel_hi:[0,1,1] neg_lo:[1,0,0] neg_hi:[1,0,0]
	;; [unrolled: 2-line block ×3, first 2 shown]
.LBB120_930:
	s_or_b64 exec, exec, s[0:1]
	v_lshl_add_u32 v68, v71, 2, v67
	s_barrier
	ds_write_b32 v68, v8
	s_waitcnt lgkmcnt(0)
	s_barrier
	ds_read_b32 v70, v67 offset:220
	s_cmp_lt_i32 s22, 57
	v_mov_b32_e32 v68, 55
	s_cbranch_scc1 .LBB120_933
; %bb.931:
	v_add_u32_e32 v73, 0xe0, v67
	v_mov_b32_e32 v68, 55
	s_mov_b32 s0, 56
.LBB120_932:                            ; =>This Inner Loop Header: Depth=1
	ds_read_b32 v74, v73
	v_mov_b32_e32 v75, s0
	s_add_i32 s0, s0, 1
	v_add_u32_e32 v73, 4, v73
	s_cmp_lg_u32 s22, s0
	s_waitcnt lgkmcnt(0)
	v_cmp_lt_f32_e64 vcc, |v70|, |v74|
	s_nop 1
	v_cndmask_b32_e32 v70, v70, v74, vcc
	v_cndmask_b32_e32 v68, v68, v75, vcc
	s_cbranch_scc1 .LBB120_932
.LBB120_933:
	s_waitcnt lgkmcnt(0)
	v_cmp_eq_f32_e32 vcc, 0, v70
	s_and_saveexec_b64 s[0:1], vcc
	s_xor_b64 s[0:1], exec, s[0:1]
; %bb.934:
	v_cmp_ne_u32_e32 vcc, 0, v72
	s_nop 1
	v_cndmask_b32_e32 v72, 56, v72, vcc
; %bb.935:
	s_andn2_saveexec_b64 s[0:1], s[0:1]
	s_cbranch_execz .LBB120_937
; %bb.936:
	v_div_scale_f32 v73, s[2:3], v70, v70, 1.0
	v_rcp_f32_e32 v74, v73
	v_div_scale_f32 v75, vcc, 1.0, v70, 1.0
	v_fma_f32 v76, -v73, v74, 1.0
	v_fmac_f32_e32 v74, v76, v74
	v_mul_f32_e32 v76, v75, v74
	v_fma_f32 v77, -v73, v76, v75
	v_fmac_f32_e32 v76, v77, v74
	v_fma_f32 v73, -v73, v76, v75
	v_div_fmas_f32 v73, v73, v74, v76
	v_div_fixup_f32 v70, v73, v70, 1.0
.LBB120_937:
	s_or_b64 exec, exec, s[0:1]
	v_cmp_ne_u32_e32 vcc, v71, v68
	s_and_saveexec_b64 s[0:1], vcc
	s_xor_b64 s[0:1], exec, s[0:1]
	s_cbranch_execz .LBB120_943
; %bb.938:
	v_cmp_eq_u32_e32 vcc, 55, v71
	s_and_saveexec_b64 s[2:3], vcc
	s_cbranch_execz .LBB120_942
; %bb.939:
	v_cmp_ne_u32_e32 vcc, 55, v68
	s_xor_b64 s[12:13], s[20:21], -1
	s_and_b64 s[14:15], s[12:13], vcc
	s_and_saveexec_b64 s[12:13], s[14:15]
	s_cbranch_execz .LBB120_941
; %bb.940:
	v_ashrrev_i32_e32 v69, 31, v68
	v_lshl_add_u64 v[74:75], v[68:69], 2, v[4:5]
	global_load_dword v69, v[74:75], off
	global_load_dword v71, v[4:5], off offset:220
	s_waitcnt vmcnt(1)
	global_store_dword v[4:5], v69, off offset:220
	s_waitcnt vmcnt(1)
	global_store_dword v[74:75], v71, off
.LBB120_941:
	s_or_b64 exec, exec, s[12:13]
	v_mov_b32_e32 v69, v68
	v_mov_b32_e32 v71, v68
.LBB120_942:
	s_or_b64 exec, exec, s[2:3]
.LBB120_943:
	s_andn2_saveexec_b64 s[0:1], s[0:1]
	s_cbranch_execz .LBB120_945
; %bb.944:
	v_pk_mov_b32 v[74:75], v[8:9], v[0:1] op_sel:[1,0]
	ds_write2_b32 v67, v74, v75 offset0:56 offset1:57
	v_pk_mov_b32 v[74:75], v[0:1], v[12:13] op_sel:[1,0]
	v_mov_b32_e32 v71, 55
	ds_write2_b32 v67, v74, v75 offset0:58 offset1:59
	ds_write_b32 v67, v13 offset:240
.LBB120_945:
	s_or_b64 exec, exec, s[0:1]
	v_cmp_lt_i32_e32 vcc, 55, v71
	s_waitcnt lgkmcnt(0)
	s_barrier
	s_and_saveexec_b64 s[0:1], vcc
	s_cbranch_execz .LBB120_947
; %bb.946:
	ds_read_b32 v68, v67 offset:224
	ds_read2_b32 v[74:75], v67 offset0:57 offset1:58
	ds_read2_b32 v[76:77], v67 offset0:59 offset1:60
	v_mul_f32_e32 v8, v70, v8
	s_waitcnt lgkmcnt(2)
	v_fma_f32 v9, -v8, v68, v9
	s_waitcnt lgkmcnt(1)
	v_pk_fma_f32 v[0:1], v[8:9], v[74:75], v[0:1] op_sel_hi:[0,1,1] neg_lo:[1,0,0] neg_hi:[1,0,0]
	s_waitcnt lgkmcnt(0)
	v_pk_fma_f32 v[12:13], v[8:9], v[76:77], v[12:13] op_sel_hi:[0,1,1] neg_lo:[1,0,0] neg_hi:[1,0,0]
.LBB120_947:
	s_or_b64 exec, exec, s[0:1]
	v_lshl_add_u32 v68, v71, 2, v67
	s_barrier
	ds_write_b32 v68, v9
	s_waitcnt lgkmcnt(0)
	s_barrier
	ds_read_b32 v70, v67 offset:224
	s_cmp_lt_i32 s22, 58
	v_mov_b32_e32 v68, 56
	s_cbranch_scc1 .LBB120_950
; %bb.948:
	v_add_u32_e32 v73, 0xe4, v67
	v_mov_b32_e32 v68, 56
	s_mov_b32 s0, 57
.LBB120_949:                            ; =>This Inner Loop Header: Depth=1
	ds_read_b32 v74, v73
	v_mov_b32_e32 v75, s0
	s_add_i32 s0, s0, 1
	v_add_u32_e32 v73, 4, v73
	s_cmp_lg_u32 s22, s0
	s_waitcnt lgkmcnt(0)
	v_cmp_lt_f32_e64 vcc, |v70|, |v74|
	s_nop 1
	v_cndmask_b32_e32 v70, v70, v74, vcc
	v_cndmask_b32_e32 v68, v68, v75, vcc
	s_cbranch_scc1 .LBB120_949
.LBB120_950:
	s_waitcnt lgkmcnt(0)
	v_cmp_eq_f32_e32 vcc, 0, v70
	s_and_saveexec_b64 s[0:1], vcc
	s_xor_b64 s[0:1], exec, s[0:1]
; %bb.951:
	v_cmp_ne_u32_e32 vcc, 0, v72
	s_nop 1
	v_cndmask_b32_e32 v72, 57, v72, vcc
; %bb.952:
	s_andn2_saveexec_b64 s[0:1], s[0:1]
	s_cbranch_execz .LBB120_954
; %bb.953:
	v_div_scale_f32 v73, s[2:3], v70, v70, 1.0
	v_rcp_f32_e32 v74, v73
	v_div_scale_f32 v75, vcc, 1.0, v70, 1.0
	v_fma_f32 v76, -v73, v74, 1.0
	v_fmac_f32_e32 v74, v76, v74
	v_mul_f32_e32 v76, v75, v74
	v_fma_f32 v77, -v73, v76, v75
	v_fmac_f32_e32 v76, v77, v74
	v_fma_f32 v73, -v73, v76, v75
	v_div_fmas_f32 v73, v73, v74, v76
	v_div_fixup_f32 v70, v73, v70, 1.0
.LBB120_954:
	s_or_b64 exec, exec, s[0:1]
	v_cmp_ne_u32_e32 vcc, v71, v68
	s_and_saveexec_b64 s[0:1], vcc
	s_xor_b64 s[0:1], exec, s[0:1]
	s_cbranch_execz .LBB120_960
; %bb.955:
	v_cmp_eq_u32_e32 vcc, 56, v71
	s_and_saveexec_b64 s[2:3], vcc
	s_cbranch_execz .LBB120_959
; %bb.956:
	v_cmp_ne_u32_e32 vcc, 56, v68
	s_xor_b64 s[12:13], s[20:21], -1
	s_and_b64 s[14:15], s[12:13], vcc
	s_and_saveexec_b64 s[12:13], s[14:15]
	s_cbranch_execz .LBB120_958
; %bb.957:
	v_ashrrev_i32_e32 v69, 31, v68
	v_lshl_add_u64 v[74:75], v[68:69], 2, v[4:5]
	global_load_dword v69, v[74:75], off
	global_load_dword v71, v[4:5], off offset:224
	s_waitcnt vmcnt(1)
	global_store_dword v[4:5], v69, off offset:224
	s_waitcnt vmcnt(1)
	global_store_dword v[74:75], v71, off
.LBB120_958:
	s_or_b64 exec, exec, s[12:13]
	v_mov_b32_e32 v69, v68
	v_mov_b32_e32 v71, v68
.LBB120_959:
	s_or_b64 exec, exec, s[2:3]
.LBB120_960:
	s_andn2_saveexec_b64 s[0:1], s[0:1]
	s_cbranch_execz .LBB120_962
; %bb.961:
	v_mov_b32_e32 v71, 56
	ds_write2_b32 v67, v0, v1 offset0:57 offset1:58
	ds_write2_b32 v67, v12, v13 offset0:59 offset1:60
.LBB120_962:
	s_or_b64 exec, exec, s[0:1]
	v_cmp_lt_i32_e32 vcc, 56, v71
	s_waitcnt lgkmcnt(0)
	s_barrier
	s_and_saveexec_b64 s[0:1], vcc
	s_cbranch_execz .LBB120_964
; %bb.963:
	ds_read2_b32 v[74:75], v67 offset0:57 offset1:58
	ds_read2_b32 v[76:77], v67 offset0:59 offset1:60
	v_mul_f32_e32 v68, v70, v9
	v_mov_b32_e32 v9, v68
	s_waitcnt lgkmcnt(1)
	v_pk_fma_f32 v[0:1], v[68:69], v[74:75], v[0:1] op_sel_hi:[0,1,1] neg_lo:[1,0,0] neg_hi:[1,0,0]
	s_waitcnt lgkmcnt(0)
	v_pk_fma_f32 v[12:13], v[68:69], v[76:77], v[12:13] op_sel_hi:[0,1,1] neg_lo:[1,0,0] neg_hi:[1,0,0]
.LBB120_964:
	s_or_b64 exec, exec, s[0:1]
	v_lshl_add_u32 v68, v71, 2, v67
	s_barrier
	ds_write_b32 v68, v0
	s_waitcnt lgkmcnt(0)
	s_barrier
	ds_read_b32 v70, v67 offset:228
	s_cmp_lt_i32 s22, 59
	v_mov_b32_e32 v68, 57
	s_cbranch_scc1 .LBB120_967
; %bb.965:
	v_add_u32_e32 v73, 0xe8, v67
	v_mov_b32_e32 v68, 57
	s_mov_b32 s0, 58
.LBB120_966:                            ; =>This Inner Loop Header: Depth=1
	ds_read_b32 v74, v73
	v_mov_b32_e32 v75, s0
	s_add_i32 s0, s0, 1
	v_add_u32_e32 v73, 4, v73
	s_cmp_lg_u32 s22, s0
	s_waitcnt lgkmcnt(0)
	v_cmp_lt_f32_e64 vcc, |v70|, |v74|
	s_nop 1
	v_cndmask_b32_e32 v70, v70, v74, vcc
	v_cndmask_b32_e32 v68, v68, v75, vcc
	s_cbranch_scc1 .LBB120_966
.LBB120_967:
	s_waitcnt lgkmcnt(0)
	v_cmp_eq_f32_e32 vcc, 0, v70
	s_and_saveexec_b64 s[0:1], vcc
	s_xor_b64 s[0:1], exec, s[0:1]
; %bb.968:
	v_cmp_ne_u32_e32 vcc, 0, v72
	s_nop 1
	v_cndmask_b32_e32 v72, 58, v72, vcc
; %bb.969:
	s_andn2_saveexec_b64 s[0:1], s[0:1]
	s_cbranch_execz .LBB120_971
; %bb.970:
	v_div_scale_f32 v73, s[2:3], v70, v70, 1.0
	v_rcp_f32_e32 v74, v73
	v_div_scale_f32 v75, vcc, 1.0, v70, 1.0
	v_fma_f32 v76, -v73, v74, 1.0
	v_fmac_f32_e32 v74, v76, v74
	v_mul_f32_e32 v76, v75, v74
	v_fma_f32 v77, -v73, v76, v75
	v_fmac_f32_e32 v76, v77, v74
	v_fma_f32 v73, -v73, v76, v75
	v_div_fmas_f32 v73, v73, v74, v76
	v_div_fixup_f32 v70, v73, v70, 1.0
.LBB120_971:
	s_or_b64 exec, exec, s[0:1]
	v_cmp_ne_u32_e32 vcc, v71, v68
	s_and_saveexec_b64 s[0:1], vcc
	s_xor_b64 s[0:1], exec, s[0:1]
	s_cbranch_execz .LBB120_977
; %bb.972:
	v_cmp_eq_u32_e32 vcc, 57, v71
	s_and_saveexec_b64 s[2:3], vcc
	s_cbranch_execz .LBB120_976
; %bb.973:
	v_cmp_ne_u32_e32 vcc, 57, v68
	s_xor_b64 s[12:13], s[20:21], -1
	s_and_b64 s[14:15], s[12:13], vcc
	s_and_saveexec_b64 s[12:13], s[14:15]
	s_cbranch_execz .LBB120_975
; %bb.974:
	v_ashrrev_i32_e32 v69, 31, v68
	v_lshl_add_u64 v[74:75], v[68:69], 2, v[4:5]
	global_load_dword v69, v[74:75], off
	global_load_dword v71, v[4:5], off offset:228
	s_waitcnt vmcnt(1)
	global_store_dword v[4:5], v69, off offset:228
	s_waitcnt vmcnt(1)
	global_store_dword v[74:75], v71, off
.LBB120_975:
	s_or_b64 exec, exec, s[12:13]
	v_mov_b32_e32 v69, v68
	v_mov_b32_e32 v71, v68
.LBB120_976:
	s_or_b64 exec, exec, s[2:3]
.LBB120_977:
	s_andn2_saveexec_b64 s[0:1], s[0:1]
	s_cbranch_execz .LBB120_979
; %bb.978:
	v_pk_mov_b32 v[74:75], v[0:1], v[12:13] op_sel:[1,0]
	v_mov_b32_e32 v71, 57
	ds_write2_b32 v67, v74, v75 offset0:58 offset1:59
	ds_write_b32 v67, v13 offset:240
.LBB120_979:
	s_or_b64 exec, exec, s[0:1]
	v_cmp_lt_i32_e32 vcc, 57, v71
	s_waitcnt lgkmcnt(0)
	s_barrier
	s_and_saveexec_b64 s[0:1], vcc
	s_cbranch_execz .LBB120_981
; %bb.980:
	ds_read_b32 v68, v67 offset:232
	ds_read2_b32 v[74:75], v67 offset0:59 offset1:60
	v_mul_f32_e32 v0, v70, v0
	s_waitcnt lgkmcnt(1)
	v_fma_f32 v1, -v0, v68, v1
	s_waitcnt lgkmcnt(0)
	v_pk_fma_f32 v[12:13], v[0:1], v[74:75], v[12:13] op_sel_hi:[0,1,1] neg_lo:[1,0,0] neg_hi:[1,0,0]
.LBB120_981:
	s_or_b64 exec, exec, s[0:1]
	v_lshl_add_u32 v68, v71, 2, v67
	s_barrier
	ds_write_b32 v68, v1
	s_waitcnt lgkmcnt(0)
	s_barrier
	ds_read_b32 v70, v67 offset:232
	s_cmp_lt_i32 s22, 60
	v_mov_b32_e32 v68, 58
	s_cbranch_scc1 .LBB120_984
; %bb.982:
	v_add_u32_e32 v73, 0xec, v67
	v_mov_b32_e32 v68, 58
	s_mov_b32 s0, 59
.LBB120_983:                            ; =>This Inner Loop Header: Depth=1
	ds_read_b32 v74, v73
	v_mov_b32_e32 v75, s0
	s_add_i32 s0, s0, 1
	v_add_u32_e32 v73, 4, v73
	s_cmp_lg_u32 s22, s0
	s_waitcnt lgkmcnt(0)
	v_cmp_lt_f32_e64 vcc, |v70|, |v74|
	s_nop 1
	v_cndmask_b32_e32 v70, v70, v74, vcc
	v_cndmask_b32_e32 v68, v68, v75, vcc
	s_cbranch_scc1 .LBB120_983
.LBB120_984:
	s_waitcnt lgkmcnt(0)
	v_cmp_eq_f32_e32 vcc, 0, v70
	s_and_saveexec_b64 s[0:1], vcc
	s_xor_b64 s[0:1], exec, s[0:1]
; %bb.985:
	v_cmp_ne_u32_e32 vcc, 0, v72
	s_nop 1
	v_cndmask_b32_e32 v72, 59, v72, vcc
; %bb.986:
	s_andn2_saveexec_b64 s[0:1], s[0:1]
	s_cbranch_execz .LBB120_988
; %bb.987:
	v_div_scale_f32 v73, s[2:3], v70, v70, 1.0
	v_rcp_f32_e32 v74, v73
	v_div_scale_f32 v75, vcc, 1.0, v70, 1.0
	v_fma_f32 v76, -v73, v74, 1.0
	v_fmac_f32_e32 v74, v76, v74
	v_mul_f32_e32 v76, v75, v74
	v_fma_f32 v77, -v73, v76, v75
	v_fmac_f32_e32 v76, v77, v74
	v_fma_f32 v73, -v73, v76, v75
	v_div_fmas_f32 v73, v73, v74, v76
	v_div_fixup_f32 v70, v73, v70, 1.0
.LBB120_988:
	s_or_b64 exec, exec, s[0:1]
	v_cmp_ne_u32_e32 vcc, v71, v68
	s_and_saveexec_b64 s[0:1], vcc
	s_xor_b64 s[0:1], exec, s[0:1]
	s_cbranch_execz .LBB120_994
; %bb.989:
	v_cmp_eq_u32_e32 vcc, 58, v71
	s_and_saveexec_b64 s[2:3], vcc
	s_cbranch_execz .LBB120_993
; %bb.990:
	v_cmp_ne_u32_e32 vcc, 58, v68
	s_xor_b64 s[12:13], s[20:21], -1
	s_and_b64 s[14:15], s[12:13], vcc
	s_and_saveexec_b64 s[12:13], s[14:15]
	s_cbranch_execz .LBB120_992
; %bb.991:
	v_ashrrev_i32_e32 v69, 31, v68
	v_lshl_add_u64 v[74:75], v[68:69], 2, v[4:5]
	global_load_dword v69, v[74:75], off
	global_load_dword v71, v[4:5], off offset:232
	s_waitcnt vmcnt(1)
	global_store_dword v[4:5], v69, off offset:232
	s_waitcnt vmcnt(1)
	global_store_dword v[74:75], v71, off
.LBB120_992:
	s_or_b64 exec, exec, s[12:13]
	v_mov_b32_e32 v69, v68
	v_mov_b32_e32 v71, v68
.LBB120_993:
	s_or_b64 exec, exec, s[2:3]
.LBB120_994:
	s_andn2_saveexec_b64 s[0:1], s[0:1]
; %bb.995:
	v_mov_b32_e32 v71, 58
	ds_write2_b32 v67, v12, v13 offset0:59 offset1:60
; %bb.996:
	s_or_b64 exec, exec, s[0:1]
	v_cmp_lt_i32_e32 vcc, 58, v71
	s_waitcnt lgkmcnt(0)
	s_barrier
	s_and_saveexec_b64 s[0:1], vcc
	s_cbranch_execz .LBB120_998
; %bb.997:
	ds_read2_b32 v[74:75], v67 offset0:59 offset1:60
	v_mul_f32_e32 v68, v70, v1
	v_mov_b32_e32 v1, v68
	s_waitcnt lgkmcnt(0)
	v_pk_fma_f32 v[12:13], v[68:69], v[74:75], v[12:13] op_sel_hi:[0,1,1] neg_lo:[1,0,0] neg_hi:[1,0,0]
.LBB120_998:
	s_or_b64 exec, exec, s[0:1]
	v_lshl_add_u32 v68, v71, 2, v67
	s_barrier
	ds_write_b32 v68, v12
	s_waitcnt lgkmcnt(0)
	s_barrier
	ds_read_b32 v70, v67 offset:236
	s_cmp_lt_i32 s22, 61
	v_mov_b32_e32 v68, 59
	s_cbranch_scc1 .LBB120_1001
; %bb.999:
	v_add_u32_e32 v73, 0xf0, v67
	v_mov_b32_e32 v68, 59
	s_mov_b32 s0, 60
.LBB120_1000:                           ; =>This Inner Loop Header: Depth=1
	ds_read_b32 v74, v73
	v_mov_b32_e32 v75, s0
	s_add_i32 s0, s0, 1
	v_add_u32_e32 v73, 4, v73
	s_cmp_lg_u32 s22, s0
	s_waitcnt lgkmcnt(0)
	v_cmp_lt_f32_e64 vcc, |v70|, |v74|
	s_nop 1
	v_cndmask_b32_e32 v70, v70, v74, vcc
	v_cndmask_b32_e32 v68, v68, v75, vcc
	s_cbranch_scc1 .LBB120_1000
.LBB120_1001:
	s_waitcnt lgkmcnt(0)
	v_cmp_eq_f32_e32 vcc, 0, v70
	s_and_saveexec_b64 s[0:1], vcc
	s_xor_b64 s[0:1], exec, s[0:1]
; %bb.1002:
	v_cmp_ne_u32_e32 vcc, 0, v72
	s_nop 1
	v_cndmask_b32_e32 v72, 60, v72, vcc
; %bb.1003:
	s_andn2_saveexec_b64 s[0:1], s[0:1]
	s_cbranch_execz .LBB120_1005
; %bb.1004:
	v_div_scale_f32 v73, s[2:3], v70, v70, 1.0
	v_rcp_f32_e32 v74, v73
	v_div_scale_f32 v75, vcc, 1.0, v70, 1.0
	v_fma_f32 v76, -v73, v74, 1.0
	v_fmac_f32_e32 v74, v76, v74
	v_mul_f32_e32 v76, v75, v74
	v_fma_f32 v77, -v73, v76, v75
	v_fmac_f32_e32 v76, v77, v74
	v_fma_f32 v73, -v73, v76, v75
	v_div_fmas_f32 v73, v73, v74, v76
	v_div_fixup_f32 v70, v73, v70, 1.0
.LBB120_1005:
	s_or_b64 exec, exec, s[0:1]
	v_cmp_ne_u32_e32 vcc, v71, v68
	s_and_saveexec_b64 s[0:1], vcc
	s_xor_b64 s[0:1], exec, s[0:1]
	s_cbranch_execz .LBB120_1011
; %bb.1006:
	v_cmp_eq_u32_e32 vcc, 59, v71
	s_and_saveexec_b64 s[2:3], vcc
	s_cbranch_execz .LBB120_1010
; %bb.1007:
	v_cmp_ne_u32_e32 vcc, 59, v68
	s_xor_b64 s[12:13], s[20:21], -1
	s_and_b64 s[14:15], s[12:13], vcc
	s_and_saveexec_b64 s[12:13], s[14:15]
	s_cbranch_execz .LBB120_1009
; %bb.1008:
	v_ashrrev_i32_e32 v69, 31, v68
	v_lshl_add_u64 v[74:75], v[68:69], 2, v[4:5]
	global_load_dword v69, v[74:75], off
	global_load_dword v71, v[4:5], off offset:236
	s_waitcnt vmcnt(1)
	global_store_dword v[4:5], v69, off offset:236
	s_waitcnt vmcnt(1)
	global_store_dword v[74:75], v71, off
.LBB120_1009:
	s_or_b64 exec, exec, s[12:13]
	v_mov_b32_e32 v69, v68
	v_mov_b32_e32 v71, v68
.LBB120_1010:
	s_or_b64 exec, exec, s[2:3]
.LBB120_1011:
	s_andn2_saveexec_b64 s[0:1], s[0:1]
; %bb.1012:
	v_mov_b32_e32 v71, 59
	ds_write_b32 v67, v13 offset:240
; %bb.1013:
	s_or_b64 exec, exec, s[0:1]
	v_cmp_lt_i32_e32 vcc, 59, v71
	s_waitcnt lgkmcnt(0)
	s_barrier
	s_and_saveexec_b64 s[0:1], vcc
	s_cbranch_execz .LBB120_1015
; %bb.1014:
	ds_read_b32 v68, v67 offset:240
	v_mul_f32_e32 v12, v70, v12
	s_waitcnt lgkmcnt(0)
	v_fma_f32 v13, -v12, v68, v13
.LBB120_1015:
	s_or_b64 exec, exec, s[0:1]
	v_lshl_add_u32 v68, v71, 2, v67
	s_barrier
	ds_write_b32 v68, v13
	s_waitcnt lgkmcnt(0)
	s_barrier
	ds_read_b32 v73, v67 offset:240
	s_cmp_lt_i32 s22, 62
	v_mov_b32_e32 v68, 60
	s_cbranch_scc1 .LBB120_1018
; %bb.1016:
	v_add_u32_e32 v67, 0xf4, v67
	v_mov_b32_e32 v68, 60
	s_mov_b32 s0, 61
.LBB120_1017:                           ; =>This Inner Loop Header: Depth=1
	ds_read_b32 v70, v67
	v_mov_b32_e32 v74, s0
	s_add_i32 s0, s0, 1
	v_add_u32_e32 v67, 4, v67
	s_cmp_lg_u32 s22, s0
	s_waitcnt lgkmcnt(0)
	v_cmp_lt_f32_e64 vcc, |v73|, |v70|
	s_nop 1
	v_cndmask_b32_e32 v73, v73, v70, vcc
	v_cndmask_b32_e32 v68, v68, v74, vcc
	s_cbranch_scc1 .LBB120_1017
.LBB120_1018:
	s_waitcnt lgkmcnt(0)
	v_cmp_eq_f32_e32 vcc, 0, v73
	s_and_saveexec_b64 s[0:1], vcc
	s_xor_b64 s[0:1], exec, s[0:1]
; %bb.1019:
	v_cmp_ne_u32_e32 vcc, 0, v72
	s_nop 1
	v_cndmask_b32_e32 v72, 61, v72, vcc
; %bb.1020:
	s_andn2_saveexec_b64 s[0:1], s[0:1]
	s_cbranch_execz .LBB120_1022
; %bb.1021:
	v_div_scale_f32 v67, s[2:3], v73, v73, 1.0
	v_rcp_f32_e32 v70, v67
	v_div_scale_f32 v74, vcc, 1.0, v73, 1.0
	v_fma_f32 v75, -v67, v70, 1.0
	v_fmac_f32_e32 v70, v75, v70
	v_mul_f32_e32 v75, v74, v70
	v_fma_f32 v76, -v67, v75, v74
	v_fmac_f32_e32 v75, v76, v70
	v_fma_f32 v67, -v67, v75, v74
	v_div_fmas_f32 v67, v67, v70, v75
	v_div_fixup_f32 v73, v67, v73, 1.0
.LBB120_1022:
	s_or_b64 exec, exec, s[0:1]
	v_cmp_ne_u32_e32 vcc, v71, v68
	v_mov_b32_e32 v70, 60
	s_and_saveexec_b64 s[0:1], vcc
	s_cbranch_execz .LBB120_1028
; %bb.1023:
	v_cmp_eq_u32_e32 vcc, 60, v71
	s_and_saveexec_b64 s[2:3], vcc
	s_cbranch_execz .LBB120_1027
; %bb.1024:
	v_cmp_ne_u32_e32 vcc, 60, v68
	s_xor_b64 s[12:13], s[20:21], -1
	s_and_b64 s[14:15], s[12:13], vcc
	s_and_saveexec_b64 s[12:13], s[14:15]
	s_cbranch_execz .LBB120_1026
; %bb.1025:
	v_ashrrev_i32_e32 v69, 31, v68
	v_lshl_add_u64 v[70:71], v[68:69], 2, v[4:5]
	global_load_dword v67, v[70:71], off
	global_load_dword v69, v[4:5], off offset:240
	s_waitcnt vmcnt(1)
	global_store_dword v[4:5], v67, off offset:240
	s_waitcnt vmcnt(1)
	global_store_dword v[70:71], v69, off
.LBB120_1026:
	s_or_b64 exec, exec, s[12:13]
	v_mov_b32_e32 v69, v68
	v_mov_b32_e32 v71, v68
.LBB120_1027:
	s_or_b64 exec, exec, s[2:3]
	v_mov_b32_e32 v70, v71
.LBB120_1028:
	s_or_b64 exec, exec, s[0:1]
	v_cmp_gt_i32_e32 vcc, 61, v70
	v_ashrrev_i32_e32 v71, 31, v70
	s_barrier
	s_barrier
	s_and_saveexec_b64 s[0:1], vcc
	s_cbranch_execz .LBB120_1030
; %bb.1029:
	v_mul_lo_u32 v67, s11, v2
	v_mul_lo_u32 v68, s10, v3
	v_mad_u64_u32 v[74:75], s[2:3], s10, v2, 0
	v_mov_b32_e32 v4, s6
	v_mov_b32_e32 v5, s7
	v_add3_u32 v75, v75, v68, v67
	v_lshl_add_u64 v[4:5], v[74:75], 2, v[4:5]
	v_lshl_add_u64 v[4:5], s[8:9], 2, v[4:5]
	v_lshl_add_u64 v[4:5], v[70:71], 2, v[4:5]
	v_add3_u32 v67, v69, s19, 1
	global_store_dword v[4:5], v67, off
.LBB120_1030:
	s_or_b64 exec, exec, s[0:1]
	v_cmp_eq_u32_e32 vcc, 0, v70
	s_and_saveexec_b64 s[2:3], vcc
	s_cbranch_execz .LBB120_1033
; %bb.1031:
	v_mov_b32_e32 v4, s4
	v_mov_b32_e32 v5, s5
	v_lshl_add_u64 v[2:3], v[2:3], 2, v[4:5]
	global_load_dword v4, v[2:3], off
	v_cmp_ne_u32_e64 s[0:1], 0, v72
	s_waitcnt vmcnt(0)
	v_cmp_eq_u32_e32 vcc, 0, v4
	s_and_b64 s[0:1], vcc, s[0:1]
	s_and_b64 exec, exec, s[0:1]
	s_cbranch_execz .LBB120_1033
; %bb.1032:
	v_add_u32_e32 v4, s19, v72
	global_store_dword v[2:3], v4, off
.LBB120_1033:
	s_or_b64 exec, exec, s[2:3]
	v_mul_f32_e32 v2, v73, v13
	v_cmp_lt_i32_e32 vcc, 60, v70
	s_nop 1
	v_cndmask_b32_e32 v13, v13, v2, vcc
	v_lshl_add_u64 v[2:3], v[70:71], 2, v[6:7]
	global_store_dword v[2:3], v66, off
	v_lshl_add_u64 v[2:3], s[16:17], 2, v[2:3]
	global_store_dword v[2:3], v58, off
	v_add_u32_e32 v2, s18, v70
	v_ashrrev_i32_e32 v3, 31, v2
	v_lshl_add_u64 v[4:5], v[2:3], 2, v[6:7]
	v_add_u32_e32 v2, s16, v2
	v_ashrrev_i32_e32 v3, 31, v2
	global_store_dword v[4:5], v59, off
	v_lshl_add_u64 v[4:5], v[2:3], 2, v[6:7]
	v_add_u32_e32 v2, s16, v2
	v_ashrrev_i32_e32 v3, 31, v2
	global_store_dword v[4:5], v56, off
	;; [unrolled: 4-line block ×56, first 2 shown]
	v_lshl_add_u64 v[4:5], v[2:3], 2, v[6:7]
	v_add_u32_e32 v0, s16, v2
	global_store_dword v[4:5], v1, off
	v_ashrrev_i32_e32 v1, 31, v0
	v_lshl_add_u64 v[2:3], v[0:1], 2, v[6:7]
	v_add_u32_e32 v0, s16, v0
	v_ashrrev_i32_e32 v1, 31, v0
	v_lshl_add_u64 v[0:1], v[0:1], 2, v[6:7]
	global_store_dword v[2:3], v12, off
	global_store_dword v[0:1], v13, off
.LBB120_1034:
	s_endpgm
	.section	.rodata,"a",@progbits
	.p2align	6, 0x0
	.amdhsa_kernel _ZN9rocsolver6v33100L18getf2_small_kernelILi61EfiiPfEEvT1_T3_lS3_lPS3_llPT2_S3_S3_S5_l
		.amdhsa_group_segment_fixed_size 0
		.amdhsa_private_segment_fixed_size 0
		.amdhsa_kernarg_size 352
		.amdhsa_user_sgpr_count 2
		.amdhsa_user_sgpr_dispatch_ptr 0
		.amdhsa_user_sgpr_queue_ptr 0
		.amdhsa_user_sgpr_kernarg_segment_ptr 1
		.amdhsa_user_sgpr_dispatch_id 0
		.amdhsa_user_sgpr_kernarg_preload_length 0
		.amdhsa_user_sgpr_kernarg_preload_offset 0
		.amdhsa_user_sgpr_private_segment_size 0
		.amdhsa_uses_dynamic_stack 0
		.amdhsa_enable_private_segment 0
		.amdhsa_system_sgpr_workgroup_id_x 1
		.amdhsa_system_sgpr_workgroup_id_y 1
		.amdhsa_system_sgpr_workgroup_id_z 0
		.amdhsa_system_sgpr_workgroup_info 0
		.amdhsa_system_vgpr_workitem_id 1
		.amdhsa_next_free_vgpr 86
		.amdhsa_next_free_sgpr 26
		.amdhsa_accum_offset 88
		.amdhsa_reserve_vcc 1
		.amdhsa_float_round_mode_32 0
		.amdhsa_float_round_mode_16_64 0
		.amdhsa_float_denorm_mode_32 3
		.amdhsa_float_denorm_mode_16_64 3
		.amdhsa_dx10_clamp 1
		.amdhsa_ieee_mode 1
		.amdhsa_fp16_overflow 0
		.amdhsa_tg_split 0
		.amdhsa_exception_fp_ieee_invalid_op 0
		.amdhsa_exception_fp_denorm_src 0
		.amdhsa_exception_fp_ieee_div_zero 0
		.amdhsa_exception_fp_ieee_overflow 0
		.amdhsa_exception_fp_ieee_underflow 0
		.amdhsa_exception_fp_ieee_inexact 0
		.amdhsa_exception_int_div_zero 0
	.end_amdhsa_kernel
	.section	.text._ZN9rocsolver6v33100L18getf2_small_kernelILi61EfiiPfEEvT1_T3_lS3_lPS3_llPT2_S3_S3_S5_l,"axG",@progbits,_ZN9rocsolver6v33100L18getf2_small_kernelILi61EfiiPfEEvT1_T3_lS3_lPS3_llPT2_S3_S3_S5_l,comdat
.Lfunc_end120:
	.size	_ZN9rocsolver6v33100L18getf2_small_kernelILi61EfiiPfEEvT1_T3_lS3_lPS3_llPT2_S3_S3_S5_l, .Lfunc_end120-_ZN9rocsolver6v33100L18getf2_small_kernelILi61EfiiPfEEvT1_T3_lS3_lPS3_llPT2_S3_S3_S5_l
                                        ; -- End function
	.set _ZN9rocsolver6v33100L18getf2_small_kernelILi61EfiiPfEEvT1_T3_lS3_lPS3_llPT2_S3_S3_S5_l.num_vgpr, 86
	.set _ZN9rocsolver6v33100L18getf2_small_kernelILi61EfiiPfEEvT1_T3_lS3_lPS3_llPT2_S3_S3_S5_l.num_agpr, 0
	.set _ZN9rocsolver6v33100L18getf2_small_kernelILi61EfiiPfEEvT1_T3_lS3_lPS3_llPT2_S3_S3_S5_l.numbered_sgpr, 26
	.set _ZN9rocsolver6v33100L18getf2_small_kernelILi61EfiiPfEEvT1_T3_lS3_lPS3_llPT2_S3_S3_S5_l.num_named_barrier, 0
	.set _ZN9rocsolver6v33100L18getf2_small_kernelILi61EfiiPfEEvT1_T3_lS3_lPS3_llPT2_S3_S3_S5_l.private_seg_size, 0
	.set _ZN9rocsolver6v33100L18getf2_small_kernelILi61EfiiPfEEvT1_T3_lS3_lPS3_llPT2_S3_S3_S5_l.uses_vcc, 1
	.set _ZN9rocsolver6v33100L18getf2_small_kernelILi61EfiiPfEEvT1_T3_lS3_lPS3_llPT2_S3_S3_S5_l.uses_flat_scratch, 0
	.set _ZN9rocsolver6v33100L18getf2_small_kernelILi61EfiiPfEEvT1_T3_lS3_lPS3_llPT2_S3_S3_S5_l.has_dyn_sized_stack, 0
	.set _ZN9rocsolver6v33100L18getf2_small_kernelILi61EfiiPfEEvT1_T3_lS3_lPS3_llPT2_S3_S3_S5_l.has_recursion, 0
	.set _ZN9rocsolver6v33100L18getf2_small_kernelILi61EfiiPfEEvT1_T3_lS3_lPS3_llPT2_S3_S3_S5_l.has_indirect_call, 0
	.section	.AMDGPU.csdata,"",@progbits
; Kernel info:
; codeLenInByte = 56672
; TotalNumSgprs: 32
; NumVgprs: 86
; NumAgprs: 0
; TotalNumVgprs: 86
; ScratchSize: 0
; MemoryBound: 0
; FloatMode: 240
; IeeeMode: 1
; LDSByteSize: 0 bytes/workgroup (compile time only)
; SGPRBlocks: 3
; VGPRBlocks: 10
; NumSGPRsForWavesPerEU: 32
; NumVGPRsForWavesPerEU: 86
; AccumOffset: 88
; Occupancy: 5
; WaveLimiterHint : 0
; COMPUTE_PGM_RSRC2:SCRATCH_EN: 0
; COMPUTE_PGM_RSRC2:USER_SGPR: 2
; COMPUTE_PGM_RSRC2:TRAP_HANDLER: 0
; COMPUTE_PGM_RSRC2:TGID_X_EN: 1
; COMPUTE_PGM_RSRC2:TGID_Y_EN: 1
; COMPUTE_PGM_RSRC2:TGID_Z_EN: 0
; COMPUTE_PGM_RSRC2:TIDIG_COMP_CNT: 1
; COMPUTE_PGM_RSRC3_GFX90A:ACCUM_OFFSET: 21
; COMPUTE_PGM_RSRC3_GFX90A:TG_SPLIT: 0
	.section	.text._ZN9rocsolver6v33100L23getf2_npvt_small_kernelILi61EfiiPfEEvT1_T3_lS3_lPT2_S3_S3_,"axG",@progbits,_ZN9rocsolver6v33100L23getf2_npvt_small_kernelILi61EfiiPfEEvT1_T3_lS3_lPT2_S3_S3_,comdat
	.globl	_ZN9rocsolver6v33100L23getf2_npvt_small_kernelILi61EfiiPfEEvT1_T3_lS3_lPT2_S3_S3_ ; -- Begin function _ZN9rocsolver6v33100L23getf2_npvt_small_kernelILi61EfiiPfEEvT1_T3_lS3_lPT2_S3_S3_
	.p2align	8
	.type	_ZN9rocsolver6v33100L23getf2_npvt_small_kernelILi61EfiiPfEEvT1_T3_lS3_lPT2_S3_S3_,@function
_ZN9rocsolver6v33100L23getf2_npvt_small_kernelILi61EfiiPfEEvT1_T3_lS3_lPT2_S3_S3_: ; @_ZN9rocsolver6v33100L23getf2_npvt_small_kernelILi61EfiiPfEEvT1_T3_lS3_lPT2_S3_S3_
; %bb.0:
	s_load_dword s2, s[0:1], 0x44
	s_load_dwordx2 s[8:9], s[0:1], 0x30
	v_bfe_u32 v186, v0, 10, 10
	s_waitcnt lgkmcnt(0)
	s_lshr_b32 s10, s2, 16
	s_mul_i32 s3, s3, s10
	v_add_u32_e32 v34, s3, v186
	v_cmp_gt_i32_e32 vcc, s8, v34
	s_and_saveexec_b64 s[2:3], vcc
	s_cbranch_execz .LBB121_338
; %bb.1:
	s_load_dwordx4 s[12:15], s[0:1], 0x8
	s_load_dword s2, s[0:1], 0x18
	s_load_dwordx4 s[4:7], s[0:1], 0x20
	v_and_b32_e32 v25, 0x3ff, v0
	v_ashrrev_i32_e32 v35, 31, v34
	s_waitcnt lgkmcnt(0)
	v_mov_b32_e32 v2, s12
	v_mov_b32_e32 v3, s13
	v_mad_u64_u32 v[0:1], s[0:1], s4, v34, 0
	s_add_i32 s0, s2, s2
	s_nop 0
	v_add_u32_e32 v6, s0, v25
	v_add_u32_e32 v8, s2, v6
	;; [unrolled: 1-line block ×53, first 2 shown]
	v_mul_lo_u32 v4, s5, v34
	v_mul_lo_u32 v5, s4, v35
	v_add_u32_e32 v172, s2, v162
	v_add3_u32 v1, v1, v5, v4
	v_add_u32_e32 v174, s2, v172
	v_lshl_add_u64 v[0:1], v[0:1], 2, v[2:3]
	v_add_u32_e32 v176, s2, v174
	v_lshl_add_u64 v[180:181], s[14:15], 2, v[0:1]
	v_lshlrev_b32_e32 v0, 2, v25
	v_mov_b32_e32 v1, 0
	v_ashrrev_i32_e32 v7, 31, v6
	v_ashrrev_i32_e32 v9, 31, v8
	v_ashrrev_i32_e32 v11, 31, v10
	v_ashrrev_i32_e32 v13, 31, v12
	v_ashrrev_i32_e32 v15, 31, v14
	v_ashrrev_i32_e32 v27, 31, v26
	v_ashrrev_i32_e32 v29, 31, v28
	v_ashrrev_i32_e32 v31, 31, v30
	v_ashrrev_i32_e32 v33, 31, v32
	v_ashrrev_i32_e32 v37, 31, v36
	v_ashrrev_i32_e32 v39, 31, v38
	v_ashrrev_i32_e32 v41, 31, v40
	v_ashrrev_i32_e32 v43, 31, v42
	v_ashrrev_i32_e32 v53, 31, v52
	v_ashrrev_i32_e32 v55, 31, v54
	v_ashrrev_i32_e32 v57, 31, v56
	v_ashrrev_i32_e32 v59, 31, v58
	v_ashrrev_i32_e32 v61, 31, v60
	v_ashrrev_i32_e32 v63, 31, v62
	v_ashrrev_i32_e32 v65, 31, v64
	v_ashrrev_i32_e32 v67, 31, v66
	v_ashrrev_i32_e32 v77, 31, v76
	v_ashrrev_i32_e32 v79, 31, v78
	v_ashrrev_i32_e32 v81, 31, v80
	v_ashrrev_i32_e32 v83, 31, v82
	v_ashrrev_i32_e32 v85, 31, v84
	v_ashrrev_i32_e32 v87, 31, v86
	v_ashrrev_i32_e32 v89, 31, v88
	v_ashrrev_i32_e32 v91, 31, v90
	v_ashrrev_i32_e32 v101, 31, v100
	v_ashrrev_i32_e32 v103, 31, v102
	v_ashrrev_i32_e32 v105, 31, v104
	v_ashrrev_i32_e32 v107, 31, v106
	v_ashrrev_i32_e32 v109, 31, v108
	v_ashrrev_i32_e32 v111, 31, v110
	v_ashrrev_i32_e32 v113, 31, v112
	v_ashrrev_i32_e32 v115, 31, v114
	v_ashrrev_i32_e32 v125, 31, v124
	v_ashrrev_i32_e32 v127, 31, v126
	v_ashrrev_i32_e32 v129, 31, v128
	v_ashrrev_i32_e32 v131, 31, v130
	v_ashrrev_i32_e32 v133, 31, v132
	v_ashrrev_i32_e32 v135, 31, v134
	v_ashrrev_i32_e32 v137, 31, v136
	v_ashrrev_i32_e32 v139, 31, v138
	v_ashrrev_i32_e32 v149, 31, v148
	v_ashrrev_i32_e32 v151, 31, v150
	v_add_u32_e32 v178, s2, v176
	s_ashr_i32 s3, s2, 31
	v_lshl_add_u64 v[0:1], v[180:181], 0, v[0:1]
	v_lshl_add_u64 v[4:5], v[6:7], 2, v[180:181]
	v_lshl_add_u64 v[6:7], v[8:9], 2, v[180:181]
	v_lshl_add_u64 v[8:9], v[10:11], 2, v[180:181]
	v_lshl_add_u64 v[10:11], v[12:13], 2, v[180:181]
	v_lshl_add_u64 v[12:13], v[14:15], 2, v[180:181]
	v_lshl_add_u64 v[14:15], v[26:27], 2, v[180:181]
	v_lshl_add_u64 v[26:27], v[28:29], 2, v[180:181]
	v_lshl_add_u64 v[28:29], v[30:31], 2, v[180:181]
	v_lshl_add_u64 v[30:31], v[32:33], 2, v[180:181]
	v_lshl_add_u64 v[32:33], v[36:37], 2, v[180:181]
	v_lshl_add_u64 v[36:37], v[38:39], 2, v[180:181]
	v_lshl_add_u64 v[38:39], v[40:41], 2, v[180:181]
	v_lshl_add_u64 v[40:41], v[42:43], 2, v[180:181]
	v_lshl_add_u64 v[42:43], v[52:53], 2, v[180:181]
	v_lshl_add_u64 v[52:53], v[54:55], 2, v[180:181]
	v_lshl_add_u64 v[54:55], v[56:57], 2, v[180:181]
	v_lshl_add_u64 v[56:57], v[58:59], 2, v[180:181]
	v_lshl_add_u64 v[58:59], v[60:61], 2, v[180:181]
	v_lshl_add_u64 v[60:61], v[62:63], 2, v[180:181]
	v_lshl_add_u64 v[62:63], v[64:65], 2, v[180:181]
	v_lshl_add_u64 v[64:65], v[66:67], 2, v[180:181]
	v_lshl_add_u64 v[66:67], v[76:77], 2, v[180:181]
	v_lshl_add_u64 v[76:77], v[78:79], 2, v[180:181]
	v_lshl_add_u64 v[78:79], v[80:81], 2, v[180:181]
	v_lshl_add_u64 v[80:81], v[82:83], 2, v[180:181]
	v_lshl_add_u64 v[82:83], v[84:85], 2, v[180:181]
	v_lshl_add_u64 v[84:85], v[86:87], 2, v[180:181]
	v_lshl_add_u64 v[86:87], v[88:89], 2, v[180:181]
	v_lshl_add_u64 v[88:89], v[90:91], 2, v[180:181]
	v_lshl_add_u64 v[90:91], v[100:101], 2, v[180:181]
	v_lshl_add_u64 v[100:101], v[102:103], 2, v[180:181]
	v_lshl_add_u64 v[102:103], v[104:105], 2, v[180:181]
	v_lshl_add_u64 v[104:105], v[106:107], 2, v[180:181]
	v_lshl_add_u64 v[106:107], v[108:109], 2, v[180:181]
	v_lshl_add_u64 v[108:109], v[110:111], 2, v[180:181]
	v_lshl_add_u64 v[110:111], v[112:113], 2, v[180:181]
	v_lshl_add_u64 v[112:113], v[114:115], 2, v[180:181]
	v_lshl_add_u64 v[114:115], v[124:125], 2, v[180:181]
	v_lshl_add_u64 v[124:125], v[126:127], 2, v[180:181]
	v_lshl_add_u64 v[126:127], v[128:129], 2, v[180:181]
	v_lshl_add_u64 v[128:129], v[130:131], 2, v[180:181]
	v_lshl_add_u64 v[130:131], v[132:133], 2, v[180:181]
	v_lshl_add_u64 v[132:133], v[134:135], 2, v[180:181]
	v_lshl_add_u64 v[134:135], v[136:137], 2, v[180:181]
	v_lshl_add_u64 v[136:137], v[138:139], 2, v[180:181]
	v_lshl_add_u64 v[138:139], v[148:149], 2, v[180:181]
	v_lshl_add_u64 v[148:149], v[150:151], 2, v[180:181]
	v_ashrrev_i32_e32 v153, 31, v152
	v_ashrrev_i32_e32 v155, 31, v154
	;; [unrolled: 1-line block ×7, first 2 shown]
	v_add_u32_e32 v182, s2, v178
	v_lshl_add_u64 v[2:3], s[2:3], 2, v[0:1]
	global_load_dword v24, v[0:1], off
	global_load_dword v18, v[2:3], off
	;; [unrolled: 1-line block ×48, first 2 shown]
	v_lshl_add_u64 v[150:151], v[152:153], 2, v[180:181]
	v_lshl_add_u64 v[152:153], v[154:155], 2, v[180:181]
	;; [unrolled: 1-line block ×7, first 2 shown]
	global_load_dword v145, v[148:149], off
	global_load_dword v166, v[150:151], off
	;; [unrolled: 1-line block ×8, first 2 shown]
	v_ashrrev_i32_e32 v175, 31, v174
	v_ashrrev_i32_e32 v177, 31, v176
	;; [unrolled: 1-line block ×4, first 2 shown]
	v_lshl_add_u64 v[172:173], v[174:175], 2, v[180:181]
	v_lshl_add_u64 v[174:175], v[176:177], 2, v[180:181]
	;; [unrolled: 1-line block ×4, first 2 shown]
	v_add_u32_e32 v182, s2, v182
	v_ashrrev_i32_e32 v183, 31, v182
	v_lshl_add_u64 v[180:181], v[182:183], 2, v[180:181]
	global_load_dword v165, v[172:173], off
	global_load_dword v182, v[174:175], off
	;; [unrolled: 1-line block ×5, first 2 shown]
	s_mulk_i32 s10, 0xf4
	v_cmp_eq_u32_e64 s[0:1], 0, v25
	v_cmp_ne_u32_e64 s[2:3], 0, v25
	s_movk_i32 s11, 0xf4
	s_add_i32 s8, s10, 0
	s_and_saveexec_b64 s[4:5], s[2:3]
	s_xor_b64 s[4:5], exec, s[4:5]
	s_or_saveexec_b64 s[4:5], s[4:5]
	v_mad_u32_u24 v187, v186, s11, 0
	v_lshl_add_u32 v186, v186, 2, s8
	s_xor_b64 exec, exec, s[4:5]
	s_cbranch_execz .LBB121_5
; %bb.2:
	s_waitcnt vmcnt(60)
	ds_write_b32 v186, v24
	s_waitcnt vmcnt(58)
	ds_write2_b32 v187, v18, v19 offset0:1 offset1:2
	s_waitcnt vmcnt(56)
	ds_write2_b32 v187, v20, v21 offset0:3 offset1:4
	;; [unrolled: 2-line block ×30, first 2 shown]
	ds_read_b32 v188, v186
	s_waitcnt lgkmcnt(0)
	v_cmp_neq_f32_e32 vcc, 0, v188
	s_and_saveexec_b64 s[10:11], vcc
	s_cbranch_execz .LBB121_4
; %bb.3:
	v_div_scale_f32 v189, s[12:13], v188, v188, 1.0
	v_rcp_f32_e32 v190, v189
	v_div_scale_f32 v191, vcc, 1.0, v188, 1.0
	v_fma_f32 v192, -v189, v190, 1.0
	v_fmac_f32_e32 v190, v192, v190
	v_mul_f32_e32 v192, v191, v190
	v_fma_f32 v193, -v189, v192, v191
	v_fmac_f32_e32 v192, v193, v190
	v_fma_f32 v189, -v189, v192, v191
	v_div_fmas_f32 v189, v189, v190, v192
	v_div_fixup_f32 v188, v189, v188, 1.0
	ds_write_b32 v186, v188
.LBB121_4:
	s_or_b64 exec, exec, s[10:11]
.LBB121_5:
	s_or_b64 exec, exec, s[4:5]
	s_waitcnt lgkmcnt(0)
	s_barrier
	ds_read_b32 v188, v186
	s_and_saveexec_b64 s[4:5], s[2:3]
	s_cbranch_execz .LBB121_7
; %bb.6:
	ds_read2_b32 v[190:191], v187 offset0:1 offset1:2
	ds_read2_b32 v[192:193], v187 offset0:3 offset1:4
	;; [unrolled: 1-line block ×4, first 2 shown]
	s_waitcnt vmcnt(60) lgkmcnt(4)
	v_mul_f32_e32 v24, v188, v24
	s_waitcnt vmcnt(58) lgkmcnt(3)
	v_pk_fma_f32 v[18:19], v[24:25], v[190:191], v[18:19] op_sel_hi:[0,1,1] neg_lo:[1,0,0] neg_hi:[1,0,0]
	s_waitcnt vmcnt(56) lgkmcnt(2)
	v_pk_fma_f32 v[20:21], v[24:25], v[192:193], v[20:21] op_sel_hi:[0,1,1] neg_lo:[1,0,0] neg_hi:[1,0,0]
	s_waitcnt vmcnt(54) lgkmcnt(1)
	v_pk_fma_f32 v[22:23], v[24:25], v[194:195], v[22:23] op_sel_hi:[0,1,1] neg_lo:[1,0,0] neg_hi:[1,0,0]
	ds_read2_b32 v[190:191], v187 offset0:9 offset1:10
	ds_read2_b32 v[192:193], v187 offset0:11 offset1:12
	ds_read2_b32 v[194:195], v187 offset0:13 offset1:14
	s_waitcnt vmcnt(52) lgkmcnt(3)
	v_pk_fma_f32 v[16:17], v[24:25], v[196:197], v[16:17] op_sel_hi:[0,1,1] neg_lo:[1,0,0] neg_hi:[1,0,0]
	ds_read2_b32 v[196:197], v187 offset0:15 offset1:16
	s_waitcnt vmcnt(50) lgkmcnt(3)
	v_pk_fma_f32 v[46:47], v[24:25], v[190:191], v[46:47] op_sel_hi:[0,1,1] neg_lo:[1,0,0] neg_hi:[1,0,0]
	s_waitcnt vmcnt(48) lgkmcnt(2)
	v_pk_fma_f32 v[50:51], v[24:25], v[192:193], v[50:51] op_sel_hi:[0,1,1] neg_lo:[1,0,0] neg_hi:[1,0,0]
	s_waitcnt vmcnt(46) lgkmcnt(1)
	v_pk_fma_f32 v[44:45], v[24:25], v[194:195], v[44:45] op_sel_hi:[0,1,1] neg_lo:[1,0,0] neg_hi:[1,0,0]
	ds_read2_b32 v[190:191], v187 offset0:17 offset1:18
	ds_read2_b32 v[192:193], v187 offset0:19 offset1:20
	ds_read2_b32 v[194:195], v187 offset0:21 offset1:22
	s_waitcnt vmcnt(44) lgkmcnt(3)
	v_pk_fma_f32 v[48:49], v[24:25], v[196:197], v[48:49] op_sel_hi:[0,1,1] neg_lo:[1,0,0] neg_hi:[1,0,0]
	ds_read2_b32 v[196:197], v187 offset0:23 offset1:24
	;; [unrolled: 12-line block ×5, first 2 shown]
	s_waitcnt vmcnt(18) lgkmcnt(3)
	v_pk_fma_f32 v[146:147], v[24:25], v[190:191], v[146:147] op_sel_hi:[0,1,1] neg_lo:[1,0,0] neg_hi:[1,0,0]
	ds_read2_b32 v[190:191], v187 offset0:49 offset1:50
	s_waitcnt vmcnt(16) lgkmcnt(3)
	v_pk_fma_f32 v[140:141], v[24:25], v[192:193], v[140:141] op_sel_hi:[0,1,1] neg_lo:[1,0,0] neg_hi:[1,0,0]
	s_waitcnt vmcnt(14) lgkmcnt(2)
	v_pk_fma_f32 v[142:143], v[24:25], v[194:195], v[142:143] op_sel_hi:[0,1,1] neg_lo:[1,0,0] neg_hi:[1,0,0]
	;; [unrolled: 2-line block ×3, first 2 shown]
	ds_read2_b32 v[192:193], v187 offset0:51 offset1:52
	ds_read2_b32 v[194:195], v187 offset0:53 offset1:54
	;; [unrolled: 1-line block ×3, first 2 shown]
	s_waitcnt vmcnt(10) lgkmcnt(3)
	v_pk_fma_f32 v[166:167], v[24:25], v[190:191], v[166:167] op_sel_hi:[0,1,1] neg_lo:[1,0,0] neg_hi:[1,0,0]
	ds_read2_b32 v[190:191], v187 offset0:57 offset1:58
	ds_read2_b32 v[198:199], v187 offset0:59 offset1:60
	s_waitcnt vmcnt(8) lgkmcnt(4)
	v_pk_fma_f32 v[168:169], v[24:25], v[192:193], v[168:169] op_sel_hi:[0,1,1] neg_lo:[1,0,0] neg_hi:[1,0,0]
	s_waitcnt vmcnt(6) lgkmcnt(3)
	v_pk_fma_f32 v[170:171], v[24:25], v[194:195], v[170:171] op_sel_hi:[0,1,1] neg_lo:[1,0,0] neg_hi:[1,0,0]
	s_waitcnt vmcnt(4) lgkmcnt(2)
	v_pk_fma_f32 v[164:165], v[24:25], v[196:197], v[164:165] op_sel_hi:[0,1,1] neg_lo:[1,0,0] neg_hi:[1,0,0]
	s_waitcnt vmcnt(2) lgkmcnt(1)
	v_pk_fma_f32 v[182:183], v[24:25], v[190:191], v[182:183] op_sel_hi:[0,1,1] neg_lo:[1,0,0] neg_hi:[1,0,0]
	s_waitcnt vmcnt(0) lgkmcnt(0)
	v_pk_fma_f32 v[184:185], v[24:25], v[198:199], v[184:185] op_sel_hi:[0,1,1] neg_lo:[1,0,0] neg_hi:[1,0,0]
.LBB121_7:
	s_or_b64 exec, exec, s[4:5]
	v_cmp_eq_u32_e32 vcc, 1, v25
	s_waitcnt lgkmcnt(0)
	s_barrier
	s_and_saveexec_b64 s[2:3], vcc
	s_cbranch_execz .LBB121_10
; %bb.8:
	s_waitcnt vmcnt(56)
	v_pk_mov_b32 v[190:191], v[18:19], v[20:21] op_sel:[1,0]
	ds_write_b32 v186, v18
	ds_write2_b32 v187, v190, v191 offset0:2 offset1:3
	s_waitcnt vmcnt(54)
	v_pk_mov_b32 v[190:191], v[20:21], v[22:23] op_sel:[1,0]
	ds_write2_b32 v187, v190, v191 offset0:4 offset1:5
	s_waitcnt vmcnt(52)
	v_pk_mov_b32 v[190:191], v[22:23], v[16:17] op_sel:[1,0]
	;; [unrolled: 3-line block ×28, first 2 shown]
	ds_write2_b32 v187, v190, v191 offset0:58 offset1:59
	ds_write_b32 v187, v185 offset:240
	ds_read_b32 v189, v186
	s_waitcnt lgkmcnt(0)
	v_cmp_neq_f32_e32 vcc, 0, v189
	s_and_b64 exec, exec, vcc
	s_cbranch_execz .LBB121_10
; %bb.9:
	v_div_scale_f32 v190, s[4:5], v189, v189, 1.0
	v_rcp_f32_e32 v191, v190
	v_div_scale_f32 v192, vcc, 1.0, v189, 1.0
	v_fma_f32 v193, -v190, v191, 1.0
	v_fmac_f32_e32 v191, v193, v191
	v_mul_f32_e32 v193, v192, v191
	v_fma_f32 v194, -v190, v193, v192
	v_fmac_f32_e32 v193, v194, v191
	v_fma_f32 v190, -v190, v193, v192
	v_div_fmas_f32 v190, v190, v191, v193
	v_div_fixup_f32 v189, v190, v189, 1.0
	ds_write_b32 v186, v189
.LBB121_10:
	s_or_b64 exec, exec, s[2:3]
	s_waitcnt lgkmcnt(0)
	s_barrier
	ds_read_b32 v189, v186
	v_cmp_lt_u32_e32 vcc, 1, v25
	s_and_saveexec_b64 s[2:3], vcc
	s_cbranch_execz .LBB121_12
; %bb.11:
	ds_read_b32 v196, v187 offset:8
	ds_read2_b32 v[190:191], v187 offset0:3 offset1:4
	ds_read2_b32 v[192:193], v187 offset0:5 offset1:6
	s_waitcnt vmcnt(59) lgkmcnt(3)
	v_mul_f32_e32 v18, v189, v18
	ds_read2_b32 v[194:195], v187 offset0:7 offset1:8
	s_waitcnt vmcnt(58) lgkmcnt(3)
	v_fma_f32 v19, -v18, v196, v19
	s_waitcnt vmcnt(56) lgkmcnt(2)
	v_pk_fma_f32 v[20:21], v[18:19], v[190:191], v[20:21] op_sel_hi:[0,1,1] neg_lo:[1,0,0] neg_hi:[1,0,0]
	s_waitcnt vmcnt(54) lgkmcnt(1)
	v_pk_fma_f32 v[22:23], v[18:19], v[192:193], v[22:23] op_sel_hi:[0,1,1] neg_lo:[1,0,0] neg_hi:[1,0,0]
	ds_read2_b32 v[190:191], v187 offset0:9 offset1:10
	ds_read2_b32 v[192:193], v187 offset0:11 offset1:12
	ds_read2_b32 v[196:197], v187 offset0:13 offset1:14
	s_waitcnt vmcnt(52) lgkmcnt(3)
	v_pk_fma_f32 v[16:17], v[18:19], v[194:195], v[16:17] op_sel_hi:[0,1,1] neg_lo:[1,0,0] neg_hi:[1,0,0]
	ds_read2_b32 v[194:195], v187 offset0:15 offset1:16
	s_waitcnt vmcnt(50) lgkmcnt(3)
	v_pk_fma_f32 v[46:47], v[18:19], v[190:191], v[46:47] op_sel_hi:[0,1,1] neg_lo:[1,0,0] neg_hi:[1,0,0]
	s_waitcnt vmcnt(48) lgkmcnt(2)
	v_pk_fma_f32 v[50:51], v[18:19], v[192:193], v[50:51] op_sel_hi:[0,1,1] neg_lo:[1,0,0] neg_hi:[1,0,0]
	s_waitcnt vmcnt(46) lgkmcnt(1)
	v_pk_fma_f32 v[44:45], v[18:19], v[196:197], v[44:45] op_sel_hi:[0,1,1] neg_lo:[1,0,0] neg_hi:[1,0,0]
	ds_read2_b32 v[190:191], v187 offset0:17 offset1:18
	ds_read2_b32 v[192:193], v187 offset0:19 offset1:20
	ds_read2_b32 v[196:197], v187 offset0:21 offset1:22
	s_waitcnt vmcnt(44) lgkmcnt(3)
	v_pk_fma_f32 v[48:49], v[18:19], v[194:195], v[48:49] op_sel_hi:[0,1,1] neg_lo:[1,0,0] neg_hi:[1,0,0]
	ds_read2_b32 v[194:195], v187 offset0:23 offset1:24
	s_waitcnt vmcnt(42) lgkmcnt(3)
	v_pk_fma_f32 v[74:75], v[18:19], v[190:191], v[74:75] op_sel_hi:[0,1,1] neg_lo:[1,0,0] neg_hi:[1,0,0]
	;; [unrolled: 12-line block ×5, first 2 shown]
	ds_read2_b32 v[190:191], v187 offset0:49 offset1:50
	s_waitcnt vmcnt(16) lgkmcnt(3)
	v_pk_fma_f32 v[140:141], v[18:19], v[192:193], v[140:141] op_sel_hi:[0,1,1] neg_lo:[1,0,0] neg_hi:[1,0,0]
	s_waitcnt vmcnt(14) lgkmcnt(2)
	v_pk_fma_f32 v[142:143], v[18:19], v[196:197], v[142:143] op_sel_hi:[0,1,1] neg_lo:[1,0,0] neg_hi:[1,0,0]
	;; [unrolled: 2-line block ×3, first 2 shown]
	ds_read2_b32 v[192:193], v187 offset0:51 offset1:52
	ds_read2_b32 v[194:195], v187 offset0:53 offset1:54
	;; [unrolled: 1-line block ×3, first 2 shown]
	s_waitcnt vmcnt(10) lgkmcnt(3)
	v_pk_fma_f32 v[166:167], v[18:19], v[190:191], v[166:167] op_sel_hi:[0,1,1] neg_lo:[1,0,0] neg_hi:[1,0,0]
	ds_read2_b32 v[190:191], v187 offset0:57 offset1:58
	ds_read2_b32 v[198:199], v187 offset0:59 offset1:60
	s_waitcnt vmcnt(8) lgkmcnt(4)
	v_pk_fma_f32 v[168:169], v[18:19], v[192:193], v[168:169] op_sel_hi:[0,1,1] neg_lo:[1,0,0] neg_hi:[1,0,0]
	s_waitcnt vmcnt(6) lgkmcnt(3)
	v_pk_fma_f32 v[170:171], v[18:19], v[194:195], v[170:171] op_sel_hi:[0,1,1] neg_lo:[1,0,0] neg_hi:[1,0,0]
	;; [unrolled: 2-line block ×5, first 2 shown]
.LBB121_12:
	s_or_b64 exec, exec, s[2:3]
	v_cmp_eq_u32_e32 vcc, 2, v25
	s_waitcnt lgkmcnt(0)
	s_barrier
	s_and_saveexec_b64 s[2:3], vcc
	s_cbranch_execz .LBB121_15
; %bb.13:
	s_waitcnt vmcnt(58)
	ds_write_b32 v186, v19
	s_waitcnt vmcnt(56)
	ds_write2_b32 v187, v20, v21 offset0:3 offset1:4
	s_waitcnt vmcnt(54)
	ds_write2_b32 v187, v22, v23 offset0:5 offset1:6
	;; [unrolled: 2-line block ×29, first 2 shown]
	ds_read_b32 v190, v186
	s_waitcnt lgkmcnt(0)
	v_cmp_neq_f32_e32 vcc, 0, v190
	s_and_b64 exec, exec, vcc
	s_cbranch_execz .LBB121_15
; %bb.14:
	v_div_scale_f32 v191, s[4:5], v190, v190, 1.0
	v_rcp_f32_e32 v192, v191
	v_div_scale_f32 v193, vcc, 1.0, v190, 1.0
	v_fma_f32 v194, -v191, v192, 1.0
	v_fmac_f32_e32 v192, v194, v192
	v_mul_f32_e32 v194, v193, v192
	v_fma_f32 v195, -v191, v194, v193
	v_fmac_f32_e32 v194, v195, v192
	v_fma_f32 v191, -v191, v194, v193
	v_div_fmas_f32 v191, v191, v192, v194
	v_div_fixup_f32 v190, v191, v190, 1.0
	ds_write_b32 v186, v190
.LBB121_15:
	s_or_b64 exec, exec, s[2:3]
	s_waitcnt lgkmcnt(0)
	s_barrier
	ds_read_b32 v190, v186
	v_cmp_lt_u32_e32 vcc, 2, v25
	s_and_saveexec_b64 s[2:3], vcc
	s_cbranch_execz .LBB121_17
; %bb.16:
	ds_read2_b32 v[192:193], v187 offset0:3 offset1:4
	ds_read2_b32 v[194:195], v187 offset0:5 offset1:6
	;; [unrolled: 1-line block ×3, first 2 shown]
	s_waitcnt vmcnt(58) lgkmcnt(3)
	v_mul_f32_e32 v198, v190, v19
	ds_read2_b32 v[200:201], v187 offset0:9 offset1:10
	s_waitcnt vmcnt(56) lgkmcnt(3)
	v_pk_fma_f32 v[20:21], v[198:199], v[192:193], v[20:21] op_sel_hi:[0,1,1] neg_lo:[1,0,0] neg_hi:[1,0,0]
	s_waitcnt vmcnt(54) lgkmcnt(2)
	v_pk_fma_f32 v[22:23], v[198:199], v[194:195], v[22:23] op_sel_hi:[0,1,1] neg_lo:[1,0,0] neg_hi:[1,0,0]
	s_waitcnt vmcnt(52) lgkmcnt(1)
	v_pk_fma_f32 v[16:17], v[198:199], v[196:197], v[16:17] op_sel_hi:[0,1,1] neg_lo:[1,0,0] neg_hi:[1,0,0]
	ds_read2_b32 v[192:193], v187 offset0:11 offset1:12
	ds_read2_b32 v[194:195], v187 offset0:13 offset1:14
	ds_read2_b32 v[196:197], v187 offset0:15 offset1:16
	s_waitcnt vmcnt(50) lgkmcnt(3)
	v_pk_fma_f32 v[46:47], v[198:199], v[200:201], v[46:47] op_sel_hi:[0,1,1] neg_lo:[1,0,0] neg_hi:[1,0,0]
	ds_read2_b32 v[200:201], v187 offset0:17 offset1:18
	s_waitcnt vmcnt(48) lgkmcnt(3)
	v_pk_fma_f32 v[50:51], v[198:199], v[192:193], v[50:51] op_sel_hi:[0,1,1] neg_lo:[1,0,0] neg_hi:[1,0,0]
	s_waitcnt vmcnt(46) lgkmcnt(2)
	v_pk_fma_f32 v[44:45], v[198:199], v[194:195], v[44:45] op_sel_hi:[0,1,1] neg_lo:[1,0,0] neg_hi:[1,0,0]
	s_waitcnt vmcnt(44) lgkmcnt(1)
	v_pk_fma_f32 v[48:49], v[198:199], v[196:197], v[48:49] op_sel_hi:[0,1,1] neg_lo:[1,0,0] neg_hi:[1,0,0]
	ds_read2_b32 v[192:193], v187 offset0:19 offset1:20
	ds_read2_b32 v[194:195], v187 offset0:21 offset1:22
	ds_read2_b32 v[196:197], v187 offset0:23 offset1:24
	s_waitcnt vmcnt(42) lgkmcnt(3)
	v_pk_fma_f32 v[74:75], v[198:199], v[200:201], v[74:75] op_sel_hi:[0,1,1] neg_lo:[1,0,0] neg_hi:[1,0,0]
	;; [unrolled: 12-line block ×4, first 2 shown]
	ds_read2_b32 v[200:201], v187 offset0:41 offset1:42
	s_waitcnt vmcnt(24) lgkmcnt(3)
	v_pk_fma_f32 v[122:123], v[198:199], v[192:193], v[122:123] op_sel_hi:[0,1,1] neg_lo:[1,0,0] neg_hi:[1,0,0]
	s_waitcnt vmcnt(22) lgkmcnt(2)
	v_pk_fma_f32 v[116:117], v[198:199], v[194:195], v[116:117] op_sel_hi:[0,1,1] neg_lo:[1,0,0] neg_hi:[1,0,0]
	s_waitcnt vmcnt(20) lgkmcnt(1)
	v_pk_fma_f32 v[120:121], v[198:199], v[196:197], v[120:121] op_sel_hi:[0,1,1] neg_lo:[1,0,0] neg_hi:[1,0,0]
	ds_read2_b32 v[192:193], v187 offset0:43 offset1:44
	ds_read2_b32 v[194:195], v187 offset0:45 offset1:46
	;; [unrolled: 1-line block ×4, first 2 shown]
	s_waitcnt vmcnt(18) lgkmcnt(4)
	v_pk_fma_f32 v[146:147], v[198:199], v[200:201], v[146:147] op_sel_hi:[0,1,1] neg_lo:[1,0,0] neg_hi:[1,0,0]
	s_waitcnt vmcnt(16) lgkmcnt(3)
	v_pk_fma_f32 v[140:141], v[198:199], v[192:193], v[140:141] op_sel_hi:[0,1,1] neg_lo:[1,0,0] neg_hi:[1,0,0]
	;; [unrolled: 2-line block ×5, first 2 shown]
	ds_read2_b32 v[192:193], v187 offset0:51 offset1:52
	ds_read2_b32 v[194:195], v187 offset0:53 offset1:54
	ds_read2_b32 v[196:197], v187 offset0:55 offset1:56
	ds_read2_b32 v[200:201], v187 offset0:57 offset1:58
	ds_read2_b32 v[202:203], v187 offset0:59 offset1:60
	s_waitcnt vmcnt(8) lgkmcnt(4)
	v_pk_fma_f32 v[168:169], v[198:199], v[192:193], v[168:169] op_sel_hi:[0,1,1] neg_lo:[1,0,0] neg_hi:[1,0,0]
	s_waitcnt vmcnt(6) lgkmcnt(3)
	v_pk_fma_f32 v[170:171], v[198:199], v[194:195], v[170:171] op_sel_hi:[0,1,1] neg_lo:[1,0,0] neg_hi:[1,0,0]
	;; [unrolled: 2-line block ×5, first 2 shown]
	v_mov_b32_e32 v19, v198
.LBB121_17:
	s_or_b64 exec, exec, s[2:3]
	v_cmp_eq_u32_e32 vcc, 3, v25
	s_waitcnt lgkmcnt(0)
	s_barrier
	s_and_saveexec_b64 s[2:3], vcc
	s_cbranch_execz .LBB121_20
; %bb.18:
	s_waitcnt vmcnt(54)
	v_pk_mov_b32 v[192:193], v[20:21], v[22:23] op_sel:[1,0]
	ds_write_b32 v186, v20
	ds_write2_b32 v187, v192, v193 offset0:4 offset1:5
	s_waitcnt vmcnt(52)
	v_pk_mov_b32 v[192:193], v[22:23], v[16:17] op_sel:[1,0]
	ds_write2_b32 v187, v192, v193 offset0:6 offset1:7
	s_waitcnt vmcnt(50)
	v_pk_mov_b32 v[192:193], v[16:17], v[46:47] op_sel:[1,0]
	;; [unrolled: 3-line block ×27, first 2 shown]
	ds_write2_b32 v187, v192, v193 offset0:58 offset1:59
	ds_write_b32 v187, v185 offset:240
	ds_read_b32 v191, v186
	s_waitcnt lgkmcnt(0)
	v_cmp_neq_f32_e32 vcc, 0, v191
	s_and_b64 exec, exec, vcc
	s_cbranch_execz .LBB121_20
; %bb.19:
	v_div_scale_f32 v192, s[4:5], v191, v191, 1.0
	v_rcp_f32_e32 v193, v192
	v_div_scale_f32 v194, vcc, 1.0, v191, 1.0
	v_fma_f32 v195, -v192, v193, 1.0
	v_fmac_f32_e32 v193, v195, v193
	v_mul_f32_e32 v195, v194, v193
	v_fma_f32 v196, -v192, v195, v194
	v_fmac_f32_e32 v195, v196, v193
	v_fma_f32 v192, -v192, v195, v194
	v_div_fmas_f32 v192, v192, v193, v195
	v_div_fixup_f32 v191, v192, v191, 1.0
	ds_write_b32 v186, v191
.LBB121_20:
	s_or_b64 exec, exec, s[2:3]
	s_waitcnt lgkmcnt(0)
	s_barrier
	ds_read_b32 v191, v186
	v_cmp_lt_u32_e32 vcc, 3, v25
	s_and_saveexec_b64 s[2:3], vcc
	s_cbranch_execz .LBB121_22
; %bb.21:
	ds_read_b32 v198, v187 offset:16
	ds_read2_b32 v[192:193], v187 offset0:5 offset1:6
	ds_read2_b32 v[194:195], v187 offset0:7 offset1:8
	s_waitcnt vmcnt(57) lgkmcnt(3)
	v_mul_f32_e32 v20, v191, v20
	ds_read2_b32 v[196:197], v187 offset0:9 offset1:10
	s_waitcnt vmcnt(56) lgkmcnt(3)
	v_fma_f32 v21, -v20, v198, v21
	s_waitcnt vmcnt(54) lgkmcnt(2)
	v_pk_fma_f32 v[22:23], v[20:21], v[192:193], v[22:23] op_sel_hi:[0,1,1] neg_lo:[1,0,0] neg_hi:[1,0,0]
	s_waitcnt vmcnt(52) lgkmcnt(1)
	v_pk_fma_f32 v[16:17], v[20:21], v[194:195], v[16:17] op_sel_hi:[0,1,1] neg_lo:[1,0,0] neg_hi:[1,0,0]
	ds_read2_b32 v[192:193], v187 offset0:11 offset1:12
	ds_read2_b32 v[194:195], v187 offset0:13 offset1:14
	ds_read2_b32 v[198:199], v187 offset0:15 offset1:16
	s_waitcnt vmcnt(50) lgkmcnt(3)
	v_pk_fma_f32 v[46:47], v[20:21], v[196:197], v[46:47] op_sel_hi:[0,1,1] neg_lo:[1,0,0] neg_hi:[1,0,0]
	ds_read2_b32 v[196:197], v187 offset0:17 offset1:18
	s_waitcnt vmcnt(48) lgkmcnt(3)
	v_pk_fma_f32 v[50:51], v[20:21], v[192:193], v[50:51] op_sel_hi:[0,1,1] neg_lo:[1,0,0] neg_hi:[1,0,0]
	s_waitcnt vmcnt(46) lgkmcnt(2)
	v_pk_fma_f32 v[44:45], v[20:21], v[194:195], v[44:45] op_sel_hi:[0,1,1] neg_lo:[1,0,0] neg_hi:[1,0,0]
	s_waitcnt vmcnt(44) lgkmcnt(1)
	v_pk_fma_f32 v[48:49], v[20:21], v[198:199], v[48:49] op_sel_hi:[0,1,1] neg_lo:[1,0,0] neg_hi:[1,0,0]
	ds_read2_b32 v[192:193], v187 offset0:19 offset1:20
	ds_read2_b32 v[194:195], v187 offset0:21 offset1:22
	ds_read2_b32 v[198:199], v187 offset0:23 offset1:24
	s_waitcnt vmcnt(42) lgkmcnt(3)
	v_pk_fma_f32 v[74:75], v[20:21], v[196:197], v[74:75] op_sel_hi:[0,1,1] neg_lo:[1,0,0] neg_hi:[1,0,0]
	ds_read2_b32 v[196:197], v187 offset0:25 offset1:26
	s_waitcnt vmcnt(40) lgkmcnt(3)
	v_pk_fma_f32 v[68:69], v[20:21], v[192:193], v[68:69] op_sel_hi:[0,1,1] neg_lo:[1,0,0] neg_hi:[1,0,0]
	;; [unrolled: 12-line block ×4, first 2 shown]
	s_waitcnt vmcnt(22) lgkmcnt(2)
	v_pk_fma_f32 v[116:117], v[20:21], v[194:195], v[116:117] op_sel_hi:[0,1,1] neg_lo:[1,0,0] neg_hi:[1,0,0]
	s_waitcnt vmcnt(20) lgkmcnt(1)
	v_pk_fma_f32 v[120:121], v[20:21], v[198:199], v[120:121] op_sel_hi:[0,1,1] neg_lo:[1,0,0] neg_hi:[1,0,0]
	ds_read2_b32 v[192:193], v187 offset0:43 offset1:44
	ds_read2_b32 v[194:195], v187 offset0:45 offset1:46
	;; [unrolled: 1-line block ×4, first 2 shown]
	s_waitcnt vmcnt(18) lgkmcnt(4)
	v_pk_fma_f32 v[146:147], v[20:21], v[196:197], v[146:147] op_sel_hi:[0,1,1] neg_lo:[1,0,0] neg_hi:[1,0,0]
	s_waitcnt vmcnt(16) lgkmcnt(3)
	v_pk_fma_f32 v[140:141], v[20:21], v[192:193], v[140:141] op_sel_hi:[0,1,1] neg_lo:[1,0,0] neg_hi:[1,0,0]
	;; [unrolled: 2-line block ×5, first 2 shown]
	ds_read2_b32 v[192:193], v187 offset0:51 offset1:52
	ds_read2_b32 v[194:195], v187 offset0:53 offset1:54
	;; [unrolled: 1-line block ×5, first 2 shown]
	s_waitcnt vmcnt(8) lgkmcnt(4)
	v_pk_fma_f32 v[168:169], v[20:21], v[192:193], v[168:169] op_sel_hi:[0,1,1] neg_lo:[1,0,0] neg_hi:[1,0,0]
	s_waitcnt vmcnt(6) lgkmcnt(3)
	v_pk_fma_f32 v[170:171], v[20:21], v[194:195], v[170:171] op_sel_hi:[0,1,1] neg_lo:[1,0,0] neg_hi:[1,0,0]
	;; [unrolled: 2-line block ×5, first 2 shown]
.LBB121_22:
	s_or_b64 exec, exec, s[2:3]
	v_cmp_ne_u32_e32 vcc, 4, v25
	s_waitcnt lgkmcnt(0)
	s_barrier
	s_and_saveexec_b64 s[2:3], vcc
	s_xor_b64 s[2:3], exec, s[2:3]
	s_andn2_saveexec_b64 s[2:3], s[2:3]
	s_cbranch_execz .LBB121_26
; %bb.23:
	s_waitcnt vmcnt(56)
	ds_write_b32 v186, v21
	s_waitcnt vmcnt(54)
	ds_write2_b32 v187, v22, v23 offset0:5 offset1:6
	s_waitcnt vmcnt(52)
	ds_write2_b32 v187, v16, v17 offset0:7 offset1:8
	s_waitcnt vmcnt(50)
	ds_write2_b32 v187, v46, v47 offset0:9 offset1:10
	s_waitcnt vmcnt(48)
	ds_write2_b32 v187, v50, v51 offset0:11 offset1:12
	s_waitcnt vmcnt(46)
	ds_write2_b32 v187, v44, v45 offset0:13 offset1:14
	s_waitcnt vmcnt(44)
	ds_write2_b32 v187, v48, v49 offset0:15 offset1:16
	s_waitcnt vmcnt(42)
	ds_write2_b32 v187, v74, v75 offset0:17 offset1:18
	s_waitcnt vmcnt(40)
	ds_write2_b32 v187, v68, v69 offset0:19 offset1:20
	s_waitcnt vmcnt(38)
	ds_write2_b32 v187, v70, v71 offset0:21 offset1:22
	s_waitcnt vmcnt(36)
	ds_write2_b32 v187, v72, v73 offset0:23 offset1:24
	s_waitcnt vmcnt(34)
	ds_write2_b32 v187, v94, v95 offset0:25 offset1:26
	s_waitcnt vmcnt(32)
	ds_write2_b32 v187, v96, v97 offset0:27 offset1:28
	s_waitcnt vmcnt(30)
	ds_write2_b32 v187, v98, v99 offset0:29 offset1:30
	s_waitcnt vmcnt(28)
	ds_write2_b32 v187, v92, v93 offset0:31 offset1:32
	s_waitcnt vmcnt(26)
	ds_write2_b32 v187, v118, v119 offset0:33 offset1:34
	s_waitcnt vmcnt(24)
	ds_write2_b32 v187, v122, v123 offset0:35 offset1:36
	s_waitcnt vmcnt(22)
	ds_write2_b32 v187, v116, v117 offset0:37 offset1:38
	s_waitcnt vmcnt(20)
	ds_write2_b32 v187, v120, v121 offset0:39 offset1:40
	s_waitcnt vmcnt(18)
	ds_write2_b32 v187, v146, v147 offset0:41 offset1:42
	s_waitcnt vmcnt(16)
	ds_write2_b32 v187, v140, v141 offset0:43 offset1:44
	s_waitcnt vmcnt(14)
	ds_write2_b32 v187, v142, v143 offset0:45 offset1:46
	s_waitcnt vmcnt(12)
	ds_write2_b32 v187, v144, v145 offset0:47 offset1:48
	s_waitcnt vmcnt(10)
	ds_write2_b32 v187, v166, v167 offset0:49 offset1:50
	s_waitcnt vmcnt(8)
	ds_write2_b32 v187, v168, v169 offset0:51 offset1:52
	s_waitcnt vmcnt(6)
	ds_write2_b32 v187, v170, v171 offset0:53 offset1:54
	s_waitcnt vmcnt(4)
	ds_write2_b32 v187, v164, v165 offset0:55 offset1:56
	s_waitcnt vmcnt(2)
	ds_write2_b32 v187, v182, v183 offset0:57 offset1:58
	s_waitcnt vmcnt(0)
	ds_write2_b32 v187, v184, v185 offset0:59 offset1:60
	ds_read_b32 v192, v186
	s_waitcnt lgkmcnt(0)
	v_cmp_neq_f32_e32 vcc, 0, v192
	s_and_saveexec_b64 s[4:5], vcc
	s_cbranch_execz .LBB121_25
; %bb.24:
	v_div_scale_f32 v193, s[10:11], v192, v192, 1.0
	v_rcp_f32_e32 v194, v193
	v_div_scale_f32 v195, vcc, 1.0, v192, 1.0
	v_fma_f32 v196, -v193, v194, 1.0
	v_fmac_f32_e32 v194, v196, v194
	v_mul_f32_e32 v196, v195, v194
	v_fma_f32 v197, -v193, v196, v195
	v_fmac_f32_e32 v196, v197, v194
	v_fma_f32 v193, -v193, v196, v195
	v_div_fmas_f32 v193, v193, v194, v196
	v_div_fixup_f32 v192, v193, v192, 1.0
	ds_write_b32 v186, v192
.LBB121_25:
	s_or_b64 exec, exec, s[4:5]
.LBB121_26:
	s_or_b64 exec, exec, s[2:3]
	s_waitcnt lgkmcnt(0)
	s_barrier
	ds_read_b32 v192, v186
	v_cmp_lt_u32_e32 vcc, 4, v25
	s_and_saveexec_b64 s[2:3], vcc
	s_cbranch_execz .LBB121_28
; %bb.27:
	ds_read2_b32 v[194:195], v187 offset0:5 offset1:6
	ds_read2_b32 v[196:197], v187 offset0:7 offset1:8
	;; [unrolled: 1-line block ×3, first 2 shown]
	s_waitcnt vmcnt(56) lgkmcnt(3)
	v_mul_f32_e32 v200, v192, v21
	ds_read2_b32 v[202:203], v187 offset0:11 offset1:12
	s_waitcnt vmcnt(54) lgkmcnt(3)
	v_pk_fma_f32 v[22:23], v[200:201], v[194:195], v[22:23] op_sel_hi:[0,1,1] neg_lo:[1,0,0] neg_hi:[1,0,0]
	s_waitcnt vmcnt(52) lgkmcnt(2)
	v_pk_fma_f32 v[16:17], v[200:201], v[196:197], v[16:17] op_sel_hi:[0,1,1] neg_lo:[1,0,0] neg_hi:[1,0,0]
	s_waitcnt vmcnt(50) lgkmcnt(1)
	v_pk_fma_f32 v[46:47], v[200:201], v[198:199], v[46:47] op_sel_hi:[0,1,1] neg_lo:[1,0,0] neg_hi:[1,0,0]
	ds_read2_b32 v[194:195], v187 offset0:13 offset1:14
	ds_read2_b32 v[196:197], v187 offset0:15 offset1:16
	ds_read2_b32 v[198:199], v187 offset0:17 offset1:18
	s_waitcnt vmcnt(48) lgkmcnt(3)
	v_pk_fma_f32 v[50:51], v[200:201], v[202:203], v[50:51] op_sel_hi:[0,1,1] neg_lo:[1,0,0] neg_hi:[1,0,0]
	ds_read2_b32 v[202:203], v187 offset0:19 offset1:20
	s_waitcnt vmcnt(46) lgkmcnt(3)
	v_pk_fma_f32 v[44:45], v[200:201], v[194:195], v[44:45] op_sel_hi:[0,1,1] neg_lo:[1,0,0] neg_hi:[1,0,0]
	s_waitcnt vmcnt(44) lgkmcnt(2)
	v_pk_fma_f32 v[48:49], v[200:201], v[196:197], v[48:49] op_sel_hi:[0,1,1] neg_lo:[1,0,0] neg_hi:[1,0,0]
	s_waitcnt vmcnt(42) lgkmcnt(1)
	v_pk_fma_f32 v[74:75], v[200:201], v[198:199], v[74:75] op_sel_hi:[0,1,1] neg_lo:[1,0,0] neg_hi:[1,0,0]
	ds_read2_b32 v[194:195], v187 offset0:21 offset1:22
	ds_read2_b32 v[196:197], v187 offset0:23 offset1:24
	ds_read2_b32 v[198:199], v187 offset0:25 offset1:26
	s_waitcnt vmcnt(40) lgkmcnt(3)
	v_pk_fma_f32 v[68:69], v[200:201], v[202:203], v[68:69] op_sel_hi:[0,1,1] neg_lo:[1,0,0] neg_hi:[1,0,0]
	;; [unrolled: 12-line block ×5, first 2 shown]
	ds_read2_b32 v[202:203], v187 offset0:51 offset1:52
	s_waitcnt vmcnt(14) lgkmcnt(3)
	v_pk_fma_f32 v[142:143], v[200:201], v[194:195], v[142:143] op_sel_hi:[0,1,1] neg_lo:[1,0,0] neg_hi:[1,0,0]
	s_waitcnt vmcnt(12) lgkmcnt(2)
	v_pk_fma_f32 v[144:145], v[200:201], v[196:197], v[144:145] op_sel_hi:[0,1,1] neg_lo:[1,0,0] neg_hi:[1,0,0]
	;; [unrolled: 2-line block ×3, first 2 shown]
	ds_read2_b32 v[194:195], v187 offset0:53 offset1:54
	ds_read2_b32 v[196:197], v187 offset0:55 offset1:56
	ds_read2_b32 v[198:199], v187 offset0:57 offset1:58
	ds_read2_b32 v[204:205], v187 offset0:59 offset1:60
	s_waitcnt vmcnt(8) lgkmcnt(4)
	v_pk_fma_f32 v[168:169], v[200:201], v[202:203], v[168:169] op_sel_hi:[0,1,1] neg_lo:[1,0,0] neg_hi:[1,0,0]
	s_waitcnt vmcnt(6) lgkmcnt(3)
	v_pk_fma_f32 v[170:171], v[200:201], v[194:195], v[170:171] op_sel_hi:[0,1,1] neg_lo:[1,0,0] neg_hi:[1,0,0]
	;; [unrolled: 2-line block ×5, first 2 shown]
	v_mov_b32_e32 v21, v200
.LBB121_28:
	s_or_b64 exec, exec, s[2:3]
	v_cmp_eq_u32_e32 vcc, 5, v25
	s_waitcnt lgkmcnt(0)
	s_barrier
	s_and_saveexec_b64 s[2:3], vcc
	s_cbranch_execz .LBB121_31
; %bb.29:
	s_waitcnt vmcnt(52)
	v_pk_mov_b32 v[194:195], v[22:23], v[16:17] op_sel:[1,0]
	ds_write_b32 v186, v22
	ds_write2_b32 v187, v194, v195 offset0:6 offset1:7
	s_waitcnt vmcnt(50)
	v_pk_mov_b32 v[194:195], v[16:17], v[46:47] op_sel:[1,0]
	ds_write2_b32 v187, v194, v195 offset0:8 offset1:9
	s_waitcnt vmcnt(48)
	v_pk_mov_b32 v[194:195], v[46:47], v[50:51] op_sel:[1,0]
	;; [unrolled: 3-line block ×26, first 2 shown]
	ds_write2_b32 v187, v194, v195 offset0:58 offset1:59
	ds_write_b32 v187, v185 offset:240
	ds_read_b32 v193, v186
	s_waitcnt lgkmcnt(0)
	v_cmp_neq_f32_e32 vcc, 0, v193
	s_and_b64 exec, exec, vcc
	s_cbranch_execz .LBB121_31
; %bb.30:
	v_div_scale_f32 v194, s[4:5], v193, v193, 1.0
	v_rcp_f32_e32 v195, v194
	v_div_scale_f32 v196, vcc, 1.0, v193, 1.0
	v_fma_f32 v197, -v194, v195, 1.0
	v_fmac_f32_e32 v195, v197, v195
	v_mul_f32_e32 v197, v196, v195
	v_fma_f32 v198, -v194, v197, v196
	v_fmac_f32_e32 v197, v198, v195
	v_fma_f32 v194, -v194, v197, v196
	v_div_fmas_f32 v194, v194, v195, v197
	v_div_fixup_f32 v193, v194, v193, 1.0
	ds_write_b32 v186, v193
.LBB121_31:
	s_or_b64 exec, exec, s[2:3]
	s_waitcnt lgkmcnt(0)
	s_barrier
	ds_read_b32 v193, v186
	v_cmp_lt_u32_e32 vcc, 5, v25
	s_and_saveexec_b64 s[2:3], vcc
	s_cbranch_execz .LBB121_33
; %bb.32:
	ds_read_b32 v200, v187 offset:24
	ds_read2_b32 v[194:195], v187 offset0:7 offset1:8
	ds_read2_b32 v[196:197], v187 offset0:9 offset1:10
	s_waitcnt vmcnt(55) lgkmcnt(3)
	v_mul_f32_e32 v22, v193, v22
	ds_read2_b32 v[198:199], v187 offset0:11 offset1:12
	s_waitcnt vmcnt(54) lgkmcnt(3)
	v_fma_f32 v23, -v22, v200, v23
	s_waitcnt vmcnt(52) lgkmcnt(2)
	v_pk_fma_f32 v[16:17], v[22:23], v[194:195], v[16:17] op_sel_hi:[0,1,1] neg_lo:[1,0,0] neg_hi:[1,0,0]
	s_waitcnt vmcnt(50) lgkmcnt(1)
	v_pk_fma_f32 v[46:47], v[22:23], v[196:197], v[46:47] op_sel_hi:[0,1,1] neg_lo:[1,0,0] neg_hi:[1,0,0]
	ds_read2_b32 v[194:195], v187 offset0:13 offset1:14
	ds_read2_b32 v[196:197], v187 offset0:15 offset1:16
	ds_read2_b32 v[200:201], v187 offset0:17 offset1:18
	s_waitcnt vmcnt(48) lgkmcnt(3)
	v_pk_fma_f32 v[50:51], v[22:23], v[198:199], v[50:51] op_sel_hi:[0,1,1] neg_lo:[1,0,0] neg_hi:[1,0,0]
	ds_read2_b32 v[198:199], v187 offset0:19 offset1:20
	s_waitcnt vmcnt(46) lgkmcnt(3)
	v_pk_fma_f32 v[44:45], v[22:23], v[194:195], v[44:45] op_sel_hi:[0,1,1] neg_lo:[1,0,0] neg_hi:[1,0,0]
	s_waitcnt vmcnt(44) lgkmcnt(2)
	v_pk_fma_f32 v[48:49], v[22:23], v[196:197], v[48:49] op_sel_hi:[0,1,1] neg_lo:[1,0,0] neg_hi:[1,0,0]
	s_waitcnt vmcnt(42) lgkmcnt(1)
	v_pk_fma_f32 v[74:75], v[22:23], v[200:201], v[74:75] op_sel_hi:[0,1,1] neg_lo:[1,0,0] neg_hi:[1,0,0]
	ds_read2_b32 v[194:195], v187 offset0:21 offset1:22
	ds_read2_b32 v[196:197], v187 offset0:23 offset1:24
	ds_read2_b32 v[200:201], v187 offset0:25 offset1:26
	s_waitcnt vmcnt(40) lgkmcnt(3)
	v_pk_fma_f32 v[68:69], v[22:23], v[198:199], v[68:69] op_sel_hi:[0,1,1] neg_lo:[1,0,0] neg_hi:[1,0,0]
	ds_read2_b32 v[198:199], v187 offset0:27 offset1:28
	s_waitcnt vmcnt(38) lgkmcnt(3)
	v_pk_fma_f32 v[70:71], v[22:23], v[194:195], v[70:71] op_sel_hi:[0,1,1] neg_lo:[1,0,0] neg_hi:[1,0,0]
	;; [unrolled: 12-line block ×5, first 2 shown]
	s_waitcnt vmcnt(12) lgkmcnt(2)
	v_pk_fma_f32 v[144:145], v[22:23], v[196:197], v[144:145] op_sel_hi:[0,1,1] neg_lo:[1,0,0] neg_hi:[1,0,0]
	s_waitcnt vmcnt(10) lgkmcnt(1)
	v_pk_fma_f32 v[166:167], v[22:23], v[200:201], v[166:167] op_sel_hi:[0,1,1] neg_lo:[1,0,0] neg_hi:[1,0,0]
	ds_read2_b32 v[194:195], v187 offset0:53 offset1:54
	ds_read2_b32 v[196:197], v187 offset0:55 offset1:56
	;; [unrolled: 1-line block ×4, first 2 shown]
	s_waitcnt vmcnt(8) lgkmcnt(4)
	v_pk_fma_f32 v[168:169], v[22:23], v[198:199], v[168:169] op_sel_hi:[0,1,1] neg_lo:[1,0,0] neg_hi:[1,0,0]
	s_waitcnt vmcnt(6) lgkmcnt(3)
	v_pk_fma_f32 v[170:171], v[22:23], v[194:195], v[170:171] op_sel_hi:[0,1,1] neg_lo:[1,0,0] neg_hi:[1,0,0]
	;; [unrolled: 2-line block ×5, first 2 shown]
.LBB121_33:
	s_or_b64 exec, exec, s[2:3]
	v_cmp_ne_u32_e32 vcc, 6, v25
	s_waitcnt lgkmcnt(0)
	s_barrier
	s_and_saveexec_b64 s[2:3], vcc
	s_xor_b64 s[2:3], exec, s[2:3]
	s_andn2_saveexec_b64 s[2:3], s[2:3]
	s_cbranch_execz .LBB121_37
; %bb.34:
	s_waitcnt vmcnt(54)
	ds_write_b32 v186, v23
	s_waitcnt vmcnt(52)
	ds_write2_b32 v187, v16, v17 offset0:7 offset1:8
	s_waitcnt vmcnt(50)
	ds_write2_b32 v187, v46, v47 offset0:9 offset1:10
	;; [unrolled: 2-line block ×27, first 2 shown]
	ds_read_b32 v194, v186
	s_waitcnt lgkmcnt(0)
	v_cmp_neq_f32_e32 vcc, 0, v194
	s_and_saveexec_b64 s[4:5], vcc
	s_cbranch_execz .LBB121_36
; %bb.35:
	v_div_scale_f32 v195, s[10:11], v194, v194, 1.0
	v_rcp_f32_e32 v196, v195
	v_div_scale_f32 v197, vcc, 1.0, v194, 1.0
	v_fma_f32 v198, -v195, v196, 1.0
	v_fmac_f32_e32 v196, v198, v196
	v_mul_f32_e32 v198, v197, v196
	v_fma_f32 v199, -v195, v198, v197
	v_fmac_f32_e32 v198, v199, v196
	v_fma_f32 v195, -v195, v198, v197
	v_div_fmas_f32 v195, v195, v196, v198
	v_div_fixup_f32 v194, v195, v194, 1.0
	ds_write_b32 v186, v194
.LBB121_36:
	s_or_b64 exec, exec, s[4:5]
.LBB121_37:
	s_or_b64 exec, exec, s[2:3]
	s_waitcnt lgkmcnt(0)
	s_barrier
	ds_read_b32 v194, v186
	v_cmp_lt_u32_e32 vcc, 6, v25
	s_and_saveexec_b64 s[2:3], vcc
	s_cbranch_execz .LBB121_39
; %bb.38:
	ds_read2_b32 v[196:197], v187 offset0:7 offset1:8
	ds_read2_b32 v[198:199], v187 offset0:9 offset1:10
	;; [unrolled: 1-line block ×3, first 2 shown]
	s_waitcnt vmcnt(54) lgkmcnt(3)
	v_mul_f32_e32 v202, v194, v23
	ds_read2_b32 v[204:205], v187 offset0:13 offset1:14
	s_waitcnt vmcnt(52) lgkmcnt(3)
	v_pk_fma_f32 v[16:17], v[202:203], v[196:197], v[16:17] op_sel_hi:[0,1,1] neg_lo:[1,0,0] neg_hi:[1,0,0]
	s_waitcnt vmcnt(50) lgkmcnt(2)
	v_pk_fma_f32 v[46:47], v[202:203], v[198:199], v[46:47] op_sel_hi:[0,1,1] neg_lo:[1,0,0] neg_hi:[1,0,0]
	s_waitcnt vmcnt(48) lgkmcnt(1)
	v_pk_fma_f32 v[50:51], v[202:203], v[200:201], v[50:51] op_sel_hi:[0,1,1] neg_lo:[1,0,0] neg_hi:[1,0,0]
	ds_read2_b32 v[196:197], v187 offset0:15 offset1:16
	ds_read2_b32 v[198:199], v187 offset0:17 offset1:18
	ds_read2_b32 v[200:201], v187 offset0:19 offset1:20
	s_waitcnt vmcnt(46) lgkmcnt(3)
	v_pk_fma_f32 v[44:45], v[202:203], v[204:205], v[44:45] op_sel_hi:[0,1,1] neg_lo:[1,0,0] neg_hi:[1,0,0]
	ds_read2_b32 v[204:205], v187 offset0:21 offset1:22
	s_waitcnt vmcnt(44) lgkmcnt(3)
	v_pk_fma_f32 v[48:49], v[202:203], v[196:197], v[48:49] op_sel_hi:[0,1,1] neg_lo:[1,0,0] neg_hi:[1,0,0]
	s_waitcnt vmcnt(42) lgkmcnt(2)
	v_pk_fma_f32 v[74:75], v[202:203], v[198:199], v[74:75] op_sel_hi:[0,1,1] neg_lo:[1,0,0] neg_hi:[1,0,0]
	s_waitcnt vmcnt(40) lgkmcnt(1)
	v_pk_fma_f32 v[68:69], v[202:203], v[200:201], v[68:69] op_sel_hi:[0,1,1] neg_lo:[1,0,0] neg_hi:[1,0,0]
	ds_read2_b32 v[196:197], v187 offset0:23 offset1:24
	ds_read2_b32 v[198:199], v187 offset0:25 offset1:26
	ds_read2_b32 v[200:201], v187 offset0:27 offset1:28
	s_waitcnt vmcnt(38) lgkmcnt(3)
	v_pk_fma_f32 v[70:71], v[202:203], v[204:205], v[70:71] op_sel_hi:[0,1,1] neg_lo:[1,0,0] neg_hi:[1,0,0]
	;; [unrolled: 12-line block ×4, first 2 shown]
	ds_read2_b32 v[204:205], v187 offset0:45 offset1:46
	s_waitcnt vmcnt(20) lgkmcnt(3)
	v_pk_fma_f32 v[120:121], v[202:203], v[196:197], v[120:121] op_sel_hi:[0,1,1] neg_lo:[1,0,0] neg_hi:[1,0,0]
	s_waitcnt vmcnt(18) lgkmcnt(2)
	v_pk_fma_f32 v[146:147], v[202:203], v[198:199], v[146:147] op_sel_hi:[0,1,1] neg_lo:[1,0,0] neg_hi:[1,0,0]
	ds_read2_b32 v[196:197], v187 offset0:47 offset1:48
	ds_read2_b32 v[198:199], v187 offset0:49 offset1:50
	s_waitcnt vmcnt(16) lgkmcnt(3)
	v_pk_fma_f32 v[140:141], v[202:203], v[200:201], v[140:141] op_sel_hi:[0,1,1] neg_lo:[1,0,0] neg_hi:[1,0,0]
	s_waitcnt vmcnt(14) lgkmcnt(2)
	v_pk_fma_f32 v[142:143], v[202:203], v[204:205], v[142:143] op_sel_hi:[0,1,1] neg_lo:[1,0,0] neg_hi:[1,0,0]
	ds_read2_b32 v[200:201], v187 offset0:51 offset1:52
	;; [unrolled: 6-line block ×3, first 2 shown]
	ds_read2_b32 v[198:199], v187 offset0:57 offset1:58
	ds_read2_b32 v[206:207], v187 offset0:59 offset1:60
	s_waitcnt vmcnt(8) lgkmcnt(4)
	v_pk_fma_f32 v[168:169], v[202:203], v[200:201], v[168:169] op_sel_hi:[0,1,1] neg_lo:[1,0,0] neg_hi:[1,0,0]
	s_waitcnt vmcnt(6) lgkmcnt(3)
	v_pk_fma_f32 v[170:171], v[202:203], v[204:205], v[170:171] op_sel_hi:[0,1,1] neg_lo:[1,0,0] neg_hi:[1,0,0]
	;; [unrolled: 2-line block ×5, first 2 shown]
	v_mov_b32_e32 v23, v202
.LBB121_39:
	s_or_b64 exec, exec, s[2:3]
	v_cmp_eq_u32_e32 vcc, 7, v25
	s_waitcnt lgkmcnt(0)
	s_barrier
	s_and_saveexec_b64 s[2:3], vcc
	s_cbranch_execz .LBB121_42
; %bb.40:
	s_waitcnt vmcnt(50)
	v_pk_mov_b32 v[196:197], v[16:17], v[46:47] op_sel:[1,0]
	ds_write_b32 v186, v16
	ds_write2_b32 v187, v196, v197 offset0:8 offset1:9
	s_waitcnt vmcnt(48)
	v_pk_mov_b32 v[196:197], v[46:47], v[50:51] op_sel:[1,0]
	ds_write2_b32 v187, v196, v197 offset0:10 offset1:11
	s_waitcnt vmcnt(46)
	v_pk_mov_b32 v[196:197], v[50:51], v[44:45] op_sel:[1,0]
	ds_write2_b32 v187, v196, v197 offset0:12 offset1:13
	s_waitcnt vmcnt(44)
	v_pk_mov_b32 v[196:197], v[44:45], v[48:49] op_sel:[1,0]
	ds_write2_b32 v187, v196, v197 offset0:14 offset1:15
	s_waitcnt vmcnt(42)
	v_pk_mov_b32 v[196:197], v[48:49], v[74:75] op_sel:[1,0]
	ds_write2_b32 v187, v196, v197 offset0:16 offset1:17
	s_waitcnt vmcnt(40)
	v_pk_mov_b32 v[196:197], v[74:75], v[68:69] op_sel:[1,0]
	ds_write2_b32 v187, v196, v197 offset0:18 offset1:19
	s_waitcnt vmcnt(38)
	v_pk_mov_b32 v[196:197], v[68:69], v[70:71] op_sel:[1,0]
	ds_write2_b32 v187, v196, v197 offset0:20 offset1:21
	s_waitcnt vmcnt(36)
	v_pk_mov_b32 v[196:197], v[70:71], v[72:73] op_sel:[1,0]
	ds_write2_b32 v187, v196, v197 offset0:22 offset1:23
	s_waitcnt vmcnt(34)
	v_pk_mov_b32 v[196:197], v[72:73], v[94:95] op_sel:[1,0]
	ds_write2_b32 v187, v196, v197 offset0:24 offset1:25
	s_waitcnt vmcnt(32)
	v_pk_mov_b32 v[196:197], v[94:95], v[96:97] op_sel:[1,0]
	ds_write2_b32 v187, v196, v197 offset0:26 offset1:27
	s_waitcnt vmcnt(30)
	v_pk_mov_b32 v[196:197], v[96:97], v[98:99] op_sel:[1,0]
	ds_write2_b32 v187, v196, v197 offset0:28 offset1:29
	s_waitcnt vmcnt(28)
	v_pk_mov_b32 v[196:197], v[98:99], v[92:93] op_sel:[1,0]
	ds_write2_b32 v187, v196, v197 offset0:30 offset1:31
	s_waitcnt vmcnt(26)
	v_pk_mov_b32 v[196:197], v[92:93], v[118:119] op_sel:[1,0]
	ds_write2_b32 v187, v196, v197 offset0:32 offset1:33
	s_waitcnt vmcnt(24)
	v_pk_mov_b32 v[196:197], v[118:119], v[122:123] op_sel:[1,0]
	ds_write2_b32 v187, v196, v197 offset0:34 offset1:35
	s_waitcnt vmcnt(22)
	v_pk_mov_b32 v[196:197], v[122:123], v[116:117] op_sel:[1,0]
	ds_write2_b32 v187, v196, v197 offset0:36 offset1:37
	s_waitcnt vmcnt(20)
	v_pk_mov_b32 v[196:197], v[116:117], v[120:121] op_sel:[1,0]
	ds_write2_b32 v187, v196, v197 offset0:38 offset1:39
	s_waitcnt vmcnt(18)
	v_pk_mov_b32 v[196:197], v[120:121], v[146:147] op_sel:[1,0]
	ds_write2_b32 v187, v196, v197 offset0:40 offset1:41
	s_waitcnt vmcnt(16)
	v_pk_mov_b32 v[196:197], v[146:147], v[140:141] op_sel:[1,0]
	ds_write2_b32 v187, v196, v197 offset0:42 offset1:43
	s_waitcnt vmcnt(14)
	v_pk_mov_b32 v[196:197], v[140:141], v[142:143] op_sel:[1,0]
	ds_write2_b32 v187, v196, v197 offset0:44 offset1:45
	s_waitcnt vmcnt(12)
	v_pk_mov_b32 v[196:197], v[142:143], v[144:145] op_sel:[1,0]
	ds_write2_b32 v187, v196, v197 offset0:46 offset1:47
	s_waitcnt vmcnt(10)
	v_pk_mov_b32 v[196:197], v[144:145], v[166:167] op_sel:[1,0]
	ds_write2_b32 v187, v196, v197 offset0:48 offset1:49
	s_waitcnt vmcnt(8)
	v_pk_mov_b32 v[196:197], v[166:167], v[168:169] op_sel:[1,0]
	ds_write2_b32 v187, v196, v197 offset0:50 offset1:51
	s_waitcnt vmcnt(6)
	v_pk_mov_b32 v[196:197], v[168:169], v[170:171] op_sel:[1,0]
	ds_write2_b32 v187, v196, v197 offset0:52 offset1:53
	s_waitcnt vmcnt(4)
	v_pk_mov_b32 v[196:197], v[170:171], v[164:165] op_sel:[1,0]
	ds_write2_b32 v187, v196, v197 offset0:54 offset1:55
	s_waitcnt vmcnt(2)
	v_pk_mov_b32 v[196:197], v[164:165], v[182:183] op_sel:[1,0]
	ds_write2_b32 v187, v196, v197 offset0:56 offset1:57
	s_waitcnt vmcnt(0)
	v_pk_mov_b32 v[196:197], v[182:183], v[184:185] op_sel:[1,0]
	ds_write2_b32 v187, v196, v197 offset0:58 offset1:59
	ds_write_b32 v187, v185 offset:240
	ds_read_b32 v195, v186
	s_waitcnt lgkmcnt(0)
	v_cmp_neq_f32_e32 vcc, 0, v195
	s_and_b64 exec, exec, vcc
	s_cbranch_execz .LBB121_42
; %bb.41:
	v_div_scale_f32 v196, s[4:5], v195, v195, 1.0
	v_rcp_f32_e32 v197, v196
	v_div_scale_f32 v198, vcc, 1.0, v195, 1.0
	v_fma_f32 v199, -v196, v197, 1.0
	v_fmac_f32_e32 v197, v199, v197
	v_mul_f32_e32 v199, v198, v197
	v_fma_f32 v200, -v196, v199, v198
	v_fmac_f32_e32 v199, v200, v197
	v_fma_f32 v196, -v196, v199, v198
	v_div_fmas_f32 v196, v196, v197, v199
	v_div_fixup_f32 v195, v196, v195, 1.0
	ds_write_b32 v186, v195
.LBB121_42:
	s_or_b64 exec, exec, s[2:3]
	s_waitcnt lgkmcnt(0)
	s_barrier
	ds_read_b32 v195, v186
	v_cmp_lt_u32_e32 vcc, 7, v25
	s_and_saveexec_b64 s[2:3], vcc
	s_cbranch_execz .LBB121_44
; %bb.43:
	ds_read_b32 v202, v187 offset:32
	ds_read2_b32 v[196:197], v187 offset0:9 offset1:10
	ds_read2_b32 v[198:199], v187 offset0:11 offset1:12
	s_waitcnt vmcnt(53) lgkmcnt(3)
	v_mul_f32_e32 v16, v195, v16
	ds_read2_b32 v[200:201], v187 offset0:13 offset1:14
	s_waitcnt vmcnt(52) lgkmcnt(3)
	v_fma_f32 v17, -v16, v202, v17
	s_waitcnt vmcnt(50) lgkmcnt(2)
	v_pk_fma_f32 v[46:47], v[16:17], v[196:197], v[46:47] op_sel_hi:[0,1,1] neg_lo:[1,0,0] neg_hi:[1,0,0]
	s_waitcnt vmcnt(48) lgkmcnt(1)
	v_pk_fma_f32 v[50:51], v[16:17], v[198:199], v[50:51] op_sel_hi:[0,1,1] neg_lo:[1,0,0] neg_hi:[1,0,0]
	ds_read2_b32 v[196:197], v187 offset0:15 offset1:16
	ds_read2_b32 v[198:199], v187 offset0:17 offset1:18
	ds_read2_b32 v[202:203], v187 offset0:19 offset1:20
	s_waitcnt vmcnt(46) lgkmcnt(3)
	v_pk_fma_f32 v[44:45], v[16:17], v[200:201], v[44:45] op_sel_hi:[0,1,1] neg_lo:[1,0,0] neg_hi:[1,0,0]
	ds_read2_b32 v[200:201], v187 offset0:21 offset1:22
	s_waitcnt vmcnt(44) lgkmcnt(3)
	v_pk_fma_f32 v[48:49], v[16:17], v[196:197], v[48:49] op_sel_hi:[0,1,1] neg_lo:[1,0,0] neg_hi:[1,0,0]
	s_waitcnt vmcnt(42) lgkmcnt(2)
	v_pk_fma_f32 v[74:75], v[16:17], v[198:199], v[74:75] op_sel_hi:[0,1,1] neg_lo:[1,0,0] neg_hi:[1,0,0]
	s_waitcnt vmcnt(40) lgkmcnt(1)
	v_pk_fma_f32 v[68:69], v[16:17], v[202:203], v[68:69] op_sel_hi:[0,1,1] neg_lo:[1,0,0] neg_hi:[1,0,0]
	ds_read2_b32 v[196:197], v187 offset0:23 offset1:24
	ds_read2_b32 v[198:199], v187 offset0:25 offset1:26
	ds_read2_b32 v[202:203], v187 offset0:27 offset1:28
	s_waitcnt vmcnt(38) lgkmcnt(3)
	v_pk_fma_f32 v[70:71], v[16:17], v[200:201], v[70:71] op_sel_hi:[0,1,1] neg_lo:[1,0,0] neg_hi:[1,0,0]
	ds_read2_b32 v[200:201], v187 offset0:29 offset1:30
	s_waitcnt vmcnt(36) lgkmcnt(3)
	v_pk_fma_f32 v[72:73], v[16:17], v[196:197], v[72:73] op_sel_hi:[0,1,1] neg_lo:[1,0,0] neg_hi:[1,0,0]
	;; [unrolled: 12-line block ×4, first 2 shown]
	s_waitcnt vmcnt(18) lgkmcnt(2)
	v_pk_fma_f32 v[146:147], v[16:17], v[198:199], v[146:147] op_sel_hi:[0,1,1] neg_lo:[1,0,0] neg_hi:[1,0,0]
	ds_read2_b32 v[196:197], v187 offset0:47 offset1:48
	ds_read2_b32 v[198:199], v187 offset0:49 offset1:50
	s_waitcnt vmcnt(16) lgkmcnt(3)
	v_pk_fma_f32 v[140:141], v[16:17], v[202:203], v[140:141] op_sel_hi:[0,1,1] neg_lo:[1,0,0] neg_hi:[1,0,0]
	s_waitcnt vmcnt(14) lgkmcnt(2)
	v_pk_fma_f32 v[142:143], v[16:17], v[200:201], v[142:143] op_sel_hi:[0,1,1] neg_lo:[1,0,0] neg_hi:[1,0,0]
	ds_read2_b32 v[200:201], v187 offset0:51 offset1:52
	ds_read2_b32 v[202:203], v187 offset0:53 offset1:54
	s_waitcnt vmcnt(12) lgkmcnt(3)
	v_pk_fma_f32 v[144:145], v[16:17], v[196:197], v[144:145] op_sel_hi:[0,1,1] neg_lo:[1,0,0] neg_hi:[1,0,0]
	s_waitcnt vmcnt(10) lgkmcnt(2)
	v_pk_fma_f32 v[166:167], v[16:17], v[198:199], v[166:167] op_sel_hi:[0,1,1] neg_lo:[1,0,0] neg_hi:[1,0,0]
	ds_read2_b32 v[196:197], v187 offset0:55 offset1:56
	ds_read2_b32 v[198:199], v187 offset0:57 offset1:58
	;; [unrolled: 1-line block ×3, first 2 shown]
	s_waitcnt vmcnt(8) lgkmcnt(4)
	v_pk_fma_f32 v[168:169], v[16:17], v[200:201], v[168:169] op_sel_hi:[0,1,1] neg_lo:[1,0,0] neg_hi:[1,0,0]
	s_waitcnt vmcnt(6) lgkmcnt(3)
	v_pk_fma_f32 v[170:171], v[16:17], v[202:203], v[170:171] op_sel_hi:[0,1,1] neg_lo:[1,0,0] neg_hi:[1,0,0]
	;; [unrolled: 2-line block ×5, first 2 shown]
.LBB121_44:
	s_or_b64 exec, exec, s[2:3]
	v_cmp_ne_u32_e32 vcc, 8, v25
	s_waitcnt lgkmcnt(0)
	s_barrier
	s_and_saveexec_b64 s[2:3], vcc
	s_xor_b64 s[2:3], exec, s[2:3]
	s_andn2_saveexec_b64 s[2:3], s[2:3]
	s_cbranch_execz .LBB121_48
; %bb.45:
	s_waitcnt vmcnt(52)
	ds_write_b32 v186, v17
	s_waitcnt vmcnt(50)
	ds_write2_b32 v187, v46, v47 offset0:9 offset1:10
	s_waitcnt vmcnt(48)
	ds_write2_b32 v187, v50, v51 offset0:11 offset1:12
	;; [unrolled: 2-line block ×26, first 2 shown]
	ds_read_b32 v196, v186
	s_waitcnt lgkmcnt(0)
	v_cmp_neq_f32_e32 vcc, 0, v196
	s_and_saveexec_b64 s[4:5], vcc
	s_cbranch_execz .LBB121_47
; %bb.46:
	v_div_scale_f32 v197, s[10:11], v196, v196, 1.0
	v_rcp_f32_e32 v198, v197
	v_div_scale_f32 v199, vcc, 1.0, v196, 1.0
	v_fma_f32 v200, -v197, v198, 1.0
	v_fmac_f32_e32 v198, v200, v198
	v_mul_f32_e32 v200, v199, v198
	v_fma_f32 v201, -v197, v200, v199
	v_fmac_f32_e32 v200, v201, v198
	v_fma_f32 v197, -v197, v200, v199
	v_div_fmas_f32 v197, v197, v198, v200
	v_div_fixup_f32 v196, v197, v196, 1.0
	ds_write_b32 v186, v196
.LBB121_47:
	s_or_b64 exec, exec, s[4:5]
.LBB121_48:
	s_or_b64 exec, exec, s[2:3]
	s_waitcnt lgkmcnt(0)
	s_barrier
	ds_read_b32 v196, v186
	v_cmp_lt_u32_e32 vcc, 8, v25
	s_and_saveexec_b64 s[2:3], vcc
	s_cbranch_execz .LBB121_50
; %bb.49:
	ds_read2_b32 v[198:199], v187 offset0:9 offset1:10
	ds_read2_b32 v[200:201], v187 offset0:11 offset1:12
	;; [unrolled: 1-line block ×4, first 2 shown]
	s_waitcnt vmcnt(52) lgkmcnt(4)
	v_mul_f32_e32 v204, v196, v17
	s_waitcnt vmcnt(50) lgkmcnt(3)
	v_pk_fma_f32 v[46:47], v[204:205], v[198:199], v[46:47] op_sel_hi:[0,1,1] neg_lo:[1,0,0] neg_hi:[1,0,0]
	s_waitcnt vmcnt(48) lgkmcnt(2)
	v_pk_fma_f32 v[50:51], v[204:205], v[200:201], v[50:51] op_sel_hi:[0,1,1] neg_lo:[1,0,0] neg_hi:[1,0,0]
	s_waitcnt vmcnt(46) lgkmcnt(1)
	v_pk_fma_f32 v[44:45], v[204:205], v[202:203], v[44:45] op_sel_hi:[0,1,1] neg_lo:[1,0,0] neg_hi:[1,0,0]
	ds_read2_b32 v[198:199], v187 offset0:17 offset1:18
	ds_read2_b32 v[200:201], v187 offset0:19 offset1:20
	ds_read2_b32 v[202:203], v187 offset0:21 offset1:22
	s_waitcnt vmcnt(44) lgkmcnt(3)
	v_pk_fma_f32 v[48:49], v[204:205], v[206:207], v[48:49] op_sel_hi:[0,1,1] neg_lo:[1,0,0] neg_hi:[1,0,0]
	ds_read2_b32 v[206:207], v187 offset0:23 offset1:24
	s_waitcnt vmcnt(42) lgkmcnt(3)
	v_pk_fma_f32 v[74:75], v[204:205], v[198:199], v[74:75] op_sel_hi:[0,1,1] neg_lo:[1,0,0] neg_hi:[1,0,0]
	s_waitcnt vmcnt(40) lgkmcnt(2)
	v_pk_fma_f32 v[68:69], v[204:205], v[200:201], v[68:69] op_sel_hi:[0,1,1] neg_lo:[1,0,0] neg_hi:[1,0,0]
	s_waitcnt vmcnt(38) lgkmcnt(1)
	v_pk_fma_f32 v[70:71], v[204:205], v[202:203], v[70:71] op_sel_hi:[0,1,1] neg_lo:[1,0,0] neg_hi:[1,0,0]
	ds_read2_b32 v[198:199], v187 offset0:25 offset1:26
	ds_read2_b32 v[200:201], v187 offset0:27 offset1:28
	ds_read2_b32 v[202:203], v187 offset0:29 offset1:30
	s_waitcnt vmcnt(36) lgkmcnt(3)
	v_pk_fma_f32 v[72:73], v[204:205], v[206:207], v[72:73] op_sel_hi:[0,1,1] neg_lo:[1,0,0] neg_hi:[1,0,0]
	ds_read2_b32 v[206:207], v187 offset0:31 offset1:32
	;; [unrolled: 12-line block ×4, first 2 shown]
	s_waitcnt vmcnt(18) lgkmcnt(3)
	v_pk_fma_f32 v[146:147], v[204:205], v[198:199], v[146:147] op_sel_hi:[0,1,1] neg_lo:[1,0,0] neg_hi:[1,0,0]
	ds_read2_b32 v[198:199], v187 offset0:49 offset1:50
	s_waitcnt vmcnt(16) lgkmcnt(3)
	v_pk_fma_f32 v[140:141], v[204:205], v[200:201], v[140:141] op_sel_hi:[0,1,1] neg_lo:[1,0,0] neg_hi:[1,0,0]
	s_waitcnt vmcnt(14) lgkmcnt(2)
	v_pk_fma_f32 v[142:143], v[204:205], v[202:203], v[142:143] op_sel_hi:[0,1,1] neg_lo:[1,0,0] neg_hi:[1,0,0]
	;; [unrolled: 2-line block ×3, first 2 shown]
	ds_read2_b32 v[200:201], v187 offset0:51 offset1:52
	ds_read2_b32 v[202:203], v187 offset0:53 offset1:54
	ds_read2_b32 v[206:207], v187 offset0:55 offset1:56
	s_waitcnt vmcnt(10) lgkmcnt(3)
	v_pk_fma_f32 v[166:167], v[204:205], v[198:199], v[166:167] op_sel_hi:[0,1,1] neg_lo:[1,0,0] neg_hi:[1,0,0]
	ds_read2_b32 v[198:199], v187 offset0:57 offset1:58
	ds_read2_b32 v[208:209], v187 offset0:59 offset1:60
	s_waitcnt vmcnt(8) lgkmcnt(4)
	v_pk_fma_f32 v[168:169], v[204:205], v[200:201], v[168:169] op_sel_hi:[0,1,1] neg_lo:[1,0,0] neg_hi:[1,0,0]
	s_waitcnt vmcnt(6) lgkmcnt(3)
	v_pk_fma_f32 v[170:171], v[204:205], v[202:203], v[170:171] op_sel_hi:[0,1,1] neg_lo:[1,0,0] neg_hi:[1,0,0]
	s_waitcnt vmcnt(4) lgkmcnt(2)
	v_pk_fma_f32 v[164:165], v[204:205], v[206:207], v[164:165] op_sel_hi:[0,1,1] neg_lo:[1,0,0] neg_hi:[1,0,0]
	s_waitcnt vmcnt(2) lgkmcnt(1)
	v_pk_fma_f32 v[182:183], v[204:205], v[198:199], v[182:183] op_sel_hi:[0,1,1] neg_lo:[1,0,0] neg_hi:[1,0,0]
	s_waitcnt vmcnt(0) lgkmcnt(0)
	v_pk_fma_f32 v[184:185], v[204:205], v[208:209], v[184:185] op_sel_hi:[0,1,1] neg_lo:[1,0,0] neg_hi:[1,0,0]
	v_mov_b32_e32 v17, v204
.LBB121_50:
	s_or_b64 exec, exec, s[2:3]
	v_cmp_eq_u32_e32 vcc, 9, v25
	s_waitcnt lgkmcnt(0)
	s_barrier
	s_and_saveexec_b64 s[2:3], vcc
	s_cbranch_execz .LBB121_53
; %bb.51:
	s_waitcnt vmcnt(48)
	v_pk_mov_b32 v[198:199], v[46:47], v[50:51] op_sel:[1,0]
	ds_write_b32 v186, v46
	ds_write2_b32 v187, v198, v199 offset0:10 offset1:11
	s_waitcnt vmcnt(46)
	v_pk_mov_b32 v[198:199], v[50:51], v[44:45] op_sel:[1,0]
	ds_write2_b32 v187, v198, v199 offset0:12 offset1:13
	s_waitcnt vmcnt(44)
	v_pk_mov_b32 v[198:199], v[44:45], v[48:49] op_sel:[1,0]
	ds_write2_b32 v187, v198, v199 offset0:14 offset1:15
	s_waitcnt vmcnt(42)
	v_pk_mov_b32 v[198:199], v[48:49], v[74:75] op_sel:[1,0]
	ds_write2_b32 v187, v198, v199 offset0:16 offset1:17
	s_waitcnt vmcnt(40)
	v_pk_mov_b32 v[198:199], v[74:75], v[68:69] op_sel:[1,0]
	ds_write2_b32 v187, v198, v199 offset0:18 offset1:19
	s_waitcnt vmcnt(38)
	v_pk_mov_b32 v[198:199], v[68:69], v[70:71] op_sel:[1,0]
	ds_write2_b32 v187, v198, v199 offset0:20 offset1:21
	s_waitcnt vmcnt(36)
	v_pk_mov_b32 v[198:199], v[70:71], v[72:73] op_sel:[1,0]
	ds_write2_b32 v187, v198, v199 offset0:22 offset1:23
	s_waitcnt vmcnt(34)
	v_pk_mov_b32 v[198:199], v[72:73], v[94:95] op_sel:[1,0]
	ds_write2_b32 v187, v198, v199 offset0:24 offset1:25
	s_waitcnt vmcnt(32)
	v_pk_mov_b32 v[198:199], v[94:95], v[96:97] op_sel:[1,0]
	ds_write2_b32 v187, v198, v199 offset0:26 offset1:27
	s_waitcnt vmcnt(30)
	v_pk_mov_b32 v[198:199], v[96:97], v[98:99] op_sel:[1,0]
	ds_write2_b32 v187, v198, v199 offset0:28 offset1:29
	s_waitcnt vmcnt(28)
	v_pk_mov_b32 v[198:199], v[98:99], v[92:93] op_sel:[1,0]
	ds_write2_b32 v187, v198, v199 offset0:30 offset1:31
	s_waitcnt vmcnt(26)
	v_pk_mov_b32 v[198:199], v[92:93], v[118:119] op_sel:[1,0]
	ds_write2_b32 v187, v198, v199 offset0:32 offset1:33
	s_waitcnt vmcnt(24)
	v_pk_mov_b32 v[198:199], v[118:119], v[122:123] op_sel:[1,0]
	ds_write2_b32 v187, v198, v199 offset0:34 offset1:35
	s_waitcnt vmcnt(22)
	v_pk_mov_b32 v[198:199], v[122:123], v[116:117] op_sel:[1,0]
	ds_write2_b32 v187, v198, v199 offset0:36 offset1:37
	s_waitcnt vmcnt(20)
	v_pk_mov_b32 v[198:199], v[116:117], v[120:121] op_sel:[1,0]
	ds_write2_b32 v187, v198, v199 offset0:38 offset1:39
	s_waitcnt vmcnt(18)
	v_pk_mov_b32 v[198:199], v[120:121], v[146:147] op_sel:[1,0]
	ds_write2_b32 v187, v198, v199 offset0:40 offset1:41
	s_waitcnt vmcnt(16)
	v_pk_mov_b32 v[198:199], v[146:147], v[140:141] op_sel:[1,0]
	ds_write2_b32 v187, v198, v199 offset0:42 offset1:43
	s_waitcnt vmcnt(14)
	v_pk_mov_b32 v[198:199], v[140:141], v[142:143] op_sel:[1,0]
	ds_write2_b32 v187, v198, v199 offset0:44 offset1:45
	s_waitcnt vmcnt(12)
	v_pk_mov_b32 v[198:199], v[142:143], v[144:145] op_sel:[1,0]
	ds_write2_b32 v187, v198, v199 offset0:46 offset1:47
	s_waitcnt vmcnt(10)
	v_pk_mov_b32 v[198:199], v[144:145], v[166:167] op_sel:[1,0]
	ds_write2_b32 v187, v198, v199 offset0:48 offset1:49
	s_waitcnt vmcnt(8)
	v_pk_mov_b32 v[198:199], v[166:167], v[168:169] op_sel:[1,0]
	ds_write2_b32 v187, v198, v199 offset0:50 offset1:51
	s_waitcnt vmcnt(6)
	v_pk_mov_b32 v[198:199], v[168:169], v[170:171] op_sel:[1,0]
	ds_write2_b32 v187, v198, v199 offset0:52 offset1:53
	s_waitcnt vmcnt(4)
	v_pk_mov_b32 v[198:199], v[170:171], v[164:165] op_sel:[1,0]
	ds_write2_b32 v187, v198, v199 offset0:54 offset1:55
	s_waitcnt vmcnt(2)
	v_pk_mov_b32 v[198:199], v[164:165], v[182:183] op_sel:[1,0]
	ds_write2_b32 v187, v198, v199 offset0:56 offset1:57
	s_waitcnt vmcnt(0)
	v_pk_mov_b32 v[198:199], v[182:183], v[184:185] op_sel:[1,0]
	ds_write2_b32 v187, v198, v199 offset0:58 offset1:59
	ds_write_b32 v187, v185 offset:240
	ds_read_b32 v197, v186
	s_waitcnt lgkmcnt(0)
	v_cmp_neq_f32_e32 vcc, 0, v197
	s_and_b64 exec, exec, vcc
	s_cbranch_execz .LBB121_53
; %bb.52:
	v_div_scale_f32 v198, s[4:5], v197, v197, 1.0
	v_rcp_f32_e32 v199, v198
	v_div_scale_f32 v200, vcc, 1.0, v197, 1.0
	v_fma_f32 v201, -v198, v199, 1.0
	v_fmac_f32_e32 v199, v201, v199
	v_mul_f32_e32 v201, v200, v199
	v_fma_f32 v202, -v198, v201, v200
	v_fmac_f32_e32 v201, v202, v199
	v_fma_f32 v198, -v198, v201, v200
	v_div_fmas_f32 v198, v198, v199, v201
	v_div_fixup_f32 v197, v198, v197, 1.0
	ds_write_b32 v186, v197
.LBB121_53:
	s_or_b64 exec, exec, s[2:3]
	s_waitcnt lgkmcnt(0)
	s_barrier
	ds_read_b32 v197, v186
	v_cmp_lt_u32_e32 vcc, 9, v25
	s_and_saveexec_b64 s[2:3], vcc
	s_cbranch_execz .LBB121_55
; %bb.54:
	ds_read_b32 v204, v187 offset:40
	ds_read2_b32 v[198:199], v187 offset0:11 offset1:12
	ds_read2_b32 v[200:201], v187 offset0:13 offset1:14
	s_waitcnt vmcnt(51) lgkmcnt(3)
	v_mul_f32_e32 v46, v197, v46
	ds_read2_b32 v[202:203], v187 offset0:15 offset1:16
	s_waitcnt vmcnt(50) lgkmcnt(3)
	v_fma_f32 v47, -v46, v204, v47
	s_waitcnt vmcnt(48) lgkmcnt(2)
	v_pk_fma_f32 v[50:51], v[46:47], v[198:199], v[50:51] op_sel_hi:[0,1,1] neg_lo:[1,0,0] neg_hi:[1,0,0]
	s_waitcnt vmcnt(46) lgkmcnt(1)
	v_pk_fma_f32 v[44:45], v[46:47], v[200:201], v[44:45] op_sel_hi:[0,1,1] neg_lo:[1,0,0] neg_hi:[1,0,0]
	ds_read2_b32 v[198:199], v187 offset0:17 offset1:18
	ds_read2_b32 v[200:201], v187 offset0:19 offset1:20
	ds_read2_b32 v[204:205], v187 offset0:21 offset1:22
	s_waitcnt vmcnt(44) lgkmcnt(3)
	v_pk_fma_f32 v[48:49], v[46:47], v[202:203], v[48:49] op_sel_hi:[0,1,1] neg_lo:[1,0,0] neg_hi:[1,0,0]
	ds_read2_b32 v[202:203], v187 offset0:23 offset1:24
	s_waitcnt vmcnt(42) lgkmcnt(3)
	v_pk_fma_f32 v[74:75], v[46:47], v[198:199], v[74:75] op_sel_hi:[0,1,1] neg_lo:[1,0,0] neg_hi:[1,0,0]
	s_waitcnt vmcnt(40) lgkmcnt(2)
	v_pk_fma_f32 v[68:69], v[46:47], v[200:201], v[68:69] op_sel_hi:[0,1,1] neg_lo:[1,0,0] neg_hi:[1,0,0]
	s_waitcnt vmcnt(38) lgkmcnt(1)
	v_pk_fma_f32 v[70:71], v[46:47], v[204:205], v[70:71] op_sel_hi:[0,1,1] neg_lo:[1,0,0] neg_hi:[1,0,0]
	ds_read2_b32 v[198:199], v187 offset0:25 offset1:26
	ds_read2_b32 v[200:201], v187 offset0:27 offset1:28
	ds_read2_b32 v[204:205], v187 offset0:29 offset1:30
	s_waitcnt vmcnt(36) lgkmcnt(3)
	v_pk_fma_f32 v[72:73], v[46:47], v[202:203], v[72:73] op_sel_hi:[0,1,1] neg_lo:[1,0,0] neg_hi:[1,0,0]
	ds_read2_b32 v[202:203], v187 offset0:31 offset1:32
	s_waitcnt vmcnt(34) lgkmcnt(3)
	v_pk_fma_f32 v[94:95], v[46:47], v[198:199], v[94:95] op_sel_hi:[0,1,1] neg_lo:[1,0,0] neg_hi:[1,0,0]
	;; [unrolled: 12-line block ×4, first 2 shown]
	ds_read2_b32 v[198:199], v187 offset0:49 offset1:50
	s_waitcnt vmcnt(16) lgkmcnt(3)
	v_pk_fma_f32 v[140:141], v[46:47], v[200:201], v[140:141] op_sel_hi:[0,1,1] neg_lo:[1,0,0] neg_hi:[1,0,0]
	s_waitcnt vmcnt(14) lgkmcnt(2)
	v_pk_fma_f32 v[142:143], v[46:47], v[204:205], v[142:143] op_sel_hi:[0,1,1] neg_lo:[1,0,0] neg_hi:[1,0,0]
	;; [unrolled: 2-line block ×3, first 2 shown]
	ds_read2_b32 v[200:201], v187 offset0:51 offset1:52
	ds_read2_b32 v[202:203], v187 offset0:53 offset1:54
	;; [unrolled: 1-line block ×3, first 2 shown]
	s_waitcnt vmcnt(10) lgkmcnt(3)
	v_pk_fma_f32 v[166:167], v[46:47], v[198:199], v[166:167] op_sel_hi:[0,1,1] neg_lo:[1,0,0] neg_hi:[1,0,0]
	ds_read2_b32 v[198:199], v187 offset0:57 offset1:58
	ds_read2_b32 v[206:207], v187 offset0:59 offset1:60
	s_waitcnt vmcnt(8) lgkmcnt(4)
	v_pk_fma_f32 v[168:169], v[46:47], v[200:201], v[168:169] op_sel_hi:[0,1,1] neg_lo:[1,0,0] neg_hi:[1,0,0]
	s_waitcnt vmcnt(6) lgkmcnt(3)
	v_pk_fma_f32 v[170:171], v[46:47], v[202:203], v[170:171] op_sel_hi:[0,1,1] neg_lo:[1,0,0] neg_hi:[1,0,0]
	;; [unrolled: 2-line block ×5, first 2 shown]
.LBB121_55:
	s_or_b64 exec, exec, s[2:3]
	v_cmp_ne_u32_e32 vcc, 10, v25
	s_waitcnt lgkmcnt(0)
	s_barrier
	s_and_saveexec_b64 s[2:3], vcc
	s_xor_b64 s[2:3], exec, s[2:3]
	s_andn2_saveexec_b64 s[2:3], s[2:3]
	s_cbranch_execz .LBB121_59
; %bb.56:
	s_waitcnt vmcnt(50)
	ds_write_b32 v186, v47
	s_waitcnt vmcnt(48)
	ds_write2_b32 v187, v50, v51 offset0:11 offset1:12
	s_waitcnt vmcnt(46)
	ds_write2_b32 v187, v44, v45 offset0:13 offset1:14
	;; [unrolled: 2-line block ×25, first 2 shown]
	ds_read_b32 v198, v186
	s_waitcnt lgkmcnt(0)
	v_cmp_neq_f32_e32 vcc, 0, v198
	s_and_saveexec_b64 s[4:5], vcc
	s_cbranch_execz .LBB121_58
; %bb.57:
	v_div_scale_f32 v199, s[10:11], v198, v198, 1.0
	v_rcp_f32_e32 v200, v199
	v_div_scale_f32 v201, vcc, 1.0, v198, 1.0
	v_fma_f32 v202, -v199, v200, 1.0
	v_fmac_f32_e32 v200, v202, v200
	v_mul_f32_e32 v202, v201, v200
	v_fma_f32 v203, -v199, v202, v201
	v_fmac_f32_e32 v202, v203, v200
	v_fma_f32 v199, -v199, v202, v201
	v_div_fmas_f32 v199, v199, v200, v202
	v_div_fixup_f32 v198, v199, v198, 1.0
	ds_write_b32 v186, v198
.LBB121_58:
	s_or_b64 exec, exec, s[4:5]
.LBB121_59:
	s_or_b64 exec, exec, s[2:3]
	s_waitcnt lgkmcnt(0)
	s_barrier
	ds_read_b32 v198, v186
	v_cmp_lt_u32_e32 vcc, 10, v25
	s_and_saveexec_b64 s[2:3], vcc
	s_cbranch_execz .LBB121_61
; %bb.60:
	ds_read2_b32 v[200:201], v187 offset0:11 offset1:12
	ds_read2_b32 v[202:203], v187 offset0:13 offset1:14
	;; [unrolled: 1-line block ×3, first 2 shown]
	s_waitcnt vmcnt(50) lgkmcnt(3)
	v_mul_f32_e32 v206, v198, v47
	ds_read2_b32 v[208:209], v187 offset0:17 offset1:18
	s_waitcnt vmcnt(48) lgkmcnt(3)
	v_pk_fma_f32 v[50:51], v[206:207], v[200:201], v[50:51] op_sel_hi:[0,1,1] neg_lo:[1,0,0] neg_hi:[1,0,0]
	s_waitcnt vmcnt(46) lgkmcnt(2)
	v_pk_fma_f32 v[44:45], v[206:207], v[202:203], v[44:45] op_sel_hi:[0,1,1] neg_lo:[1,0,0] neg_hi:[1,0,0]
	s_waitcnt vmcnt(44) lgkmcnt(1)
	v_pk_fma_f32 v[48:49], v[206:207], v[204:205], v[48:49] op_sel_hi:[0,1,1] neg_lo:[1,0,0] neg_hi:[1,0,0]
	ds_read2_b32 v[200:201], v187 offset0:19 offset1:20
	ds_read2_b32 v[202:203], v187 offset0:21 offset1:22
	ds_read2_b32 v[204:205], v187 offset0:23 offset1:24
	s_waitcnt vmcnt(42) lgkmcnt(3)
	v_pk_fma_f32 v[74:75], v[206:207], v[208:209], v[74:75] op_sel_hi:[0,1,1] neg_lo:[1,0,0] neg_hi:[1,0,0]
	ds_read2_b32 v[208:209], v187 offset0:25 offset1:26
	s_waitcnt vmcnt(40) lgkmcnt(3)
	v_pk_fma_f32 v[68:69], v[206:207], v[200:201], v[68:69] op_sel_hi:[0,1,1] neg_lo:[1,0,0] neg_hi:[1,0,0]
	s_waitcnt vmcnt(38) lgkmcnt(2)
	v_pk_fma_f32 v[70:71], v[206:207], v[202:203], v[70:71] op_sel_hi:[0,1,1] neg_lo:[1,0,0] neg_hi:[1,0,0]
	s_waitcnt vmcnt(36) lgkmcnt(1)
	v_pk_fma_f32 v[72:73], v[206:207], v[204:205], v[72:73] op_sel_hi:[0,1,1] neg_lo:[1,0,0] neg_hi:[1,0,0]
	ds_read2_b32 v[200:201], v187 offset0:27 offset1:28
	ds_read2_b32 v[202:203], v187 offset0:29 offset1:30
	ds_read2_b32 v[204:205], v187 offset0:31 offset1:32
	s_waitcnt vmcnt(34) lgkmcnt(3)
	v_pk_fma_f32 v[94:95], v[206:207], v[208:209], v[94:95] op_sel_hi:[0,1,1] neg_lo:[1,0,0] neg_hi:[1,0,0]
	;; [unrolled: 12-line block ×3, first 2 shown]
	ds_read2_b32 v[208:209], v187 offset0:41 offset1:42
	s_waitcnt vmcnt(24) lgkmcnt(3)
	v_pk_fma_f32 v[122:123], v[206:207], v[200:201], v[122:123] op_sel_hi:[0,1,1] neg_lo:[1,0,0] neg_hi:[1,0,0]
	s_waitcnt vmcnt(22) lgkmcnt(2)
	v_pk_fma_f32 v[116:117], v[206:207], v[202:203], v[116:117] op_sel_hi:[0,1,1] neg_lo:[1,0,0] neg_hi:[1,0,0]
	;; [unrolled: 2-line block ×3, first 2 shown]
	ds_read2_b32 v[200:201], v187 offset0:43 offset1:44
	ds_read2_b32 v[202:203], v187 offset0:45 offset1:46
	;; [unrolled: 1-line block ×4, first 2 shown]
	s_waitcnt vmcnt(18) lgkmcnt(4)
	v_pk_fma_f32 v[146:147], v[206:207], v[208:209], v[146:147] op_sel_hi:[0,1,1] neg_lo:[1,0,0] neg_hi:[1,0,0]
	s_waitcnt vmcnt(16) lgkmcnt(3)
	v_pk_fma_f32 v[140:141], v[206:207], v[200:201], v[140:141] op_sel_hi:[0,1,1] neg_lo:[1,0,0] neg_hi:[1,0,0]
	;; [unrolled: 2-line block ×5, first 2 shown]
	ds_read2_b32 v[200:201], v187 offset0:51 offset1:52
	ds_read2_b32 v[202:203], v187 offset0:53 offset1:54
	;; [unrolled: 1-line block ×5, first 2 shown]
	s_waitcnt vmcnt(8) lgkmcnt(4)
	v_pk_fma_f32 v[168:169], v[206:207], v[200:201], v[168:169] op_sel_hi:[0,1,1] neg_lo:[1,0,0] neg_hi:[1,0,0]
	s_waitcnt vmcnt(6) lgkmcnt(3)
	v_pk_fma_f32 v[170:171], v[206:207], v[202:203], v[170:171] op_sel_hi:[0,1,1] neg_lo:[1,0,0] neg_hi:[1,0,0]
	;; [unrolled: 2-line block ×5, first 2 shown]
	v_mov_b32_e32 v47, v206
.LBB121_61:
	s_or_b64 exec, exec, s[2:3]
	v_cmp_eq_u32_e32 vcc, 11, v25
	s_waitcnt lgkmcnt(0)
	s_barrier
	s_and_saveexec_b64 s[2:3], vcc
	s_cbranch_execz .LBB121_64
; %bb.62:
	s_waitcnt vmcnt(46)
	v_pk_mov_b32 v[200:201], v[50:51], v[44:45] op_sel:[1,0]
	ds_write_b32 v186, v50
	ds_write2_b32 v187, v200, v201 offset0:12 offset1:13
	s_waitcnt vmcnt(44)
	v_pk_mov_b32 v[200:201], v[44:45], v[48:49] op_sel:[1,0]
	ds_write2_b32 v187, v200, v201 offset0:14 offset1:15
	s_waitcnt vmcnt(42)
	v_pk_mov_b32 v[200:201], v[48:49], v[74:75] op_sel:[1,0]
	;; [unrolled: 3-line block ×23, first 2 shown]
	ds_write2_b32 v187, v200, v201 offset0:58 offset1:59
	ds_write_b32 v187, v185 offset:240
	ds_read_b32 v199, v186
	s_waitcnt lgkmcnt(0)
	v_cmp_neq_f32_e32 vcc, 0, v199
	s_and_b64 exec, exec, vcc
	s_cbranch_execz .LBB121_64
; %bb.63:
	v_div_scale_f32 v200, s[4:5], v199, v199, 1.0
	v_rcp_f32_e32 v201, v200
	v_div_scale_f32 v202, vcc, 1.0, v199, 1.0
	v_fma_f32 v203, -v200, v201, 1.0
	v_fmac_f32_e32 v201, v203, v201
	v_mul_f32_e32 v203, v202, v201
	v_fma_f32 v204, -v200, v203, v202
	v_fmac_f32_e32 v203, v204, v201
	v_fma_f32 v200, -v200, v203, v202
	v_div_fmas_f32 v200, v200, v201, v203
	v_div_fixup_f32 v199, v200, v199, 1.0
	ds_write_b32 v186, v199
.LBB121_64:
	s_or_b64 exec, exec, s[2:3]
	s_waitcnt lgkmcnt(0)
	s_barrier
	ds_read_b32 v199, v186
	v_cmp_lt_u32_e32 vcc, 11, v25
	s_and_saveexec_b64 s[2:3], vcc
	s_cbranch_execz .LBB121_66
; %bb.65:
	ds_read_b32 v206, v187 offset:48
	ds_read2_b32 v[200:201], v187 offset0:13 offset1:14
	ds_read2_b32 v[202:203], v187 offset0:15 offset1:16
	s_waitcnt vmcnt(49) lgkmcnt(3)
	v_mul_f32_e32 v50, v199, v50
	ds_read2_b32 v[204:205], v187 offset0:17 offset1:18
	s_waitcnt vmcnt(48) lgkmcnt(3)
	v_fma_f32 v51, -v50, v206, v51
	s_waitcnt vmcnt(46) lgkmcnt(2)
	v_pk_fma_f32 v[44:45], v[50:51], v[200:201], v[44:45] op_sel_hi:[0,1,1] neg_lo:[1,0,0] neg_hi:[1,0,0]
	s_waitcnt vmcnt(44) lgkmcnt(1)
	v_pk_fma_f32 v[48:49], v[50:51], v[202:203], v[48:49] op_sel_hi:[0,1,1] neg_lo:[1,0,0] neg_hi:[1,0,0]
	ds_read2_b32 v[200:201], v187 offset0:19 offset1:20
	ds_read2_b32 v[202:203], v187 offset0:21 offset1:22
	ds_read2_b32 v[206:207], v187 offset0:23 offset1:24
	s_waitcnt vmcnt(42) lgkmcnt(3)
	v_pk_fma_f32 v[74:75], v[50:51], v[204:205], v[74:75] op_sel_hi:[0,1,1] neg_lo:[1,0,0] neg_hi:[1,0,0]
	ds_read2_b32 v[204:205], v187 offset0:25 offset1:26
	s_waitcnt vmcnt(40) lgkmcnt(3)
	v_pk_fma_f32 v[68:69], v[50:51], v[200:201], v[68:69] op_sel_hi:[0,1,1] neg_lo:[1,0,0] neg_hi:[1,0,0]
	s_waitcnt vmcnt(38) lgkmcnt(2)
	v_pk_fma_f32 v[70:71], v[50:51], v[202:203], v[70:71] op_sel_hi:[0,1,1] neg_lo:[1,0,0] neg_hi:[1,0,0]
	s_waitcnt vmcnt(36) lgkmcnt(1)
	v_pk_fma_f32 v[72:73], v[50:51], v[206:207], v[72:73] op_sel_hi:[0,1,1] neg_lo:[1,0,0] neg_hi:[1,0,0]
	ds_read2_b32 v[200:201], v187 offset0:27 offset1:28
	ds_read2_b32 v[202:203], v187 offset0:29 offset1:30
	ds_read2_b32 v[206:207], v187 offset0:31 offset1:32
	s_waitcnt vmcnt(34) lgkmcnt(3)
	v_pk_fma_f32 v[94:95], v[50:51], v[204:205], v[94:95] op_sel_hi:[0,1,1] neg_lo:[1,0,0] neg_hi:[1,0,0]
	ds_read2_b32 v[204:205], v187 offset0:33 offset1:34
	s_waitcnt vmcnt(32) lgkmcnt(3)
	v_pk_fma_f32 v[96:97], v[50:51], v[200:201], v[96:97] op_sel_hi:[0,1,1] neg_lo:[1,0,0] neg_hi:[1,0,0]
	;; [unrolled: 12-line block ×3, first 2 shown]
	s_waitcnt vmcnt(22) lgkmcnt(2)
	v_pk_fma_f32 v[116:117], v[50:51], v[202:203], v[116:117] op_sel_hi:[0,1,1] neg_lo:[1,0,0] neg_hi:[1,0,0]
	s_waitcnt vmcnt(20) lgkmcnt(1)
	v_pk_fma_f32 v[120:121], v[50:51], v[206:207], v[120:121] op_sel_hi:[0,1,1] neg_lo:[1,0,0] neg_hi:[1,0,0]
	ds_read2_b32 v[200:201], v187 offset0:43 offset1:44
	ds_read2_b32 v[202:203], v187 offset0:45 offset1:46
	;; [unrolled: 1-line block ×4, first 2 shown]
	s_waitcnt vmcnt(18) lgkmcnt(4)
	v_pk_fma_f32 v[146:147], v[50:51], v[204:205], v[146:147] op_sel_hi:[0,1,1] neg_lo:[1,0,0] neg_hi:[1,0,0]
	s_waitcnt vmcnt(16) lgkmcnt(3)
	v_pk_fma_f32 v[140:141], v[50:51], v[200:201], v[140:141] op_sel_hi:[0,1,1] neg_lo:[1,0,0] neg_hi:[1,0,0]
	;; [unrolled: 2-line block ×5, first 2 shown]
	ds_read2_b32 v[200:201], v187 offset0:51 offset1:52
	ds_read2_b32 v[202:203], v187 offset0:53 offset1:54
	;; [unrolled: 1-line block ×5, first 2 shown]
	s_waitcnt vmcnt(8) lgkmcnt(4)
	v_pk_fma_f32 v[168:169], v[50:51], v[200:201], v[168:169] op_sel_hi:[0,1,1] neg_lo:[1,0,0] neg_hi:[1,0,0]
	s_waitcnt vmcnt(6) lgkmcnt(3)
	v_pk_fma_f32 v[170:171], v[50:51], v[202:203], v[170:171] op_sel_hi:[0,1,1] neg_lo:[1,0,0] neg_hi:[1,0,0]
	s_waitcnt vmcnt(4) lgkmcnt(2)
	v_pk_fma_f32 v[164:165], v[50:51], v[204:205], v[164:165] op_sel_hi:[0,1,1] neg_lo:[1,0,0] neg_hi:[1,0,0]
	s_waitcnt vmcnt(2) lgkmcnt(1)
	v_pk_fma_f32 v[182:183], v[50:51], v[206:207], v[182:183] op_sel_hi:[0,1,1] neg_lo:[1,0,0] neg_hi:[1,0,0]
	s_waitcnt vmcnt(0) lgkmcnt(0)
	v_pk_fma_f32 v[184:185], v[50:51], v[208:209], v[184:185] op_sel_hi:[0,1,1] neg_lo:[1,0,0] neg_hi:[1,0,0]
.LBB121_66:
	s_or_b64 exec, exec, s[2:3]
	v_cmp_ne_u32_e32 vcc, 12, v25
	s_waitcnt lgkmcnt(0)
	s_barrier
	s_and_saveexec_b64 s[2:3], vcc
	s_xor_b64 s[2:3], exec, s[2:3]
	s_andn2_saveexec_b64 s[2:3], s[2:3]
	s_cbranch_execz .LBB121_70
; %bb.67:
	s_waitcnt vmcnt(48)
	ds_write_b32 v186, v51
	s_waitcnt vmcnt(46)
	ds_write2_b32 v187, v44, v45 offset0:13 offset1:14
	s_waitcnt vmcnt(44)
	ds_write2_b32 v187, v48, v49 offset0:15 offset1:16
	s_waitcnt vmcnt(42)
	ds_write2_b32 v187, v74, v75 offset0:17 offset1:18
	s_waitcnt vmcnt(40)
	ds_write2_b32 v187, v68, v69 offset0:19 offset1:20
	s_waitcnt vmcnt(38)
	ds_write2_b32 v187, v70, v71 offset0:21 offset1:22
	s_waitcnt vmcnt(36)
	ds_write2_b32 v187, v72, v73 offset0:23 offset1:24
	s_waitcnt vmcnt(34)
	ds_write2_b32 v187, v94, v95 offset0:25 offset1:26
	s_waitcnt vmcnt(32)
	ds_write2_b32 v187, v96, v97 offset0:27 offset1:28
	s_waitcnt vmcnt(30)
	ds_write2_b32 v187, v98, v99 offset0:29 offset1:30
	s_waitcnt vmcnt(28)
	ds_write2_b32 v187, v92, v93 offset0:31 offset1:32
	s_waitcnt vmcnt(26)
	ds_write2_b32 v187, v118, v119 offset0:33 offset1:34
	s_waitcnt vmcnt(24)
	ds_write2_b32 v187, v122, v123 offset0:35 offset1:36
	s_waitcnt vmcnt(22)
	ds_write2_b32 v187, v116, v117 offset0:37 offset1:38
	s_waitcnt vmcnt(20)
	ds_write2_b32 v187, v120, v121 offset0:39 offset1:40
	s_waitcnt vmcnt(18)
	ds_write2_b32 v187, v146, v147 offset0:41 offset1:42
	s_waitcnt vmcnt(16)
	ds_write2_b32 v187, v140, v141 offset0:43 offset1:44
	s_waitcnt vmcnt(14)
	ds_write2_b32 v187, v142, v143 offset0:45 offset1:46
	s_waitcnt vmcnt(12)
	ds_write2_b32 v187, v144, v145 offset0:47 offset1:48
	s_waitcnt vmcnt(10)
	ds_write2_b32 v187, v166, v167 offset0:49 offset1:50
	s_waitcnt vmcnt(8)
	ds_write2_b32 v187, v168, v169 offset0:51 offset1:52
	s_waitcnt vmcnt(6)
	ds_write2_b32 v187, v170, v171 offset0:53 offset1:54
	s_waitcnt vmcnt(4)
	ds_write2_b32 v187, v164, v165 offset0:55 offset1:56
	s_waitcnt vmcnt(2)
	ds_write2_b32 v187, v182, v183 offset0:57 offset1:58
	s_waitcnt vmcnt(0)
	ds_write2_b32 v187, v184, v185 offset0:59 offset1:60
	ds_read_b32 v200, v186
	s_waitcnt lgkmcnt(0)
	v_cmp_neq_f32_e32 vcc, 0, v200
	s_and_saveexec_b64 s[4:5], vcc
	s_cbranch_execz .LBB121_69
; %bb.68:
	v_div_scale_f32 v201, s[10:11], v200, v200, 1.0
	v_rcp_f32_e32 v202, v201
	v_div_scale_f32 v203, vcc, 1.0, v200, 1.0
	v_fma_f32 v204, -v201, v202, 1.0
	v_fmac_f32_e32 v202, v204, v202
	v_mul_f32_e32 v204, v203, v202
	v_fma_f32 v205, -v201, v204, v203
	v_fmac_f32_e32 v204, v205, v202
	v_fma_f32 v201, -v201, v204, v203
	v_div_fmas_f32 v201, v201, v202, v204
	v_div_fixup_f32 v200, v201, v200, 1.0
	ds_write_b32 v186, v200
.LBB121_69:
	s_or_b64 exec, exec, s[4:5]
.LBB121_70:
	s_or_b64 exec, exec, s[2:3]
	s_waitcnt lgkmcnt(0)
	s_barrier
	ds_read_b32 v200, v186
	v_cmp_lt_u32_e32 vcc, 12, v25
	s_and_saveexec_b64 s[2:3], vcc
	s_cbranch_execz .LBB121_72
; %bb.71:
	ds_read2_b32 v[202:203], v187 offset0:13 offset1:14
	ds_read2_b32 v[204:205], v187 offset0:15 offset1:16
	;; [unrolled: 1-line block ×3, first 2 shown]
	s_waitcnt vmcnt(48) lgkmcnt(3)
	v_mul_f32_e32 v208, v200, v51
	ds_read2_b32 v[210:211], v187 offset0:19 offset1:20
	s_waitcnt vmcnt(46) lgkmcnt(3)
	v_pk_fma_f32 v[44:45], v[208:209], v[202:203], v[44:45] op_sel_hi:[0,1,1] neg_lo:[1,0,0] neg_hi:[1,0,0]
	s_waitcnt vmcnt(44) lgkmcnt(2)
	v_pk_fma_f32 v[48:49], v[208:209], v[204:205], v[48:49] op_sel_hi:[0,1,1] neg_lo:[1,0,0] neg_hi:[1,0,0]
	s_waitcnt vmcnt(42) lgkmcnt(1)
	v_pk_fma_f32 v[74:75], v[208:209], v[206:207], v[74:75] op_sel_hi:[0,1,1] neg_lo:[1,0,0] neg_hi:[1,0,0]
	ds_read2_b32 v[202:203], v187 offset0:21 offset1:22
	ds_read2_b32 v[204:205], v187 offset0:23 offset1:24
	ds_read2_b32 v[206:207], v187 offset0:25 offset1:26
	s_waitcnt vmcnt(40) lgkmcnt(3)
	v_pk_fma_f32 v[68:69], v[208:209], v[210:211], v[68:69] op_sel_hi:[0,1,1] neg_lo:[1,0,0] neg_hi:[1,0,0]
	ds_read2_b32 v[210:211], v187 offset0:27 offset1:28
	s_waitcnt vmcnt(38) lgkmcnt(3)
	v_pk_fma_f32 v[70:71], v[208:209], v[202:203], v[70:71] op_sel_hi:[0,1,1] neg_lo:[1,0,0] neg_hi:[1,0,0]
	s_waitcnt vmcnt(36) lgkmcnt(2)
	v_pk_fma_f32 v[72:73], v[208:209], v[204:205], v[72:73] op_sel_hi:[0,1,1] neg_lo:[1,0,0] neg_hi:[1,0,0]
	s_waitcnt vmcnt(34) lgkmcnt(1)
	v_pk_fma_f32 v[94:95], v[208:209], v[206:207], v[94:95] op_sel_hi:[0,1,1] neg_lo:[1,0,0] neg_hi:[1,0,0]
	ds_read2_b32 v[202:203], v187 offset0:29 offset1:30
	ds_read2_b32 v[204:205], v187 offset0:31 offset1:32
	ds_read2_b32 v[206:207], v187 offset0:33 offset1:34
	s_waitcnt vmcnt(32) lgkmcnt(3)
	v_pk_fma_f32 v[96:97], v[208:209], v[210:211], v[96:97] op_sel_hi:[0,1,1] neg_lo:[1,0,0] neg_hi:[1,0,0]
	;; [unrolled: 12-line block ×4, first 2 shown]
	ds_read2_b32 v[210:211], v187 offset0:51 offset1:52
	s_waitcnt vmcnt(14) lgkmcnt(3)
	v_pk_fma_f32 v[142:143], v[208:209], v[202:203], v[142:143] op_sel_hi:[0,1,1] neg_lo:[1,0,0] neg_hi:[1,0,0]
	s_waitcnt vmcnt(12) lgkmcnt(2)
	v_pk_fma_f32 v[144:145], v[208:209], v[204:205], v[144:145] op_sel_hi:[0,1,1] neg_lo:[1,0,0] neg_hi:[1,0,0]
	;; [unrolled: 2-line block ×3, first 2 shown]
	ds_read2_b32 v[202:203], v187 offset0:53 offset1:54
	ds_read2_b32 v[204:205], v187 offset0:55 offset1:56
	;; [unrolled: 1-line block ×4, first 2 shown]
	s_waitcnt vmcnt(8) lgkmcnt(4)
	v_pk_fma_f32 v[168:169], v[208:209], v[210:211], v[168:169] op_sel_hi:[0,1,1] neg_lo:[1,0,0] neg_hi:[1,0,0]
	s_waitcnt vmcnt(6) lgkmcnt(3)
	v_pk_fma_f32 v[170:171], v[208:209], v[202:203], v[170:171] op_sel_hi:[0,1,1] neg_lo:[1,0,0] neg_hi:[1,0,0]
	;; [unrolled: 2-line block ×5, first 2 shown]
	v_mov_b32_e32 v51, v208
.LBB121_72:
	s_or_b64 exec, exec, s[2:3]
	v_cmp_eq_u32_e32 vcc, 13, v25
	s_waitcnt lgkmcnt(0)
	s_barrier
	s_and_saveexec_b64 s[2:3], vcc
	s_cbranch_execz .LBB121_75
; %bb.73:
	s_waitcnt vmcnt(44)
	v_pk_mov_b32 v[202:203], v[44:45], v[48:49] op_sel:[1,0]
	ds_write_b32 v186, v44
	ds_write2_b32 v187, v202, v203 offset0:14 offset1:15
	s_waitcnt vmcnt(42)
	v_pk_mov_b32 v[202:203], v[48:49], v[74:75] op_sel:[1,0]
	ds_write2_b32 v187, v202, v203 offset0:16 offset1:17
	s_waitcnt vmcnt(40)
	v_pk_mov_b32 v[202:203], v[74:75], v[68:69] op_sel:[1,0]
	;; [unrolled: 3-line block ×22, first 2 shown]
	ds_write2_b32 v187, v202, v203 offset0:58 offset1:59
	ds_write_b32 v187, v185 offset:240
	ds_read_b32 v201, v186
	s_waitcnt lgkmcnt(0)
	v_cmp_neq_f32_e32 vcc, 0, v201
	s_and_b64 exec, exec, vcc
	s_cbranch_execz .LBB121_75
; %bb.74:
	v_div_scale_f32 v202, s[4:5], v201, v201, 1.0
	v_rcp_f32_e32 v203, v202
	v_div_scale_f32 v204, vcc, 1.0, v201, 1.0
	v_fma_f32 v205, -v202, v203, 1.0
	v_fmac_f32_e32 v203, v205, v203
	v_mul_f32_e32 v205, v204, v203
	v_fma_f32 v206, -v202, v205, v204
	v_fmac_f32_e32 v205, v206, v203
	v_fma_f32 v202, -v202, v205, v204
	v_div_fmas_f32 v202, v202, v203, v205
	v_div_fixup_f32 v201, v202, v201, 1.0
	ds_write_b32 v186, v201
.LBB121_75:
	s_or_b64 exec, exec, s[2:3]
	s_waitcnt lgkmcnt(0)
	s_barrier
	ds_read_b32 v201, v186
	v_cmp_lt_u32_e32 vcc, 13, v25
	s_and_saveexec_b64 s[2:3], vcc
	s_cbranch_execz .LBB121_77
; %bb.76:
	ds_read_b32 v208, v187 offset:56
	ds_read2_b32 v[202:203], v187 offset0:15 offset1:16
	ds_read2_b32 v[204:205], v187 offset0:17 offset1:18
	s_waitcnt vmcnt(47) lgkmcnt(3)
	v_mul_f32_e32 v44, v201, v44
	ds_read2_b32 v[206:207], v187 offset0:19 offset1:20
	s_waitcnt vmcnt(46) lgkmcnt(3)
	v_fma_f32 v45, -v44, v208, v45
	s_waitcnt vmcnt(44) lgkmcnt(2)
	v_pk_fma_f32 v[48:49], v[44:45], v[202:203], v[48:49] op_sel_hi:[0,1,1] neg_lo:[1,0,0] neg_hi:[1,0,0]
	s_waitcnt vmcnt(42) lgkmcnt(1)
	v_pk_fma_f32 v[74:75], v[44:45], v[204:205], v[74:75] op_sel_hi:[0,1,1] neg_lo:[1,0,0] neg_hi:[1,0,0]
	ds_read2_b32 v[202:203], v187 offset0:21 offset1:22
	ds_read2_b32 v[204:205], v187 offset0:23 offset1:24
	ds_read2_b32 v[208:209], v187 offset0:25 offset1:26
	s_waitcnt vmcnt(40) lgkmcnt(3)
	v_pk_fma_f32 v[68:69], v[44:45], v[206:207], v[68:69] op_sel_hi:[0,1,1] neg_lo:[1,0,0] neg_hi:[1,0,0]
	ds_read2_b32 v[206:207], v187 offset0:27 offset1:28
	s_waitcnt vmcnt(38) lgkmcnt(3)
	v_pk_fma_f32 v[70:71], v[44:45], v[202:203], v[70:71] op_sel_hi:[0,1,1] neg_lo:[1,0,0] neg_hi:[1,0,0]
	s_waitcnt vmcnt(36) lgkmcnt(2)
	v_pk_fma_f32 v[72:73], v[44:45], v[204:205], v[72:73] op_sel_hi:[0,1,1] neg_lo:[1,0,0] neg_hi:[1,0,0]
	s_waitcnt vmcnt(34) lgkmcnt(1)
	v_pk_fma_f32 v[94:95], v[44:45], v[208:209], v[94:95] op_sel_hi:[0,1,1] neg_lo:[1,0,0] neg_hi:[1,0,0]
	ds_read2_b32 v[202:203], v187 offset0:29 offset1:30
	ds_read2_b32 v[204:205], v187 offset0:31 offset1:32
	ds_read2_b32 v[208:209], v187 offset0:33 offset1:34
	s_waitcnt vmcnt(32) lgkmcnt(3)
	v_pk_fma_f32 v[96:97], v[44:45], v[206:207], v[96:97] op_sel_hi:[0,1,1] neg_lo:[1,0,0] neg_hi:[1,0,0]
	ds_read2_b32 v[206:207], v187 offset0:35 offset1:36
	s_waitcnt vmcnt(30) lgkmcnt(3)
	v_pk_fma_f32 v[98:99], v[44:45], v[202:203], v[98:99] op_sel_hi:[0,1,1] neg_lo:[1,0,0] neg_hi:[1,0,0]
	;; [unrolled: 12-line block ×4, first 2 shown]
	s_waitcnt vmcnt(12) lgkmcnt(2)
	v_pk_fma_f32 v[144:145], v[44:45], v[204:205], v[144:145] op_sel_hi:[0,1,1] neg_lo:[1,0,0] neg_hi:[1,0,0]
	s_waitcnt vmcnt(10) lgkmcnt(1)
	v_pk_fma_f32 v[166:167], v[44:45], v[208:209], v[166:167] op_sel_hi:[0,1,1] neg_lo:[1,0,0] neg_hi:[1,0,0]
	ds_read2_b32 v[202:203], v187 offset0:53 offset1:54
	ds_read2_b32 v[204:205], v187 offset0:55 offset1:56
	;; [unrolled: 1-line block ×4, first 2 shown]
	s_waitcnt vmcnt(8) lgkmcnt(4)
	v_pk_fma_f32 v[168:169], v[44:45], v[206:207], v[168:169] op_sel_hi:[0,1,1] neg_lo:[1,0,0] neg_hi:[1,0,0]
	s_waitcnt vmcnt(6) lgkmcnt(3)
	v_pk_fma_f32 v[170:171], v[44:45], v[202:203], v[170:171] op_sel_hi:[0,1,1] neg_lo:[1,0,0] neg_hi:[1,0,0]
	;; [unrolled: 2-line block ×5, first 2 shown]
.LBB121_77:
	s_or_b64 exec, exec, s[2:3]
	v_cmp_ne_u32_e32 vcc, 14, v25
	s_waitcnt lgkmcnt(0)
	s_barrier
	s_and_saveexec_b64 s[2:3], vcc
	s_xor_b64 s[2:3], exec, s[2:3]
	s_andn2_saveexec_b64 s[2:3], s[2:3]
	s_cbranch_execz .LBB121_81
; %bb.78:
	s_waitcnt vmcnt(46)
	ds_write_b32 v186, v45
	s_waitcnt vmcnt(44)
	ds_write2_b32 v187, v48, v49 offset0:15 offset1:16
	s_waitcnt vmcnt(42)
	ds_write2_b32 v187, v74, v75 offset0:17 offset1:18
	;; [unrolled: 2-line block ×23, first 2 shown]
	ds_read_b32 v202, v186
	s_waitcnt lgkmcnt(0)
	v_cmp_neq_f32_e32 vcc, 0, v202
	s_and_saveexec_b64 s[4:5], vcc
	s_cbranch_execz .LBB121_80
; %bb.79:
	v_div_scale_f32 v203, s[10:11], v202, v202, 1.0
	v_rcp_f32_e32 v204, v203
	v_div_scale_f32 v205, vcc, 1.0, v202, 1.0
	v_fma_f32 v206, -v203, v204, 1.0
	v_fmac_f32_e32 v204, v206, v204
	v_mul_f32_e32 v206, v205, v204
	v_fma_f32 v207, -v203, v206, v205
	v_fmac_f32_e32 v206, v207, v204
	v_fma_f32 v203, -v203, v206, v205
	v_div_fmas_f32 v203, v203, v204, v206
	v_div_fixup_f32 v202, v203, v202, 1.0
	ds_write_b32 v186, v202
.LBB121_80:
	s_or_b64 exec, exec, s[4:5]
.LBB121_81:
	s_or_b64 exec, exec, s[2:3]
	s_waitcnt lgkmcnt(0)
	s_barrier
	ds_read_b32 v202, v186
	v_cmp_lt_u32_e32 vcc, 14, v25
	s_and_saveexec_b64 s[2:3], vcc
	s_cbranch_execz .LBB121_83
; %bb.82:
	ds_read2_b32 v[204:205], v187 offset0:15 offset1:16
	ds_read2_b32 v[206:207], v187 offset0:17 offset1:18
	;; [unrolled: 1-line block ×3, first 2 shown]
	s_waitcnt vmcnt(46) lgkmcnt(3)
	v_mul_f32_e32 v210, v202, v45
	ds_read2_b32 v[212:213], v187 offset0:21 offset1:22
	s_waitcnt vmcnt(44) lgkmcnt(3)
	v_pk_fma_f32 v[48:49], v[210:211], v[204:205], v[48:49] op_sel_hi:[0,1,1] neg_lo:[1,0,0] neg_hi:[1,0,0]
	s_waitcnt vmcnt(42) lgkmcnt(2)
	v_pk_fma_f32 v[74:75], v[210:211], v[206:207], v[74:75] op_sel_hi:[0,1,1] neg_lo:[1,0,0] neg_hi:[1,0,0]
	s_waitcnt vmcnt(40) lgkmcnt(1)
	v_pk_fma_f32 v[68:69], v[210:211], v[208:209], v[68:69] op_sel_hi:[0,1,1] neg_lo:[1,0,0] neg_hi:[1,0,0]
	ds_read2_b32 v[204:205], v187 offset0:23 offset1:24
	ds_read2_b32 v[206:207], v187 offset0:25 offset1:26
	ds_read2_b32 v[208:209], v187 offset0:27 offset1:28
	s_waitcnt vmcnt(38) lgkmcnt(3)
	v_pk_fma_f32 v[70:71], v[210:211], v[212:213], v[70:71] op_sel_hi:[0,1,1] neg_lo:[1,0,0] neg_hi:[1,0,0]
	ds_read2_b32 v[212:213], v187 offset0:29 offset1:30
	s_waitcnt vmcnt(36) lgkmcnt(3)
	v_pk_fma_f32 v[72:73], v[210:211], v[204:205], v[72:73] op_sel_hi:[0,1,1] neg_lo:[1,0,0] neg_hi:[1,0,0]
	s_waitcnt vmcnt(34) lgkmcnt(2)
	v_pk_fma_f32 v[94:95], v[210:211], v[206:207], v[94:95] op_sel_hi:[0,1,1] neg_lo:[1,0,0] neg_hi:[1,0,0]
	s_waitcnt vmcnt(32) lgkmcnt(1)
	v_pk_fma_f32 v[96:97], v[210:211], v[208:209], v[96:97] op_sel_hi:[0,1,1] neg_lo:[1,0,0] neg_hi:[1,0,0]
	ds_read2_b32 v[204:205], v187 offset0:31 offset1:32
	ds_read2_b32 v[206:207], v187 offset0:33 offset1:34
	ds_read2_b32 v[208:209], v187 offset0:35 offset1:36
	s_waitcnt vmcnt(30) lgkmcnt(3)
	v_pk_fma_f32 v[98:99], v[210:211], v[212:213], v[98:99] op_sel_hi:[0,1,1] neg_lo:[1,0,0] neg_hi:[1,0,0]
	;; [unrolled: 12-line block ×3, first 2 shown]
	ds_read2_b32 v[212:213], v187 offset0:45 offset1:46
	s_waitcnt vmcnt(20) lgkmcnt(3)
	v_pk_fma_f32 v[120:121], v[210:211], v[204:205], v[120:121] op_sel_hi:[0,1,1] neg_lo:[1,0,0] neg_hi:[1,0,0]
	s_waitcnt vmcnt(18) lgkmcnt(2)
	v_pk_fma_f32 v[146:147], v[210:211], v[206:207], v[146:147] op_sel_hi:[0,1,1] neg_lo:[1,0,0] neg_hi:[1,0,0]
	ds_read2_b32 v[204:205], v187 offset0:47 offset1:48
	ds_read2_b32 v[206:207], v187 offset0:49 offset1:50
	s_waitcnt vmcnt(16) lgkmcnt(3)
	v_pk_fma_f32 v[140:141], v[210:211], v[208:209], v[140:141] op_sel_hi:[0,1,1] neg_lo:[1,0,0] neg_hi:[1,0,0]
	s_waitcnt vmcnt(14) lgkmcnt(2)
	v_pk_fma_f32 v[142:143], v[210:211], v[212:213], v[142:143] op_sel_hi:[0,1,1] neg_lo:[1,0,0] neg_hi:[1,0,0]
	ds_read2_b32 v[208:209], v187 offset0:51 offset1:52
	;; [unrolled: 6-line block ×3, first 2 shown]
	ds_read2_b32 v[206:207], v187 offset0:57 offset1:58
	ds_read2_b32 v[214:215], v187 offset0:59 offset1:60
	s_waitcnt vmcnt(8) lgkmcnt(4)
	v_pk_fma_f32 v[168:169], v[210:211], v[208:209], v[168:169] op_sel_hi:[0,1,1] neg_lo:[1,0,0] neg_hi:[1,0,0]
	s_waitcnt vmcnt(6) lgkmcnt(3)
	v_pk_fma_f32 v[170:171], v[210:211], v[212:213], v[170:171] op_sel_hi:[0,1,1] neg_lo:[1,0,0] neg_hi:[1,0,0]
	;; [unrolled: 2-line block ×5, first 2 shown]
	v_mov_b32_e32 v45, v210
.LBB121_83:
	s_or_b64 exec, exec, s[2:3]
	v_cmp_eq_u32_e32 vcc, 15, v25
	s_waitcnt lgkmcnt(0)
	s_barrier
	s_and_saveexec_b64 s[2:3], vcc
	s_cbranch_execz .LBB121_86
; %bb.84:
	s_waitcnt vmcnt(42)
	v_pk_mov_b32 v[204:205], v[48:49], v[74:75] op_sel:[1,0]
	ds_write_b32 v186, v48
	ds_write2_b32 v187, v204, v205 offset0:16 offset1:17
	s_waitcnt vmcnt(40)
	v_pk_mov_b32 v[204:205], v[74:75], v[68:69] op_sel:[1,0]
	ds_write2_b32 v187, v204, v205 offset0:18 offset1:19
	s_waitcnt vmcnt(38)
	v_pk_mov_b32 v[204:205], v[68:69], v[70:71] op_sel:[1,0]
	ds_write2_b32 v187, v204, v205 offset0:20 offset1:21
	s_waitcnt vmcnt(36)
	v_pk_mov_b32 v[204:205], v[70:71], v[72:73] op_sel:[1,0]
	ds_write2_b32 v187, v204, v205 offset0:22 offset1:23
	s_waitcnt vmcnt(34)
	v_pk_mov_b32 v[204:205], v[72:73], v[94:95] op_sel:[1,0]
	ds_write2_b32 v187, v204, v205 offset0:24 offset1:25
	s_waitcnt vmcnt(32)
	v_pk_mov_b32 v[204:205], v[94:95], v[96:97] op_sel:[1,0]
	ds_write2_b32 v187, v204, v205 offset0:26 offset1:27
	s_waitcnt vmcnt(30)
	v_pk_mov_b32 v[204:205], v[96:97], v[98:99] op_sel:[1,0]
	ds_write2_b32 v187, v204, v205 offset0:28 offset1:29
	s_waitcnt vmcnt(28)
	v_pk_mov_b32 v[204:205], v[98:99], v[92:93] op_sel:[1,0]
	ds_write2_b32 v187, v204, v205 offset0:30 offset1:31
	s_waitcnt vmcnt(26)
	v_pk_mov_b32 v[204:205], v[92:93], v[118:119] op_sel:[1,0]
	ds_write2_b32 v187, v204, v205 offset0:32 offset1:33
	s_waitcnt vmcnt(24)
	v_pk_mov_b32 v[204:205], v[118:119], v[122:123] op_sel:[1,0]
	ds_write2_b32 v187, v204, v205 offset0:34 offset1:35
	s_waitcnt vmcnt(22)
	v_pk_mov_b32 v[204:205], v[122:123], v[116:117] op_sel:[1,0]
	ds_write2_b32 v187, v204, v205 offset0:36 offset1:37
	s_waitcnt vmcnt(20)
	v_pk_mov_b32 v[204:205], v[116:117], v[120:121] op_sel:[1,0]
	ds_write2_b32 v187, v204, v205 offset0:38 offset1:39
	s_waitcnt vmcnt(18)
	v_pk_mov_b32 v[204:205], v[120:121], v[146:147] op_sel:[1,0]
	ds_write2_b32 v187, v204, v205 offset0:40 offset1:41
	s_waitcnt vmcnt(16)
	v_pk_mov_b32 v[204:205], v[146:147], v[140:141] op_sel:[1,0]
	ds_write2_b32 v187, v204, v205 offset0:42 offset1:43
	s_waitcnt vmcnt(14)
	v_pk_mov_b32 v[204:205], v[140:141], v[142:143] op_sel:[1,0]
	ds_write2_b32 v187, v204, v205 offset0:44 offset1:45
	s_waitcnt vmcnt(12)
	v_pk_mov_b32 v[204:205], v[142:143], v[144:145] op_sel:[1,0]
	ds_write2_b32 v187, v204, v205 offset0:46 offset1:47
	s_waitcnt vmcnt(10)
	v_pk_mov_b32 v[204:205], v[144:145], v[166:167] op_sel:[1,0]
	ds_write2_b32 v187, v204, v205 offset0:48 offset1:49
	s_waitcnt vmcnt(8)
	v_pk_mov_b32 v[204:205], v[166:167], v[168:169] op_sel:[1,0]
	ds_write2_b32 v187, v204, v205 offset0:50 offset1:51
	s_waitcnt vmcnt(6)
	v_pk_mov_b32 v[204:205], v[168:169], v[170:171] op_sel:[1,0]
	ds_write2_b32 v187, v204, v205 offset0:52 offset1:53
	s_waitcnt vmcnt(4)
	v_pk_mov_b32 v[204:205], v[170:171], v[164:165] op_sel:[1,0]
	ds_write2_b32 v187, v204, v205 offset0:54 offset1:55
	s_waitcnt vmcnt(2)
	v_pk_mov_b32 v[204:205], v[164:165], v[182:183] op_sel:[1,0]
	ds_write2_b32 v187, v204, v205 offset0:56 offset1:57
	s_waitcnt vmcnt(0)
	v_pk_mov_b32 v[204:205], v[182:183], v[184:185] op_sel:[1,0]
	ds_write2_b32 v187, v204, v205 offset0:58 offset1:59
	ds_write_b32 v187, v185 offset:240
	ds_read_b32 v203, v186
	s_waitcnt lgkmcnt(0)
	v_cmp_neq_f32_e32 vcc, 0, v203
	s_and_b64 exec, exec, vcc
	s_cbranch_execz .LBB121_86
; %bb.85:
	v_div_scale_f32 v204, s[4:5], v203, v203, 1.0
	v_rcp_f32_e32 v205, v204
	v_div_scale_f32 v206, vcc, 1.0, v203, 1.0
	v_fma_f32 v207, -v204, v205, 1.0
	v_fmac_f32_e32 v205, v207, v205
	v_mul_f32_e32 v207, v206, v205
	v_fma_f32 v208, -v204, v207, v206
	v_fmac_f32_e32 v207, v208, v205
	v_fma_f32 v204, -v204, v207, v206
	v_div_fmas_f32 v204, v204, v205, v207
	v_div_fixup_f32 v203, v204, v203, 1.0
	ds_write_b32 v186, v203
.LBB121_86:
	s_or_b64 exec, exec, s[2:3]
	s_waitcnt lgkmcnt(0)
	s_barrier
	ds_read_b32 v203, v186
	v_cmp_lt_u32_e32 vcc, 15, v25
	s_and_saveexec_b64 s[2:3], vcc
	s_cbranch_execz .LBB121_88
; %bb.87:
	ds_read_b32 v210, v187 offset:64
	ds_read2_b32 v[204:205], v187 offset0:17 offset1:18
	ds_read2_b32 v[206:207], v187 offset0:19 offset1:20
	s_waitcnt vmcnt(45) lgkmcnt(3)
	v_mul_f32_e32 v48, v203, v48
	ds_read2_b32 v[208:209], v187 offset0:21 offset1:22
	s_waitcnt vmcnt(44) lgkmcnt(3)
	v_fma_f32 v49, -v48, v210, v49
	s_waitcnt vmcnt(42) lgkmcnt(2)
	v_pk_fma_f32 v[74:75], v[48:49], v[204:205], v[74:75] op_sel_hi:[0,1,1] neg_lo:[1,0,0] neg_hi:[1,0,0]
	s_waitcnt vmcnt(40) lgkmcnt(1)
	v_pk_fma_f32 v[68:69], v[48:49], v[206:207], v[68:69] op_sel_hi:[0,1,1] neg_lo:[1,0,0] neg_hi:[1,0,0]
	ds_read2_b32 v[204:205], v187 offset0:23 offset1:24
	ds_read2_b32 v[206:207], v187 offset0:25 offset1:26
	ds_read2_b32 v[210:211], v187 offset0:27 offset1:28
	s_waitcnt vmcnt(38) lgkmcnt(3)
	v_pk_fma_f32 v[70:71], v[48:49], v[208:209], v[70:71] op_sel_hi:[0,1,1] neg_lo:[1,0,0] neg_hi:[1,0,0]
	ds_read2_b32 v[208:209], v187 offset0:29 offset1:30
	s_waitcnt vmcnt(36) lgkmcnt(3)
	v_pk_fma_f32 v[72:73], v[48:49], v[204:205], v[72:73] op_sel_hi:[0,1,1] neg_lo:[1,0,0] neg_hi:[1,0,0]
	s_waitcnt vmcnt(34) lgkmcnt(2)
	v_pk_fma_f32 v[94:95], v[48:49], v[206:207], v[94:95] op_sel_hi:[0,1,1] neg_lo:[1,0,0] neg_hi:[1,0,0]
	s_waitcnt vmcnt(32) lgkmcnt(1)
	v_pk_fma_f32 v[96:97], v[48:49], v[210:211], v[96:97] op_sel_hi:[0,1,1] neg_lo:[1,0,0] neg_hi:[1,0,0]
	ds_read2_b32 v[204:205], v187 offset0:31 offset1:32
	ds_read2_b32 v[206:207], v187 offset0:33 offset1:34
	ds_read2_b32 v[210:211], v187 offset0:35 offset1:36
	s_waitcnt vmcnt(30) lgkmcnt(3)
	v_pk_fma_f32 v[98:99], v[48:49], v[208:209], v[98:99] op_sel_hi:[0,1,1] neg_lo:[1,0,0] neg_hi:[1,0,0]
	ds_read2_b32 v[208:209], v187 offset0:37 offset1:38
	s_waitcnt vmcnt(28) lgkmcnt(3)
	v_pk_fma_f32 v[92:93], v[48:49], v[204:205], v[92:93] op_sel_hi:[0,1,1] neg_lo:[1,0,0] neg_hi:[1,0,0]
	;; [unrolled: 12-line block ×3, first 2 shown]
	s_waitcnt vmcnt(18) lgkmcnt(2)
	v_pk_fma_f32 v[146:147], v[48:49], v[206:207], v[146:147] op_sel_hi:[0,1,1] neg_lo:[1,0,0] neg_hi:[1,0,0]
	ds_read2_b32 v[204:205], v187 offset0:47 offset1:48
	ds_read2_b32 v[206:207], v187 offset0:49 offset1:50
	s_waitcnt vmcnt(16) lgkmcnt(3)
	v_pk_fma_f32 v[140:141], v[48:49], v[210:211], v[140:141] op_sel_hi:[0,1,1] neg_lo:[1,0,0] neg_hi:[1,0,0]
	s_waitcnt vmcnt(14) lgkmcnt(2)
	v_pk_fma_f32 v[142:143], v[48:49], v[208:209], v[142:143] op_sel_hi:[0,1,1] neg_lo:[1,0,0] neg_hi:[1,0,0]
	ds_read2_b32 v[208:209], v187 offset0:51 offset1:52
	ds_read2_b32 v[210:211], v187 offset0:53 offset1:54
	s_waitcnt vmcnt(12) lgkmcnt(3)
	v_pk_fma_f32 v[144:145], v[48:49], v[204:205], v[144:145] op_sel_hi:[0,1,1] neg_lo:[1,0,0] neg_hi:[1,0,0]
	s_waitcnt vmcnt(10) lgkmcnt(2)
	v_pk_fma_f32 v[166:167], v[48:49], v[206:207], v[166:167] op_sel_hi:[0,1,1] neg_lo:[1,0,0] neg_hi:[1,0,0]
	ds_read2_b32 v[204:205], v187 offset0:55 offset1:56
	ds_read2_b32 v[206:207], v187 offset0:57 offset1:58
	;; [unrolled: 1-line block ×3, first 2 shown]
	s_waitcnt vmcnt(8) lgkmcnt(4)
	v_pk_fma_f32 v[168:169], v[48:49], v[208:209], v[168:169] op_sel_hi:[0,1,1] neg_lo:[1,0,0] neg_hi:[1,0,0]
	s_waitcnt vmcnt(6) lgkmcnt(3)
	v_pk_fma_f32 v[170:171], v[48:49], v[210:211], v[170:171] op_sel_hi:[0,1,1] neg_lo:[1,0,0] neg_hi:[1,0,0]
	s_waitcnt vmcnt(4) lgkmcnt(2)
	v_pk_fma_f32 v[164:165], v[48:49], v[204:205], v[164:165] op_sel_hi:[0,1,1] neg_lo:[1,0,0] neg_hi:[1,0,0]
	s_waitcnt vmcnt(2) lgkmcnt(1)
	v_pk_fma_f32 v[182:183], v[48:49], v[206:207], v[182:183] op_sel_hi:[0,1,1] neg_lo:[1,0,0] neg_hi:[1,0,0]
	s_waitcnt vmcnt(0) lgkmcnt(0)
	v_pk_fma_f32 v[184:185], v[48:49], v[212:213], v[184:185] op_sel_hi:[0,1,1] neg_lo:[1,0,0] neg_hi:[1,0,0]
.LBB121_88:
	s_or_b64 exec, exec, s[2:3]
	v_cmp_ne_u32_e32 vcc, 16, v25
	s_waitcnt lgkmcnt(0)
	s_barrier
	s_and_saveexec_b64 s[2:3], vcc
	s_xor_b64 s[2:3], exec, s[2:3]
	s_andn2_saveexec_b64 s[2:3], s[2:3]
	s_cbranch_execz .LBB121_92
; %bb.89:
	s_waitcnt vmcnt(44)
	ds_write_b32 v186, v49
	s_waitcnt vmcnt(42)
	ds_write2_b32 v187, v74, v75 offset0:17 offset1:18
	s_waitcnt vmcnt(40)
	ds_write2_b32 v187, v68, v69 offset0:19 offset1:20
	;; [unrolled: 2-line block ×22, first 2 shown]
	ds_read_b32 v204, v186
	s_waitcnt lgkmcnt(0)
	v_cmp_neq_f32_e32 vcc, 0, v204
	s_and_saveexec_b64 s[4:5], vcc
	s_cbranch_execz .LBB121_91
; %bb.90:
	v_div_scale_f32 v205, s[10:11], v204, v204, 1.0
	v_rcp_f32_e32 v206, v205
	v_div_scale_f32 v207, vcc, 1.0, v204, 1.0
	v_fma_f32 v208, -v205, v206, 1.0
	v_fmac_f32_e32 v206, v208, v206
	v_mul_f32_e32 v208, v207, v206
	v_fma_f32 v209, -v205, v208, v207
	v_fmac_f32_e32 v208, v209, v206
	v_fma_f32 v205, -v205, v208, v207
	v_div_fmas_f32 v205, v205, v206, v208
	v_div_fixup_f32 v204, v205, v204, 1.0
	ds_write_b32 v186, v204
.LBB121_91:
	s_or_b64 exec, exec, s[4:5]
.LBB121_92:
	s_or_b64 exec, exec, s[2:3]
	s_waitcnt lgkmcnt(0)
	s_barrier
	ds_read_b32 v204, v186
	v_cmp_lt_u32_e32 vcc, 16, v25
	s_and_saveexec_b64 s[2:3], vcc
	s_cbranch_execz .LBB121_94
; %bb.93:
	ds_read2_b32 v[206:207], v187 offset0:17 offset1:18
	ds_read2_b32 v[208:209], v187 offset0:19 offset1:20
	;; [unrolled: 1-line block ×4, first 2 shown]
	s_waitcnt vmcnt(44) lgkmcnt(4)
	v_mul_f32_e32 v212, v204, v49
	s_waitcnt vmcnt(42) lgkmcnt(3)
	v_pk_fma_f32 v[74:75], v[212:213], v[206:207], v[74:75] op_sel_hi:[0,1,1] neg_lo:[1,0,0] neg_hi:[1,0,0]
	s_waitcnt vmcnt(40) lgkmcnt(2)
	v_pk_fma_f32 v[68:69], v[212:213], v[208:209], v[68:69] op_sel_hi:[0,1,1] neg_lo:[1,0,0] neg_hi:[1,0,0]
	s_waitcnt vmcnt(38) lgkmcnt(1)
	v_pk_fma_f32 v[70:71], v[212:213], v[210:211], v[70:71] op_sel_hi:[0,1,1] neg_lo:[1,0,0] neg_hi:[1,0,0]
	ds_read2_b32 v[206:207], v187 offset0:25 offset1:26
	ds_read2_b32 v[208:209], v187 offset0:27 offset1:28
	ds_read2_b32 v[210:211], v187 offset0:29 offset1:30
	s_waitcnt vmcnt(36) lgkmcnt(3)
	v_pk_fma_f32 v[72:73], v[212:213], v[214:215], v[72:73] op_sel_hi:[0,1,1] neg_lo:[1,0,0] neg_hi:[1,0,0]
	ds_read2_b32 v[214:215], v187 offset0:31 offset1:32
	s_waitcnt vmcnt(34) lgkmcnt(3)
	v_pk_fma_f32 v[94:95], v[212:213], v[206:207], v[94:95] op_sel_hi:[0,1,1] neg_lo:[1,0,0] neg_hi:[1,0,0]
	s_waitcnt vmcnt(32) lgkmcnt(2)
	v_pk_fma_f32 v[96:97], v[212:213], v[208:209], v[96:97] op_sel_hi:[0,1,1] neg_lo:[1,0,0] neg_hi:[1,0,0]
	s_waitcnt vmcnt(30) lgkmcnt(1)
	v_pk_fma_f32 v[98:99], v[212:213], v[210:211], v[98:99] op_sel_hi:[0,1,1] neg_lo:[1,0,0] neg_hi:[1,0,0]
	ds_read2_b32 v[206:207], v187 offset0:33 offset1:34
	ds_read2_b32 v[208:209], v187 offset0:35 offset1:36
	ds_read2_b32 v[210:211], v187 offset0:37 offset1:38
	s_waitcnt vmcnt(28) lgkmcnt(3)
	v_pk_fma_f32 v[92:93], v[212:213], v[214:215], v[92:93] op_sel_hi:[0,1,1] neg_lo:[1,0,0] neg_hi:[1,0,0]
	ds_read2_b32 v[214:215], v187 offset0:39 offset1:40
	;; [unrolled: 12-line block ×3, first 2 shown]
	s_waitcnt vmcnt(18) lgkmcnt(3)
	v_pk_fma_f32 v[146:147], v[212:213], v[206:207], v[146:147] op_sel_hi:[0,1,1] neg_lo:[1,0,0] neg_hi:[1,0,0]
	ds_read2_b32 v[206:207], v187 offset0:49 offset1:50
	s_waitcnt vmcnt(16) lgkmcnt(3)
	v_pk_fma_f32 v[140:141], v[212:213], v[208:209], v[140:141] op_sel_hi:[0,1,1] neg_lo:[1,0,0] neg_hi:[1,0,0]
	s_waitcnt vmcnt(14) lgkmcnt(2)
	v_pk_fma_f32 v[142:143], v[212:213], v[210:211], v[142:143] op_sel_hi:[0,1,1] neg_lo:[1,0,0] neg_hi:[1,0,0]
	;; [unrolled: 2-line block ×3, first 2 shown]
	ds_read2_b32 v[208:209], v187 offset0:51 offset1:52
	ds_read2_b32 v[210:211], v187 offset0:53 offset1:54
	;; [unrolled: 1-line block ×3, first 2 shown]
	s_waitcnt vmcnt(10) lgkmcnt(3)
	v_pk_fma_f32 v[166:167], v[212:213], v[206:207], v[166:167] op_sel_hi:[0,1,1] neg_lo:[1,0,0] neg_hi:[1,0,0]
	ds_read2_b32 v[206:207], v187 offset0:57 offset1:58
	ds_read2_b32 v[216:217], v187 offset0:59 offset1:60
	s_waitcnt vmcnt(8) lgkmcnt(4)
	v_pk_fma_f32 v[168:169], v[212:213], v[208:209], v[168:169] op_sel_hi:[0,1,1] neg_lo:[1,0,0] neg_hi:[1,0,0]
	s_waitcnt vmcnt(6) lgkmcnt(3)
	v_pk_fma_f32 v[170:171], v[212:213], v[210:211], v[170:171] op_sel_hi:[0,1,1] neg_lo:[1,0,0] neg_hi:[1,0,0]
	;; [unrolled: 2-line block ×5, first 2 shown]
	v_mov_b32_e32 v49, v212
.LBB121_94:
	s_or_b64 exec, exec, s[2:3]
	v_cmp_eq_u32_e32 vcc, 17, v25
	s_waitcnt lgkmcnt(0)
	s_barrier
	s_and_saveexec_b64 s[2:3], vcc
	s_cbranch_execz .LBB121_97
; %bb.95:
	s_waitcnt vmcnt(40)
	v_pk_mov_b32 v[206:207], v[74:75], v[68:69] op_sel:[1,0]
	ds_write_b32 v186, v74
	ds_write2_b32 v187, v206, v207 offset0:18 offset1:19
	s_waitcnt vmcnt(38)
	v_pk_mov_b32 v[206:207], v[68:69], v[70:71] op_sel:[1,0]
	ds_write2_b32 v187, v206, v207 offset0:20 offset1:21
	s_waitcnt vmcnt(36)
	v_pk_mov_b32 v[206:207], v[70:71], v[72:73] op_sel:[1,0]
	;; [unrolled: 3-line block ×20, first 2 shown]
	ds_write2_b32 v187, v206, v207 offset0:58 offset1:59
	ds_write_b32 v187, v185 offset:240
	ds_read_b32 v205, v186
	s_waitcnt lgkmcnt(0)
	v_cmp_neq_f32_e32 vcc, 0, v205
	s_and_b64 exec, exec, vcc
	s_cbranch_execz .LBB121_97
; %bb.96:
	v_div_scale_f32 v206, s[4:5], v205, v205, 1.0
	v_rcp_f32_e32 v207, v206
	v_div_scale_f32 v208, vcc, 1.0, v205, 1.0
	v_fma_f32 v209, -v206, v207, 1.0
	v_fmac_f32_e32 v207, v209, v207
	v_mul_f32_e32 v209, v208, v207
	v_fma_f32 v210, -v206, v209, v208
	v_fmac_f32_e32 v209, v210, v207
	v_fma_f32 v206, -v206, v209, v208
	v_div_fmas_f32 v206, v206, v207, v209
	v_div_fixup_f32 v205, v206, v205, 1.0
	ds_write_b32 v186, v205
.LBB121_97:
	s_or_b64 exec, exec, s[2:3]
	s_waitcnt lgkmcnt(0)
	s_barrier
	ds_read_b32 v205, v186
	v_cmp_lt_u32_e32 vcc, 17, v25
	s_and_saveexec_b64 s[2:3], vcc
	s_cbranch_execz .LBB121_99
; %bb.98:
	ds_read_b32 v212, v187 offset:72
	ds_read2_b32 v[206:207], v187 offset0:19 offset1:20
	ds_read2_b32 v[208:209], v187 offset0:21 offset1:22
	s_waitcnt vmcnt(43) lgkmcnt(3)
	v_mul_f32_e32 v74, v205, v74
	ds_read2_b32 v[210:211], v187 offset0:23 offset1:24
	s_waitcnt vmcnt(42) lgkmcnt(3)
	v_fma_f32 v75, -v74, v212, v75
	s_waitcnt vmcnt(40) lgkmcnt(2)
	v_pk_fma_f32 v[68:69], v[74:75], v[206:207], v[68:69] op_sel_hi:[0,1,1] neg_lo:[1,0,0] neg_hi:[1,0,0]
	s_waitcnt vmcnt(38) lgkmcnt(1)
	v_pk_fma_f32 v[70:71], v[74:75], v[208:209], v[70:71] op_sel_hi:[0,1,1] neg_lo:[1,0,0] neg_hi:[1,0,0]
	ds_read2_b32 v[206:207], v187 offset0:25 offset1:26
	ds_read2_b32 v[208:209], v187 offset0:27 offset1:28
	ds_read2_b32 v[212:213], v187 offset0:29 offset1:30
	s_waitcnt vmcnt(36) lgkmcnt(3)
	v_pk_fma_f32 v[72:73], v[74:75], v[210:211], v[72:73] op_sel_hi:[0,1,1] neg_lo:[1,0,0] neg_hi:[1,0,0]
	ds_read2_b32 v[210:211], v187 offset0:31 offset1:32
	s_waitcnt vmcnt(34) lgkmcnt(3)
	v_pk_fma_f32 v[94:95], v[74:75], v[206:207], v[94:95] op_sel_hi:[0,1,1] neg_lo:[1,0,0] neg_hi:[1,0,0]
	s_waitcnt vmcnt(32) lgkmcnt(2)
	v_pk_fma_f32 v[96:97], v[74:75], v[208:209], v[96:97] op_sel_hi:[0,1,1] neg_lo:[1,0,0] neg_hi:[1,0,0]
	s_waitcnt vmcnt(30) lgkmcnt(1)
	v_pk_fma_f32 v[98:99], v[74:75], v[212:213], v[98:99] op_sel_hi:[0,1,1] neg_lo:[1,0,0] neg_hi:[1,0,0]
	ds_read2_b32 v[206:207], v187 offset0:33 offset1:34
	ds_read2_b32 v[208:209], v187 offset0:35 offset1:36
	ds_read2_b32 v[212:213], v187 offset0:37 offset1:38
	s_waitcnt vmcnt(28) lgkmcnt(3)
	v_pk_fma_f32 v[92:93], v[74:75], v[210:211], v[92:93] op_sel_hi:[0,1,1] neg_lo:[1,0,0] neg_hi:[1,0,0]
	ds_read2_b32 v[210:211], v187 offset0:39 offset1:40
	s_waitcnt vmcnt(26) lgkmcnt(3)
	v_pk_fma_f32 v[118:119], v[74:75], v[206:207], v[118:119] op_sel_hi:[0,1,1] neg_lo:[1,0,0] neg_hi:[1,0,0]
	;; [unrolled: 12-line block ×3, first 2 shown]
	ds_read2_b32 v[206:207], v187 offset0:49 offset1:50
	s_waitcnt vmcnt(16) lgkmcnt(3)
	v_pk_fma_f32 v[140:141], v[74:75], v[208:209], v[140:141] op_sel_hi:[0,1,1] neg_lo:[1,0,0] neg_hi:[1,0,0]
	s_waitcnt vmcnt(14) lgkmcnt(2)
	v_pk_fma_f32 v[142:143], v[74:75], v[212:213], v[142:143] op_sel_hi:[0,1,1] neg_lo:[1,0,0] neg_hi:[1,0,0]
	;; [unrolled: 2-line block ×3, first 2 shown]
	ds_read2_b32 v[208:209], v187 offset0:51 offset1:52
	ds_read2_b32 v[210:211], v187 offset0:53 offset1:54
	;; [unrolled: 1-line block ×3, first 2 shown]
	s_waitcnt vmcnt(10) lgkmcnt(3)
	v_pk_fma_f32 v[166:167], v[74:75], v[206:207], v[166:167] op_sel_hi:[0,1,1] neg_lo:[1,0,0] neg_hi:[1,0,0]
	ds_read2_b32 v[206:207], v187 offset0:57 offset1:58
	ds_read2_b32 v[214:215], v187 offset0:59 offset1:60
	s_waitcnt vmcnt(8) lgkmcnt(4)
	v_pk_fma_f32 v[168:169], v[74:75], v[208:209], v[168:169] op_sel_hi:[0,1,1] neg_lo:[1,0,0] neg_hi:[1,0,0]
	s_waitcnt vmcnt(6) lgkmcnt(3)
	v_pk_fma_f32 v[170:171], v[74:75], v[210:211], v[170:171] op_sel_hi:[0,1,1] neg_lo:[1,0,0] neg_hi:[1,0,0]
	;; [unrolled: 2-line block ×5, first 2 shown]
.LBB121_99:
	s_or_b64 exec, exec, s[2:3]
	v_cmp_ne_u32_e32 vcc, 18, v25
	s_waitcnt lgkmcnt(0)
	s_barrier
	s_and_saveexec_b64 s[2:3], vcc
	s_xor_b64 s[2:3], exec, s[2:3]
	s_andn2_saveexec_b64 s[2:3], s[2:3]
	s_cbranch_execz .LBB121_103
; %bb.100:
	s_waitcnt vmcnt(42)
	ds_write_b32 v186, v75
	s_waitcnt vmcnt(40)
	ds_write2_b32 v187, v68, v69 offset0:19 offset1:20
	s_waitcnt vmcnt(38)
	ds_write2_b32 v187, v70, v71 offset0:21 offset1:22
	;; [unrolled: 2-line block ×21, first 2 shown]
	ds_read_b32 v206, v186
	s_waitcnt lgkmcnt(0)
	v_cmp_neq_f32_e32 vcc, 0, v206
	s_and_saveexec_b64 s[4:5], vcc
	s_cbranch_execz .LBB121_102
; %bb.101:
	v_div_scale_f32 v207, s[10:11], v206, v206, 1.0
	v_rcp_f32_e32 v208, v207
	v_div_scale_f32 v209, vcc, 1.0, v206, 1.0
	v_fma_f32 v210, -v207, v208, 1.0
	v_fmac_f32_e32 v208, v210, v208
	v_mul_f32_e32 v210, v209, v208
	v_fma_f32 v211, -v207, v210, v209
	v_fmac_f32_e32 v210, v211, v208
	v_fma_f32 v207, -v207, v210, v209
	v_div_fmas_f32 v207, v207, v208, v210
	v_div_fixup_f32 v206, v207, v206, 1.0
	ds_write_b32 v186, v206
.LBB121_102:
	s_or_b64 exec, exec, s[4:5]
.LBB121_103:
	s_or_b64 exec, exec, s[2:3]
	s_waitcnt lgkmcnt(0)
	s_barrier
	ds_read_b32 v206, v186
	v_cmp_lt_u32_e32 vcc, 18, v25
	s_and_saveexec_b64 s[2:3], vcc
	s_cbranch_execz .LBB121_105
; %bb.104:
	ds_read2_b32 v[208:209], v187 offset0:19 offset1:20
	ds_read2_b32 v[210:211], v187 offset0:21 offset1:22
	;; [unrolled: 1-line block ×3, first 2 shown]
	s_waitcnt vmcnt(42) lgkmcnt(3)
	v_mul_f32_e32 v214, v206, v75
	ds_read2_b32 v[216:217], v187 offset0:25 offset1:26
	s_waitcnt vmcnt(40) lgkmcnt(3)
	v_pk_fma_f32 v[68:69], v[214:215], v[208:209], v[68:69] op_sel_hi:[0,1,1] neg_lo:[1,0,0] neg_hi:[1,0,0]
	s_waitcnt vmcnt(38) lgkmcnt(2)
	v_pk_fma_f32 v[70:71], v[214:215], v[210:211], v[70:71] op_sel_hi:[0,1,1] neg_lo:[1,0,0] neg_hi:[1,0,0]
	s_waitcnt vmcnt(36) lgkmcnt(1)
	v_pk_fma_f32 v[72:73], v[214:215], v[212:213], v[72:73] op_sel_hi:[0,1,1] neg_lo:[1,0,0] neg_hi:[1,0,0]
	ds_read2_b32 v[208:209], v187 offset0:27 offset1:28
	ds_read2_b32 v[210:211], v187 offset0:29 offset1:30
	;; [unrolled: 1-line block ×3, first 2 shown]
	s_waitcnt vmcnt(34) lgkmcnt(3)
	v_pk_fma_f32 v[94:95], v[214:215], v[216:217], v[94:95] op_sel_hi:[0,1,1] neg_lo:[1,0,0] neg_hi:[1,0,0]
	ds_read2_b32 v[216:217], v187 offset0:33 offset1:34
	s_waitcnt vmcnt(32) lgkmcnt(3)
	v_pk_fma_f32 v[96:97], v[214:215], v[208:209], v[96:97] op_sel_hi:[0,1,1] neg_lo:[1,0,0] neg_hi:[1,0,0]
	s_waitcnt vmcnt(30) lgkmcnt(2)
	v_pk_fma_f32 v[98:99], v[214:215], v[210:211], v[98:99] op_sel_hi:[0,1,1] neg_lo:[1,0,0] neg_hi:[1,0,0]
	;; [unrolled: 2-line block ×3, first 2 shown]
	ds_read2_b32 v[208:209], v187 offset0:35 offset1:36
	ds_read2_b32 v[210:211], v187 offset0:37 offset1:38
	;; [unrolled: 1-line block ×3, first 2 shown]
	s_waitcnt vmcnt(26) lgkmcnt(3)
	v_pk_fma_f32 v[118:119], v[214:215], v[216:217], v[118:119] op_sel_hi:[0,1,1] neg_lo:[1,0,0] neg_hi:[1,0,0]
	ds_read2_b32 v[216:217], v187 offset0:41 offset1:42
	s_waitcnt vmcnt(24) lgkmcnt(3)
	v_pk_fma_f32 v[122:123], v[214:215], v[208:209], v[122:123] op_sel_hi:[0,1,1] neg_lo:[1,0,0] neg_hi:[1,0,0]
	s_waitcnt vmcnt(22) lgkmcnt(2)
	v_pk_fma_f32 v[116:117], v[214:215], v[210:211], v[116:117] op_sel_hi:[0,1,1] neg_lo:[1,0,0] neg_hi:[1,0,0]
	;; [unrolled: 2-line block ×3, first 2 shown]
	ds_read2_b32 v[208:209], v187 offset0:43 offset1:44
	ds_read2_b32 v[210:211], v187 offset0:45 offset1:46
	;; [unrolled: 1-line block ×4, first 2 shown]
	s_waitcnt vmcnt(18) lgkmcnt(4)
	v_pk_fma_f32 v[146:147], v[214:215], v[216:217], v[146:147] op_sel_hi:[0,1,1] neg_lo:[1,0,0] neg_hi:[1,0,0]
	s_waitcnt vmcnt(16) lgkmcnt(3)
	v_pk_fma_f32 v[140:141], v[214:215], v[208:209], v[140:141] op_sel_hi:[0,1,1] neg_lo:[1,0,0] neg_hi:[1,0,0]
	;; [unrolled: 2-line block ×5, first 2 shown]
	ds_read2_b32 v[208:209], v187 offset0:51 offset1:52
	ds_read2_b32 v[210:211], v187 offset0:53 offset1:54
	;; [unrolled: 1-line block ×5, first 2 shown]
	s_waitcnt vmcnt(8) lgkmcnt(4)
	v_pk_fma_f32 v[168:169], v[214:215], v[208:209], v[168:169] op_sel_hi:[0,1,1] neg_lo:[1,0,0] neg_hi:[1,0,0]
	s_waitcnt vmcnt(6) lgkmcnt(3)
	v_pk_fma_f32 v[170:171], v[214:215], v[210:211], v[170:171] op_sel_hi:[0,1,1] neg_lo:[1,0,0] neg_hi:[1,0,0]
	;; [unrolled: 2-line block ×5, first 2 shown]
	v_mov_b32_e32 v75, v214
.LBB121_105:
	s_or_b64 exec, exec, s[2:3]
	v_cmp_eq_u32_e32 vcc, 19, v25
	s_waitcnt lgkmcnt(0)
	s_barrier
	s_and_saveexec_b64 s[2:3], vcc
	s_cbranch_execz .LBB121_108
; %bb.106:
	s_waitcnt vmcnt(38)
	v_pk_mov_b32 v[208:209], v[68:69], v[70:71] op_sel:[1,0]
	ds_write_b32 v186, v68
	ds_write2_b32 v187, v208, v209 offset0:20 offset1:21
	s_waitcnt vmcnt(36)
	v_pk_mov_b32 v[208:209], v[70:71], v[72:73] op_sel:[1,0]
	ds_write2_b32 v187, v208, v209 offset0:22 offset1:23
	s_waitcnt vmcnt(34)
	v_pk_mov_b32 v[208:209], v[72:73], v[94:95] op_sel:[1,0]
	;; [unrolled: 3-line block ×19, first 2 shown]
	ds_write2_b32 v187, v208, v209 offset0:58 offset1:59
	ds_write_b32 v187, v185 offset:240
	ds_read_b32 v207, v186
	s_waitcnt lgkmcnt(0)
	v_cmp_neq_f32_e32 vcc, 0, v207
	s_and_b64 exec, exec, vcc
	s_cbranch_execz .LBB121_108
; %bb.107:
	v_div_scale_f32 v208, s[4:5], v207, v207, 1.0
	v_rcp_f32_e32 v209, v208
	v_div_scale_f32 v210, vcc, 1.0, v207, 1.0
	v_fma_f32 v211, -v208, v209, 1.0
	v_fmac_f32_e32 v209, v211, v209
	v_mul_f32_e32 v211, v210, v209
	v_fma_f32 v212, -v208, v211, v210
	v_fmac_f32_e32 v211, v212, v209
	v_fma_f32 v208, -v208, v211, v210
	v_div_fmas_f32 v208, v208, v209, v211
	v_div_fixup_f32 v207, v208, v207, 1.0
	ds_write_b32 v186, v207
.LBB121_108:
	s_or_b64 exec, exec, s[2:3]
	s_waitcnt lgkmcnt(0)
	s_barrier
	ds_read_b32 v207, v186
	v_cmp_lt_u32_e32 vcc, 19, v25
	s_and_saveexec_b64 s[2:3], vcc
	s_cbranch_execz .LBB121_110
; %bb.109:
	ds_read_b32 v214, v187 offset:80
	ds_read2_b32 v[208:209], v187 offset0:21 offset1:22
	ds_read2_b32 v[210:211], v187 offset0:23 offset1:24
	s_waitcnt vmcnt(41) lgkmcnt(3)
	v_mul_f32_e32 v68, v207, v68
	ds_read2_b32 v[212:213], v187 offset0:25 offset1:26
	s_waitcnt vmcnt(40) lgkmcnt(3)
	v_fma_f32 v69, -v68, v214, v69
	s_waitcnt vmcnt(38) lgkmcnt(2)
	v_pk_fma_f32 v[70:71], v[68:69], v[208:209], v[70:71] op_sel_hi:[0,1,1] neg_lo:[1,0,0] neg_hi:[1,0,0]
	s_waitcnt vmcnt(36) lgkmcnt(1)
	v_pk_fma_f32 v[72:73], v[68:69], v[210:211], v[72:73] op_sel_hi:[0,1,1] neg_lo:[1,0,0] neg_hi:[1,0,0]
	ds_read2_b32 v[208:209], v187 offset0:27 offset1:28
	ds_read2_b32 v[210:211], v187 offset0:29 offset1:30
	ds_read2_b32 v[214:215], v187 offset0:31 offset1:32
	s_waitcnt vmcnt(34) lgkmcnt(3)
	v_pk_fma_f32 v[94:95], v[68:69], v[212:213], v[94:95] op_sel_hi:[0,1,1] neg_lo:[1,0,0] neg_hi:[1,0,0]
	ds_read2_b32 v[212:213], v187 offset0:33 offset1:34
	s_waitcnt vmcnt(32) lgkmcnt(3)
	v_pk_fma_f32 v[96:97], v[68:69], v[208:209], v[96:97] op_sel_hi:[0,1,1] neg_lo:[1,0,0] neg_hi:[1,0,0]
	s_waitcnt vmcnt(30) lgkmcnt(2)
	v_pk_fma_f32 v[98:99], v[68:69], v[210:211], v[98:99] op_sel_hi:[0,1,1] neg_lo:[1,0,0] neg_hi:[1,0,0]
	;; [unrolled: 2-line block ×3, first 2 shown]
	ds_read2_b32 v[208:209], v187 offset0:35 offset1:36
	ds_read2_b32 v[210:211], v187 offset0:37 offset1:38
	;; [unrolled: 1-line block ×3, first 2 shown]
	s_waitcnt vmcnt(26) lgkmcnt(3)
	v_pk_fma_f32 v[118:119], v[68:69], v[212:213], v[118:119] op_sel_hi:[0,1,1] neg_lo:[1,0,0] neg_hi:[1,0,0]
	ds_read2_b32 v[212:213], v187 offset0:41 offset1:42
	s_waitcnt vmcnt(24) lgkmcnt(3)
	v_pk_fma_f32 v[122:123], v[68:69], v[208:209], v[122:123] op_sel_hi:[0,1,1] neg_lo:[1,0,0] neg_hi:[1,0,0]
	s_waitcnt vmcnt(22) lgkmcnt(2)
	v_pk_fma_f32 v[116:117], v[68:69], v[210:211], v[116:117] op_sel_hi:[0,1,1] neg_lo:[1,0,0] neg_hi:[1,0,0]
	;; [unrolled: 2-line block ×3, first 2 shown]
	ds_read2_b32 v[208:209], v187 offset0:43 offset1:44
	ds_read2_b32 v[210:211], v187 offset0:45 offset1:46
	;; [unrolled: 1-line block ×4, first 2 shown]
	s_waitcnt vmcnt(18) lgkmcnt(4)
	v_pk_fma_f32 v[146:147], v[68:69], v[212:213], v[146:147] op_sel_hi:[0,1,1] neg_lo:[1,0,0] neg_hi:[1,0,0]
	s_waitcnt vmcnt(16) lgkmcnt(3)
	v_pk_fma_f32 v[140:141], v[68:69], v[208:209], v[140:141] op_sel_hi:[0,1,1] neg_lo:[1,0,0] neg_hi:[1,0,0]
	;; [unrolled: 2-line block ×5, first 2 shown]
	ds_read2_b32 v[208:209], v187 offset0:51 offset1:52
	ds_read2_b32 v[210:211], v187 offset0:53 offset1:54
	;; [unrolled: 1-line block ×5, first 2 shown]
	s_waitcnt vmcnt(8) lgkmcnt(4)
	v_pk_fma_f32 v[168:169], v[68:69], v[208:209], v[168:169] op_sel_hi:[0,1,1] neg_lo:[1,0,0] neg_hi:[1,0,0]
	s_waitcnt vmcnt(6) lgkmcnt(3)
	v_pk_fma_f32 v[170:171], v[68:69], v[210:211], v[170:171] op_sel_hi:[0,1,1] neg_lo:[1,0,0] neg_hi:[1,0,0]
	;; [unrolled: 2-line block ×5, first 2 shown]
.LBB121_110:
	s_or_b64 exec, exec, s[2:3]
	v_cmp_ne_u32_e32 vcc, 20, v25
	s_waitcnt lgkmcnt(0)
	s_barrier
	s_and_saveexec_b64 s[2:3], vcc
	s_xor_b64 s[2:3], exec, s[2:3]
	s_andn2_saveexec_b64 s[2:3], s[2:3]
	s_cbranch_execz .LBB121_114
; %bb.111:
	s_waitcnt vmcnt(40)
	ds_write_b32 v186, v69
	s_waitcnt vmcnt(38)
	ds_write2_b32 v187, v70, v71 offset0:21 offset1:22
	s_waitcnt vmcnt(36)
	ds_write2_b32 v187, v72, v73 offset0:23 offset1:24
	;; [unrolled: 2-line block ×20, first 2 shown]
	ds_read_b32 v208, v186
	s_waitcnt lgkmcnt(0)
	v_cmp_neq_f32_e32 vcc, 0, v208
	s_and_saveexec_b64 s[4:5], vcc
	s_cbranch_execz .LBB121_113
; %bb.112:
	v_div_scale_f32 v209, s[10:11], v208, v208, 1.0
	v_rcp_f32_e32 v210, v209
	v_div_scale_f32 v211, vcc, 1.0, v208, 1.0
	v_fma_f32 v212, -v209, v210, 1.0
	v_fmac_f32_e32 v210, v212, v210
	v_mul_f32_e32 v212, v211, v210
	v_fma_f32 v213, -v209, v212, v211
	v_fmac_f32_e32 v212, v213, v210
	v_fma_f32 v209, -v209, v212, v211
	v_div_fmas_f32 v209, v209, v210, v212
	v_div_fixup_f32 v208, v209, v208, 1.0
	ds_write_b32 v186, v208
.LBB121_113:
	s_or_b64 exec, exec, s[4:5]
.LBB121_114:
	s_or_b64 exec, exec, s[2:3]
	s_waitcnt lgkmcnt(0)
	s_barrier
	ds_read_b32 v208, v186
	v_cmp_lt_u32_e32 vcc, 20, v25
	s_and_saveexec_b64 s[2:3], vcc
	s_cbranch_execz .LBB121_116
; %bb.115:
	ds_read2_b32 v[210:211], v187 offset0:21 offset1:22
	ds_read2_b32 v[212:213], v187 offset0:23 offset1:24
	;; [unrolled: 1-line block ×3, first 2 shown]
	s_waitcnt vmcnt(40) lgkmcnt(3)
	v_mul_f32_e32 v216, v208, v69
	ds_read2_b32 v[218:219], v187 offset0:27 offset1:28
	s_waitcnt vmcnt(38) lgkmcnt(3)
	v_pk_fma_f32 v[70:71], v[216:217], v[210:211], v[70:71] op_sel_hi:[0,1,1] neg_lo:[1,0,0] neg_hi:[1,0,0]
	s_waitcnt vmcnt(36) lgkmcnt(2)
	v_pk_fma_f32 v[72:73], v[216:217], v[212:213], v[72:73] op_sel_hi:[0,1,1] neg_lo:[1,0,0] neg_hi:[1,0,0]
	s_waitcnt vmcnt(34) lgkmcnt(1)
	v_pk_fma_f32 v[94:95], v[216:217], v[214:215], v[94:95] op_sel_hi:[0,1,1] neg_lo:[1,0,0] neg_hi:[1,0,0]
	ds_read2_b32 v[210:211], v187 offset0:29 offset1:30
	ds_read2_b32 v[212:213], v187 offset0:31 offset1:32
	ds_read2_b32 v[214:215], v187 offset0:33 offset1:34
	s_waitcnt vmcnt(32) lgkmcnt(3)
	v_pk_fma_f32 v[96:97], v[216:217], v[218:219], v[96:97] op_sel_hi:[0,1,1] neg_lo:[1,0,0] neg_hi:[1,0,0]
	ds_read2_b32 v[218:219], v187 offset0:35 offset1:36
	s_waitcnt vmcnt(30) lgkmcnt(3)
	v_pk_fma_f32 v[98:99], v[216:217], v[210:211], v[98:99] op_sel_hi:[0,1,1] neg_lo:[1,0,0] neg_hi:[1,0,0]
	s_waitcnt vmcnt(28) lgkmcnt(2)
	v_pk_fma_f32 v[92:93], v[216:217], v[212:213], v[92:93] op_sel_hi:[0,1,1] neg_lo:[1,0,0] neg_hi:[1,0,0]
	s_waitcnt vmcnt(26) lgkmcnt(1)
	v_pk_fma_f32 v[118:119], v[216:217], v[214:215], v[118:119] op_sel_hi:[0,1,1] neg_lo:[1,0,0] neg_hi:[1,0,0]
	ds_read2_b32 v[210:211], v187 offset0:37 offset1:38
	ds_read2_b32 v[212:213], v187 offset0:39 offset1:40
	ds_read2_b32 v[214:215], v187 offset0:41 offset1:42
	s_waitcnt vmcnt(24) lgkmcnt(3)
	v_pk_fma_f32 v[122:123], v[216:217], v[218:219], v[122:123] op_sel_hi:[0,1,1] neg_lo:[1,0,0] neg_hi:[1,0,0]
	;; [unrolled: 12-line block ×3, first 2 shown]
	ds_read2_b32 v[218:219], v187 offset0:51 offset1:52
	s_waitcnt vmcnt(14) lgkmcnt(3)
	v_pk_fma_f32 v[142:143], v[216:217], v[210:211], v[142:143] op_sel_hi:[0,1,1] neg_lo:[1,0,0] neg_hi:[1,0,0]
	s_waitcnt vmcnt(12) lgkmcnt(2)
	v_pk_fma_f32 v[144:145], v[216:217], v[212:213], v[144:145] op_sel_hi:[0,1,1] neg_lo:[1,0,0] neg_hi:[1,0,0]
	;; [unrolled: 2-line block ×3, first 2 shown]
	ds_read2_b32 v[210:211], v187 offset0:53 offset1:54
	ds_read2_b32 v[212:213], v187 offset0:55 offset1:56
	ds_read2_b32 v[214:215], v187 offset0:57 offset1:58
	ds_read2_b32 v[220:221], v187 offset0:59 offset1:60
	s_waitcnt vmcnt(8) lgkmcnt(4)
	v_pk_fma_f32 v[168:169], v[216:217], v[218:219], v[168:169] op_sel_hi:[0,1,1] neg_lo:[1,0,0] neg_hi:[1,0,0]
	s_waitcnt vmcnt(6) lgkmcnt(3)
	v_pk_fma_f32 v[170:171], v[216:217], v[210:211], v[170:171] op_sel_hi:[0,1,1] neg_lo:[1,0,0] neg_hi:[1,0,0]
	;; [unrolled: 2-line block ×5, first 2 shown]
	v_mov_b32_e32 v69, v216
.LBB121_116:
	s_or_b64 exec, exec, s[2:3]
	v_cmp_eq_u32_e32 vcc, 21, v25
	s_waitcnt lgkmcnt(0)
	s_barrier
	s_and_saveexec_b64 s[2:3], vcc
	s_cbranch_execz .LBB121_119
; %bb.117:
	s_waitcnt vmcnt(36)
	v_pk_mov_b32 v[210:211], v[70:71], v[72:73] op_sel:[1,0]
	ds_write_b32 v186, v70
	ds_write2_b32 v187, v210, v211 offset0:22 offset1:23
	s_waitcnt vmcnt(34)
	v_pk_mov_b32 v[210:211], v[72:73], v[94:95] op_sel:[1,0]
	ds_write2_b32 v187, v210, v211 offset0:24 offset1:25
	s_waitcnt vmcnt(32)
	v_pk_mov_b32 v[210:211], v[94:95], v[96:97] op_sel:[1,0]
	;; [unrolled: 3-line block ×18, first 2 shown]
	ds_write2_b32 v187, v210, v211 offset0:58 offset1:59
	ds_write_b32 v187, v185 offset:240
	ds_read_b32 v209, v186
	s_waitcnt lgkmcnt(0)
	v_cmp_neq_f32_e32 vcc, 0, v209
	s_and_b64 exec, exec, vcc
	s_cbranch_execz .LBB121_119
; %bb.118:
	v_div_scale_f32 v210, s[4:5], v209, v209, 1.0
	v_rcp_f32_e32 v211, v210
	v_div_scale_f32 v212, vcc, 1.0, v209, 1.0
	v_fma_f32 v213, -v210, v211, 1.0
	v_fmac_f32_e32 v211, v213, v211
	v_mul_f32_e32 v213, v212, v211
	v_fma_f32 v214, -v210, v213, v212
	v_fmac_f32_e32 v213, v214, v211
	v_fma_f32 v210, -v210, v213, v212
	v_div_fmas_f32 v210, v210, v211, v213
	v_div_fixup_f32 v209, v210, v209, 1.0
	ds_write_b32 v186, v209
.LBB121_119:
	s_or_b64 exec, exec, s[2:3]
	s_waitcnt lgkmcnt(0)
	s_barrier
	ds_read_b32 v209, v186
	v_cmp_lt_u32_e32 vcc, 21, v25
	s_and_saveexec_b64 s[2:3], vcc
	s_cbranch_execz .LBB121_121
; %bb.120:
	ds_read_b32 v216, v187 offset:88
	ds_read2_b32 v[210:211], v187 offset0:23 offset1:24
	ds_read2_b32 v[212:213], v187 offset0:25 offset1:26
	s_waitcnt vmcnt(39) lgkmcnt(3)
	v_mul_f32_e32 v70, v209, v70
	ds_read2_b32 v[214:215], v187 offset0:27 offset1:28
	s_waitcnt vmcnt(38) lgkmcnt(3)
	v_fma_f32 v71, -v70, v216, v71
	s_waitcnt vmcnt(36) lgkmcnt(2)
	v_pk_fma_f32 v[72:73], v[70:71], v[210:211], v[72:73] op_sel_hi:[0,1,1] neg_lo:[1,0,0] neg_hi:[1,0,0]
	s_waitcnt vmcnt(34) lgkmcnt(1)
	v_pk_fma_f32 v[94:95], v[70:71], v[212:213], v[94:95] op_sel_hi:[0,1,1] neg_lo:[1,0,0] neg_hi:[1,0,0]
	ds_read2_b32 v[210:211], v187 offset0:29 offset1:30
	ds_read2_b32 v[212:213], v187 offset0:31 offset1:32
	ds_read2_b32 v[216:217], v187 offset0:33 offset1:34
	s_waitcnt vmcnt(32) lgkmcnt(3)
	v_pk_fma_f32 v[96:97], v[70:71], v[214:215], v[96:97] op_sel_hi:[0,1,1] neg_lo:[1,0,0] neg_hi:[1,0,0]
	ds_read2_b32 v[214:215], v187 offset0:35 offset1:36
	s_waitcnt vmcnt(30) lgkmcnt(3)
	v_pk_fma_f32 v[98:99], v[70:71], v[210:211], v[98:99] op_sel_hi:[0,1,1] neg_lo:[1,0,0] neg_hi:[1,0,0]
	s_waitcnt vmcnt(28) lgkmcnt(2)
	v_pk_fma_f32 v[92:93], v[70:71], v[212:213], v[92:93] op_sel_hi:[0,1,1] neg_lo:[1,0,0] neg_hi:[1,0,0]
	s_waitcnt vmcnt(26) lgkmcnt(1)
	v_pk_fma_f32 v[118:119], v[70:71], v[216:217], v[118:119] op_sel_hi:[0,1,1] neg_lo:[1,0,0] neg_hi:[1,0,0]
	ds_read2_b32 v[210:211], v187 offset0:37 offset1:38
	ds_read2_b32 v[212:213], v187 offset0:39 offset1:40
	ds_read2_b32 v[216:217], v187 offset0:41 offset1:42
	s_waitcnt vmcnt(24) lgkmcnt(3)
	v_pk_fma_f32 v[122:123], v[70:71], v[214:215], v[122:123] op_sel_hi:[0,1,1] neg_lo:[1,0,0] neg_hi:[1,0,0]
	ds_read2_b32 v[214:215], v187 offset0:43 offset1:44
	s_waitcnt vmcnt(22) lgkmcnt(3)
	v_pk_fma_f32 v[116:117], v[70:71], v[210:211], v[116:117] op_sel_hi:[0,1,1] neg_lo:[1,0,0] neg_hi:[1,0,0]
	;; [unrolled: 12-line block ×3, first 2 shown]
	s_waitcnt vmcnt(12) lgkmcnt(2)
	v_pk_fma_f32 v[144:145], v[70:71], v[212:213], v[144:145] op_sel_hi:[0,1,1] neg_lo:[1,0,0] neg_hi:[1,0,0]
	s_waitcnt vmcnt(10) lgkmcnt(1)
	v_pk_fma_f32 v[166:167], v[70:71], v[216:217], v[166:167] op_sel_hi:[0,1,1] neg_lo:[1,0,0] neg_hi:[1,0,0]
	ds_read2_b32 v[210:211], v187 offset0:53 offset1:54
	ds_read2_b32 v[212:213], v187 offset0:55 offset1:56
	;; [unrolled: 1-line block ×4, first 2 shown]
	s_waitcnt vmcnt(8) lgkmcnt(4)
	v_pk_fma_f32 v[168:169], v[70:71], v[214:215], v[168:169] op_sel_hi:[0,1,1] neg_lo:[1,0,0] neg_hi:[1,0,0]
	s_waitcnt vmcnt(6) lgkmcnt(3)
	v_pk_fma_f32 v[170:171], v[70:71], v[210:211], v[170:171] op_sel_hi:[0,1,1] neg_lo:[1,0,0] neg_hi:[1,0,0]
	;; [unrolled: 2-line block ×5, first 2 shown]
.LBB121_121:
	s_or_b64 exec, exec, s[2:3]
	v_cmp_ne_u32_e32 vcc, 22, v25
	s_waitcnt lgkmcnt(0)
	s_barrier
	s_and_saveexec_b64 s[2:3], vcc
	s_xor_b64 s[2:3], exec, s[2:3]
	s_andn2_saveexec_b64 s[2:3], s[2:3]
	s_cbranch_execz .LBB121_125
; %bb.122:
	s_waitcnt vmcnt(38)
	ds_write_b32 v186, v71
	s_waitcnt vmcnt(36)
	ds_write2_b32 v187, v72, v73 offset0:23 offset1:24
	s_waitcnt vmcnt(34)
	ds_write2_b32 v187, v94, v95 offset0:25 offset1:26
	s_waitcnt vmcnt(32)
	ds_write2_b32 v187, v96, v97 offset0:27 offset1:28
	s_waitcnt vmcnt(30)
	ds_write2_b32 v187, v98, v99 offset0:29 offset1:30
	s_waitcnt vmcnt(28)
	ds_write2_b32 v187, v92, v93 offset0:31 offset1:32
	s_waitcnt vmcnt(26)
	ds_write2_b32 v187, v118, v119 offset0:33 offset1:34
	s_waitcnt vmcnt(24)
	ds_write2_b32 v187, v122, v123 offset0:35 offset1:36
	s_waitcnt vmcnt(22)
	ds_write2_b32 v187, v116, v117 offset0:37 offset1:38
	s_waitcnt vmcnt(20)
	ds_write2_b32 v187, v120, v121 offset0:39 offset1:40
	s_waitcnt vmcnt(18)
	ds_write2_b32 v187, v146, v147 offset0:41 offset1:42
	s_waitcnt vmcnt(16)
	ds_write2_b32 v187, v140, v141 offset0:43 offset1:44
	s_waitcnt vmcnt(14)
	ds_write2_b32 v187, v142, v143 offset0:45 offset1:46
	s_waitcnt vmcnt(12)
	ds_write2_b32 v187, v144, v145 offset0:47 offset1:48
	s_waitcnt vmcnt(10)
	ds_write2_b32 v187, v166, v167 offset0:49 offset1:50
	s_waitcnt vmcnt(8)
	ds_write2_b32 v187, v168, v169 offset0:51 offset1:52
	s_waitcnt vmcnt(6)
	ds_write2_b32 v187, v170, v171 offset0:53 offset1:54
	s_waitcnt vmcnt(4)
	ds_write2_b32 v187, v164, v165 offset0:55 offset1:56
	s_waitcnt vmcnt(2)
	ds_write2_b32 v187, v182, v183 offset0:57 offset1:58
	s_waitcnt vmcnt(0)
	ds_write2_b32 v187, v184, v185 offset0:59 offset1:60
	ds_read_b32 v210, v186
	s_waitcnt lgkmcnt(0)
	v_cmp_neq_f32_e32 vcc, 0, v210
	s_and_saveexec_b64 s[4:5], vcc
	s_cbranch_execz .LBB121_124
; %bb.123:
	v_div_scale_f32 v211, s[10:11], v210, v210, 1.0
	v_rcp_f32_e32 v212, v211
	v_div_scale_f32 v213, vcc, 1.0, v210, 1.0
	v_fma_f32 v214, -v211, v212, 1.0
	v_fmac_f32_e32 v212, v214, v212
	v_mul_f32_e32 v214, v213, v212
	v_fma_f32 v215, -v211, v214, v213
	v_fmac_f32_e32 v214, v215, v212
	v_fma_f32 v211, -v211, v214, v213
	v_div_fmas_f32 v211, v211, v212, v214
	v_div_fixup_f32 v210, v211, v210, 1.0
	ds_write_b32 v186, v210
.LBB121_124:
	s_or_b64 exec, exec, s[4:5]
.LBB121_125:
	s_or_b64 exec, exec, s[2:3]
	s_waitcnt lgkmcnt(0)
	s_barrier
	ds_read_b32 v210, v186
	v_cmp_lt_u32_e32 vcc, 22, v25
	s_and_saveexec_b64 s[2:3], vcc
	s_cbranch_execz .LBB121_127
; %bb.126:
	ds_read2_b32 v[212:213], v187 offset0:23 offset1:24
	ds_read2_b32 v[214:215], v187 offset0:25 offset1:26
	;; [unrolled: 1-line block ×3, first 2 shown]
	s_waitcnt vmcnt(38) lgkmcnt(3)
	v_mul_f32_e32 v218, v210, v71
	ds_read2_b32 v[220:221], v187 offset0:29 offset1:30
	s_waitcnt vmcnt(36) lgkmcnt(3)
	v_pk_fma_f32 v[72:73], v[218:219], v[212:213], v[72:73] op_sel_hi:[0,1,1] neg_lo:[1,0,0] neg_hi:[1,0,0]
	s_waitcnt vmcnt(34) lgkmcnt(2)
	v_pk_fma_f32 v[94:95], v[218:219], v[214:215], v[94:95] op_sel_hi:[0,1,1] neg_lo:[1,0,0] neg_hi:[1,0,0]
	;; [unrolled: 2-line block ×3, first 2 shown]
	ds_read2_b32 v[212:213], v187 offset0:31 offset1:32
	ds_read2_b32 v[214:215], v187 offset0:33 offset1:34
	;; [unrolled: 1-line block ×3, first 2 shown]
	s_waitcnt vmcnt(30) lgkmcnt(3)
	v_pk_fma_f32 v[98:99], v[218:219], v[220:221], v[98:99] op_sel_hi:[0,1,1] neg_lo:[1,0,0] neg_hi:[1,0,0]
	ds_read2_b32 v[220:221], v187 offset0:37 offset1:38
	s_waitcnt vmcnt(28) lgkmcnt(3)
	v_pk_fma_f32 v[92:93], v[218:219], v[212:213], v[92:93] op_sel_hi:[0,1,1] neg_lo:[1,0,0] neg_hi:[1,0,0]
	s_waitcnt vmcnt(26) lgkmcnt(2)
	v_pk_fma_f32 v[118:119], v[218:219], v[214:215], v[118:119] op_sel_hi:[0,1,1] neg_lo:[1,0,0] neg_hi:[1,0,0]
	;; [unrolled: 2-line block ×3, first 2 shown]
	ds_read2_b32 v[212:213], v187 offset0:39 offset1:40
	ds_read2_b32 v[214:215], v187 offset0:41 offset1:42
	;; [unrolled: 1-line block ×3, first 2 shown]
	s_waitcnt vmcnt(22) lgkmcnt(3)
	v_pk_fma_f32 v[116:117], v[218:219], v[220:221], v[116:117] op_sel_hi:[0,1,1] neg_lo:[1,0,0] neg_hi:[1,0,0]
	ds_read2_b32 v[220:221], v187 offset0:45 offset1:46
	s_waitcnt vmcnt(20) lgkmcnt(3)
	v_pk_fma_f32 v[120:121], v[218:219], v[212:213], v[120:121] op_sel_hi:[0,1,1] neg_lo:[1,0,0] neg_hi:[1,0,0]
	s_waitcnt vmcnt(18) lgkmcnt(2)
	v_pk_fma_f32 v[146:147], v[218:219], v[214:215], v[146:147] op_sel_hi:[0,1,1] neg_lo:[1,0,0] neg_hi:[1,0,0]
	ds_read2_b32 v[212:213], v187 offset0:47 offset1:48
	ds_read2_b32 v[214:215], v187 offset0:49 offset1:50
	s_waitcnt vmcnt(16) lgkmcnt(3)
	v_pk_fma_f32 v[140:141], v[218:219], v[216:217], v[140:141] op_sel_hi:[0,1,1] neg_lo:[1,0,0] neg_hi:[1,0,0]
	s_waitcnt vmcnt(14) lgkmcnt(2)
	v_pk_fma_f32 v[142:143], v[218:219], v[220:221], v[142:143] op_sel_hi:[0,1,1] neg_lo:[1,0,0] neg_hi:[1,0,0]
	ds_read2_b32 v[216:217], v187 offset0:51 offset1:52
	;; [unrolled: 6-line block ×3, first 2 shown]
	ds_read2_b32 v[214:215], v187 offset0:57 offset1:58
	ds_read2_b32 v[222:223], v187 offset0:59 offset1:60
	s_waitcnt vmcnt(8) lgkmcnt(4)
	v_pk_fma_f32 v[168:169], v[218:219], v[216:217], v[168:169] op_sel_hi:[0,1,1] neg_lo:[1,0,0] neg_hi:[1,0,0]
	s_waitcnt vmcnt(6) lgkmcnt(3)
	v_pk_fma_f32 v[170:171], v[218:219], v[220:221], v[170:171] op_sel_hi:[0,1,1] neg_lo:[1,0,0] neg_hi:[1,0,0]
	;; [unrolled: 2-line block ×5, first 2 shown]
	v_mov_b32_e32 v71, v218
.LBB121_127:
	s_or_b64 exec, exec, s[2:3]
	v_cmp_eq_u32_e32 vcc, 23, v25
	s_waitcnt lgkmcnt(0)
	s_barrier
	s_and_saveexec_b64 s[2:3], vcc
	s_cbranch_execz .LBB121_130
; %bb.128:
	s_waitcnt vmcnt(34)
	v_pk_mov_b32 v[212:213], v[72:73], v[94:95] op_sel:[1,0]
	ds_write_b32 v186, v72
	ds_write2_b32 v187, v212, v213 offset0:24 offset1:25
	s_waitcnt vmcnt(32)
	v_pk_mov_b32 v[212:213], v[94:95], v[96:97] op_sel:[1,0]
	ds_write2_b32 v187, v212, v213 offset0:26 offset1:27
	s_waitcnt vmcnt(30)
	v_pk_mov_b32 v[212:213], v[96:97], v[98:99] op_sel:[1,0]
	;; [unrolled: 3-line block ×17, first 2 shown]
	ds_write2_b32 v187, v212, v213 offset0:58 offset1:59
	ds_write_b32 v187, v185 offset:240
	ds_read_b32 v211, v186
	s_waitcnt lgkmcnt(0)
	v_cmp_neq_f32_e32 vcc, 0, v211
	s_and_b64 exec, exec, vcc
	s_cbranch_execz .LBB121_130
; %bb.129:
	v_div_scale_f32 v212, s[4:5], v211, v211, 1.0
	v_rcp_f32_e32 v213, v212
	v_div_scale_f32 v214, vcc, 1.0, v211, 1.0
	v_fma_f32 v215, -v212, v213, 1.0
	v_fmac_f32_e32 v213, v215, v213
	v_mul_f32_e32 v215, v214, v213
	v_fma_f32 v216, -v212, v215, v214
	v_fmac_f32_e32 v215, v216, v213
	v_fma_f32 v212, -v212, v215, v214
	v_div_fmas_f32 v212, v212, v213, v215
	v_div_fixup_f32 v211, v212, v211, 1.0
	ds_write_b32 v186, v211
.LBB121_130:
	s_or_b64 exec, exec, s[2:3]
	s_waitcnt lgkmcnt(0)
	s_barrier
	ds_read_b32 v211, v186
	v_cmp_lt_u32_e32 vcc, 23, v25
	s_and_saveexec_b64 s[2:3], vcc
	s_cbranch_execz .LBB121_132
; %bb.131:
	ds_read_b32 v218, v187 offset:96
	ds_read2_b32 v[212:213], v187 offset0:25 offset1:26
	ds_read2_b32 v[214:215], v187 offset0:27 offset1:28
	s_waitcnt vmcnt(37) lgkmcnt(3)
	v_mul_f32_e32 v72, v211, v72
	ds_read2_b32 v[216:217], v187 offset0:29 offset1:30
	s_waitcnt vmcnt(36) lgkmcnt(3)
	v_fma_f32 v73, -v72, v218, v73
	s_waitcnt vmcnt(34) lgkmcnt(2)
	v_pk_fma_f32 v[94:95], v[72:73], v[212:213], v[94:95] op_sel_hi:[0,1,1] neg_lo:[1,0,0] neg_hi:[1,0,0]
	s_waitcnt vmcnt(32) lgkmcnt(1)
	v_pk_fma_f32 v[96:97], v[72:73], v[214:215], v[96:97] op_sel_hi:[0,1,1] neg_lo:[1,0,0] neg_hi:[1,0,0]
	ds_read2_b32 v[212:213], v187 offset0:31 offset1:32
	ds_read2_b32 v[214:215], v187 offset0:33 offset1:34
	;; [unrolled: 1-line block ×3, first 2 shown]
	s_waitcnt vmcnt(30) lgkmcnt(3)
	v_pk_fma_f32 v[98:99], v[72:73], v[216:217], v[98:99] op_sel_hi:[0,1,1] neg_lo:[1,0,0] neg_hi:[1,0,0]
	ds_read2_b32 v[216:217], v187 offset0:37 offset1:38
	s_waitcnt vmcnt(28) lgkmcnt(3)
	v_pk_fma_f32 v[92:93], v[72:73], v[212:213], v[92:93] op_sel_hi:[0,1,1] neg_lo:[1,0,0] neg_hi:[1,0,0]
	s_waitcnt vmcnt(26) lgkmcnt(2)
	v_pk_fma_f32 v[118:119], v[72:73], v[214:215], v[118:119] op_sel_hi:[0,1,1] neg_lo:[1,0,0] neg_hi:[1,0,0]
	;; [unrolled: 2-line block ×3, first 2 shown]
	ds_read2_b32 v[212:213], v187 offset0:39 offset1:40
	ds_read2_b32 v[214:215], v187 offset0:41 offset1:42
	;; [unrolled: 1-line block ×3, first 2 shown]
	s_waitcnt vmcnt(22) lgkmcnt(3)
	v_pk_fma_f32 v[116:117], v[72:73], v[216:217], v[116:117] op_sel_hi:[0,1,1] neg_lo:[1,0,0] neg_hi:[1,0,0]
	ds_read2_b32 v[216:217], v187 offset0:45 offset1:46
	s_waitcnt vmcnt(20) lgkmcnt(3)
	v_pk_fma_f32 v[120:121], v[72:73], v[212:213], v[120:121] op_sel_hi:[0,1,1] neg_lo:[1,0,0] neg_hi:[1,0,0]
	s_waitcnt vmcnt(18) lgkmcnt(2)
	v_pk_fma_f32 v[146:147], v[72:73], v[214:215], v[146:147] op_sel_hi:[0,1,1] neg_lo:[1,0,0] neg_hi:[1,0,0]
	ds_read2_b32 v[212:213], v187 offset0:47 offset1:48
	ds_read2_b32 v[214:215], v187 offset0:49 offset1:50
	s_waitcnt vmcnt(16) lgkmcnt(3)
	v_pk_fma_f32 v[140:141], v[72:73], v[218:219], v[140:141] op_sel_hi:[0,1,1] neg_lo:[1,0,0] neg_hi:[1,0,0]
	s_waitcnt vmcnt(14) lgkmcnt(2)
	v_pk_fma_f32 v[142:143], v[72:73], v[216:217], v[142:143] op_sel_hi:[0,1,1] neg_lo:[1,0,0] neg_hi:[1,0,0]
	ds_read2_b32 v[216:217], v187 offset0:51 offset1:52
	ds_read2_b32 v[218:219], v187 offset0:53 offset1:54
	s_waitcnt vmcnt(12) lgkmcnt(3)
	v_pk_fma_f32 v[144:145], v[72:73], v[212:213], v[144:145] op_sel_hi:[0,1,1] neg_lo:[1,0,0] neg_hi:[1,0,0]
	s_waitcnt vmcnt(10) lgkmcnt(2)
	v_pk_fma_f32 v[166:167], v[72:73], v[214:215], v[166:167] op_sel_hi:[0,1,1] neg_lo:[1,0,0] neg_hi:[1,0,0]
	ds_read2_b32 v[212:213], v187 offset0:55 offset1:56
	ds_read2_b32 v[214:215], v187 offset0:57 offset1:58
	ds_read2_b32 v[220:221], v187 offset0:59 offset1:60
	s_waitcnt vmcnt(8) lgkmcnt(4)
	v_pk_fma_f32 v[168:169], v[72:73], v[216:217], v[168:169] op_sel_hi:[0,1,1] neg_lo:[1,0,0] neg_hi:[1,0,0]
	s_waitcnt vmcnt(6) lgkmcnt(3)
	v_pk_fma_f32 v[170:171], v[72:73], v[218:219], v[170:171] op_sel_hi:[0,1,1] neg_lo:[1,0,0] neg_hi:[1,0,0]
	;; [unrolled: 2-line block ×5, first 2 shown]
.LBB121_132:
	s_or_b64 exec, exec, s[2:3]
	v_cmp_ne_u32_e32 vcc, 24, v25
	s_waitcnt lgkmcnt(0)
	s_barrier
	s_and_saveexec_b64 s[2:3], vcc
	s_xor_b64 s[2:3], exec, s[2:3]
	s_andn2_saveexec_b64 s[2:3], s[2:3]
	s_cbranch_execz .LBB121_136
; %bb.133:
	s_waitcnt vmcnt(36)
	ds_write_b32 v186, v73
	s_waitcnt vmcnt(34)
	ds_write2_b32 v187, v94, v95 offset0:25 offset1:26
	s_waitcnt vmcnt(32)
	ds_write2_b32 v187, v96, v97 offset0:27 offset1:28
	;; [unrolled: 2-line block ×18, first 2 shown]
	ds_read_b32 v212, v186
	s_waitcnt lgkmcnt(0)
	v_cmp_neq_f32_e32 vcc, 0, v212
	s_and_saveexec_b64 s[4:5], vcc
	s_cbranch_execz .LBB121_135
; %bb.134:
	v_div_scale_f32 v213, s[10:11], v212, v212, 1.0
	v_rcp_f32_e32 v214, v213
	v_div_scale_f32 v215, vcc, 1.0, v212, 1.0
	v_fma_f32 v216, -v213, v214, 1.0
	v_fmac_f32_e32 v214, v216, v214
	v_mul_f32_e32 v216, v215, v214
	v_fma_f32 v217, -v213, v216, v215
	v_fmac_f32_e32 v216, v217, v214
	v_fma_f32 v213, -v213, v216, v215
	v_div_fmas_f32 v213, v213, v214, v216
	v_div_fixup_f32 v212, v213, v212, 1.0
	ds_write_b32 v186, v212
.LBB121_135:
	s_or_b64 exec, exec, s[4:5]
.LBB121_136:
	s_or_b64 exec, exec, s[2:3]
	s_waitcnt lgkmcnt(0)
	s_barrier
	ds_read_b32 v212, v186
	v_cmp_lt_u32_e32 vcc, 24, v25
	s_and_saveexec_b64 s[2:3], vcc
	s_cbranch_execz .LBB121_138
; %bb.137:
	ds_read2_b32 v[214:215], v187 offset0:25 offset1:26
	ds_read2_b32 v[216:217], v187 offset0:27 offset1:28
	;; [unrolled: 1-line block ×4, first 2 shown]
	s_waitcnt vmcnt(36) lgkmcnt(4)
	v_mul_f32_e32 v220, v212, v73
	s_waitcnt vmcnt(34) lgkmcnt(3)
	v_pk_fma_f32 v[94:95], v[220:221], v[214:215], v[94:95] op_sel_hi:[0,1,1] neg_lo:[1,0,0] neg_hi:[1,0,0]
	s_waitcnt vmcnt(32) lgkmcnt(2)
	v_pk_fma_f32 v[96:97], v[220:221], v[216:217], v[96:97] op_sel_hi:[0,1,1] neg_lo:[1,0,0] neg_hi:[1,0,0]
	;; [unrolled: 2-line block ×3, first 2 shown]
	ds_read2_b32 v[214:215], v187 offset0:33 offset1:34
	ds_read2_b32 v[216:217], v187 offset0:35 offset1:36
	;; [unrolled: 1-line block ×3, first 2 shown]
	s_waitcnt vmcnt(28) lgkmcnt(3)
	v_pk_fma_f32 v[92:93], v[220:221], v[222:223], v[92:93] op_sel_hi:[0,1,1] neg_lo:[1,0,0] neg_hi:[1,0,0]
	ds_read2_b32 v[222:223], v187 offset0:39 offset1:40
	s_waitcnt vmcnt(26) lgkmcnt(3)
	v_pk_fma_f32 v[118:119], v[220:221], v[214:215], v[118:119] op_sel_hi:[0,1,1] neg_lo:[1,0,0] neg_hi:[1,0,0]
	s_waitcnt vmcnt(24) lgkmcnt(2)
	v_pk_fma_f32 v[122:123], v[220:221], v[216:217], v[122:123] op_sel_hi:[0,1,1] neg_lo:[1,0,0] neg_hi:[1,0,0]
	s_waitcnt vmcnt(22) lgkmcnt(1)
	v_pk_fma_f32 v[116:117], v[220:221], v[218:219], v[116:117] op_sel_hi:[0,1,1] neg_lo:[1,0,0] neg_hi:[1,0,0]
	ds_read2_b32 v[214:215], v187 offset0:41 offset1:42
	ds_read2_b32 v[216:217], v187 offset0:43 offset1:44
	;; [unrolled: 1-line block ×3, first 2 shown]
	s_waitcnt vmcnt(20) lgkmcnt(3)
	v_pk_fma_f32 v[120:121], v[220:221], v[222:223], v[120:121] op_sel_hi:[0,1,1] neg_lo:[1,0,0] neg_hi:[1,0,0]
	ds_read2_b32 v[222:223], v187 offset0:47 offset1:48
	s_waitcnt vmcnt(18) lgkmcnt(3)
	v_pk_fma_f32 v[146:147], v[220:221], v[214:215], v[146:147] op_sel_hi:[0,1,1] neg_lo:[1,0,0] neg_hi:[1,0,0]
	ds_read2_b32 v[214:215], v187 offset0:49 offset1:50
	s_waitcnt vmcnt(16) lgkmcnt(3)
	v_pk_fma_f32 v[140:141], v[220:221], v[216:217], v[140:141] op_sel_hi:[0,1,1] neg_lo:[1,0,0] neg_hi:[1,0,0]
	s_waitcnt vmcnt(14) lgkmcnt(2)
	v_pk_fma_f32 v[142:143], v[220:221], v[218:219], v[142:143] op_sel_hi:[0,1,1] neg_lo:[1,0,0] neg_hi:[1,0,0]
	;; [unrolled: 2-line block ×3, first 2 shown]
	ds_read2_b32 v[216:217], v187 offset0:51 offset1:52
	ds_read2_b32 v[218:219], v187 offset0:53 offset1:54
	;; [unrolled: 1-line block ×3, first 2 shown]
	s_waitcnt vmcnt(10) lgkmcnt(3)
	v_pk_fma_f32 v[166:167], v[220:221], v[214:215], v[166:167] op_sel_hi:[0,1,1] neg_lo:[1,0,0] neg_hi:[1,0,0]
	ds_read2_b32 v[214:215], v187 offset0:57 offset1:58
	ds_read2_b32 v[224:225], v187 offset0:59 offset1:60
	s_waitcnt vmcnt(8) lgkmcnt(4)
	v_pk_fma_f32 v[168:169], v[220:221], v[216:217], v[168:169] op_sel_hi:[0,1,1] neg_lo:[1,0,0] neg_hi:[1,0,0]
	s_waitcnt vmcnt(6) lgkmcnt(3)
	v_pk_fma_f32 v[170:171], v[220:221], v[218:219], v[170:171] op_sel_hi:[0,1,1] neg_lo:[1,0,0] neg_hi:[1,0,0]
	;; [unrolled: 2-line block ×5, first 2 shown]
	v_mov_b32_e32 v73, v220
.LBB121_138:
	s_or_b64 exec, exec, s[2:3]
	v_cmp_eq_u32_e32 vcc, 25, v25
	s_waitcnt lgkmcnt(0)
	s_barrier
	s_and_saveexec_b64 s[2:3], vcc
	s_cbranch_execz .LBB121_141
; %bb.139:
	s_waitcnt vmcnt(32)
	v_pk_mov_b32 v[214:215], v[94:95], v[96:97] op_sel:[1,0]
	ds_write_b32 v186, v94
	ds_write2_b32 v187, v214, v215 offset0:26 offset1:27
	s_waitcnt vmcnt(30)
	v_pk_mov_b32 v[214:215], v[96:97], v[98:99] op_sel:[1,0]
	ds_write2_b32 v187, v214, v215 offset0:28 offset1:29
	s_waitcnt vmcnt(28)
	v_pk_mov_b32 v[214:215], v[98:99], v[92:93] op_sel:[1,0]
	;; [unrolled: 3-line block ×16, first 2 shown]
	ds_write2_b32 v187, v214, v215 offset0:58 offset1:59
	ds_write_b32 v187, v185 offset:240
	ds_read_b32 v213, v186
	s_waitcnt lgkmcnt(0)
	v_cmp_neq_f32_e32 vcc, 0, v213
	s_and_b64 exec, exec, vcc
	s_cbranch_execz .LBB121_141
; %bb.140:
	v_div_scale_f32 v214, s[4:5], v213, v213, 1.0
	v_rcp_f32_e32 v215, v214
	v_div_scale_f32 v216, vcc, 1.0, v213, 1.0
	v_fma_f32 v217, -v214, v215, 1.0
	v_fmac_f32_e32 v215, v217, v215
	v_mul_f32_e32 v217, v216, v215
	v_fma_f32 v218, -v214, v217, v216
	v_fmac_f32_e32 v217, v218, v215
	v_fma_f32 v214, -v214, v217, v216
	v_div_fmas_f32 v214, v214, v215, v217
	v_div_fixup_f32 v213, v214, v213, 1.0
	ds_write_b32 v186, v213
.LBB121_141:
	s_or_b64 exec, exec, s[2:3]
	s_waitcnt lgkmcnt(0)
	s_barrier
	ds_read_b32 v213, v186
	v_cmp_lt_u32_e32 vcc, 25, v25
	s_and_saveexec_b64 s[2:3], vcc
	s_cbranch_execz .LBB121_143
; %bb.142:
	ds_read_b32 v220, v187 offset:104
	ds_read2_b32 v[214:215], v187 offset0:27 offset1:28
	ds_read2_b32 v[216:217], v187 offset0:29 offset1:30
	s_waitcnt vmcnt(35) lgkmcnt(3)
	v_mul_f32_e32 v94, v213, v94
	ds_read2_b32 v[218:219], v187 offset0:31 offset1:32
	s_waitcnt vmcnt(34) lgkmcnt(3)
	v_fma_f32 v95, -v94, v220, v95
	s_waitcnt vmcnt(32) lgkmcnt(2)
	v_pk_fma_f32 v[96:97], v[94:95], v[214:215], v[96:97] op_sel_hi:[0,1,1] neg_lo:[1,0,0] neg_hi:[1,0,0]
	s_waitcnt vmcnt(30) lgkmcnt(1)
	v_pk_fma_f32 v[98:99], v[94:95], v[216:217], v[98:99] op_sel_hi:[0,1,1] neg_lo:[1,0,0] neg_hi:[1,0,0]
	ds_read2_b32 v[214:215], v187 offset0:33 offset1:34
	ds_read2_b32 v[216:217], v187 offset0:35 offset1:36
	;; [unrolled: 1-line block ×3, first 2 shown]
	s_waitcnt vmcnt(28) lgkmcnt(3)
	v_pk_fma_f32 v[92:93], v[94:95], v[218:219], v[92:93] op_sel_hi:[0,1,1] neg_lo:[1,0,0] neg_hi:[1,0,0]
	ds_read2_b32 v[218:219], v187 offset0:39 offset1:40
	s_waitcnt vmcnt(26) lgkmcnt(3)
	v_pk_fma_f32 v[118:119], v[94:95], v[214:215], v[118:119] op_sel_hi:[0,1,1] neg_lo:[1,0,0] neg_hi:[1,0,0]
	s_waitcnt vmcnt(24) lgkmcnt(2)
	v_pk_fma_f32 v[122:123], v[94:95], v[216:217], v[122:123] op_sel_hi:[0,1,1] neg_lo:[1,0,0] neg_hi:[1,0,0]
	;; [unrolled: 2-line block ×3, first 2 shown]
	ds_read2_b32 v[214:215], v187 offset0:41 offset1:42
	ds_read2_b32 v[216:217], v187 offset0:43 offset1:44
	;; [unrolled: 1-line block ×3, first 2 shown]
	s_waitcnt vmcnt(20) lgkmcnt(3)
	v_pk_fma_f32 v[120:121], v[94:95], v[218:219], v[120:121] op_sel_hi:[0,1,1] neg_lo:[1,0,0] neg_hi:[1,0,0]
	ds_read2_b32 v[218:219], v187 offset0:47 offset1:48
	s_waitcnt vmcnt(18) lgkmcnt(3)
	v_pk_fma_f32 v[146:147], v[94:95], v[214:215], v[146:147] op_sel_hi:[0,1,1] neg_lo:[1,0,0] neg_hi:[1,0,0]
	ds_read2_b32 v[214:215], v187 offset0:49 offset1:50
	s_waitcnt vmcnt(16) lgkmcnt(3)
	v_pk_fma_f32 v[140:141], v[94:95], v[216:217], v[140:141] op_sel_hi:[0,1,1] neg_lo:[1,0,0] neg_hi:[1,0,0]
	s_waitcnt vmcnt(14) lgkmcnt(2)
	v_pk_fma_f32 v[142:143], v[94:95], v[220:221], v[142:143] op_sel_hi:[0,1,1] neg_lo:[1,0,0] neg_hi:[1,0,0]
	;; [unrolled: 2-line block ×3, first 2 shown]
	ds_read2_b32 v[216:217], v187 offset0:51 offset1:52
	ds_read2_b32 v[218:219], v187 offset0:53 offset1:54
	;; [unrolled: 1-line block ×3, first 2 shown]
	s_waitcnt vmcnt(10) lgkmcnt(3)
	v_pk_fma_f32 v[166:167], v[94:95], v[214:215], v[166:167] op_sel_hi:[0,1,1] neg_lo:[1,0,0] neg_hi:[1,0,0]
	ds_read2_b32 v[214:215], v187 offset0:57 offset1:58
	ds_read2_b32 v[222:223], v187 offset0:59 offset1:60
	s_waitcnt vmcnt(8) lgkmcnt(4)
	v_pk_fma_f32 v[168:169], v[94:95], v[216:217], v[168:169] op_sel_hi:[0,1,1] neg_lo:[1,0,0] neg_hi:[1,0,0]
	s_waitcnt vmcnt(6) lgkmcnt(3)
	v_pk_fma_f32 v[170:171], v[94:95], v[218:219], v[170:171] op_sel_hi:[0,1,1] neg_lo:[1,0,0] neg_hi:[1,0,0]
	;; [unrolled: 2-line block ×5, first 2 shown]
.LBB121_143:
	s_or_b64 exec, exec, s[2:3]
	v_cmp_ne_u32_e32 vcc, 26, v25
	s_waitcnt lgkmcnt(0)
	s_barrier
	s_and_saveexec_b64 s[2:3], vcc
	s_xor_b64 s[2:3], exec, s[2:3]
	s_andn2_saveexec_b64 s[2:3], s[2:3]
	s_cbranch_execz .LBB121_147
; %bb.144:
	s_waitcnt vmcnt(34)
	ds_write_b32 v186, v95
	s_waitcnt vmcnt(32)
	ds_write2_b32 v187, v96, v97 offset0:27 offset1:28
	s_waitcnt vmcnt(30)
	ds_write2_b32 v187, v98, v99 offset0:29 offset1:30
	;; [unrolled: 2-line block ×17, first 2 shown]
	ds_read_b32 v214, v186
	s_waitcnt lgkmcnt(0)
	v_cmp_neq_f32_e32 vcc, 0, v214
	s_and_saveexec_b64 s[4:5], vcc
	s_cbranch_execz .LBB121_146
; %bb.145:
	v_div_scale_f32 v215, s[10:11], v214, v214, 1.0
	v_rcp_f32_e32 v216, v215
	v_div_scale_f32 v217, vcc, 1.0, v214, 1.0
	v_fma_f32 v218, -v215, v216, 1.0
	v_fmac_f32_e32 v216, v218, v216
	v_mul_f32_e32 v218, v217, v216
	v_fma_f32 v219, -v215, v218, v217
	v_fmac_f32_e32 v218, v219, v216
	v_fma_f32 v215, -v215, v218, v217
	v_div_fmas_f32 v215, v215, v216, v218
	v_div_fixup_f32 v214, v215, v214, 1.0
	ds_write_b32 v186, v214
.LBB121_146:
	s_or_b64 exec, exec, s[4:5]
.LBB121_147:
	s_or_b64 exec, exec, s[2:3]
	s_waitcnt lgkmcnt(0)
	s_barrier
	ds_read_b32 v214, v186
	v_cmp_lt_u32_e32 vcc, 26, v25
	s_and_saveexec_b64 s[2:3], vcc
	s_cbranch_execz .LBB121_149
; %bb.148:
	ds_read2_b32 v[216:217], v187 offset0:27 offset1:28
	ds_read2_b32 v[218:219], v187 offset0:29 offset1:30
	;; [unrolled: 1-line block ×3, first 2 shown]
	s_waitcnt vmcnt(34) lgkmcnt(3)
	v_mul_f32_e32 v222, v214, v95
	ds_read2_b32 v[224:225], v187 offset0:33 offset1:34
	s_waitcnt vmcnt(32) lgkmcnt(3)
	v_pk_fma_f32 v[96:97], v[222:223], v[216:217], v[96:97] op_sel_hi:[0,1,1] neg_lo:[1,0,0] neg_hi:[1,0,0]
	s_waitcnt vmcnt(30) lgkmcnt(2)
	v_pk_fma_f32 v[98:99], v[222:223], v[218:219], v[98:99] op_sel_hi:[0,1,1] neg_lo:[1,0,0] neg_hi:[1,0,0]
	;; [unrolled: 2-line block ×3, first 2 shown]
	ds_read2_b32 v[216:217], v187 offset0:35 offset1:36
	ds_read2_b32 v[218:219], v187 offset0:37 offset1:38
	ds_read2_b32 v[220:221], v187 offset0:39 offset1:40
	s_waitcnt vmcnt(26) lgkmcnt(3)
	v_pk_fma_f32 v[118:119], v[222:223], v[224:225], v[118:119] op_sel_hi:[0,1,1] neg_lo:[1,0,0] neg_hi:[1,0,0]
	ds_read2_b32 v[224:225], v187 offset0:41 offset1:42
	s_waitcnt vmcnt(24) lgkmcnt(3)
	v_pk_fma_f32 v[122:123], v[222:223], v[216:217], v[122:123] op_sel_hi:[0,1,1] neg_lo:[1,0,0] neg_hi:[1,0,0]
	s_waitcnt vmcnt(22) lgkmcnt(2)
	v_pk_fma_f32 v[116:117], v[222:223], v[218:219], v[116:117] op_sel_hi:[0,1,1] neg_lo:[1,0,0] neg_hi:[1,0,0]
	;; [unrolled: 2-line block ×3, first 2 shown]
	ds_read2_b32 v[216:217], v187 offset0:43 offset1:44
	ds_read2_b32 v[218:219], v187 offset0:45 offset1:46
	;; [unrolled: 1-line block ×4, first 2 shown]
	s_waitcnt vmcnt(18) lgkmcnt(4)
	v_pk_fma_f32 v[146:147], v[222:223], v[224:225], v[146:147] op_sel_hi:[0,1,1] neg_lo:[1,0,0] neg_hi:[1,0,0]
	s_waitcnt vmcnt(16) lgkmcnt(3)
	v_pk_fma_f32 v[140:141], v[222:223], v[216:217], v[140:141] op_sel_hi:[0,1,1] neg_lo:[1,0,0] neg_hi:[1,0,0]
	;; [unrolled: 2-line block ×5, first 2 shown]
	ds_read2_b32 v[216:217], v187 offset0:51 offset1:52
	ds_read2_b32 v[218:219], v187 offset0:53 offset1:54
	;; [unrolled: 1-line block ×5, first 2 shown]
	s_waitcnt vmcnt(8) lgkmcnt(4)
	v_pk_fma_f32 v[168:169], v[222:223], v[216:217], v[168:169] op_sel_hi:[0,1,1] neg_lo:[1,0,0] neg_hi:[1,0,0]
	s_waitcnt vmcnt(6) lgkmcnt(3)
	v_pk_fma_f32 v[170:171], v[222:223], v[218:219], v[170:171] op_sel_hi:[0,1,1] neg_lo:[1,0,0] neg_hi:[1,0,0]
	;; [unrolled: 2-line block ×5, first 2 shown]
	v_mov_b32_e32 v95, v222
.LBB121_149:
	s_or_b64 exec, exec, s[2:3]
	v_cmp_eq_u32_e32 vcc, 27, v25
	s_waitcnt lgkmcnt(0)
	s_barrier
	s_and_saveexec_b64 s[2:3], vcc
	s_cbranch_execz .LBB121_152
; %bb.150:
	s_waitcnt vmcnt(30)
	v_pk_mov_b32 v[216:217], v[96:97], v[98:99] op_sel:[1,0]
	ds_write_b32 v186, v96
	ds_write2_b32 v187, v216, v217 offset0:28 offset1:29
	s_waitcnt vmcnt(28)
	v_pk_mov_b32 v[216:217], v[98:99], v[92:93] op_sel:[1,0]
	ds_write2_b32 v187, v216, v217 offset0:30 offset1:31
	s_waitcnt vmcnt(26)
	v_pk_mov_b32 v[216:217], v[92:93], v[118:119] op_sel:[1,0]
	;; [unrolled: 3-line block ×15, first 2 shown]
	ds_write2_b32 v187, v216, v217 offset0:58 offset1:59
	ds_write_b32 v187, v185 offset:240
	ds_read_b32 v215, v186
	s_waitcnt lgkmcnt(0)
	v_cmp_neq_f32_e32 vcc, 0, v215
	s_and_b64 exec, exec, vcc
	s_cbranch_execz .LBB121_152
; %bb.151:
	v_div_scale_f32 v216, s[4:5], v215, v215, 1.0
	v_rcp_f32_e32 v217, v216
	v_div_scale_f32 v218, vcc, 1.0, v215, 1.0
	v_fma_f32 v219, -v216, v217, 1.0
	v_fmac_f32_e32 v217, v219, v217
	v_mul_f32_e32 v219, v218, v217
	v_fma_f32 v220, -v216, v219, v218
	v_fmac_f32_e32 v219, v220, v217
	v_fma_f32 v216, -v216, v219, v218
	v_div_fmas_f32 v216, v216, v217, v219
	v_div_fixup_f32 v215, v216, v215, 1.0
	ds_write_b32 v186, v215
.LBB121_152:
	s_or_b64 exec, exec, s[2:3]
	s_waitcnt lgkmcnt(0)
	s_barrier
	ds_read_b32 v215, v186
	v_cmp_lt_u32_e32 vcc, 27, v25
	s_and_saveexec_b64 s[2:3], vcc
	s_cbranch_execz .LBB121_154
; %bb.153:
	ds_read_b32 v222, v187 offset:112
	ds_read2_b32 v[216:217], v187 offset0:29 offset1:30
	ds_read2_b32 v[218:219], v187 offset0:31 offset1:32
	s_waitcnt vmcnt(33) lgkmcnt(3)
	v_mul_f32_e32 v96, v215, v96
	ds_read2_b32 v[220:221], v187 offset0:33 offset1:34
	s_waitcnt vmcnt(32) lgkmcnt(3)
	v_fma_f32 v97, -v96, v222, v97
	s_waitcnt vmcnt(30) lgkmcnt(2)
	v_pk_fma_f32 v[98:99], v[96:97], v[216:217], v[98:99] op_sel_hi:[0,1,1] neg_lo:[1,0,0] neg_hi:[1,0,0]
	s_waitcnt vmcnt(28) lgkmcnt(1)
	v_pk_fma_f32 v[92:93], v[96:97], v[218:219], v[92:93] op_sel_hi:[0,1,1] neg_lo:[1,0,0] neg_hi:[1,0,0]
	ds_read2_b32 v[216:217], v187 offset0:35 offset1:36
	ds_read2_b32 v[218:219], v187 offset0:37 offset1:38
	;; [unrolled: 1-line block ×3, first 2 shown]
	s_waitcnt vmcnt(26) lgkmcnt(3)
	v_pk_fma_f32 v[118:119], v[96:97], v[220:221], v[118:119] op_sel_hi:[0,1,1] neg_lo:[1,0,0] neg_hi:[1,0,0]
	ds_read2_b32 v[220:221], v187 offset0:41 offset1:42
	s_waitcnt vmcnt(24) lgkmcnt(3)
	v_pk_fma_f32 v[122:123], v[96:97], v[216:217], v[122:123] op_sel_hi:[0,1,1] neg_lo:[1,0,0] neg_hi:[1,0,0]
	s_waitcnt vmcnt(22) lgkmcnt(2)
	v_pk_fma_f32 v[116:117], v[96:97], v[218:219], v[116:117] op_sel_hi:[0,1,1] neg_lo:[1,0,0] neg_hi:[1,0,0]
	;; [unrolled: 2-line block ×3, first 2 shown]
	ds_read2_b32 v[216:217], v187 offset0:43 offset1:44
	ds_read2_b32 v[218:219], v187 offset0:45 offset1:46
	;; [unrolled: 1-line block ×4, first 2 shown]
	s_waitcnt vmcnt(18) lgkmcnt(4)
	v_pk_fma_f32 v[146:147], v[96:97], v[220:221], v[146:147] op_sel_hi:[0,1,1] neg_lo:[1,0,0] neg_hi:[1,0,0]
	s_waitcnt vmcnt(16) lgkmcnt(3)
	v_pk_fma_f32 v[140:141], v[96:97], v[216:217], v[140:141] op_sel_hi:[0,1,1] neg_lo:[1,0,0] neg_hi:[1,0,0]
	;; [unrolled: 2-line block ×5, first 2 shown]
	ds_read2_b32 v[216:217], v187 offset0:51 offset1:52
	ds_read2_b32 v[218:219], v187 offset0:53 offset1:54
	ds_read2_b32 v[220:221], v187 offset0:55 offset1:56
	ds_read2_b32 v[222:223], v187 offset0:57 offset1:58
	ds_read2_b32 v[224:225], v187 offset0:59 offset1:60
	s_waitcnt vmcnt(8) lgkmcnt(4)
	v_pk_fma_f32 v[168:169], v[96:97], v[216:217], v[168:169] op_sel_hi:[0,1,1] neg_lo:[1,0,0] neg_hi:[1,0,0]
	s_waitcnt vmcnt(6) lgkmcnt(3)
	v_pk_fma_f32 v[170:171], v[96:97], v[218:219], v[170:171] op_sel_hi:[0,1,1] neg_lo:[1,0,0] neg_hi:[1,0,0]
	;; [unrolled: 2-line block ×5, first 2 shown]
.LBB121_154:
	s_or_b64 exec, exec, s[2:3]
	v_cmp_ne_u32_e32 vcc, 28, v25
	s_waitcnt lgkmcnt(0)
	s_barrier
	s_and_saveexec_b64 s[2:3], vcc
	s_xor_b64 s[2:3], exec, s[2:3]
	s_andn2_saveexec_b64 s[2:3], s[2:3]
	s_cbranch_execz .LBB121_158
; %bb.155:
	s_waitcnt vmcnt(32)
	ds_write_b32 v186, v97
	s_waitcnt vmcnt(30)
	ds_write2_b32 v187, v98, v99 offset0:29 offset1:30
	s_waitcnt vmcnt(28)
	ds_write2_b32 v187, v92, v93 offset0:31 offset1:32
	;; [unrolled: 2-line block ×16, first 2 shown]
	ds_read_b32 v216, v186
	s_waitcnt lgkmcnt(0)
	v_cmp_neq_f32_e32 vcc, 0, v216
	s_and_saveexec_b64 s[4:5], vcc
	s_cbranch_execz .LBB121_157
; %bb.156:
	v_div_scale_f32 v217, s[10:11], v216, v216, 1.0
	v_rcp_f32_e32 v218, v217
	v_div_scale_f32 v219, vcc, 1.0, v216, 1.0
	v_fma_f32 v220, -v217, v218, 1.0
	v_fmac_f32_e32 v218, v220, v218
	v_mul_f32_e32 v220, v219, v218
	v_fma_f32 v221, -v217, v220, v219
	v_fmac_f32_e32 v220, v221, v218
	v_fma_f32 v217, -v217, v220, v219
	v_div_fmas_f32 v217, v217, v218, v220
	v_div_fixup_f32 v216, v217, v216, 1.0
	ds_write_b32 v186, v216
.LBB121_157:
	s_or_b64 exec, exec, s[4:5]
.LBB121_158:
	s_or_b64 exec, exec, s[2:3]
	s_waitcnt lgkmcnt(0)
	s_barrier
	ds_read_b32 v216, v186
	v_cmp_lt_u32_e32 vcc, 28, v25
	s_and_saveexec_b64 s[2:3], vcc
	s_cbranch_execz .LBB121_160
; %bb.159:
	ds_read2_b32 v[218:219], v187 offset0:29 offset1:30
	ds_read2_b32 v[220:221], v187 offset0:31 offset1:32
	;; [unrolled: 1-line block ×3, first 2 shown]
	s_waitcnt vmcnt(32) lgkmcnt(3)
	v_mul_f32_e32 v224, v216, v97
	ds_read2_b32 v[226:227], v187 offset0:35 offset1:36
	s_waitcnt vmcnt(30) lgkmcnt(3)
	v_pk_fma_f32 v[98:99], v[224:225], v[218:219], v[98:99] op_sel_hi:[0,1,1] neg_lo:[1,0,0] neg_hi:[1,0,0]
	s_waitcnt vmcnt(28) lgkmcnt(2)
	v_pk_fma_f32 v[92:93], v[224:225], v[220:221], v[92:93] op_sel_hi:[0,1,1] neg_lo:[1,0,0] neg_hi:[1,0,0]
	;; [unrolled: 2-line block ×3, first 2 shown]
	ds_read2_b32 v[218:219], v187 offset0:37 offset1:38
	ds_read2_b32 v[220:221], v187 offset0:39 offset1:40
	;; [unrolled: 1-line block ×3, first 2 shown]
	s_waitcnt vmcnt(24) lgkmcnt(3)
	v_pk_fma_f32 v[122:123], v[224:225], v[226:227], v[122:123] op_sel_hi:[0,1,1] neg_lo:[1,0,0] neg_hi:[1,0,0]
	ds_read2_b32 v[226:227], v187 offset0:43 offset1:44
	s_waitcnt vmcnt(22) lgkmcnt(3)
	v_pk_fma_f32 v[116:117], v[224:225], v[218:219], v[116:117] op_sel_hi:[0,1,1] neg_lo:[1,0,0] neg_hi:[1,0,0]
	s_waitcnt vmcnt(20) lgkmcnt(2)
	v_pk_fma_f32 v[120:121], v[224:225], v[220:221], v[120:121] op_sel_hi:[0,1,1] neg_lo:[1,0,0] neg_hi:[1,0,0]
	;; [unrolled: 2-line block ×3, first 2 shown]
	ds_read2_b32 v[218:219], v187 offset0:45 offset1:46
	ds_read2_b32 v[220:221], v187 offset0:47 offset1:48
	;; [unrolled: 1-line block ×3, first 2 shown]
	s_waitcnt vmcnt(16) lgkmcnt(3)
	v_pk_fma_f32 v[140:141], v[224:225], v[226:227], v[140:141] op_sel_hi:[0,1,1] neg_lo:[1,0,0] neg_hi:[1,0,0]
	ds_read2_b32 v[226:227], v187 offset0:51 offset1:52
	s_waitcnt vmcnt(14) lgkmcnt(3)
	v_pk_fma_f32 v[142:143], v[224:225], v[218:219], v[142:143] op_sel_hi:[0,1,1] neg_lo:[1,0,0] neg_hi:[1,0,0]
	s_waitcnt vmcnt(12) lgkmcnt(2)
	v_pk_fma_f32 v[144:145], v[224:225], v[220:221], v[144:145] op_sel_hi:[0,1,1] neg_lo:[1,0,0] neg_hi:[1,0,0]
	s_waitcnt vmcnt(10) lgkmcnt(1)
	v_pk_fma_f32 v[166:167], v[224:225], v[222:223], v[166:167] op_sel_hi:[0,1,1] neg_lo:[1,0,0] neg_hi:[1,0,0]
	ds_read2_b32 v[218:219], v187 offset0:53 offset1:54
	ds_read2_b32 v[220:221], v187 offset0:55 offset1:56
	ds_read2_b32 v[222:223], v187 offset0:57 offset1:58
	ds_read2_b32 v[228:229], v187 offset0:59 offset1:60
	s_waitcnt vmcnt(8) lgkmcnt(4)
	v_pk_fma_f32 v[168:169], v[224:225], v[226:227], v[168:169] op_sel_hi:[0,1,1] neg_lo:[1,0,0] neg_hi:[1,0,0]
	s_waitcnt vmcnt(6) lgkmcnt(3)
	v_pk_fma_f32 v[170:171], v[224:225], v[218:219], v[170:171] op_sel_hi:[0,1,1] neg_lo:[1,0,0] neg_hi:[1,0,0]
	;; [unrolled: 2-line block ×5, first 2 shown]
	v_mov_b32_e32 v97, v224
.LBB121_160:
	s_or_b64 exec, exec, s[2:3]
	v_cmp_eq_u32_e32 vcc, 29, v25
	s_waitcnt lgkmcnt(0)
	s_barrier
	s_and_saveexec_b64 s[2:3], vcc
	s_cbranch_execz .LBB121_163
; %bb.161:
	s_waitcnt vmcnt(28)
	v_pk_mov_b32 v[218:219], v[98:99], v[92:93] op_sel:[1,0]
	ds_write_b32 v186, v98
	ds_write2_b32 v187, v218, v219 offset0:30 offset1:31
	s_waitcnt vmcnt(26)
	v_pk_mov_b32 v[218:219], v[92:93], v[118:119] op_sel:[1,0]
	ds_write2_b32 v187, v218, v219 offset0:32 offset1:33
	s_waitcnt vmcnt(24)
	v_pk_mov_b32 v[218:219], v[118:119], v[122:123] op_sel:[1,0]
	;; [unrolled: 3-line block ×14, first 2 shown]
	ds_write2_b32 v187, v218, v219 offset0:58 offset1:59
	ds_write_b32 v187, v185 offset:240
	ds_read_b32 v217, v186
	s_waitcnt lgkmcnt(0)
	v_cmp_neq_f32_e32 vcc, 0, v217
	s_and_b64 exec, exec, vcc
	s_cbranch_execz .LBB121_163
; %bb.162:
	v_div_scale_f32 v218, s[4:5], v217, v217, 1.0
	v_rcp_f32_e32 v219, v218
	v_div_scale_f32 v220, vcc, 1.0, v217, 1.0
	v_fma_f32 v221, -v218, v219, 1.0
	v_fmac_f32_e32 v219, v221, v219
	v_mul_f32_e32 v221, v220, v219
	v_fma_f32 v222, -v218, v221, v220
	v_fmac_f32_e32 v221, v222, v219
	v_fma_f32 v218, -v218, v221, v220
	v_div_fmas_f32 v218, v218, v219, v221
	v_div_fixup_f32 v217, v218, v217, 1.0
	ds_write_b32 v186, v217
.LBB121_163:
	s_or_b64 exec, exec, s[2:3]
	s_waitcnt lgkmcnt(0)
	s_barrier
	ds_read_b32 v217, v186
	v_cmp_lt_u32_e32 vcc, 29, v25
	s_and_saveexec_b64 s[2:3], vcc
	s_cbranch_execz .LBB121_165
; %bb.164:
	ds_read_b32 v224, v187 offset:120
	ds_read2_b32 v[218:219], v187 offset0:31 offset1:32
	ds_read2_b32 v[220:221], v187 offset0:33 offset1:34
	s_waitcnt vmcnt(31) lgkmcnt(3)
	v_mul_f32_e32 v98, v217, v98
	ds_read2_b32 v[222:223], v187 offset0:35 offset1:36
	s_waitcnt vmcnt(30) lgkmcnt(3)
	v_fma_f32 v99, -v98, v224, v99
	s_waitcnt vmcnt(28) lgkmcnt(2)
	v_pk_fma_f32 v[92:93], v[98:99], v[218:219], v[92:93] op_sel_hi:[0,1,1] neg_lo:[1,0,0] neg_hi:[1,0,0]
	s_waitcnt vmcnt(26) lgkmcnt(1)
	v_pk_fma_f32 v[118:119], v[98:99], v[220:221], v[118:119] op_sel_hi:[0,1,1] neg_lo:[1,0,0] neg_hi:[1,0,0]
	ds_read2_b32 v[218:219], v187 offset0:37 offset1:38
	ds_read2_b32 v[220:221], v187 offset0:39 offset1:40
	;; [unrolled: 1-line block ×3, first 2 shown]
	s_waitcnt vmcnt(24) lgkmcnt(3)
	v_pk_fma_f32 v[122:123], v[98:99], v[222:223], v[122:123] op_sel_hi:[0,1,1] neg_lo:[1,0,0] neg_hi:[1,0,0]
	ds_read2_b32 v[222:223], v187 offset0:43 offset1:44
	s_waitcnt vmcnt(22) lgkmcnt(3)
	v_pk_fma_f32 v[116:117], v[98:99], v[218:219], v[116:117] op_sel_hi:[0,1,1] neg_lo:[1,0,0] neg_hi:[1,0,0]
	s_waitcnt vmcnt(20) lgkmcnt(2)
	v_pk_fma_f32 v[120:121], v[98:99], v[220:221], v[120:121] op_sel_hi:[0,1,1] neg_lo:[1,0,0] neg_hi:[1,0,0]
	;; [unrolled: 2-line block ×3, first 2 shown]
	ds_read2_b32 v[218:219], v187 offset0:45 offset1:46
	ds_read2_b32 v[220:221], v187 offset0:47 offset1:48
	;; [unrolled: 1-line block ×3, first 2 shown]
	s_waitcnt vmcnt(16) lgkmcnt(3)
	v_pk_fma_f32 v[140:141], v[98:99], v[222:223], v[140:141] op_sel_hi:[0,1,1] neg_lo:[1,0,0] neg_hi:[1,0,0]
	ds_read2_b32 v[222:223], v187 offset0:51 offset1:52
	s_waitcnt vmcnt(14) lgkmcnt(3)
	v_pk_fma_f32 v[142:143], v[98:99], v[218:219], v[142:143] op_sel_hi:[0,1,1] neg_lo:[1,0,0] neg_hi:[1,0,0]
	s_waitcnt vmcnt(12) lgkmcnt(2)
	v_pk_fma_f32 v[144:145], v[98:99], v[220:221], v[144:145] op_sel_hi:[0,1,1] neg_lo:[1,0,0] neg_hi:[1,0,0]
	;; [unrolled: 2-line block ×3, first 2 shown]
	ds_read2_b32 v[218:219], v187 offset0:53 offset1:54
	ds_read2_b32 v[220:221], v187 offset0:55 offset1:56
	;; [unrolled: 1-line block ×4, first 2 shown]
	s_waitcnt vmcnt(8) lgkmcnt(4)
	v_pk_fma_f32 v[168:169], v[98:99], v[222:223], v[168:169] op_sel_hi:[0,1,1] neg_lo:[1,0,0] neg_hi:[1,0,0]
	s_waitcnt vmcnt(6) lgkmcnt(3)
	v_pk_fma_f32 v[170:171], v[98:99], v[218:219], v[170:171] op_sel_hi:[0,1,1] neg_lo:[1,0,0] neg_hi:[1,0,0]
	;; [unrolled: 2-line block ×5, first 2 shown]
.LBB121_165:
	s_or_b64 exec, exec, s[2:3]
	v_cmp_ne_u32_e32 vcc, 30, v25
	s_waitcnt lgkmcnt(0)
	s_barrier
	s_and_saveexec_b64 s[2:3], vcc
	s_xor_b64 s[2:3], exec, s[2:3]
	s_andn2_saveexec_b64 s[2:3], s[2:3]
	s_cbranch_execz .LBB121_169
; %bb.166:
	s_waitcnt vmcnt(30)
	ds_write_b32 v186, v99
	s_waitcnt vmcnt(28)
	ds_write2_b32 v187, v92, v93 offset0:31 offset1:32
	s_waitcnt vmcnt(26)
	ds_write2_b32 v187, v118, v119 offset0:33 offset1:34
	;; [unrolled: 2-line block ×15, first 2 shown]
	ds_read_b32 v218, v186
	s_waitcnt lgkmcnt(0)
	v_cmp_neq_f32_e32 vcc, 0, v218
	s_and_saveexec_b64 s[4:5], vcc
	s_cbranch_execz .LBB121_168
; %bb.167:
	v_div_scale_f32 v219, s[10:11], v218, v218, 1.0
	v_rcp_f32_e32 v220, v219
	v_div_scale_f32 v221, vcc, 1.0, v218, 1.0
	v_fma_f32 v222, -v219, v220, 1.0
	v_fmac_f32_e32 v220, v222, v220
	v_mul_f32_e32 v222, v221, v220
	v_fma_f32 v223, -v219, v222, v221
	v_fmac_f32_e32 v222, v223, v220
	v_fma_f32 v219, -v219, v222, v221
	v_div_fmas_f32 v219, v219, v220, v222
	v_div_fixup_f32 v218, v219, v218, 1.0
	ds_write_b32 v186, v218
.LBB121_168:
	s_or_b64 exec, exec, s[4:5]
.LBB121_169:
	s_or_b64 exec, exec, s[2:3]
	s_waitcnt lgkmcnt(0)
	s_barrier
	ds_read_b32 v218, v186
	v_cmp_lt_u32_e32 vcc, 30, v25
	s_and_saveexec_b64 s[2:3], vcc
	s_cbranch_execz .LBB121_171
; %bb.170:
	ds_read2_b32 v[220:221], v187 offset0:31 offset1:32
	ds_read2_b32 v[222:223], v187 offset0:33 offset1:34
	ds_read2_b32 v[224:225], v187 offset0:35 offset1:36
	s_waitcnt vmcnt(30) lgkmcnt(3)
	v_mul_f32_e32 v226, v218, v99
	ds_read2_b32 v[228:229], v187 offset0:37 offset1:38
	s_waitcnt vmcnt(28) lgkmcnt(3)
	v_pk_fma_f32 v[92:93], v[226:227], v[220:221], v[92:93] op_sel_hi:[0,1,1] neg_lo:[1,0,0] neg_hi:[1,0,0]
	s_waitcnt vmcnt(26) lgkmcnt(2)
	v_pk_fma_f32 v[118:119], v[226:227], v[222:223], v[118:119] op_sel_hi:[0,1,1] neg_lo:[1,0,0] neg_hi:[1,0,0]
	;; [unrolled: 2-line block ×3, first 2 shown]
	ds_read2_b32 v[220:221], v187 offset0:39 offset1:40
	ds_read2_b32 v[222:223], v187 offset0:41 offset1:42
	;; [unrolled: 1-line block ×3, first 2 shown]
	s_waitcnt vmcnt(22) lgkmcnt(3)
	v_pk_fma_f32 v[116:117], v[226:227], v[228:229], v[116:117] op_sel_hi:[0,1,1] neg_lo:[1,0,0] neg_hi:[1,0,0]
	ds_read2_b32 v[228:229], v187 offset0:45 offset1:46
	s_waitcnt vmcnt(20) lgkmcnt(3)
	v_pk_fma_f32 v[120:121], v[226:227], v[220:221], v[120:121] op_sel_hi:[0,1,1] neg_lo:[1,0,0] neg_hi:[1,0,0]
	s_waitcnt vmcnt(18) lgkmcnt(2)
	v_pk_fma_f32 v[146:147], v[226:227], v[222:223], v[146:147] op_sel_hi:[0,1,1] neg_lo:[1,0,0] neg_hi:[1,0,0]
	ds_read2_b32 v[220:221], v187 offset0:47 offset1:48
	ds_read2_b32 v[222:223], v187 offset0:49 offset1:50
	s_waitcnt vmcnt(16) lgkmcnt(3)
	v_pk_fma_f32 v[140:141], v[226:227], v[224:225], v[140:141] op_sel_hi:[0,1,1] neg_lo:[1,0,0] neg_hi:[1,0,0]
	s_waitcnt vmcnt(14) lgkmcnt(2)
	v_pk_fma_f32 v[142:143], v[226:227], v[228:229], v[142:143] op_sel_hi:[0,1,1] neg_lo:[1,0,0] neg_hi:[1,0,0]
	ds_read2_b32 v[224:225], v187 offset0:51 offset1:52
	;; [unrolled: 6-line block ×3, first 2 shown]
	ds_read2_b32 v[222:223], v187 offset0:57 offset1:58
	ds_read2_b32 v[230:231], v187 offset0:59 offset1:60
	s_waitcnt vmcnt(8) lgkmcnt(4)
	v_pk_fma_f32 v[168:169], v[226:227], v[224:225], v[168:169] op_sel_hi:[0,1,1] neg_lo:[1,0,0] neg_hi:[1,0,0]
	s_waitcnt vmcnt(6) lgkmcnt(3)
	v_pk_fma_f32 v[170:171], v[226:227], v[228:229], v[170:171] op_sel_hi:[0,1,1] neg_lo:[1,0,0] neg_hi:[1,0,0]
	;; [unrolled: 2-line block ×5, first 2 shown]
	v_mov_b32_e32 v99, v226
.LBB121_171:
	s_or_b64 exec, exec, s[2:3]
	v_cmp_eq_u32_e32 vcc, 31, v25
	s_waitcnt lgkmcnt(0)
	s_barrier
	s_and_saveexec_b64 s[2:3], vcc
	s_cbranch_execz .LBB121_174
; %bb.172:
	s_waitcnt vmcnt(26)
	v_pk_mov_b32 v[220:221], v[92:93], v[118:119] op_sel:[1,0]
	ds_write_b32 v186, v92
	ds_write2_b32 v187, v220, v221 offset0:32 offset1:33
	s_waitcnt vmcnt(24)
	v_pk_mov_b32 v[220:221], v[118:119], v[122:123] op_sel:[1,0]
	ds_write2_b32 v187, v220, v221 offset0:34 offset1:35
	s_waitcnt vmcnt(22)
	v_pk_mov_b32 v[220:221], v[122:123], v[116:117] op_sel:[1,0]
	;; [unrolled: 3-line block ×13, first 2 shown]
	ds_write2_b32 v187, v220, v221 offset0:58 offset1:59
	ds_write_b32 v187, v185 offset:240
	ds_read_b32 v219, v186
	s_waitcnt lgkmcnt(0)
	v_cmp_neq_f32_e32 vcc, 0, v219
	s_and_b64 exec, exec, vcc
	s_cbranch_execz .LBB121_174
; %bb.173:
	v_div_scale_f32 v220, s[4:5], v219, v219, 1.0
	v_rcp_f32_e32 v221, v220
	v_div_scale_f32 v222, vcc, 1.0, v219, 1.0
	v_fma_f32 v223, -v220, v221, 1.0
	v_fmac_f32_e32 v221, v223, v221
	v_mul_f32_e32 v223, v222, v221
	v_fma_f32 v224, -v220, v223, v222
	v_fmac_f32_e32 v223, v224, v221
	v_fma_f32 v220, -v220, v223, v222
	v_div_fmas_f32 v220, v220, v221, v223
	v_div_fixup_f32 v219, v220, v219, 1.0
	ds_write_b32 v186, v219
.LBB121_174:
	s_or_b64 exec, exec, s[2:3]
	s_waitcnt lgkmcnt(0)
	s_barrier
	ds_read_b32 v219, v186
	v_cmp_lt_u32_e32 vcc, 31, v25
	s_and_saveexec_b64 s[2:3], vcc
	s_cbranch_execz .LBB121_176
; %bb.175:
	ds_read_b32 v226, v187 offset:128
	ds_read2_b32 v[220:221], v187 offset0:33 offset1:34
	ds_read2_b32 v[222:223], v187 offset0:35 offset1:36
	s_waitcnt vmcnt(29) lgkmcnt(3)
	v_mul_f32_e32 v92, v219, v92
	ds_read2_b32 v[224:225], v187 offset0:37 offset1:38
	s_waitcnt vmcnt(28) lgkmcnt(3)
	v_fma_f32 v93, -v92, v226, v93
	s_waitcnt vmcnt(26) lgkmcnt(2)
	v_pk_fma_f32 v[118:119], v[92:93], v[220:221], v[118:119] op_sel_hi:[0,1,1] neg_lo:[1,0,0] neg_hi:[1,0,0]
	s_waitcnt vmcnt(24) lgkmcnt(1)
	v_pk_fma_f32 v[122:123], v[92:93], v[222:223], v[122:123] op_sel_hi:[0,1,1] neg_lo:[1,0,0] neg_hi:[1,0,0]
	ds_read2_b32 v[220:221], v187 offset0:39 offset1:40
	ds_read2_b32 v[222:223], v187 offset0:41 offset1:42
	;; [unrolled: 1-line block ×3, first 2 shown]
	s_waitcnt vmcnt(22) lgkmcnt(3)
	v_pk_fma_f32 v[116:117], v[92:93], v[224:225], v[116:117] op_sel_hi:[0,1,1] neg_lo:[1,0,0] neg_hi:[1,0,0]
	ds_read2_b32 v[224:225], v187 offset0:45 offset1:46
	s_waitcnt vmcnt(20) lgkmcnt(3)
	v_pk_fma_f32 v[120:121], v[92:93], v[220:221], v[120:121] op_sel_hi:[0,1,1] neg_lo:[1,0,0] neg_hi:[1,0,0]
	s_waitcnt vmcnt(18) lgkmcnt(2)
	v_pk_fma_f32 v[146:147], v[92:93], v[222:223], v[146:147] op_sel_hi:[0,1,1] neg_lo:[1,0,0] neg_hi:[1,0,0]
	ds_read2_b32 v[220:221], v187 offset0:47 offset1:48
	ds_read2_b32 v[222:223], v187 offset0:49 offset1:50
	s_waitcnt vmcnt(16) lgkmcnt(3)
	v_pk_fma_f32 v[140:141], v[92:93], v[226:227], v[140:141] op_sel_hi:[0,1,1] neg_lo:[1,0,0] neg_hi:[1,0,0]
	s_waitcnt vmcnt(14) lgkmcnt(2)
	v_pk_fma_f32 v[142:143], v[92:93], v[224:225], v[142:143] op_sel_hi:[0,1,1] neg_lo:[1,0,0] neg_hi:[1,0,0]
	ds_read2_b32 v[224:225], v187 offset0:51 offset1:52
	;; [unrolled: 6-line block ×3, first 2 shown]
	ds_read2_b32 v[222:223], v187 offset0:57 offset1:58
	ds_read2_b32 v[228:229], v187 offset0:59 offset1:60
	s_waitcnt vmcnt(8) lgkmcnt(4)
	v_pk_fma_f32 v[168:169], v[92:93], v[224:225], v[168:169] op_sel_hi:[0,1,1] neg_lo:[1,0,0] neg_hi:[1,0,0]
	s_waitcnt vmcnt(6) lgkmcnt(3)
	v_pk_fma_f32 v[170:171], v[92:93], v[226:227], v[170:171] op_sel_hi:[0,1,1] neg_lo:[1,0,0] neg_hi:[1,0,0]
	;; [unrolled: 2-line block ×5, first 2 shown]
.LBB121_176:
	s_or_b64 exec, exec, s[2:3]
	v_cmp_ne_u32_e32 vcc, 32, v25
	s_waitcnt lgkmcnt(0)
	s_barrier
	s_and_saveexec_b64 s[2:3], vcc
	s_xor_b64 s[2:3], exec, s[2:3]
	s_andn2_saveexec_b64 s[2:3], s[2:3]
	s_cbranch_execz .LBB121_180
; %bb.177:
	s_waitcnt vmcnt(28)
	ds_write_b32 v186, v93
	s_waitcnt vmcnt(26)
	ds_write2_b32 v187, v118, v119 offset0:33 offset1:34
	s_waitcnt vmcnt(24)
	ds_write2_b32 v187, v122, v123 offset0:35 offset1:36
	;; [unrolled: 2-line block ×14, first 2 shown]
	ds_read_b32 v220, v186
	s_waitcnt lgkmcnt(0)
	v_cmp_neq_f32_e32 vcc, 0, v220
	s_and_saveexec_b64 s[4:5], vcc
	s_cbranch_execz .LBB121_179
; %bb.178:
	v_div_scale_f32 v221, s[10:11], v220, v220, 1.0
	v_rcp_f32_e32 v222, v221
	v_div_scale_f32 v223, vcc, 1.0, v220, 1.0
	v_fma_f32 v224, -v221, v222, 1.0
	v_fmac_f32_e32 v222, v224, v222
	v_mul_f32_e32 v224, v223, v222
	v_fma_f32 v225, -v221, v224, v223
	v_fmac_f32_e32 v224, v225, v222
	v_fma_f32 v221, -v221, v224, v223
	v_div_fmas_f32 v221, v221, v222, v224
	v_div_fixup_f32 v220, v221, v220, 1.0
	ds_write_b32 v186, v220
.LBB121_179:
	s_or_b64 exec, exec, s[4:5]
.LBB121_180:
	s_or_b64 exec, exec, s[2:3]
	s_waitcnt lgkmcnt(0)
	s_barrier
	ds_read_b32 v220, v186
	v_cmp_lt_u32_e32 vcc, 32, v25
	s_and_saveexec_b64 s[2:3], vcc
	s_cbranch_execz .LBB121_182
; %bb.181:
	ds_read2_b32 v[222:223], v187 offset0:33 offset1:34
	ds_read2_b32 v[224:225], v187 offset0:35 offset1:36
	;; [unrolled: 1-line block ×4, first 2 shown]
	s_waitcnt vmcnt(28) lgkmcnt(4)
	v_mul_f32_e32 v228, v220, v93
	s_waitcnt vmcnt(26) lgkmcnt(3)
	v_pk_fma_f32 v[118:119], v[228:229], v[222:223], v[118:119] op_sel_hi:[0,1,1] neg_lo:[1,0,0] neg_hi:[1,0,0]
	s_waitcnt vmcnt(24) lgkmcnt(2)
	v_pk_fma_f32 v[122:123], v[228:229], v[224:225], v[122:123] op_sel_hi:[0,1,1] neg_lo:[1,0,0] neg_hi:[1,0,0]
	;; [unrolled: 2-line block ×3, first 2 shown]
	ds_read2_b32 v[222:223], v187 offset0:41 offset1:42
	ds_read2_b32 v[224:225], v187 offset0:43 offset1:44
	;; [unrolled: 1-line block ×3, first 2 shown]
	s_waitcnt vmcnt(20) lgkmcnt(3)
	v_pk_fma_f32 v[120:121], v[228:229], v[230:231], v[120:121] op_sel_hi:[0,1,1] neg_lo:[1,0,0] neg_hi:[1,0,0]
	ds_read2_b32 v[230:231], v187 offset0:47 offset1:48
	s_waitcnt vmcnt(18) lgkmcnt(3)
	v_pk_fma_f32 v[146:147], v[228:229], v[222:223], v[146:147] op_sel_hi:[0,1,1] neg_lo:[1,0,0] neg_hi:[1,0,0]
	ds_read2_b32 v[222:223], v187 offset0:49 offset1:50
	s_waitcnt vmcnt(16) lgkmcnt(3)
	v_pk_fma_f32 v[140:141], v[228:229], v[224:225], v[140:141] op_sel_hi:[0,1,1] neg_lo:[1,0,0] neg_hi:[1,0,0]
	s_waitcnt vmcnt(14) lgkmcnt(2)
	v_pk_fma_f32 v[142:143], v[228:229], v[226:227], v[142:143] op_sel_hi:[0,1,1] neg_lo:[1,0,0] neg_hi:[1,0,0]
	;; [unrolled: 2-line block ×3, first 2 shown]
	ds_read2_b32 v[224:225], v187 offset0:51 offset1:52
	ds_read2_b32 v[226:227], v187 offset0:53 offset1:54
	;; [unrolled: 1-line block ×3, first 2 shown]
	s_waitcnt vmcnt(10) lgkmcnt(3)
	v_pk_fma_f32 v[166:167], v[228:229], v[222:223], v[166:167] op_sel_hi:[0,1,1] neg_lo:[1,0,0] neg_hi:[1,0,0]
	ds_read2_b32 v[222:223], v187 offset0:57 offset1:58
	ds_read2_b32 v[232:233], v187 offset0:59 offset1:60
	s_waitcnt vmcnt(8) lgkmcnt(4)
	v_pk_fma_f32 v[168:169], v[228:229], v[224:225], v[168:169] op_sel_hi:[0,1,1] neg_lo:[1,0,0] neg_hi:[1,0,0]
	s_waitcnt vmcnt(6) lgkmcnt(3)
	v_pk_fma_f32 v[170:171], v[228:229], v[226:227], v[170:171] op_sel_hi:[0,1,1] neg_lo:[1,0,0] neg_hi:[1,0,0]
	;; [unrolled: 2-line block ×5, first 2 shown]
	v_mov_b32_e32 v93, v228
.LBB121_182:
	s_or_b64 exec, exec, s[2:3]
	v_cmp_eq_u32_e32 vcc, 33, v25
	s_waitcnt lgkmcnt(0)
	s_barrier
	s_and_saveexec_b64 s[2:3], vcc
	s_cbranch_execz .LBB121_185
; %bb.183:
	s_waitcnt vmcnt(24)
	v_pk_mov_b32 v[222:223], v[118:119], v[122:123] op_sel:[1,0]
	ds_write_b32 v186, v118
	ds_write2_b32 v187, v222, v223 offset0:34 offset1:35
	s_waitcnt vmcnt(22)
	v_pk_mov_b32 v[222:223], v[122:123], v[116:117] op_sel:[1,0]
	ds_write2_b32 v187, v222, v223 offset0:36 offset1:37
	s_waitcnt vmcnt(20)
	v_pk_mov_b32 v[222:223], v[116:117], v[120:121] op_sel:[1,0]
	;; [unrolled: 3-line block ×12, first 2 shown]
	ds_write2_b32 v187, v222, v223 offset0:58 offset1:59
	ds_write_b32 v187, v185 offset:240
	ds_read_b32 v221, v186
	s_waitcnt lgkmcnt(0)
	v_cmp_neq_f32_e32 vcc, 0, v221
	s_and_b64 exec, exec, vcc
	s_cbranch_execz .LBB121_185
; %bb.184:
	v_div_scale_f32 v222, s[4:5], v221, v221, 1.0
	v_rcp_f32_e32 v223, v222
	v_div_scale_f32 v224, vcc, 1.0, v221, 1.0
	v_fma_f32 v225, -v222, v223, 1.0
	v_fmac_f32_e32 v223, v225, v223
	v_mul_f32_e32 v225, v224, v223
	v_fma_f32 v226, -v222, v225, v224
	v_fmac_f32_e32 v225, v226, v223
	v_fma_f32 v222, -v222, v225, v224
	v_div_fmas_f32 v222, v222, v223, v225
	v_div_fixup_f32 v221, v222, v221, 1.0
	ds_write_b32 v186, v221
.LBB121_185:
	s_or_b64 exec, exec, s[2:3]
	s_waitcnt lgkmcnt(0)
	s_barrier
	ds_read_b32 v221, v186
	v_cmp_lt_u32_e32 vcc, 33, v25
	s_and_saveexec_b64 s[2:3], vcc
	s_cbranch_execz .LBB121_187
; %bb.186:
	ds_read_b32 v228, v187 offset:136
	ds_read2_b32 v[222:223], v187 offset0:35 offset1:36
	ds_read2_b32 v[224:225], v187 offset0:37 offset1:38
	s_waitcnt vmcnt(27) lgkmcnt(3)
	v_mul_f32_e32 v118, v221, v118
	ds_read2_b32 v[226:227], v187 offset0:39 offset1:40
	s_waitcnt vmcnt(26) lgkmcnt(3)
	v_fma_f32 v119, -v118, v228, v119
	s_waitcnt vmcnt(24) lgkmcnt(2)
	v_pk_fma_f32 v[122:123], v[118:119], v[222:223], v[122:123] op_sel_hi:[0,1,1] neg_lo:[1,0,0] neg_hi:[1,0,0]
	s_waitcnt vmcnt(22) lgkmcnt(1)
	v_pk_fma_f32 v[116:117], v[118:119], v[224:225], v[116:117] op_sel_hi:[0,1,1] neg_lo:[1,0,0] neg_hi:[1,0,0]
	ds_read2_b32 v[222:223], v187 offset0:41 offset1:42
	ds_read2_b32 v[224:225], v187 offset0:43 offset1:44
	;; [unrolled: 1-line block ×3, first 2 shown]
	s_waitcnt vmcnt(20) lgkmcnt(3)
	v_pk_fma_f32 v[120:121], v[118:119], v[226:227], v[120:121] op_sel_hi:[0,1,1] neg_lo:[1,0,0] neg_hi:[1,0,0]
	ds_read2_b32 v[226:227], v187 offset0:47 offset1:48
	s_waitcnt vmcnt(18) lgkmcnt(3)
	v_pk_fma_f32 v[146:147], v[118:119], v[222:223], v[146:147] op_sel_hi:[0,1,1] neg_lo:[1,0,0] neg_hi:[1,0,0]
	ds_read2_b32 v[222:223], v187 offset0:49 offset1:50
	s_waitcnt vmcnt(16) lgkmcnt(3)
	v_pk_fma_f32 v[140:141], v[118:119], v[224:225], v[140:141] op_sel_hi:[0,1,1] neg_lo:[1,0,0] neg_hi:[1,0,0]
	s_waitcnt vmcnt(14) lgkmcnt(2)
	v_pk_fma_f32 v[142:143], v[118:119], v[228:229], v[142:143] op_sel_hi:[0,1,1] neg_lo:[1,0,0] neg_hi:[1,0,0]
	;; [unrolled: 2-line block ×3, first 2 shown]
	ds_read2_b32 v[224:225], v187 offset0:51 offset1:52
	ds_read2_b32 v[226:227], v187 offset0:53 offset1:54
	;; [unrolled: 1-line block ×3, first 2 shown]
	s_waitcnt vmcnt(10) lgkmcnt(3)
	v_pk_fma_f32 v[166:167], v[118:119], v[222:223], v[166:167] op_sel_hi:[0,1,1] neg_lo:[1,0,0] neg_hi:[1,0,0]
	ds_read2_b32 v[222:223], v187 offset0:57 offset1:58
	ds_read2_b32 v[230:231], v187 offset0:59 offset1:60
	s_waitcnt vmcnt(8) lgkmcnt(4)
	v_pk_fma_f32 v[168:169], v[118:119], v[224:225], v[168:169] op_sel_hi:[0,1,1] neg_lo:[1,0,0] neg_hi:[1,0,0]
	s_waitcnt vmcnt(6) lgkmcnt(3)
	v_pk_fma_f32 v[170:171], v[118:119], v[226:227], v[170:171] op_sel_hi:[0,1,1] neg_lo:[1,0,0] neg_hi:[1,0,0]
	;; [unrolled: 2-line block ×5, first 2 shown]
.LBB121_187:
	s_or_b64 exec, exec, s[2:3]
	v_cmp_ne_u32_e32 vcc, 34, v25
	s_waitcnt lgkmcnt(0)
	s_barrier
	s_and_saveexec_b64 s[2:3], vcc
	s_xor_b64 s[2:3], exec, s[2:3]
	s_andn2_saveexec_b64 s[2:3], s[2:3]
	s_cbranch_execz .LBB121_191
; %bb.188:
	s_waitcnt vmcnt(26)
	ds_write_b32 v186, v119
	s_waitcnt vmcnt(24)
	ds_write2_b32 v187, v122, v123 offset0:35 offset1:36
	s_waitcnt vmcnt(22)
	ds_write2_b32 v187, v116, v117 offset0:37 offset1:38
	;; [unrolled: 2-line block ×13, first 2 shown]
	ds_read_b32 v222, v186
	s_waitcnt lgkmcnt(0)
	v_cmp_neq_f32_e32 vcc, 0, v222
	s_and_saveexec_b64 s[4:5], vcc
	s_cbranch_execz .LBB121_190
; %bb.189:
	v_div_scale_f32 v223, s[10:11], v222, v222, 1.0
	v_rcp_f32_e32 v224, v223
	v_div_scale_f32 v225, vcc, 1.0, v222, 1.0
	v_fma_f32 v226, -v223, v224, 1.0
	v_fmac_f32_e32 v224, v226, v224
	v_mul_f32_e32 v226, v225, v224
	v_fma_f32 v227, -v223, v226, v225
	v_fmac_f32_e32 v226, v227, v224
	v_fma_f32 v223, -v223, v226, v225
	v_div_fmas_f32 v223, v223, v224, v226
	v_div_fixup_f32 v222, v223, v222, 1.0
	ds_write_b32 v186, v222
.LBB121_190:
	s_or_b64 exec, exec, s[4:5]
.LBB121_191:
	s_or_b64 exec, exec, s[2:3]
	s_waitcnt lgkmcnt(0)
	s_barrier
	ds_read_b32 v222, v186
	v_cmp_lt_u32_e32 vcc, 34, v25
	s_and_saveexec_b64 s[2:3], vcc
	s_cbranch_execz .LBB121_193
; %bb.192:
	ds_read2_b32 v[224:225], v187 offset0:35 offset1:36
	ds_read2_b32 v[226:227], v187 offset0:37 offset1:38
	;; [unrolled: 1-line block ×3, first 2 shown]
	s_waitcnt vmcnt(26) lgkmcnt(3)
	v_mul_f32_e32 v230, v222, v119
	ds_read2_b32 v[232:233], v187 offset0:41 offset1:42
	s_waitcnt vmcnt(24) lgkmcnt(3)
	v_pk_fma_f32 v[122:123], v[230:231], v[224:225], v[122:123] op_sel_hi:[0,1,1] neg_lo:[1,0,0] neg_hi:[1,0,0]
	s_waitcnt vmcnt(22) lgkmcnt(2)
	v_pk_fma_f32 v[116:117], v[230:231], v[226:227], v[116:117] op_sel_hi:[0,1,1] neg_lo:[1,0,0] neg_hi:[1,0,0]
	;; [unrolled: 2-line block ×3, first 2 shown]
	ds_read2_b32 v[224:225], v187 offset0:43 offset1:44
	ds_read2_b32 v[226:227], v187 offset0:45 offset1:46
	;; [unrolled: 1-line block ×4, first 2 shown]
	s_waitcnt vmcnt(18) lgkmcnt(4)
	v_pk_fma_f32 v[146:147], v[230:231], v[232:233], v[146:147] op_sel_hi:[0,1,1] neg_lo:[1,0,0] neg_hi:[1,0,0]
	s_waitcnt vmcnt(16) lgkmcnt(3)
	v_pk_fma_f32 v[140:141], v[230:231], v[224:225], v[140:141] op_sel_hi:[0,1,1] neg_lo:[1,0,0] neg_hi:[1,0,0]
	;; [unrolled: 2-line block ×5, first 2 shown]
	ds_read2_b32 v[224:225], v187 offset0:51 offset1:52
	ds_read2_b32 v[226:227], v187 offset0:53 offset1:54
	;; [unrolled: 1-line block ×5, first 2 shown]
	s_waitcnt vmcnt(8) lgkmcnt(4)
	v_pk_fma_f32 v[168:169], v[230:231], v[224:225], v[168:169] op_sel_hi:[0,1,1] neg_lo:[1,0,0] neg_hi:[1,0,0]
	s_waitcnt vmcnt(6) lgkmcnt(3)
	v_pk_fma_f32 v[170:171], v[230:231], v[226:227], v[170:171] op_sel_hi:[0,1,1] neg_lo:[1,0,0] neg_hi:[1,0,0]
	;; [unrolled: 2-line block ×5, first 2 shown]
	v_mov_b32_e32 v119, v230
.LBB121_193:
	s_or_b64 exec, exec, s[2:3]
	v_cmp_eq_u32_e32 vcc, 35, v25
	s_waitcnt lgkmcnt(0)
	s_barrier
	s_and_saveexec_b64 s[2:3], vcc
	s_cbranch_execz .LBB121_196
; %bb.194:
	s_waitcnt vmcnt(22)
	v_pk_mov_b32 v[224:225], v[122:123], v[116:117] op_sel:[1,0]
	ds_write_b32 v186, v122
	ds_write2_b32 v187, v224, v225 offset0:36 offset1:37
	s_waitcnt vmcnt(20)
	v_pk_mov_b32 v[224:225], v[116:117], v[120:121] op_sel:[1,0]
	ds_write2_b32 v187, v224, v225 offset0:38 offset1:39
	s_waitcnt vmcnt(18)
	v_pk_mov_b32 v[224:225], v[120:121], v[146:147] op_sel:[1,0]
	;; [unrolled: 3-line block ×11, first 2 shown]
	ds_write2_b32 v187, v224, v225 offset0:58 offset1:59
	ds_write_b32 v187, v185 offset:240
	ds_read_b32 v223, v186
	s_waitcnt lgkmcnt(0)
	v_cmp_neq_f32_e32 vcc, 0, v223
	s_and_b64 exec, exec, vcc
	s_cbranch_execz .LBB121_196
; %bb.195:
	v_div_scale_f32 v224, s[4:5], v223, v223, 1.0
	v_rcp_f32_e32 v225, v224
	v_div_scale_f32 v226, vcc, 1.0, v223, 1.0
	v_fma_f32 v227, -v224, v225, 1.0
	v_fmac_f32_e32 v225, v227, v225
	v_mul_f32_e32 v227, v226, v225
	v_fma_f32 v228, -v224, v227, v226
	v_fmac_f32_e32 v227, v228, v225
	v_fma_f32 v224, -v224, v227, v226
	v_div_fmas_f32 v224, v224, v225, v227
	v_div_fixup_f32 v223, v224, v223, 1.0
	ds_write_b32 v186, v223
.LBB121_196:
	s_or_b64 exec, exec, s[2:3]
	s_waitcnt lgkmcnt(0)
	s_barrier
	ds_read_b32 v223, v186
	v_cmp_lt_u32_e32 vcc, 35, v25
	s_and_saveexec_b64 s[2:3], vcc
	s_cbranch_execz .LBB121_198
; %bb.197:
	ds_read_b32 v230, v187 offset:144
	ds_read2_b32 v[224:225], v187 offset0:37 offset1:38
	ds_read2_b32 v[226:227], v187 offset0:39 offset1:40
	s_waitcnt vmcnt(25) lgkmcnt(3)
	v_mul_f32_e32 v122, v223, v122
	ds_read2_b32 v[228:229], v187 offset0:41 offset1:42
	s_waitcnt vmcnt(24) lgkmcnt(3)
	v_fma_f32 v123, -v122, v230, v123
	s_waitcnt vmcnt(22) lgkmcnt(2)
	v_pk_fma_f32 v[116:117], v[122:123], v[224:225], v[116:117] op_sel_hi:[0,1,1] neg_lo:[1,0,0] neg_hi:[1,0,0]
	s_waitcnt vmcnt(20) lgkmcnt(1)
	v_pk_fma_f32 v[120:121], v[122:123], v[226:227], v[120:121] op_sel_hi:[0,1,1] neg_lo:[1,0,0] neg_hi:[1,0,0]
	ds_read2_b32 v[224:225], v187 offset0:43 offset1:44
	ds_read2_b32 v[226:227], v187 offset0:45 offset1:46
	;; [unrolled: 1-line block ×4, first 2 shown]
	s_waitcnt vmcnt(18) lgkmcnt(4)
	v_pk_fma_f32 v[146:147], v[122:123], v[228:229], v[146:147] op_sel_hi:[0,1,1] neg_lo:[1,0,0] neg_hi:[1,0,0]
	s_waitcnt vmcnt(16) lgkmcnt(3)
	v_pk_fma_f32 v[140:141], v[122:123], v[224:225], v[140:141] op_sel_hi:[0,1,1] neg_lo:[1,0,0] neg_hi:[1,0,0]
	;; [unrolled: 2-line block ×5, first 2 shown]
	ds_read2_b32 v[224:225], v187 offset0:51 offset1:52
	ds_read2_b32 v[226:227], v187 offset0:53 offset1:54
	;; [unrolled: 1-line block ×5, first 2 shown]
	s_waitcnt vmcnt(8) lgkmcnt(4)
	v_pk_fma_f32 v[168:169], v[122:123], v[224:225], v[168:169] op_sel_hi:[0,1,1] neg_lo:[1,0,0] neg_hi:[1,0,0]
	s_waitcnt vmcnt(6) lgkmcnt(3)
	v_pk_fma_f32 v[170:171], v[122:123], v[226:227], v[170:171] op_sel_hi:[0,1,1] neg_lo:[1,0,0] neg_hi:[1,0,0]
	;; [unrolled: 2-line block ×5, first 2 shown]
.LBB121_198:
	s_or_b64 exec, exec, s[2:3]
	v_cmp_ne_u32_e32 vcc, 36, v25
	s_waitcnt lgkmcnt(0)
	s_barrier
	s_and_saveexec_b64 s[2:3], vcc
	s_xor_b64 s[2:3], exec, s[2:3]
	s_andn2_saveexec_b64 s[2:3], s[2:3]
	s_cbranch_execz .LBB121_202
; %bb.199:
	s_waitcnt vmcnt(24)
	ds_write_b32 v186, v123
	s_waitcnt vmcnt(22)
	ds_write2_b32 v187, v116, v117 offset0:37 offset1:38
	s_waitcnt vmcnt(20)
	ds_write2_b32 v187, v120, v121 offset0:39 offset1:40
	;; [unrolled: 2-line block ×12, first 2 shown]
	ds_read_b32 v224, v186
	s_waitcnt lgkmcnt(0)
	v_cmp_neq_f32_e32 vcc, 0, v224
	s_and_saveexec_b64 s[4:5], vcc
	s_cbranch_execz .LBB121_201
; %bb.200:
	v_div_scale_f32 v225, s[10:11], v224, v224, 1.0
	v_rcp_f32_e32 v226, v225
	v_div_scale_f32 v227, vcc, 1.0, v224, 1.0
	v_fma_f32 v228, -v225, v226, 1.0
	v_fmac_f32_e32 v226, v228, v226
	v_mul_f32_e32 v228, v227, v226
	v_fma_f32 v229, -v225, v228, v227
	v_fmac_f32_e32 v228, v229, v226
	v_fma_f32 v225, -v225, v228, v227
	v_div_fmas_f32 v225, v225, v226, v228
	v_div_fixup_f32 v224, v225, v224, 1.0
	ds_write_b32 v186, v224
.LBB121_201:
	s_or_b64 exec, exec, s[4:5]
.LBB121_202:
	s_or_b64 exec, exec, s[2:3]
	s_waitcnt lgkmcnt(0)
	s_barrier
	ds_read_b32 v224, v186
	v_cmp_lt_u32_e32 vcc, 36, v25
	s_and_saveexec_b64 s[2:3], vcc
	s_cbranch_execz .LBB121_204
; %bb.203:
	ds_read2_b32 v[226:227], v187 offset0:37 offset1:38
	ds_read2_b32 v[228:229], v187 offset0:39 offset1:40
	ds_read2_b32 v[230:231], v187 offset0:41 offset1:42
	s_waitcnt vmcnt(24) lgkmcnt(3)
	v_mul_f32_e32 v232, v224, v123
	ds_read2_b32 v[234:235], v187 offset0:43 offset1:44
	s_waitcnt vmcnt(22) lgkmcnt(3)
	v_pk_fma_f32 v[116:117], v[232:233], v[226:227], v[116:117] op_sel_hi:[0,1,1] neg_lo:[1,0,0] neg_hi:[1,0,0]
	s_waitcnt vmcnt(20) lgkmcnt(2)
	v_pk_fma_f32 v[120:121], v[232:233], v[228:229], v[120:121] op_sel_hi:[0,1,1] neg_lo:[1,0,0] neg_hi:[1,0,0]
	;; [unrolled: 2-line block ×3, first 2 shown]
	ds_read2_b32 v[226:227], v187 offset0:45 offset1:46
	ds_read2_b32 v[228:229], v187 offset0:47 offset1:48
	;; [unrolled: 1-line block ×3, first 2 shown]
	s_waitcnt vmcnt(16) lgkmcnt(3)
	v_pk_fma_f32 v[140:141], v[232:233], v[234:235], v[140:141] op_sel_hi:[0,1,1] neg_lo:[1,0,0] neg_hi:[1,0,0]
	ds_read2_b32 v[234:235], v187 offset0:51 offset1:52
	s_waitcnt vmcnt(14) lgkmcnt(3)
	v_pk_fma_f32 v[142:143], v[232:233], v[226:227], v[142:143] op_sel_hi:[0,1,1] neg_lo:[1,0,0] neg_hi:[1,0,0]
	s_waitcnt vmcnt(12) lgkmcnt(2)
	v_pk_fma_f32 v[144:145], v[232:233], v[228:229], v[144:145] op_sel_hi:[0,1,1] neg_lo:[1,0,0] neg_hi:[1,0,0]
	;; [unrolled: 2-line block ×3, first 2 shown]
	ds_read2_b32 v[226:227], v187 offset0:53 offset1:54
	ds_read2_b32 v[228:229], v187 offset0:55 offset1:56
	;; [unrolled: 1-line block ×4, first 2 shown]
	s_waitcnt vmcnt(8) lgkmcnt(4)
	v_pk_fma_f32 v[168:169], v[232:233], v[234:235], v[168:169] op_sel_hi:[0,1,1] neg_lo:[1,0,0] neg_hi:[1,0,0]
	s_waitcnt vmcnt(6) lgkmcnt(3)
	v_pk_fma_f32 v[170:171], v[232:233], v[226:227], v[170:171] op_sel_hi:[0,1,1] neg_lo:[1,0,0] neg_hi:[1,0,0]
	;; [unrolled: 2-line block ×5, first 2 shown]
	v_mov_b32_e32 v123, v232
.LBB121_204:
	s_or_b64 exec, exec, s[2:3]
	v_cmp_eq_u32_e32 vcc, 37, v25
	s_waitcnt lgkmcnt(0)
	s_barrier
	s_and_saveexec_b64 s[2:3], vcc
	s_cbranch_execz .LBB121_207
; %bb.205:
	s_waitcnt vmcnt(20)
	v_pk_mov_b32 v[226:227], v[116:117], v[120:121] op_sel:[1,0]
	ds_write_b32 v186, v116
	ds_write2_b32 v187, v226, v227 offset0:38 offset1:39
	s_waitcnt vmcnt(18)
	v_pk_mov_b32 v[226:227], v[120:121], v[146:147] op_sel:[1,0]
	ds_write2_b32 v187, v226, v227 offset0:40 offset1:41
	s_waitcnt vmcnt(16)
	v_pk_mov_b32 v[226:227], v[146:147], v[140:141] op_sel:[1,0]
	;; [unrolled: 3-line block ×10, first 2 shown]
	ds_write2_b32 v187, v226, v227 offset0:58 offset1:59
	ds_write_b32 v187, v185 offset:240
	ds_read_b32 v225, v186
	s_waitcnt lgkmcnt(0)
	v_cmp_neq_f32_e32 vcc, 0, v225
	s_and_b64 exec, exec, vcc
	s_cbranch_execz .LBB121_207
; %bb.206:
	v_div_scale_f32 v226, s[4:5], v225, v225, 1.0
	v_rcp_f32_e32 v227, v226
	v_div_scale_f32 v228, vcc, 1.0, v225, 1.0
	v_fma_f32 v229, -v226, v227, 1.0
	v_fmac_f32_e32 v227, v229, v227
	v_mul_f32_e32 v229, v228, v227
	v_fma_f32 v230, -v226, v229, v228
	v_fmac_f32_e32 v229, v230, v227
	v_fma_f32 v226, -v226, v229, v228
	v_div_fmas_f32 v226, v226, v227, v229
	v_div_fixup_f32 v225, v226, v225, 1.0
	ds_write_b32 v186, v225
.LBB121_207:
	s_or_b64 exec, exec, s[2:3]
	s_waitcnt lgkmcnt(0)
	s_barrier
	ds_read_b32 v225, v186
	v_cmp_lt_u32_e32 vcc, 37, v25
	s_and_saveexec_b64 s[2:3], vcc
	s_cbranch_execz .LBB121_209
; %bb.208:
	ds_read_b32 v232, v187 offset:152
	ds_read2_b32 v[226:227], v187 offset0:39 offset1:40
	ds_read2_b32 v[228:229], v187 offset0:41 offset1:42
	s_waitcnt vmcnt(23) lgkmcnt(3)
	v_mul_f32_e32 v116, v225, v116
	ds_read2_b32 v[230:231], v187 offset0:43 offset1:44
	s_waitcnt vmcnt(22) lgkmcnt(3)
	v_fma_f32 v117, -v116, v232, v117
	s_waitcnt vmcnt(20) lgkmcnt(2)
	v_pk_fma_f32 v[120:121], v[116:117], v[226:227], v[120:121] op_sel_hi:[0,1,1] neg_lo:[1,0,0] neg_hi:[1,0,0]
	s_waitcnt vmcnt(18) lgkmcnt(1)
	v_pk_fma_f32 v[146:147], v[116:117], v[228:229], v[146:147] op_sel_hi:[0,1,1] neg_lo:[1,0,0] neg_hi:[1,0,0]
	ds_read2_b32 v[226:227], v187 offset0:45 offset1:46
	ds_read2_b32 v[228:229], v187 offset0:47 offset1:48
	;; [unrolled: 1-line block ×3, first 2 shown]
	s_waitcnt vmcnt(16) lgkmcnt(3)
	v_pk_fma_f32 v[140:141], v[116:117], v[230:231], v[140:141] op_sel_hi:[0,1,1] neg_lo:[1,0,0] neg_hi:[1,0,0]
	ds_read2_b32 v[230:231], v187 offset0:51 offset1:52
	s_waitcnt vmcnt(14) lgkmcnt(3)
	v_pk_fma_f32 v[142:143], v[116:117], v[226:227], v[142:143] op_sel_hi:[0,1,1] neg_lo:[1,0,0] neg_hi:[1,0,0]
	s_waitcnt vmcnt(12) lgkmcnt(2)
	v_pk_fma_f32 v[144:145], v[116:117], v[228:229], v[144:145] op_sel_hi:[0,1,1] neg_lo:[1,0,0] neg_hi:[1,0,0]
	;; [unrolled: 2-line block ×3, first 2 shown]
	ds_read2_b32 v[226:227], v187 offset0:53 offset1:54
	ds_read2_b32 v[228:229], v187 offset0:55 offset1:56
	;; [unrolled: 1-line block ×4, first 2 shown]
	s_waitcnt vmcnt(8) lgkmcnt(4)
	v_pk_fma_f32 v[168:169], v[116:117], v[230:231], v[168:169] op_sel_hi:[0,1,1] neg_lo:[1,0,0] neg_hi:[1,0,0]
	s_waitcnt vmcnt(6) lgkmcnt(3)
	v_pk_fma_f32 v[170:171], v[116:117], v[226:227], v[170:171] op_sel_hi:[0,1,1] neg_lo:[1,0,0] neg_hi:[1,0,0]
	;; [unrolled: 2-line block ×5, first 2 shown]
.LBB121_209:
	s_or_b64 exec, exec, s[2:3]
	v_cmp_ne_u32_e32 vcc, 38, v25
	s_waitcnt lgkmcnt(0)
	s_barrier
	s_and_saveexec_b64 s[2:3], vcc
	s_xor_b64 s[2:3], exec, s[2:3]
	s_andn2_saveexec_b64 s[2:3], s[2:3]
	s_cbranch_execz .LBB121_213
; %bb.210:
	s_waitcnt vmcnt(22)
	ds_write_b32 v186, v117
	s_waitcnt vmcnt(20)
	ds_write2_b32 v187, v120, v121 offset0:39 offset1:40
	s_waitcnt vmcnt(18)
	ds_write2_b32 v187, v146, v147 offset0:41 offset1:42
	;; [unrolled: 2-line block ×11, first 2 shown]
	ds_read_b32 v226, v186
	s_waitcnt lgkmcnt(0)
	v_cmp_neq_f32_e32 vcc, 0, v226
	s_and_saveexec_b64 s[4:5], vcc
	s_cbranch_execz .LBB121_212
; %bb.211:
	v_div_scale_f32 v227, s[10:11], v226, v226, 1.0
	v_rcp_f32_e32 v228, v227
	v_div_scale_f32 v229, vcc, 1.0, v226, 1.0
	v_fma_f32 v230, -v227, v228, 1.0
	v_fmac_f32_e32 v228, v230, v228
	v_mul_f32_e32 v230, v229, v228
	v_fma_f32 v231, -v227, v230, v229
	v_fmac_f32_e32 v230, v231, v228
	v_fma_f32 v227, -v227, v230, v229
	v_div_fmas_f32 v227, v227, v228, v230
	v_div_fixup_f32 v226, v227, v226, 1.0
	ds_write_b32 v186, v226
.LBB121_212:
	s_or_b64 exec, exec, s[4:5]
.LBB121_213:
	s_or_b64 exec, exec, s[2:3]
	s_waitcnt lgkmcnt(0)
	s_barrier
	ds_read_b32 v226, v186
	v_cmp_lt_u32_e32 vcc, 38, v25
	s_and_saveexec_b64 s[2:3], vcc
	s_cbranch_execz .LBB121_215
; %bb.214:
	ds_read2_b32 v[228:229], v187 offset0:39 offset1:40
	ds_read2_b32 v[230:231], v187 offset0:41 offset1:42
	ds_read2_b32 v[232:233], v187 offset0:43 offset1:44
	s_waitcnt vmcnt(22) lgkmcnt(3)
	v_mul_f32_e32 v234, v226, v117
	ds_read2_b32 v[236:237], v187 offset0:45 offset1:46
	s_waitcnt vmcnt(20) lgkmcnt(3)
	v_pk_fma_f32 v[120:121], v[234:235], v[228:229], v[120:121] op_sel_hi:[0,1,1] neg_lo:[1,0,0] neg_hi:[1,0,0]
	s_waitcnt vmcnt(18) lgkmcnt(2)
	v_pk_fma_f32 v[146:147], v[234:235], v[230:231], v[146:147] op_sel_hi:[0,1,1] neg_lo:[1,0,0] neg_hi:[1,0,0]
	ds_read2_b32 v[228:229], v187 offset0:47 offset1:48
	ds_read2_b32 v[230:231], v187 offset0:49 offset1:50
	s_waitcnt vmcnt(16) lgkmcnt(3)
	v_pk_fma_f32 v[140:141], v[234:235], v[232:233], v[140:141] op_sel_hi:[0,1,1] neg_lo:[1,0,0] neg_hi:[1,0,0]
	s_waitcnt vmcnt(14) lgkmcnt(2)
	v_pk_fma_f32 v[142:143], v[234:235], v[236:237], v[142:143] op_sel_hi:[0,1,1] neg_lo:[1,0,0] neg_hi:[1,0,0]
	ds_read2_b32 v[232:233], v187 offset0:51 offset1:52
	;; [unrolled: 6-line block ×3, first 2 shown]
	ds_read2_b32 v[230:231], v187 offset0:57 offset1:58
	ds_read2_b32 v[238:239], v187 offset0:59 offset1:60
	s_waitcnt vmcnt(8) lgkmcnt(4)
	v_pk_fma_f32 v[168:169], v[234:235], v[232:233], v[168:169] op_sel_hi:[0,1,1] neg_lo:[1,0,0] neg_hi:[1,0,0]
	s_waitcnt vmcnt(6) lgkmcnt(3)
	v_pk_fma_f32 v[170:171], v[234:235], v[236:237], v[170:171] op_sel_hi:[0,1,1] neg_lo:[1,0,0] neg_hi:[1,0,0]
	;; [unrolled: 2-line block ×5, first 2 shown]
	v_mov_b32_e32 v117, v234
.LBB121_215:
	s_or_b64 exec, exec, s[2:3]
	v_cmp_eq_u32_e32 vcc, 39, v25
	s_waitcnt lgkmcnt(0)
	s_barrier
	s_and_saveexec_b64 s[2:3], vcc
	s_cbranch_execz .LBB121_218
; %bb.216:
	s_waitcnt vmcnt(18)
	v_pk_mov_b32 v[228:229], v[120:121], v[146:147] op_sel:[1,0]
	ds_write_b32 v186, v120
	ds_write2_b32 v187, v228, v229 offset0:40 offset1:41
	s_waitcnt vmcnt(16)
	v_pk_mov_b32 v[228:229], v[146:147], v[140:141] op_sel:[1,0]
	ds_write2_b32 v187, v228, v229 offset0:42 offset1:43
	s_waitcnt vmcnt(14)
	v_pk_mov_b32 v[228:229], v[140:141], v[142:143] op_sel:[1,0]
	ds_write2_b32 v187, v228, v229 offset0:44 offset1:45
	s_waitcnt vmcnt(12)
	v_pk_mov_b32 v[228:229], v[142:143], v[144:145] op_sel:[1,0]
	ds_write2_b32 v187, v228, v229 offset0:46 offset1:47
	s_waitcnt vmcnt(10)
	v_pk_mov_b32 v[228:229], v[144:145], v[166:167] op_sel:[1,0]
	ds_write2_b32 v187, v228, v229 offset0:48 offset1:49
	s_waitcnt vmcnt(8)
	v_pk_mov_b32 v[228:229], v[166:167], v[168:169] op_sel:[1,0]
	ds_write2_b32 v187, v228, v229 offset0:50 offset1:51
	s_waitcnt vmcnt(6)
	v_pk_mov_b32 v[228:229], v[168:169], v[170:171] op_sel:[1,0]
	ds_write2_b32 v187, v228, v229 offset0:52 offset1:53
	s_waitcnt vmcnt(4)
	v_pk_mov_b32 v[228:229], v[170:171], v[164:165] op_sel:[1,0]
	ds_write2_b32 v187, v228, v229 offset0:54 offset1:55
	s_waitcnt vmcnt(2)
	v_pk_mov_b32 v[228:229], v[164:165], v[182:183] op_sel:[1,0]
	ds_write2_b32 v187, v228, v229 offset0:56 offset1:57
	s_waitcnt vmcnt(0)
	v_pk_mov_b32 v[228:229], v[182:183], v[184:185] op_sel:[1,0]
	ds_write2_b32 v187, v228, v229 offset0:58 offset1:59
	ds_write_b32 v187, v185 offset:240
	ds_read_b32 v227, v186
	s_waitcnt lgkmcnt(0)
	v_cmp_neq_f32_e32 vcc, 0, v227
	s_and_b64 exec, exec, vcc
	s_cbranch_execz .LBB121_218
; %bb.217:
	v_div_scale_f32 v228, s[4:5], v227, v227, 1.0
	v_rcp_f32_e32 v229, v228
	v_div_scale_f32 v230, vcc, 1.0, v227, 1.0
	v_fma_f32 v231, -v228, v229, 1.0
	v_fmac_f32_e32 v229, v231, v229
	v_mul_f32_e32 v231, v230, v229
	v_fma_f32 v232, -v228, v231, v230
	v_fmac_f32_e32 v231, v232, v229
	v_fma_f32 v228, -v228, v231, v230
	v_div_fmas_f32 v228, v228, v229, v231
	v_div_fixup_f32 v227, v228, v227, 1.0
	ds_write_b32 v186, v227
.LBB121_218:
	s_or_b64 exec, exec, s[2:3]
	s_waitcnt lgkmcnt(0)
	s_barrier
	ds_read_b32 v227, v186
	v_cmp_lt_u32_e32 vcc, 39, v25
	s_and_saveexec_b64 s[2:3], vcc
	s_cbranch_execz .LBB121_220
; %bb.219:
	ds_read_b32 v234, v187 offset:160
	ds_read2_b32 v[228:229], v187 offset0:41 offset1:42
	ds_read2_b32 v[230:231], v187 offset0:43 offset1:44
	s_waitcnt vmcnt(21) lgkmcnt(3)
	v_mul_f32_e32 v120, v227, v120
	ds_read2_b32 v[232:233], v187 offset0:45 offset1:46
	s_waitcnt vmcnt(20) lgkmcnt(3)
	v_fma_f32 v121, -v120, v234, v121
	s_waitcnt vmcnt(18) lgkmcnt(2)
	v_pk_fma_f32 v[146:147], v[120:121], v[228:229], v[146:147] op_sel_hi:[0,1,1] neg_lo:[1,0,0] neg_hi:[1,0,0]
	s_waitcnt vmcnt(16) lgkmcnt(1)
	v_pk_fma_f32 v[140:141], v[120:121], v[230:231], v[140:141] op_sel_hi:[0,1,1] neg_lo:[1,0,0] neg_hi:[1,0,0]
	ds_read2_b32 v[228:229], v187 offset0:47 offset1:48
	ds_read2_b32 v[230:231], v187 offset0:49 offset1:50
	s_waitcnt vmcnt(14) lgkmcnt(2)
	v_pk_fma_f32 v[142:143], v[120:121], v[232:233], v[142:143] op_sel_hi:[0,1,1] neg_lo:[1,0,0] neg_hi:[1,0,0]
	ds_read2_b32 v[232:233], v187 offset0:51 offset1:52
	ds_read2_b32 v[234:235], v187 offset0:53 offset1:54
	s_waitcnt vmcnt(12) lgkmcnt(3)
	v_pk_fma_f32 v[144:145], v[120:121], v[228:229], v[144:145] op_sel_hi:[0,1,1] neg_lo:[1,0,0] neg_hi:[1,0,0]
	s_waitcnt vmcnt(10) lgkmcnt(2)
	v_pk_fma_f32 v[166:167], v[120:121], v[230:231], v[166:167] op_sel_hi:[0,1,1] neg_lo:[1,0,0] neg_hi:[1,0,0]
	ds_read2_b32 v[228:229], v187 offset0:55 offset1:56
	ds_read2_b32 v[230:231], v187 offset0:57 offset1:58
	;; [unrolled: 1-line block ×3, first 2 shown]
	s_waitcnt vmcnt(8) lgkmcnt(4)
	v_pk_fma_f32 v[168:169], v[120:121], v[232:233], v[168:169] op_sel_hi:[0,1,1] neg_lo:[1,0,0] neg_hi:[1,0,0]
	s_waitcnt vmcnt(6) lgkmcnt(3)
	v_pk_fma_f32 v[170:171], v[120:121], v[234:235], v[170:171] op_sel_hi:[0,1,1] neg_lo:[1,0,0] neg_hi:[1,0,0]
	s_waitcnt vmcnt(4) lgkmcnt(2)
	v_pk_fma_f32 v[164:165], v[120:121], v[228:229], v[164:165] op_sel_hi:[0,1,1] neg_lo:[1,0,0] neg_hi:[1,0,0]
	s_waitcnt vmcnt(2) lgkmcnt(1)
	v_pk_fma_f32 v[182:183], v[120:121], v[230:231], v[182:183] op_sel_hi:[0,1,1] neg_lo:[1,0,0] neg_hi:[1,0,0]
	s_waitcnt vmcnt(0) lgkmcnt(0)
	v_pk_fma_f32 v[184:185], v[120:121], v[236:237], v[184:185] op_sel_hi:[0,1,1] neg_lo:[1,0,0] neg_hi:[1,0,0]
.LBB121_220:
	s_or_b64 exec, exec, s[2:3]
	v_cmp_ne_u32_e32 vcc, 40, v25
	s_waitcnt lgkmcnt(0)
	s_barrier
	s_and_saveexec_b64 s[2:3], vcc
	s_xor_b64 s[2:3], exec, s[2:3]
	s_andn2_saveexec_b64 s[2:3], s[2:3]
	s_cbranch_execz .LBB121_224
; %bb.221:
	s_waitcnt vmcnt(20)
	ds_write_b32 v186, v121
	s_waitcnt vmcnt(18)
	ds_write2_b32 v187, v146, v147 offset0:41 offset1:42
	s_waitcnt vmcnt(16)
	ds_write2_b32 v187, v140, v141 offset0:43 offset1:44
	;; [unrolled: 2-line block ×10, first 2 shown]
	ds_read_b32 v228, v186
	s_waitcnt lgkmcnt(0)
	v_cmp_neq_f32_e32 vcc, 0, v228
	s_and_saveexec_b64 s[4:5], vcc
	s_cbranch_execz .LBB121_223
; %bb.222:
	v_div_scale_f32 v229, s[10:11], v228, v228, 1.0
	v_rcp_f32_e32 v230, v229
	v_div_scale_f32 v231, vcc, 1.0, v228, 1.0
	v_fma_f32 v232, -v229, v230, 1.0
	v_fmac_f32_e32 v230, v232, v230
	v_mul_f32_e32 v232, v231, v230
	v_fma_f32 v233, -v229, v232, v231
	v_fmac_f32_e32 v232, v233, v230
	v_fma_f32 v229, -v229, v232, v231
	v_div_fmas_f32 v229, v229, v230, v232
	v_div_fixup_f32 v228, v229, v228, 1.0
	ds_write_b32 v186, v228
.LBB121_223:
	s_or_b64 exec, exec, s[4:5]
.LBB121_224:
	s_or_b64 exec, exec, s[2:3]
	s_waitcnt lgkmcnt(0)
	s_barrier
	ds_read_b32 v228, v186
	v_cmp_lt_u32_e32 vcc, 40, v25
	s_and_saveexec_b64 s[2:3], vcc
	s_cbranch_execz .LBB121_226
; %bb.225:
	ds_read2_b32 v[230:231], v187 offset0:41 offset1:42
	ds_read2_b32 v[232:233], v187 offset0:43 offset1:44
	;; [unrolled: 1-line block ×3, first 2 shown]
	s_waitcnt vmcnt(20) lgkmcnt(3)
	v_mul_f32_e32 v236, v228, v121
	ds_read2_b32 v[238:239], v187 offset0:47 offset1:48
	s_waitcnt vmcnt(18) lgkmcnt(3)
	v_pk_fma_f32 v[146:147], v[236:237], v[230:231], v[146:147] op_sel_hi:[0,1,1] neg_lo:[1,0,0] neg_hi:[1,0,0]
	ds_read2_b32 v[230:231], v187 offset0:49 offset1:50
	s_waitcnt vmcnt(16) lgkmcnt(3)
	v_pk_fma_f32 v[140:141], v[236:237], v[232:233], v[140:141] op_sel_hi:[0,1,1] neg_lo:[1,0,0] neg_hi:[1,0,0]
	s_waitcnt vmcnt(14) lgkmcnt(2)
	v_pk_fma_f32 v[142:143], v[236:237], v[234:235], v[142:143] op_sel_hi:[0,1,1] neg_lo:[1,0,0] neg_hi:[1,0,0]
	;; [unrolled: 2-line block ×3, first 2 shown]
	ds_read2_b32 v[232:233], v187 offset0:51 offset1:52
	ds_read2_b32 v[234:235], v187 offset0:53 offset1:54
	ds_read2_b32 v[238:239], v187 offset0:55 offset1:56
	s_waitcnt vmcnt(10) lgkmcnt(3)
	v_pk_fma_f32 v[166:167], v[236:237], v[230:231], v[166:167] op_sel_hi:[0,1,1] neg_lo:[1,0,0] neg_hi:[1,0,0]
	ds_read2_b32 v[230:231], v187 offset0:57 offset1:58
	ds_read2_b32 v[240:241], v187 offset0:59 offset1:60
	s_waitcnt vmcnt(8) lgkmcnt(4)
	v_pk_fma_f32 v[168:169], v[236:237], v[232:233], v[168:169] op_sel_hi:[0,1,1] neg_lo:[1,0,0] neg_hi:[1,0,0]
	s_waitcnt vmcnt(6) lgkmcnt(3)
	v_pk_fma_f32 v[170:171], v[236:237], v[234:235], v[170:171] op_sel_hi:[0,1,1] neg_lo:[1,0,0] neg_hi:[1,0,0]
	;; [unrolled: 2-line block ×5, first 2 shown]
	v_mov_b32_e32 v121, v236
.LBB121_226:
	s_or_b64 exec, exec, s[2:3]
	v_cmp_eq_u32_e32 vcc, 41, v25
	s_waitcnt lgkmcnt(0)
	s_barrier
	s_and_saveexec_b64 s[2:3], vcc
	s_cbranch_execz .LBB121_229
; %bb.227:
	s_waitcnt vmcnt(16)
	v_pk_mov_b32 v[230:231], v[146:147], v[140:141] op_sel:[1,0]
	ds_write_b32 v186, v146
	ds_write2_b32 v187, v230, v231 offset0:42 offset1:43
	s_waitcnt vmcnt(14)
	v_pk_mov_b32 v[230:231], v[140:141], v[142:143] op_sel:[1,0]
	ds_write2_b32 v187, v230, v231 offset0:44 offset1:45
	s_waitcnt vmcnt(12)
	v_pk_mov_b32 v[230:231], v[142:143], v[144:145] op_sel:[1,0]
	;; [unrolled: 3-line block ×8, first 2 shown]
	ds_write2_b32 v187, v230, v231 offset0:58 offset1:59
	ds_write_b32 v187, v185 offset:240
	ds_read_b32 v229, v186
	s_waitcnt lgkmcnt(0)
	v_cmp_neq_f32_e32 vcc, 0, v229
	s_and_b64 exec, exec, vcc
	s_cbranch_execz .LBB121_229
; %bb.228:
	v_div_scale_f32 v230, s[4:5], v229, v229, 1.0
	v_rcp_f32_e32 v231, v230
	v_div_scale_f32 v232, vcc, 1.0, v229, 1.0
	v_fma_f32 v233, -v230, v231, 1.0
	v_fmac_f32_e32 v231, v233, v231
	v_mul_f32_e32 v233, v232, v231
	v_fma_f32 v234, -v230, v233, v232
	v_fmac_f32_e32 v233, v234, v231
	v_fma_f32 v230, -v230, v233, v232
	v_div_fmas_f32 v230, v230, v231, v233
	v_div_fixup_f32 v229, v230, v229, 1.0
	ds_write_b32 v186, v229
.LBB121_229:
	s_or_b64 exec, exec, s[2:3]
	s_waitcnt lgkmcnt(0)
	s_barrier
	ds_read_b32 v229, v186
	v_cmp_lt_u32_e32 vcc, 41, v25
	s_and_saveexec_b64 s[2:3], vcc
	s_cbranch_execz .LBB121_231
; %bb.230:
	ds_read_b32 v236, v187 offset:168
	ds_read2_b32 v[230:231], v187 offset0:43 offset1:44
	ds_read2_b32 v[232:233], v187 offset0:45 offset1:46
	s_waitcnt vmcnt(19) lgkmcnt(3)
	v_mul_f32_e32 v146, v229, v146
	ds_read2_b32 v[234:235], v187 offset0:47 offset1:48
	s_waitcnt vmcnt(18) lgkmcnt(3)
	v_fma_f32 v147, -v146, v236, v147
	s_waitcnt vmcnt(16) lgkmcnt(2)
	v_pk_fma_f32 v[140:141], v[146:147], v[230:231], v[140:141] op_sel_hi:[0,1,1] neg_lo:[1,0,0] neg_hi:[1,0,0]
	ds_read2_b32 v[230:231], v187 offset0:49 offset1:50
	s_waitcnt vmcnt(14) lgkmcnt(2)
	v_pk_fma_f32 v[142:143], v[146:147], v[232:233], v[142:143] op_sel_hi:[0,1,1] neg_lo:[1,0,0] neg_hi:[1,0,0]
	s_waitcnt vmcnt(12) lgkmcnt(1)
	v_pk_fma_f32 v[144:145], v[146:147], v[234:235], v[144:145] op_sel_hi:[0,1,1] neg_lo:[1,0,0] neg_hi:[1,0,0]
	ds_read2_b32 v[232:233], v187 offset0:51 offset1:52
	ds_read2_b32 v[234:235], v187 offset0:53 offset1:54
	;; [unrolled: 1-line block ×3, first 2 shown]
	s_waitcnt vmcnt(10) lgkmcnt(3)
	v_pk_fma_f32 v[166:167], v[146:147], v[230:231], v[166:167] op_sel_hi:[0,1,1] neg_lo:[1,0,0] neg_hi:[1,0,0]
	ds_read2_b32 v[230:231], v187 offset0:57 offset1:58
	ds_read2_b32 v[238:239], v187 offset0:59 offset1:60
	s_waitcnt vmcnt(8) lgkmcnt(4)
	v_pk_fma_f32 v[168:169], v[146:147], v[232:233], v[168:169] op_sel_hi:[0,1,1] neg_lo:[1,0,0] neg_hi:[1,0,0]
	s_waitcnt vmcnt(6) lgkmcnt(3)
	v_pk_fma_f32 v[170:171], v[146:147], v[234:235], v[170:171] op_sel_hi:[0,1,1] neg_lo:[1,0,0] neg_hi:[1,0,0]
	;; [unrolled: 2-line block ×5, first 2 shown]
.LBB121_231:
	s_or_b64 exec, exec, s[2:3]
	v_cmp_ne_u32_e32 vcc, 42, v25
	s_waitcnt lgkmcnt(0)
	s_barrier
	s_and_saveexec_b64 s[2:3], vcc
	s_xor_b64 s[2:3], exec, s[2:3]
	s_andn2_saveexec_b64 s[2:3], s[2:3]
	s_cbranch_execz .LBB121_235
; %bb.232:
	s_waitcnt vmcnt(18)
	ds_write_b32 v186, v147
	s_waitcnt vmcnt(16)
	ds_write2_b32 v187, v140, v141 offset0:43 offset1:44
	s_waitcnt vmcnt(14)
	ds_write2_b32 v187, v142, v143 offset0:45 offset1:46
	s_waitcnt vmcnt(12)
	ds_write2_b32 v187, v144, v145 offset0:47 offset1:48
	s_waitcnt vmcnt(10)
	ds_write2_b32 v187, v166, v167 offset0:49 offset1:50
	s_waitcnt vmcnt(8)
	ds_write2_b32 v187, v168, v169 offset0:51 offset1:52
	s_waitcnt vmcnt(6)
	ds_write2_b32 v187, v170, v171 offset0:53 offset1:54
	s_waitcnt vmcnt(4)
	ds_write2_b32 v187, v164, v165 offset0:55 offset1:56
	s_waitcnt vmcnt(2)
	ds_write2_b32 v187, v182, v183 offset0:57 offset1:58
	s_waitcnt vmcnt(0)
	ds_write2_b32 v187, v184, v185 offset0:59 offset1:60
	ds_read_b32 v230, v186
	s_waitcnt lgkmcnt(0)
	v_cmp_neq_f32_e32 vcc, 0, v230
	s_and_saveexec_b64 s[4:5], vcc
	s_cbranch_execz .LBB121_234
; %bb.233:
	v_div_scale_f32 v231, s[10:11], v230, v230, 1.0
	v_rcp_f32_e32 v232, v231
	v_div_scale_f32 v233, vcc, 1.0, v230, 1.0
	v_fma_f32 v234, -v231, v232, 1.0
	v_fmac_f32_e32 v232, v234, v232
	v_mul_f32_e32 v234, v233, v232
	v_fma_f32 v235, -v231, v234, v233
	v_fmac_f32_e32 v234, v235, v232
	v_fma_f32 v231, -v231, v234, v233
	v_div_fmas_f32 v231, v231, v232, v234
	v_div_fixup_f32 v230, v231, v230, 1.0
	ds_write_b32 v186, v230
.LBB121_234:
	s_or_b64 exec, exec, s[4:5]
.LBB121_235:
	s_or_b64 exec, exec, s[2:3]
	s_waitcnt lgkmcnt(0)
	s_barrier
	ds_read_b32 v230, v186
	v_cmp_lt_u32_e32 vcc, 42, v25
	s_and_saveexec_b64 s[2:3], vcc
	s_cbranch_execz .LBB121_237
; %bb.236:
	ds_read2_b32 v[232:233], v187 offset0:43 offset1:44
	ds_read2_b32 v[234:235], v187 offset0:45 offset1:46
	;; [unrolled: 1-line block ×4, first 2 shown]
	s_waitcnt vmcnt(18) lgkmcnt(4)
	v_mul_f32_e32 v240, v230, v147
	s_waitcnt vmcnt(16) lgkmcnt(3)
	v_pk_fma_f32 v[140:141], v[240:241], v[232:233], v[140:141] op_sel_hi:[0,1,1] neg_lo:[1,0,0] neg_hi:[1,0,0]
	s_waitcnt vmcnt(14) lgkmcnt(2)
	v_pk_fma_f32 v[142:143], v[240:241], v[234:235], v[142:143] op_sel_hi:[0,1,1] neg_lo:[1,0,0] neg_hi:[1,0,0]
	;; [unrolled: 2-line block ×4, first 2 shown]
	ds_read2_b32 v[232:233], v187 offset0:51 offset1:52
	ds_read2_b32 v[234:235], v187 offset0:53 offset1:54
	;; [unrolled: 1-line block ×5, first 2 shown]
	s_waitcnt vmcnt(8) lgkmcnt(4)
	v_pk_fma_f32 v[168:169], v[240:241], v[232:233], v[168:169] op_sel_hi:[0,1,1] neg_lo:[1,0,0] neg_hi:[1,0,0]
	s_waitcnt vmcnt(6) lgkmcnt(3)
	v_pk_fma_f32 v[170:171], v[240:241], v[234:235], v[170:171] op_sel_hi:[0,1,1] neg_lo:[1,0,0] neg_hi:[1,0,0]
	;; [unrolled: 2-line block ×5, first 2 shown]
	v_mov_b32_e32 v147, v240
.LBB121_237:
	s_or_b64 exec, exec, s[2:3]
	v_cmp_eq_u32_e32 vcc, 43, v25
	s_waitcnt lgkmcnt(0)
	s_barrier
	s_and_saveexec_b64 s[2:3], vcc
	s_cbranch_execz .LBB121_240
; %bb.238:
	s_waitcnt vmcnt(14)
	v_pk_mov_b32 v[232:233], v[140:141], v[142:143] op_sel:[1,0]
	ds_write_b32 v186, v140
	ds_write2_b32 v187, v232, v233 offset0:44 offset1:45
	s_waitcnt vmcnt(12)
	v_pk_mov_b32 v[232:233], v[142:143], v[144:145] op_sel:[1,0]
	ds_write2_b32 v187, v232, v233 offset0:46 offset1:47
	s_waitcnt vmcnt(10)
	v_pk_mov_b32 v[232:233], v[144:145], v[166:167] op_sel:[1,0]
	;; [unrolled: 3-line block ×7, first 2 shown]
	ds_write2_b32 v187, v232, v233 offset0:58 offset1:59
	ds_write_b32 v187, v185 offset:240
	ds_read_b32 v231, v186
	s_waitcnt lgkmcnt(0)
	v_cmp_neq_f32_e32 vcc, 0, v231
	s_and_b64 exec, exec, vcc
	s_cbranch_execz .LBB121_240
; %bb.239:
	v_div_scale_f32 v232, s[4:5], v231, v231, 1.0
	v_rcp_f32_e32 v233, v232
	v_div_scale_f32 v234, vcc, 1.0, v231, 1.0
	v_fma_f32 v235, -v232, v233, 1.0
	v_fmac_f32_e32 v233, v235, v233
	v_mul_f32_e32 v235, v234, v233
	v_fma_f32 v236, -v232, v235, v234
	v_fmac_f32_e32 v235, v236, v233
	v_fma_f32 v232, -v232, v235, v234
	v_div_fmas_f32 v232, v232, v233, v235
	v_div_fixup_f32 v231, v232, v231, 1.0
	ds_write_b32 v186, v231
.LBB121_240:
	s_or_b64 exec, exec, s[2:3]
	s_waitcnt lgkmcnt(0)
	s_barrier
	ds_read_b32 v231, v186
	v_cmp_lt_u32_e32 vcc, 43, v25
	s_and_saveexec_b64 s[2:3], vcc
	s_cbranch_execz .LBB121_242
; %bb.241:
	ds_read_b32 v238, v187 offset:176
	ds_read2_b32 v[232:233], v187 offset0:45 offset1:46
	ds_read2_b32 v[234:235], v187 offset0:47 offset1:48
	;; [unrolled: 1-line block ×3, first 2 shown]
	s_waitcnt vmcnt(17) lgkmcnt(4)
	v_mul_f32_e32 v140, v231, v140
	s_waitcnt vmcnt(16) lgkmcnt(3)
	v_fma_f32 v141, -v140, v238, v141
	s_waitcnt vmcnt(14) lgkmcnt(2)
	v_pk_fma_f32 v[142:143], v[140:141], v[232:233], v[142:143] op_sel_hi:[0,1,1] neg_lo:[1,0,0] neg_hi:[1,0,0]
	s_waitcnt vmcnt(12) lgkmcnt(1)
	v_pk_fma_f32 v[144:145], v[140:141], v[234:235], v[144:145] op_sel_hi:[0,1,1] neg_lo:[1,0,0] neg_hi:[1,0,0]
	;; [unrolled: 2-line block ×3, first 2 shown]
	ds_read2_b32 v[232:233], v187 offset0:51 offset1:52
	ds_read2_b32 v[234:235], v187 offset0:53 offset1:54
	;; [unrolled: 1-line block ×5, first 2 shown]
	s_waitcnt vmcnt(8) lgkmcnt(4)
	v_pk_fma_f32 v[168:169], v[140:141], v[232:233], v[168:169] op_sel_hi:[0,1,1] neg_lo:[1,0,0] neg_hi:[1,0,0]
	s_waitcnt vmcnt(6) lgkmcnt(3)
	v_pk_fma_f32 v[170:171], v[140:141], v[234:235], v[170:171] op_sel_hi:[0,1,1] neg_lo:[1,0,0] neg_hi:[1,0,0]
	;; [unrolled: 2-line block ×5, first 2 shown]
.LBB121_242:
	s_or_b64 exec, exec, s[2:3]
	v_cmp_ne_u32_e32 vcc, 44, v25
	s_waitcnt lgkmcnt(0)
	s_barrier
	s_and_saveexec_b64 s[2:3], vcc
	s_xor_b64 s[2:3], exec, s[2:3]
	s_andn2_saveexec_b64 s[2:3], s[2:3]
	s_cbranch_execz .LBB121_246
; %bb.243:
	s_waitcnt vmcnt(16)
	ds_write_b32 v186, v141
	s_waitcnt vmcnt(14)
	ds_write2_b32 v187, v142, v143 offset0:45 offset1:46
	s_waitcnt vmcnt(12)
	ds_write2_b32 v187, v144, v145 offset0:47 offset1:48
	;; [unrolled: 2-line block ×8, first 2 shown]
	ds_read_b32 v232, v186
	s_waitcnt lgkmcnt(0)
	v_cmp_neq_f32_e32 vcc, 0, v232
	s_and_saveexec_b64 s[4:5], vcc
	s_cbranch_execz .LBB121_245
; %bb.244:
	v_div_scale_f32 v233, s[10:11], v232, v232, 1.0
	v_rcp_f32_e32 v234, v233
	v_div_scale_f32 v235, vcc, 1.0, v232, 1.0
	v_fma_f32 v236, -v233, v234, 1.0
	v_fmac_f32_e32 v234, v236, v234
	v_mul_f32_e32 v236, v235, v234
	v_fma_f32 v237, -v233, v236, v235
	v_fmac_f32_e32 v236, v237, v234
	v_fma_f32 v233, -v233, v236, v235
	v_div_fmas_f32 v233, v233, v234, v236
	v_div_fixup_f32 v232, v233, v232, 1.0
	ds_write_b32 v186, v232
.LBB121_245:
	s_or_b64 exec, exec, s[4:5]
.LBB121_246:
	s_or_b64 exec, exec, s[2:3]
	s_waitcnt lgkmcnt(0)
	s_barrier
	ds_read_b32 v232, v186
	v_cmp_lt_u32_e32 vcc, 44, v25
	s_and_saveexec_b64 s[2:3], vcc
	s_cbranch_execz .LBB121_248
; %bb.247:
	ds_read2_b32 v[234:235], v187 offset0:45 offset1:46
	ds_read2_b32 v[236:237], v187 offset0:47 offset1:48
	;; [unrolled: 1-line block ×3, first 2 shown]
	s_waitcnt vmcnt(16) lgkmcnt(3)
	v_mul_f32_e32 v240, v232, v141
	ds_read2_b32 v[242:243], v187 offset0:51 offset1:52
	s_waitcnt vmcnt(14) lgkmcnt(3)
	v_pk_fma_f32 v[142:143], v[240:241], v[234:235], v[142:143] op_sel_hi:[0,1,1] neg_lo:[1,0,0] neg_hi:[1,0,0]
	s_waitcnt vmcnt(12) lgkmcnt(2)
	v_pk_fma_f32 v[144:145], v[240:241], v[236:237], v[144:145] op_sel_hi:[0,1,1] neg_lo:[1,0,0] neg_hi:[1,0,0]
	;; [unrolled: 2-line block ×3, first 2 shown]
	ds_read2_b32 v[234:235], v187 offset0:53 offset1:54
	ds_read2_b32 v[236:237], v187 offset0:55 offset1:56
	;; [unrolled: 1-line block ×4, first 2 shown]
	s_waitcnt vmcnt(8) lgkmcnt(4)
	v_pk_fma_f32 v[168:169], v[240:241], v[242:243], v[168:169] op_sel_hi:[0,1,1] neg_lo:[1,0,0] neg_hi:[1,0,0]
	s_waitcnt vmcnt(6) lgkmcnt(3)
	v_pk_fma_f32 v[170:171], v[240:241], v[234:235], v[170:171] op_sel_hi:[0,1,1] neg_lo:[1,0,0] neg_hi:[1,0,0]
	;; [unrolled: 2-line block ×5, first 2 shown]
	v_mov_b32_e32 v141, v240
.LBB121_248:
	s_or_b64 exec, exec, s[2:3]
	v_cmp_eq_u32_e32 vcc, 45, v25
	s_waitcnt lgkmcnt(0)
	s_barrier
	s_and_saveexec_b64 s[2:3], vcc
	s_cbranch_execz .LBB121_251
; %bb.249:
	s_waitcnt vmcnt(12)
	v_pk_mov_b32 v[234:235], v[142:143], v[144:145] op_sel:[1,0]
	ds_write_b32 v186, v142
	ds_write2_b32 v187, v234, v235 offset0:46 offset1:47
	s_waitcnt vmcnt(10)
	v_pk_mov_b32 v[234:235], v[144:145], v[166:167] op_sel:[1,0]
	ds_write2_b32 v187, v234, v235 offset0:48 offset1:49
	s_waitcnt vmcnt(8)
	v_pk_mov_b32 v[234:235], v[166:167], v[168:169] op_sel:[1,0]
	;; [unrolled: 3-line block ×6, first 2 shown]
	ds_write2_b32 v187, v234, v235 offset0:58 offset1:59
	ds_write_b32 v187, v185 offset:240
	ds_read_b32 v233, v186
	s_waitcnt lgkmcnt(0)
	v_cmp_neq_f32_e32 vcc, 0, v233
	s_and_b64 exec, exec, vcc
	s_cbranch_execz .LBB121_251
; %bb.250:
	v_div_scale_f32 v234, s[4:5], v233, v233, 1.0
	v_rcp_f32_e32 v235, v234
	v_div_scale_f32 v236, vcc, 1.0, v233, 1.0
	v_fma_f32 v237, -v234, v235, 1.0
	v_fmac_f32_e32 v235, v237, v235
	v_mul_f32_e32 v237, v236, v235
	v_fma_f32 v238, -v234, v237, v236
	v_fmac_f32_e32 v237, v238, v235
	v_fma_f32 v234, -v234, v237, v236
	v_div_fmas_f32 v234, v234, v235, v237
	v_div_fixup_f32 v233, v234, v233, 1.0
	ds_write_b32 v186, v233
.LBB121_251:
	s_or_b64 exec, exec, s[2:3]
	s_waitcnt lgkmcnt(0)
	s_barrier
	ds_read_b32 v233, v186
	v_cmp_lt_u32_e32 vcc, 45, v25
	s_and_saveexec_b64 s[2:3], vcc
	s_cbranch_execz .LBB121_253
; %bb.252:
	ds_read_b32 v240, v187 offset:184
	ds_read2_b32 v[234:235], v187 offset0:47 offset1:48
	ds_read2_b32 v[236:237], v187 offset0:49 offset1:50
	s_waitcnt vmcnt(15) lgkmcnt(3)
	v_mul_f32_e32 v142, v233, v142
	ds_read2_b32 v[238:239], v187 offset0:51 offset1:52
	s_waitcnt vmcnt(14) lgkmcnt(3)
	v_fma_f32 v143, -v142, v240, v143
	s_waitcnt vmcnt(12) lgkmcnt(2)
	v_pk_fma_f32 v[144:145], v[142:143], v[234:235], v[144:145] op_sel_hi:[0,1,1] neg_lo:[1,0,0] neg_hi:[1,0,0]
	s_waitcnt vmcnt(10) lgkmcnt(1)
	v_pk_fma_f32 v[166:167], v[142:143], v[236:237], v[166:167] op_sel_hi:[0,1,1] neg_lo:[1,0,0] neg_hi:[1,0,0]
	ds_read2_b32 v[234:235], v187 offset0:53 offset1:54
	ds_read2_b32 v[236:237], v187 offset0:55 offset1:56
	;; [unrolled: 1-line block ×4, first 2 shown]
	s_waitcnt vmcnt(8) lgkmcnt(4)
	v_pk_fma_f32 v[168:169], v[142:143], v[238:239], v[168:169] op_sel_hi:[0,1,1] neg_lo:[1,0,0] neg_hi:[1,0,0]
	s_waitcnt vmcnt(6) lgkmcnt(3)
	v_pk_fma_f32 v[170:171], v[142:143], v[234:235], v[170:171] op_sel_hi:[0,1,1] neg_lo:[1,0,0] neg_hi:[1,0,0]
	;; [unrolled: 2-line block ×5, first 2 shown]
.LBB121_253:
	s_or_b64 exec, exec, s[2:3]
	v_cmp_ne_u32_e32 vcc, 46, v25
	s_waitcnt lgkmcnt(0)
	s_barrier
	s_and_saveexec_b64 s[2:3], vcc
	s_xor_b64 s[2:3], exec, s[2:3]
	s_andn2_saveexec_b64 s[2:3], s[2:3]
	s_cbranch_execz .LBB121_257
; %bb.254:
	s_waitcnt vmcnt(14)
	ds_write_b32 v186, v143
	s_waitcnt vmcnt(12)
	ds_write2_b32 v187, v144, v145 offset0:47 offset1:48
	s_waitcnt vmcnt(10)
	ds_write2_b32 v187, v166, v167 offset0:49 offset1:50
	;; [unrolled: 2-line block ×7, first 2 shown]
	ds_read_b32 v234, v186
	s_waitcnt lgkmcnt(0)
	v_cmp_neq_f32_e32 vcc, 0, v234
	s_and_saveexec_b64 s[4:5], vcc
	s_cbranch_execz .LBB121_256
; %bb.255:
	v_div_scale_f32 v235, s[10:11], v234, v234, 1.0
	v_rcp_f32_e32 v236, v235
	v_div_scale_f32 v237, vcc, 1.0, v234, 1.0
	v_fma_f32 v238, -v235, v236, 1.0
	v_fmac_f32_e32 v236, v238, v236
	v_mul_f32_e32 v238, v237, v236
	v_fma_f32 v239, -v235, v238, v237
	v_fmac_f32_e32 v238, v239, v236
	v_fma_f32 v235, -v235, v238, v237
	v_div_fmas_f32 v235, v235, v236, v238
	v_div_fixup_f32 v234, v235, v234, 1.0
	ds_write_b32 v186, v234
.LBB121_256:
	s_or_b64 exec, exec, s[4:5]
.LBB121_257:
	s_or_b64 exec, exec, s[2:3]
	s_waitcnt lgkmcnt(0)
	s_barrier
	ds_read_b32 v234, v186
	v_cmp_lt_u32_e32 vcc, 46, v25
	s_and_saveexec_b64 s[2:3], vcc
	s_cbranch_execz .LBB121_259
; %bb.258:
	ds_read2_b32 v[236:237], v187 offset0:47 offset1:48
	ds_read2_b32 v[238:239], v187 offset0:49 offset1:50
	s_waitcnt vmcnt(14) lgkmcnt(2)
	v_mul_f32_e32 v240, v234, v143
	ds_read2_b32 v[242:243], v187 offset0:51 offset1:52
	ds_read2_b32 v[244:245], v187 offset0:53 offset1:54
	v_mov_b32_e32 v143, v240
	s_waitcnt vmcnt(12) lgkmcnt(3)
	v_pk_fma_f32 v[144:145], v[240:241], v[236:237], v[144:145] op_sel_hi:[0,1,1] neg_lo:[1,0,0] neg_hi:[1,0,0]
	s_waitcnt vmcnt(10) lgkmcnt(2)
	v_pk_fma_f32 v[166:167], v[240:241], v[238:239], v[166:167] op_sel_hi:[0,1,1] neg_lo:[1,0,0] neg_hi:[1,0,0]
	ds_read2_b32 v[236:237], v187 offset0:55 offset1:56
	ds_read2_b32 v[238:239], v187 offset0:57 offset1:58
	;; [unrolled: 1-line block ×3, first 2 shown]
	s_waitcnt vmcnt(8) lgkmcnt(4)
	v_pk_fma_f32 v[168:169], v[240:241], v[242:243], v[168:169] op_sel_hi:[0,1,1] neg_lo:[1,0,0] neg_hi:[1,0,0]
	s_waitcnt vmcnt(6) lgkmcnt(3)
	v_pk_fma_f32 v[170:171], v[240:241], v[244:245], v[170:171] op_sel_hi:[0,1,1] neg_lo:[1,0,0] neg_hi:[1,0,0]
	;; [unrolled: 2-line block ×5, first 2 shown]
.LBB121_259:
	s_or_b64 exec, exec, s[2:3]
	v_cmp_eq_u32_e32 vcc, 47, v25
	s_waitcnt lgkmcnt(0)
	s_barrier
	s_and_saveexec_b64 s[2:3], vcc
	s_cbranch_execz .LBB121_262
; %bb.260:
	s_waitcnt vmcnt(10)
	v_pk_mov_b32 v[236:237], v[144:145], v[166:167] op_sel:[1,0]
	ds_write_b32 v186, v144
	ds_write2_b32 v187, v236, v237 offset0:48 offset1:49
	s_waitcnt vmcnt(8)
	v_pk_mov_b32 v[236:237], v[166:167], v[168:169] op_sel:[1,0]
	ds_write2_b32 v187, v236, v237 offset0:50 offset1:51
	s_waitcnt vmcnt(6)
	v_pk_mov_b32 v[236:237], v[168:169], v[170:171] op_sel:[1,0]
	;; [unrolled: 3-line block ×5, first 2 shown]
	ds_write2_b32 v187, v236, v237 offset0:58 offset1:59
	ds_write_b32 v187, v185 offset:240
	ds_read_b32 v235, v186
	s_waitcnt lgkmcnt(0)
	v_cmp_neq_f32_e32 vcc, 0, v235
	s_and_b64 exec, exec, vcc
	s_cbranch_execz .LBB121_262
; %bb.261:
	v_div_scale_f32 v236, s[4:5], v235, v235, 1.0
	v_rcp_f32_e32 v237, v236
	v_div_scale_f32 v238, vcc, 1.0, v235, 1.0
	v_fma_f32 v239, -v236, v237, 1.0
	v_fmac_f32_e32 v237, v239, v237
	v_mul_f32_e32 v239, v238, v237
	v_fma_f32 v240, -v236, v239, v238
	v_fmac_f32_e32 v239, v240, v237
	v_fma_f32 v236, -v236, v239, v238
	v_div_fmas_f32 v236, v236, v237, v239
	v_div_fixup_f32 v235, v236, v235, 1.0
	ds_write_b32 v186, v235
.LBB121_262:
	s_or_b64 exec, exec, s[2:3]
	s_waitcnt lgkmcnt(0)
	s_barrier
	ds_read_b32 v235, v186
	v_cmp_lt_u32_e32 vcc, 47, v25
	s_and_saveexec_b64 s[2:3], vcc
	s_cbranch_execz .LBB121_264
; %bb.263:
	ds_read_b32 v242, v187 offset:192
	ds_read2_b32 v[236:237], v187 offset0:49 offset1:50
	s_waitcnt vmcnt(13) lgkmcnt(2)
	v_mul_f32_e32 v144, v235, v144
	ds_read2_b32 v[238:239], v187 offset0:51 offset1:52
	ds_read2_b32 v[240:241], v187 offset0:53 offset1:54
	s_waitcnt vmcnt(12) lgkmcnt(3)
	v_fma_f32 v145, -v144, v242, v145
	s_waitcnt vmcnt(10) lgkmcnt(2)
	v_pk_fma_f32 v[166:167], v[144:145], v[236:237], v[166:167] op_sel_hi:[0,1,1] neg_lo:[1,0,0] neg_hi:[1,0,0]
	ds_read2_b32 v[236:237], v187 offset0:55 offset1:56
	ds_read2_b32 v[242:243], v187 offset0:57 offset1:58
	;; [unrolled: 1-line block ×3, first 2 shown]
	s_waitcnt vmcnt(8) lgkmcnt(4)
	v_pk_fma_f32 v[168:169], v[144:145], v[238:239], v[168:169] op_sel_hi:[0,1,1] neg_lo:[1,0,0] neg_hi:[1,0,0]
	s_waitcnt vmcnt(6) lgkmcnt(3)
	v_pk_fma_f32 v[170:171], v[144:145], v[240:241], v[170:171] op_sel_hi:[0,1,1] neg_lo:[1,0,0] neg_hi:[1,0,0]
	;; [unrolled: 2-line block ×5, first 2 shown]
.LBB121_264:
	s_or_b64 exec, exec, s[2:3]
	v_cmp_ne_u32_e32 vcc, 48, v25
	s_waitcnt lgkmcnt(0)
	s_barrier
	s_and_saveexec_b64 s[2:3], vcc
	s_xor_b64 s[2:3], exec, s[2:3]
	s_andn2_saveexec_b64 s[2:3], s[2:3]
	s_cbranch_execz .LBB121_268
; %bb.265:
	s_waitcnt vmcnt(12)
	ds_write_b32 v186, v145
	s_waitcnt vmcnt(10)
	ds_write2_b32 v187, v166, v167 offset0:49 offset1:50
	s_waitcnt vmcnt(8)
	ds_write2_b32 v187, v168, v169 offset0:51 offset1:52
	;; [unrolled: 2-line block ×6, first 2 shown]
	ds_read_b32 v236, v186
	s_waitcnt lgkmcnt(0)
	v_cmp_neq_f32_e32 vcc, 0, v236
	s_and_saveexec_b64 s[4:5], vcc
	s_cbranch_execz .LBB121_267
; %bb.266:
	v_div_scale_f32 v237, s[10:11], v236, v236, 1.0
	v_rcp_f32_e32 v238, v237
	v_div_scale_f32 v239, vcc, 1.0, v236, 1.0
	v_fma_f32 v240, -v237, v238, 1.0
	v_fmac_f32_e32 v238, v240, v238
	v_mul_f32_e32 v240, v239, v238
	v_fma_f32 v241, -v237, v240, v239
	v_fmac_f32_e32 v240, v241, v238
	v_fma_f32 v237, -v237, v240, v239
	v_div_fmas_f32 v237, v237, v238, v240
	v_div_fixup_f32 v236, v237, v236, 1.0
	ds_write_b32 v186, v236
.LBB121_267:
	s_or_b64 exec, exec, s[4:5]
.LBB121_268:
	s_or_b64 exec, exec, s[2:3]
	s_waitcnt lgkmcnt(0)
	s_barrier
	ds_read_b32 v236, v186
	v_cmp_lt_u32_e32 vcc, 48, v25
	s_and_saveexec_b64 s[2:3], vcc
	s_cbranch_execz .LBB121_270
; %bb.269:
	ds_read2_b32 v[238:239], v187 offset0:49 offset1:50
	s_waitcnt vmcnt(12) lgkmcnt(1)
	v_mul_f32_e32 v240, v236, v145
	ds_read2_b32 v[242:243], v187 offset0:51 offset1:52
	ds_read2_b32 v[244:245], v187 offset0:53 offset1:54
	;; [unrolled: 1-line block ×3, first 2 shown]
	v_mov_b32_e32 v145, v240
	s_waitcnt vmcnt(8) lgkmcnt(2)
	v_pk_fma_f32 v[168:169], v[240:241], v[242:243], v[168:169] op_sel_hi:[0,1,1] neg_lo:[1,0,0] neg_hi:[1,0,0]
	v_pk_fma_f32 v[166:167], v[240:241], v[238:239], v[166:167] op_sel_hi:[0,1,1] neg_lo:[1,0,0] neg_hi:[1,0,0]
	ds_read2_b32 v[238:239], v187 offset0:57 offset1:58
	ds_read2_b32 v[248:249], v187 offset0:59 offset1:60
	s_waitcnt vmcnt(6) lgkmcnt(3)
	v_pk_fma_f32 v[170:171], v[240:241], v[244:245], v[170:171] op_sel_hi:[0,1,1] neg_lo:[1,0,0] neg_hi:[1,0,0]
	s_waitcnt vmcnt(4) lgkmcnt(2)
	v_pk_fma_f32 v[164:165], v[240:241], v[246:247], v[164:165] op_sel_hi:[0,1,1] neg_lo:[1,0,0] neg_hi:[1,0,0]
	;; [unrolled: 2-line block ×4, first 2 shown]
.LBB121_270:
	s_or_b64 exec, exec, s[2:3]
	v_cmp_eq_u32_e32 vcc, 49, v25
	s_waitcnt lgkmcnt(0)
	s_barrier
	s_and_saveexec_b64 s[2:3], vcc
	s_cbranch_execz .LBB121_273
; %bb.271:
	s_waitcnt vmcnt(8)
	v_pk_mov_b32 v[238:239], v[166:167], v[168:169] op_sel:[1,0]
	ds_write_b32 v186, v166
	ds_write2_b32 v187, v238, v239 offset0:50 offset1:51
	s_waitcnt vmcnt(6)
	v_pk_mov_b32 v[238:239], v[168:169], v[170:171] op_sel:[1,0]
	ds_write2_b32 v187, v238, v239 offset0:52 offset1:53
	s_waitcnt vmcnt(4)
	v_pk_mov_b32 v[238:239], v[170:171], v[164:165] op_sel:[1,0]
	;; [unrolled: 3-line block ×4, first 2 shown]
	ds_write2_b32 v187, v238, v239 offset0:58 offset1:59
	ds_write_b32 v187, v185 offset:240
	ds_read_b32 v237, v186
	s_waitcnt lgkmcnt(0)
	v_cmp_neq_f32_e32 vcc, 0, v237
	s_and_b64 exec, exec, vcc
	s_cbranch_execz .LBB121_273
; %bb.272:
	v_div_scale_f32 v238, s[4:5], v237, v237, 1.0
	v_rcp_f32_e32 v239, v238
	v_div_scale_f32 v240, vcc, 1.0, v237, 1.0
	v_fma_f32 v241, -v238, v239, 1.0
	v_fmac_f32_e32 v239, v241, v239
	v_mul_f32_e32 v241, v240, v239
	v_fma_f32 v242, -v238, v241, v240
	v_fmac_f32_e32 v241, v242, v239
	v_fma_f32 v238, -v238, v241, v240
	v_div_fmas_f32 v238, v238, v239, v241
	v_div_fixup_f32 v237, v238, v237, 1.0
	ds_write_b32 v186, v237
.LBB121_273:
	s_or_b64 exec, exec, s[2:3]
	s_waitcnt lgkmcnt(0)
	s_barrier
	ds_read_b32 v237, v186
	v_cmp_lt_u32_e32 vcc, 49, v25
	s_and_saveexec_b64 s[2:3], vcc
	s_cbranch_execz .LBB121_275
; %bb.274:
	ds_read_b32 v244, v187 offset:200
	s_waitcnt vmcnt(11) lgkmcnt(1)
	v_mul_f32_e32 v166, v237, v166
	ds_read2_b32 v[238:239], v187 offset0:51 offset1:52
	ds_read2_b32 v[240:241], v187 offset0:53 offset1:54
	;; [unrolled: 1-line block ×3, first 2 shown]
	s_waitcnt vmcnt(10) lgkmcnt(3)
	v_fma_f32 v167, -v166, v244, v167
	ds_read2_b32 v[244:245], v187 offset0:57 offset1:58
	ds_read2_b32 v[246:247], v187 offset0:59 offset1:60
	s_waitcnt vmcnt(8) lgkmcnt(4)
	v_pk_fma_f32 v[168:169], v[166:167], v[238:239], v[168:169] op_sel_hi:[0,1,1] neg_lo:[1,0,0] neg_hi:[1,0,0]
	s_waitcnt vmcnt(6) lgkmcnt(3)
	v_pk_fma_f32 v[170:171], v[166:167], v[240:241], v[170:171] op_sel_hi:[0,1,1] neg_lo:[1,0,0] neg_hi:[1,0,0]
	;; [unrolled: 2-line block ×5, first 2 shown]
.LBB121_275:
	s_or_b64 exec, exec, s[2:3]
	v_cmp_ne_u32_e32 vcc, 50, v25
	s_waitcnt lgkmcnt(0)
	s_barrier
	s_and_saveexec_b64 s[2:3], vcc
	s_xor_b64 s[2:3], exec, s[2:3]
	s_andn2_saveexec_b64 s[2:3], s[2:3]
	s_cbranch_execz .LBB121_279
; %bb.276:
	s_waitcnt vmcnt(10)
	ds_write_b32 v186, v167
	s_waitcnt vmcnt(8)
	ds_write2_b32 v187, v168, v169 offset0:51 offset1:52
	s_waitcnt vmcnt(6)
	ds_write2_b32 v187, v170, v171 offset0:53 offset1:54
	s_waitcnt vmcnt(4)
	ds_write2_b32 v187, v164, v165 offset0:55 offset1:56
	s_waitcnt vmcnt(2)
	ds_write2_b32 v187, v182, v183 offset0:57 offset1:58
	s_waitcnt vmcnt(0)
	ds_write2_b32 v187, v184, v185 offset0:59 offset1:60
	ds_read_b32 v238, v186
	s_waitcnt lgkmcnt(0)
	v_cmp_neq_f32_e32 vcc, 0, v238
	s_and_saveexec_b64 s[4:5], vcc
	s_cbranch_execz .LBB121_278
; %bb.277:
	v_div_scale_f32 v239, s[10:11], v238, v238, 1.0
	v_rcp_f32_e32 v240, v239
	v_div_scale_f32 v241, vcc, 1.0, v238, 1.0
	v_fma_f32 v242, -v239, v240, 1.0
	v_fmac_f32_e32 v240, v242, v240
	v_mul_f32_e32 v242, v241, v240
	v_fma_f32 v243, -v239, v242, v241
	v_fmac_f32_e32 v242, v243, v240
	v_fma_f32 v239, -v239, v242, v241
	v_div_fmas_f32 v239, v239, v240, v242
	v_div_fixup_f32 v238, v239, v238, 1.0
	ds_write_b32 v186, v238
.LBB121_278:
	s_or_b64 exec, exec, s[4:5]
.LBB121_279:
	s_or_b64 exec, exec, s[2:3]
	s_waitcnt lgkmcnt(0)
	s_barrier
	ds_read_b32 v238, v186
	v_cmp_lt_u32_e32 vcc, 50, v25
	s_and_saveexec_b64 s[2:3], vcc
	s_cbranch_execz .LBB121_281
; %bb.280:
	ds_read2_b32 v[242:243], v187 offset0:51 offset1:52
	ds_read2_b32 v[244:245], v187 offset0:53 offset1:54
	;; [unrolled: 1-line block ×5, first 2 shown]
	s_waitcnt vmcnt(10) lgkmcnt(5)
	v_mul_f32_e32 v240, v238, v167
	s_waitcnt vmcnt(8) lgkmcnt(4)
	v_pk_fma_f32 v[168:169], v[240:241], v[242:243], v[168:169] op_sel_hi:[0,1,1] neg_lo:[1,0,0] neg_hi:[1,0,0]
	s_waitcnt vmcnt(6) lgkmcnt(3)
	v_pk_fma_f32 v[170:171], v[240:241], v[244:245], v[170:171] op_sel_hi:[0,1,1] neg_lo:[1,0,0] neg_hi:[1,0,0]
	;; [unrolled: 2-line block ×5, first 2 shown]
	v_mov_b32_e32 v167, v240
.LBB121_281:
	s_or_b64 exec, exec, s[2:3]
	v_cmp_eq_u32_e32 vcc, 51, v25
	s_waitcnt lgkmcnt(0)
	s_barrier
	s_and_saveexec_b64 s[2:3], vcc
	s_cbranch_execz .LBB121_284
; %bb.282:
	s_waitcnt vmcnt(6)
	v_pk_mov_b32 v[240:241], v[168:169], v[170:171] op_sel:[1,0]
	ds_write_b32 v186, v168
	ds_write2_b32 v187, v240, v241 offset0:52 offset1:53
	s_waitcnt vmcnt(4)
	v_pk_mov_b32 v[240:241], v[170:171], v[164:165] op_sel:[1,0]
	ds_write2_b32 v187, v240, v241 offset0:54 offset1:55
	s_waitcnt vmcnt(2)
	v_pk_mov_b32 v[240:241], v[164:165], v[182:183] op_sel:[1,0]
	;; [unrolled: 3-line block ×3, first 2 shown]
	ds_write2_b32 v187, v240, v241 offset0:58 offset1:59
	ds_write_b32 v187, v185 offset:240
	ds_read_b32 v239, v186
	s_waitcnt lgkmcnt(0)
	v_cmp_neq_f32_e32 vcc, 0, v239
	s_and_b64 exec, exec, vcc
	s_cbranch_execz .LBB121_284
; %bb.283:
	v_div_scale_f32 v240, s[4:5], v239, v239, 1.0
	v_rcp_f32_e32 v241, v240
	v_div_scale_f32 v242, vcc, 1.0, v239, 1.0
	v_fma_f32 v243, -v240, v241, 1.0
	v_fmac_f32_e32 v241, v243, v241
	v_mul_f32_e32 v243, v242, v241
	v_fma_f32 v244, -v240, v243, v242
	v_fmac_f32_e32 v243, v244, v241
	v_fma_f32 v240, -v240, v243, v242
	v_div_fmas_f32 v240, v240, v241, v243
	v_div_fixup_f32 v239, v240, v239, 1.0
	ds_write_b32 v186, v239
.LBB121_284:
	s_or_b64 exec, exec, s[2:3]
	s_waitcnt lgkmcnt(0)
	s_barrier
	ds_read_b32 v239, v186
	v_cmp_lt_u32_e32 vcc, 51, v25
	s_and_saveexec_b64 s[2:3], vcc
	s_cbranch_execz .LBB121_286
; %bb.285:
	ds_read_b32 v248, v187 offset:208
	ds_read2_b32 v[240:241], v187 offset0:53 offset1:54
	ds_read2_b32 v[242:243], v187 offset0:55 offset1:56
	;; [unrolled: 1-line block ×4, first 2 shown]
	s_waitcnt vmcnt(9) lgkmcnt(5)
	v_mul_f32_e32 v168, v239, v168
	s_waitcnt vmcnt(8) lgkmcnt(4)
	v_fma_f32 v169, -v168, v248, v169
	s_waitcnt vmcnt(6) lgkmcnt(3)
	v_pk_fma_f32 v[170:171], v[168:169], v[240:241], v[170:171] op_sel_hi:[0,1,1] neg_lo:[1,0,0] neg_hi:[1,0,0]
	s_waitcnt vmcnt(4) lgkmcnt(2)
	v_pk_fma_f32 v[164:165], v[168:169], v[242:243], v[164:165] op_sel_hi:[0,1,1] neg_lo:[1,0,0] neg_hi:[1,0,0]
	;; [unrolled: 2-line block ×4, first 2 shown]
.LBB121_286:
	s_or_b64 exec, exec, s[2:3]
	v_cmp_ne_u32_e32 vcc, 52, v25
	s_waitcnt lgkmcnt(0)
	s_barrier
	s_and_saveexec_b64 s[2:3], vcc
	s_xor_b64 s[2:3], exec, s[2:3]
	s_andn2_saveexec_b64 s[2:3], s[2:3]
	s_cbranch_execz .LBB121_290
; %bb.287:
	s_waitcnt vmcnt(8)
	ds_write_b32 v186, v169
	s_waitcnt vmcnt(6)
	ds_write2_b32 v187, v170, v171 offset0:53 offset1:54
	s_waitcnt vmcnt(4)
	ds_write2_b32 v187, v164, v165 offset0:55 offset1:56
	;; [unrolled: 2-line block ×4, first 2 shown]
	ds_read_b32 v240, v186
	s_waitcnt lgkmcnt(0)
	v_cmp_neq_f32_e32 vcc, 0, v240
	s_and_saveexec_b64 s[4:5], vcc
	s_cbranch_execz .LBB121_289
; %bb.288:
	v_div_scale_f32 v241, s[10:11], v240, v240, 1.0
	v_rcp_f32_e32 v242, v241
	v_div_scale_f32 v243, vcc, 1.0, v240, 1.0
	v_fma_f32 v244, -v241, v242, 1.0
	v_fmac_f32_e32 v242, v244, v242
	v_mul_f32_e32 v244, v243, v242
	v_fma_f32 v245, -v241, v244, v243
	v_fmac_f32_e32 v244, v245, v242
	v_fma_f32 v241, -v241, v244, v243
	v_div_fmas_f32 v241, v241, v242, v244
	v_div_fixup_f32 v240, v241, v240, 1.0
	ds_write_b32 v186, v240
.LBB121_289:
	s_or_b64 exec, exec, s[4:5]
.LBB121_290:
	s_or_b64 exec, exec, s[2:3]
	s_waitcnt lgkmcnt(0)
	s_barrier
	ds_read_b32 v240, v186
	v_cmp_lt_u32_e32 vcc, 52, v25
	s_and_saveexec_b64 s[2:3], vcc
	s_cbranch_execz .LBB121_292
; %bb.291:
	ds_read2_b32 v[242:243], v187 offset0:53 offset1:54
	ds_read2_b32 v[244:245], v187 offset0:55 offset1:56
	;; [unrolled: 1-line block ×4, first 2 shown]
	s_waitcnt vmcnt(8) lgkmcnt(4)
	v_mul_f32_e32 v250, v240, v169
	s_waitcnt vmcnt(6) lgkmcnt(3)
	v_pk_fma_f32 v[170:171], v[250:251], v[242:243], v[170:171] op_sel_hi:[0,1,1] neg_lo:[1,0,0] neg_hi:[1,0,0]
	s_waitcnt vmcnt(4) lgkmcnt(2)
	v_pk_fma_f32 v[164:165], v[250:251], v[244:245], v[164:165] op_sel_hi:[0,1,1] neg_lo:[1,0,0] neg_hi:[1,0,0]
	;; [unrolled: 2-line block ×4, first 2 shown]
	v_mov_b32_e32 v169, v250
.LBB121_292:
	s_or_b64 exec, exec, s[2:3]
	v_cmp_eq_u32_e32 vcc, 53, v25
	s_waitcnt lgkmcnt(0)
	s_barrier
	s_and_saveexec_b64 s[2:3], vcc
	s_cbranch_execz .LBB121_295
; %bb.293:
	s_waitcnt vmcnt(4)
	v_pk_mov_b32 v[242:243], v[170:171], v[164:165] op_sel:[1,0]
	ds_write_b32 v186, v170
	ds_write2_b32 v187, v242, v243 offset0:54 offset1:55
	s_waitcnt vmcnt(2)
	v_pk_mov_b32 v[242:243], v[164:165], v[182:183] op_sel:[1,0]
	ds_write2_b32 v187, v242, v243 offset0:56 offset1:57
	s_waitcnt vmcnt(0)
	v_pk_mov_b32 v[242:243], v[182:183], v[184:185] op_sel:[1,0]
	ds_write2_b32 v187, v242, v243 offset0:58 offset1:59
	ds_write_b32 v187, v185 offset:240
	ds_read_b32 v241, v186
	s_waitcnt lgkmcnt(0)
	v_cmp_neq_f32_e32 vcc, 0, v241
	s_and_b64 exec, exec, vcc
	s_cbranch_execz .LBB121_295
; %bb.294:
	v_div_scale_f32 v242, s[4:5], v241, v241, 1.0
	v_rcp_f32_e32 v243, v242
	v_div_scale_f32 v244, vcc, 1.0, v241, 1.0
	v_fma_f32 v245, -v242, v243, 1.0
	v_fmac_f32_e32 v243, v245, v243
	v_mul_f32_e32 v245, v244, v243
	v_fma_f32 v246, -v242, v245, v244
	v_fmac_f32_e32 v245, v246, v243
	v_fma_f32 v242, -v242, v245, v244
	v_div_fmas_f32 v242, v242, v243, v245
	v_div_fixup_f32 v241, v242, v241, 1.0
	ds_write_b32 v186, v241
.LBB121_295:
	s_or_b64 exec, exec, s[2:3]
	s_waitcnt lgkmcnt(0)
	s_barrier
	ds_read_b32 v241, v186
	v_cmp_lt_u32_e32 vcc, 53, v25
	s_and_saveexec_b64 s[2:3], vcc
	s_cbranch_execz .LBB121_297
; %bb.296:
	ds_read_b32 v248, v187 offset:216
	ds_read2_b32 v[242:243], v187 offset0:55 offset1:56
	ds_read2_b32 v[244:245], v187 offset0:57 offset1:58
	;; [unrolled: 1-line block ×3, first 2 shown]
	s_waitcnt vmcnt(7) lgkmcnt(4)
	v_mul_f32_e32 v170, v241, v170
	s_waitcnt vmcnt(6) lgkmcnt(3)
	v_fma_f32 v171, -v170, v248, v171
	s_waitcnt vmcnt(4) lgkmcnt(2)
	v_pk_fma_f32 v[164:165], v[170:171], v[242:243], v[164:165] op_sel_hi:[0,1,1] neg_lo:[1,0,0] neg_hi:[1,0,0]
	s_waitcnt vmcnt(2) lgkmcnt(1)
	v_pk_fma_f32 v[182:183], v[170:171], v[244:245], v[182:183] op_sel_hi:[0,1,1] neg_lo:[1,0,0] neg_hi:[1,0,0]
	;; [unrolled: 2-line block ×3, first 2 shown]
.LBB121_297:
	s_or_b64 exec, exec, s[2:3]
	v_cmp_ne_u32_e32 vcc, 54, v25
	s_waitcnt lgkmcnt(0)
	s_barrier
	s_and_saveexec_b64 s[2:3], vcc
	s_xor_b64 s[2:3], exec, s[2:3]
	s_andn2_saveexec_b64 s[2:3], s[2:3]
	s_cbranch_execz .LBB121_301
; %bb.298:
	s_waitcnt vmcnt(6)
	ds_write_b32 v186, v171
	s_waitcnt vmcnt(4)
	ds_write2_b32 v187, v164, v165 offset0:55 offset1:56
	s_waitcnt vmcnt(2)
	ds_write2_b32 v187, v182, v183 offset0:57 offset1:58
	;; [unrolled: 2-line block ×3, first 2 shown]
	ds_read_b32 v242, v186
	s_waitcnt lgkmcnt(0)
	v_cmp_neq_f32_e32 vcc, 0, v242
	s_and_saveexec_b64 s[4:5], vcc
	s_cbranch_execz .LBB121_300
; %bb.299:
	v_div_scale_f32 v243, s[10:11], v242, v242, 1.0
	v_rcp_f32_e32 v244, v243
	v_div_scale_f32 v245, vcc, 1.0, v242, 1.0
	v_fma_f32 v246, -v243, v244, 1.0
	v_fmac_f32_e32 v244, v246, v244
	v_mul_f32_e32 v246, v245, v244
	v_fma_f32 v247, -v243, v246, v245
	v_fmac_f32_e32 v246, v247, v244
	v_fma_f32 v243, -v243, v246, v245
	v_div_fmas_f32 v243, v243, v244, v246
	v_div_fixup_f32 v242, v243, v242, 1.0
	ds_write_b32 v186, v242
.LBB121_300:
	s_or_b64 exec, exec, s[4:5]
.LBB121_301:
	s_or_b64 exec, exec, s[2:3]
	s_waitcnt lgkmcnt(0)
	s_barrier
	ds_read_b32 v242, v186
	v_cmp_lt_u32_e32 vcc, 54, v25
	s_and_saveexec_b64 s[2:3], vcc
	s_cbranch_execz .LBB121_303
; %bb.302:
	ds_read2_b32 v[244:245], v187 offset0:55 offset1:56
	ds_read2_b32 v[246:247], v187 offset0:57 offset1:58
	ds_read2_b32 v[248:249], v187 offset0:59 offset1:60
	s_waitcnt vmcnt(6) lgkmcnt(3)
	v_mul_f32_e32 v250, v242, v171
	v_mov_b32_e32 v171, v250
	s_waitcnt vmcnt(4) lgkmcnt(2)
	v_pk_fma_f32 v[164:165], v[250:251], v[244:245], v[164:165] op_sel_hi:[0,1,1] neg_lo:[1,0,0] neg_hi:[1,0,0]
	s_waitcnt vmcnt(2) lgkmcnt(1)
	v_pk_fma_f32 v[182:183], v[250:251], v[246:247], v[182:183] op_sel_hi:[0,1,1] neg_lo:[1,0,0] neg_hi:[1,0,0]
	;; [unrolled: 2-line block ×3, first 2 shown]
.LBB121_303:
	s_or_b64 exec, exec, s[2:3]
	v_cmp_eq_u32_e32 vcc, 55, v25
	s_waitcnt lgkmcnt(0)
	s_barrier
	s_and_saveexec_b64 s[2:3], vcc
	s_cbranch_execz .LBB121_306
; %bb.304:
	s_waitcnt vmcnt(2)
	v_pk_mov_b32 v[244:245], v[164:165], v[182:183] op_sel:[1,0]
	ds_write_b32 v186, v164
	ds_write2_b32 v187, v244, v245 offset0:56 offset1:57
	s_waitcnt vmcnt(0)
	v_pk_mov_b32 v[244:245], v[182:183], v[184:185] op_sel:[1,0]
	ds_write2_b32 v187, v244, v245 offset0:58 offset1:59
	ds_write_b32 v187, v185 offset:240
	ds_read_b32 v243, v186
	s_waitcnt lgkmcnt(0)
	v_cmp_neq_f32_e32 vcc, 0, v243
	s_and_b64 exec, exec, vcc
	s_cbranch_execz .LBB121_306
; %bb.305:
	v_div_scale_f32 v244, s[4:5], v243, v243, 1.0
	v_rcp_f32_e32 v245, v244
	v_div_scale_f32 v246, vcc, 1.0, v243, 1.0
	v_fma_f32 v247, -v244, v245, 1.0
	v_fmac_f32_e32 v245, v247, v245
	v_mul_f32_e32 v247, v246, v245
	v_fma_f32 v248, -v244, v247, v246
	v_fmac_f32_e32 v247, v248, v245
	v_fma_f32 v244, -v244, v247, v246
	v_div_fmas_f32 v244, v244, v245, v247
	v_div_fixup_f32 v243, v244, v243, 1.0
	ds_write_b32 v186, v243
.LBB121_306:
	s_or_b64 exec, exec, s[2:3]
	s_waitcnt lgkmcnt(0)
	s_barrier
	ds_read_b32 v243, v186
	v_cmp_lt_u32_e32 vcc, 55, v25
	s_and_saveexec_b64 s[2:3], vcc
	s_cbranch_execz .LBB121_308
; %bb.307:
	ds_read_b32 v248, v187 offset:224
	ds_read2_b32 v[244:245], v187 offset0:57 offset1:58
	ds_read2_b32 v[246:247], v187 offset0:59 offset1:60
	s_waitcnt vmcnt(5) lgkmcnt(3)
	v_mul_f32_e32 v164, v243, v164
	s_waitcnt vmcnt(4) lgkmcnt(2)
	v_fma_f32 v165, -v164, v248, v165
	s_waitcnt vmcnt(2) lgkmcnt(1)
	v_pk_fma_f32 v[182:183], v[164:165], v[244:245], v[182:183] op_sel_hi:[0,1,1] neg_lo:[1,0,0] neg_hi:[1,0,0]
	s_waitcnt vmcnt(0) lgkmcnt(0)
	v_pk_fma_f32 v[184:185], v[164:165], v[246:247], v[184:185] op_sel_hi:[0,1,1] neg_lo:[1,0,0] neg_hi:[1,0,0]
.LBB121_308:
	s_or_b64 exec, exec, s[2:3]
	v_cmp_ne_u32_e32 vcc, 56, v25
	s_waitcnt lgkmcnt(0)
	s_barrier
	s_and_saveexec_b64 s[2:3], vcc
	s_xor_b64 s[2:3], exec, s[2:3]
	s_andn2_saveexec_b64 s[2:3], s[2:3]
	s_cbranch_execz .LBB121_312
; %bb.309:
	s_waitcnt vmcnt(4)
	ds_write_b32 v186, v165
	s_waitcnt vmcnt(2)
	ds_write2_b32 v187, v182, v183 offset0:57 offset1:58
	s_waitcnt vmcnt(0)
	ds_write2_b32 v187, v184, v185 offset0:59 offset1:60
	ds_read_b32 v244, v186
	s_waitcnt lgkmcnt(0)
	v_cmp_neq_f32_e32 vcc, 0, v244
	s_and_saveexec_b64 s[4:5], vcc
	s_cbranch_execz .LBB121_311
; %bb.310:
	v_div_scale_f32 v245, s[10:11], v244, v244, 1.0
	v_rcp_f32_e32 v246, v245
	v_div_scale_f32 v247, vcc, 1.0, v244, 1.0
	v_fma_f32 v248, -v245, v246, 1.0
	v_fmac_f32_e32 v246, v248, v246
	v_mul_f32_e32 v248, v247, v246
	v_fma_f32 v249, -v245, v248, v247
	v_fmac_f32_e32 v248, v249, v246
	v_fma_f32 v245, -v245, v248, v247
	v_div_fmas_f32 v245, v245, v246, v248
	v_div_fixup_f32 v244, v245, v244, 1.0
	ds_write_b32 v186, v244
.LBB121_311:
	s_or_b64 exec, exec, s[4:5]
.LBB121_312:
	s_or_b64 exec, exec, s[2:3]
	s_waitcnt lgkmcnt(0)
	s_barrier
	ds_read_b32 v244, v186
	v_cmp_lt_u32_e32 vcc, 56, v25
	s_and_saveexec_b64 s[2:3], vcc
	s_cbranch_execz .LBB121_314
; %bb.313:
	ds_read2_b32 v[246:247], v187 offset0:57 offset1:58
	ds_read2_b32 v[248:249], v187 offset0:59 offset1:60
	s_waitcnt vmcnt(4) lgkmcnt(2)
	v_mul_f32_e32 v250, v244, v165
	v_mov_b32_e32 v165, v250
	s_waitcnt vmcnt(2) lgkmcnt(1)
	v_pk_fma_f32 v[182:183], v[250:251], v[246:247], v[182:183] op_sel_hi:[0,1,1] neg_lo:[1,0,0] neg_hi:[1,0,0]
	s_waitcnt vmcnt(0) lgkmcnt(0)
	v_pk_fma_f32 v[184:185], v[250:251], v[248:249], v[184:185] op_sel_hi:[0,1,1] neg_lo:[1,0,0] neg_hi:[1,0,0]
.LBB121_314:
	s_or_b64 exec, exec, s[2:3]
	v_cmp_eq_u32_e32 vcc, 57, v25
	s_waitcnt lgkmcnt(0)
	s_barrier
	s_and_saveexec_b64 s[2:3], vcc
	s_cbranch_execz .LBB121_317
; %bb.315:
	s_waitcnt vmcnt(0)
	v_pk_mov_b32 v[246:247], v[182:183], v[184:185] op_sel:[1,0]
	ds_write_b32 v186, v182
	ds_write2_b32 v187, v246, v247 offset0:58 offset1:59
	ds_write_b32 v187, v185 offset:240
	ds_read_b32 v245, v186
	s_waitcnt lgkmcnt(0)
	v_cmp_neq_f32_e32 vcc, 0, v245
	s_and_b64 exec, exec, vcc
	s_cbranch_execz .LBB121_317
; %bb.316:
	v_div_scale_f32 v246, s[4:5], v245, v245, 1.0
	v_rcp_f32_e32 v247, v246
	v_div_scale_f32 v248, vcc, 1.0, v245, 1.0
	v_fma_f32 v249, -v246, v247, 1.0
	v_fmac_f32_e32 v247, v249, v247
	v_mul_f32_e32 v249, v248, v247
	v_fma_f32 v250, -v246, v249, v248
	v_fmac_f32_e32 v249, v250, v247
	v_fma_f32 v246, -v246, v249, v248
	v_div_fmas_f32 v246, v246, v247, v249
	v_div_fixup_f32 v245, v246, v245, 1.0
	ds_write_b32 v186, v245
.LBB121_317:
	s_or_b64 exec, exec, s[2:3]
	s_waitcnt lgkmcnt(0)
	s_barrier
	ds_read_b32 v245, v186
	v_cmp_lt_u32_e32 vcc, 57, v25
	s_and_saveexec_b64 s[2:3], vcc
	s_cbranch_execz .LBB121_319
; %bb.318:
	ds_read_b32 v248, v187 offset:232
	ds_read2_b32 v[246:247], v187 offset0:59 offset1:60
	s_waitcnt vmcnt(3) lgkmcnt(2)
	v_mul_f32_e32 v182, v245, v182
	s_waitcnt vmcnt(2) lgkmcnt(1)
	v_fma_f32 v183, -v182, v248, v183
	s_waitcnt vmcnt(0) lgkmcnt(0)
	v_pk_fma_f32 v[184:185], v[182:183], v[246:247], v[184:185] op_sel_hi:[0,1,1] neg_lo:[1,0,0] neg_hi:[1,0,0]
.LBB121_319:
	s_or_b64 exec, exec, s[2:3]
	v_cmp_ne_u32_e32 vcc, 58, v25
	s_waitcnt lgkmcnt(0)
	s_barrier
	s_and_saveexec_b64 s[2:3], vcc
	s_xor_b64 s[2:3], exec, s[2:3]
	s_andn2_saveexec_b64 s[2:3], s[2:3]
	s_cbranch_execz .LBB121_323
; %bb.320:
	s_waitcnt vmcnt(2)
	ds_write_b32 v186, v183
	s_waitcnt vmcnt(0)
	ds_write2_b32 v187, v184, v185 offset0:59 offset1:60
	ds_read_b32 v246, v186
	s_waitcnt lgkmcnt(0)
	v_cmp_neq_f32_e32 vcc, 0, v246
	s_and_saveexec_b64 s[4:5], vcc
	s_cbranch_execz .LBB121_322
; %bb.321:
	v_div_scale_f32 v247, s[10:11], v246, v246, 1.0
	v_rcp_f32_e32 v248, v247
	v_div_scale_f32 v249, vcc, 1.0, v246, 1.0
	v_fma_f32 v250, -v247, v248, 1.0
	v_fmac_f32_e32 v248, v250, v248
	v_mul_f32_e32 v250, v249, v248
	v_fma_f32 v251, -v247, v250, v249
	v_fmac_f32_e32 v250, v251, v248
	v_fma_f32 v247, -v247, v250, v249
	v_div_fmas_f32 v247, v247, v248, v250
	v_div_fixup_f32 v246, v247, v246, 1.0
	ds_write_b32 v186, v246
.LBB121_322:
	s_or_b64 exec, exec, s[4:5]
.LBB121_323:
	s_or_b64 exec, exec, s[2:3]
	s_waitcnt lgkmcnt(0)
	s_barrier
	ds_read_b32 v246, v186
	v_cmp_lt_u32_e32 vcc, 58, v25
	s_and_saveexec_b64 s[2:3], vcc
	s_cbranch_execz .LBB121_325
; %bb.324:
	ds_read2_b32 v[248:249], v187 offset0:59 offset1:60
	s_waitcnt vmcnt(2) lgkmcnt(1)
	v_mul_f32_e32 v250, v246, v183
	v_mov_b32_e32 v183, v250
	s_waitcnt vmcnt(0) lgkmcnt(0)
	v_pk_fma_f32 v[184:185], v[250:251], v[248:249], v[184:185] op_sel_hi:[0,1,1] neg_lo:[1,0,0] neg_hi:[1,0,0]
.LBB121_325:
	s_or_b64 exec, exec, s[2:3]
	v_cmp_eq_u32_e32 vcc, 59, v25
	s_waitcnt lgkmcnt(0)
	s_barrier
	s_and_saveexec_b64 s[2:3], vcc
	s_cbranch_execz .LBB121_328
; %bb.326:
	s_waitcnt vmcnt(1)
	ds_write_b32 v186, v184
	s_waitcnt vmcnt(0)
	ds_write_b32 v187, v185 offset:240
	ds_read_b32 v247, v186
	s_waitcnt lgkmcnt(0)
	v_cmp_neq_f32_e32 vcc, 0, v247
	s_and_b64 exec, exec, vcc
	s_cbranch_execz .LBB121_328
; %bb.327:
	v_div_scale_f32 v248, s[4:5], v247, v247, 1.0
	v_rcp_f32_e32 v249, v248
	v_div_scale_f32 v250, vcc, 1.0, v247, 1.0
	v_fma_f32 v251, -v248, v249, 1.0
	v_fmac_f32_e32 v249, v251, v249
	v_mul_f32_e32 v251, v250, v249
	v_fma_f32 v252, -v248, v251, v250
	v_fmac_f32_e32 v251, v252, v249
	v_fma_f32 v248, -v248, v251, v250
	v_div_fmas_f32 v248, v248, v249, v251
	v_div_fixup_f32 v247, v248, v247, 1.0
	ds_write_b32 v186, v247
.LBB121_328:
	s_or_b64 exec, exec, s[2:3]
	s_waitcnt lgkmcnt(0)
	s_barrier
	ds_read_b32 v247, v186
	v_cmp_lt_u32_e32 vcc, 59, v25
	s_and_saveexec_b64 s[2:3], vcc
	s_cbranch_execz .LBB121_330
; %bb.329:
	ds_read_b32 v187, v187 offset:240
	s_waitcnt vmcnt(1) lgkmcnt(1)
	v_mul_f32_e32 v184, v247, v184
	s_waitcnt vmcnt(0) lgkmcnt(0)
	v_fma_f32 v185, -v184, v187, v185
.LBB121_330:
	s_or_b64 exec, exec, s[2:3]
	v_cmp_ne_u32_e32 vcc, 60, v25
	s_waitcnt lgkmcnt(0)
	s_barrier
	s_and_saveexec_b64 s[2:3], vcc
	s_xor_b64 s[2:3], exec, s[2:3]
	s_andn2_saveexec_b64 s[2:3], s[2:3]
	s_cbranch_execz .LBB121_334
; %bb.331:
	s_waitcnt vmcnt(0)
	v_cmp_neq_f32_e32 vcc, 0, v185
	ds_write_b32 v186, v185
	s_and_saveexec_b64 s[4:5], vcc
	s_cbranch_execz .LBB121_333
; %bb.332:
	v_div_scale_f32 v187, s[10:11], v185, v185, 1.0
	v_rcp_f32_e32 v248, v187
	v_div_scale_f32 v249, vcc, 1.0, v185, 1.0
	v_fma_f32 v250, -v187, v248, 1.0
	v_fmac_f32_e32 v248, v250, v248
	v_mul_f32_e32 v250, v249, v248
	v_fma_f32 v251, -v187, v250, v249
	v_fmac_f32_e32 v250, v251, v248
	v_fma_f32 v187, -v187, v250, v249
	v_div_fmas_f32 v187, v187, v248, v250
	v_div_fixup_f32 v187, v187, v185, 1.0
	ds_write_b32 v186, v187
.LBB121_333:
	s_or_b64 exec, exec, s[4:5]
.LBB121_334:
	s_or_b64 exec, exec, s[2:3]
	s_waitcnt lgkmcnt(0)
	s_barrier
	ds_read_b32 v186, v186
	s_waitcnt lgkmcnt(0)
	s_barrier
	s_and_saveexec_b64 s[2:3], s[0:1]
	s_cbranch_execz .LBB121_337
; %bb.335:
	v_cmp_eq_f32_e32 vcc, 0, v188
	v_cmp_neq_f32_e64 s[0:1], 0, v189
	v_mov_b32_e32 v188, s6
	v_cndmask_b32_e64 v187, 0, 1, vcc
	s_or_b64 vcc, s[0:1], vcc
	v_cndmask_b32_e32 v187, 2, v187, vcc
	v_cmp_eq_f32_e32 vcc, 0, v190
	v_cmp_eq_u32_e64 s[0:1], 0, v187
	s_and_b64 s[0:1], vcc, s[0:1]
	v_cmp_eq_f32_e32 vcc, 0, v191
	v_cndmask_b32_e64 v187, v187, 3, s[0:1]
	v_cmp_eq_u32_e64 s[0:1], 0, v187
	s_and_b64 s[0:1], vcc, s[0:1]
	v_cmp_eq_f32_e32 vcc, 0, v192
	v_cndmask_b32_e64 v187, v187, 4, s[0:1]
	;; [unrolled: 4-line block ×31, first 2 shown]
	v_cmp_eq_u32_e64 s[0:1], 0, v187
	s_and_b64 s[0:1], vcc, s[0:1]
	v_mov_b32_e32 v189, s7
	v_cndmask_b32_e64 v187, v187, 34, s[0:1]
	v_cmp_eq_f32_e32 vcc, 0, v222
	v_cmp_eq_u32_e64 s[0:1], 0, v187
	v_lshl_add_u64 v[34:35], v[34:35], 2, v[188:189]
	s_and_b64 s[0:1], vcc, s[0:1]
	global_load_dword v188, v[34:35], off
	v_cndmask_b32_e64 v187, v187, 35, s[0:1]
	v_cmp_eq_f32_e32 vcc, 0, v223
	v_cmp_eq_u32_e64 s[0:1], 0, v187
	s_and_b64 s[0:1], vcc, s[0:1]
	v_cmp_eq_f32_e32 vcc, 0, v224
	v_cndmask_b32_e64 v187, v187, 36, s[0:1]
	v_cmp_eq_u32_e64 s[0:1], 0, v187
	s_and_b64 s[0:1], vcc, s[0:1]
	v_cmp_eq_f32_e32 vcc, 0, v225
	v_cndmask_b32_e64 v187, v187, 37, s[0:1]
	;; [unrolled: 4-line block ×25, first 2 shown]
	v_cmp_eq_u32_e64 s[0:1], 0, v187
	s_and_b64 s[0:1], vcc, s[0:1]
	s_waitcnt vmcnt(0)
	v_cmp_eq_u32_e32 vcc, 0, v188
	v_cndmask_b32_e64 v187, v187, 61, s[0:1]
	v_cmp_ne_u32_e64 s[0:1], 0, v187
	s_and_b64 s[0:1], vcc, s[0:1]
	s_and_b64 exec, exec, s[0:1]
	s_cbranch_execz .LBB121_337
; %bb.336:
	v_add_u32_e32 v187, s9, v187
	global_store_dword v[34:35], v187, off
.LBB121_337:
	s_or_b64 exec, exec, s[2:3]
	s_waitcnt vmcnt(0)
	v_mul_f32_e32 v34, v186, v185
	v_cmp_lt_u32_e32 vcc, 60, v25
	s_nop 1
	v_cndmask_b32_e32 v25, v185, v34, vcc
	global_store_dword v[0:1], v24, off
	global_store_dword v[2:3], v18, off
	;; [unrolled: 1-line block ×61, first 2 shown]
.LBB121_338:
	s_endpgm
	.section	.rodata,"a",@progbits
	.p2align	6, 0x0
	.amdhsa_kernel _ZN9rocsolver6v33100L23getf2_npvt_small_kernelILi61EfiiPfEEvT1_T3_lS3_lPT2_S3_S3_
		.amdhsa_group_segment_fixed_size 0
		.amdhsa_private_segment_fixed_size 0
		.amdhsa_kernarg_size 312
		.amdhsa_user_sgpr_count 2
		.amdhsa_user_sgpr_dispatch_ptr 0
		.amdhsa_user_sgpr_queue_ptr 0
		.amdhsa_user_sgpr_kernarg_segment_ptr 1
		.amdhsa_user_sgpr_dispatch_id 0
		.amdhsa_user_sgpr_kernarg_preload_length 0
		.amdhsa_user_sgpr_kernarg_preload_offset 0
		.amdhsa_user_sgpr_private_segment_size 0
		.amdhsa_uses_dynamic_stack 0
		.amdhsa_enable_private_segment 0
		.amdhsa_system_sgpr_workgroup_id_x 1
		.amdhsa_system_sgpr_workgroup_id_y 1
		.amdhsa_system_sgpr_workgroup_id_z 0
		.amdhsa_system_sgpr_workgroup_info 0
		.amdhsa_system_vgpr_workitem_id 1
		.amdhsa_next_free_vgpr 253
		.amdhsa_next_free_sgpr 16
		.amdhsa_accum_offset 256
		.amdhsa_reserve_vcc 1
		.amdhsa_float_round_mode_32 0
		.amdhsa_float_round_mode_16_64 0
		.amdhsa_float_denorm_mode_32 3
		.amdhsa_float_denorm_mode_16_64 3
		.amdhsa_dx10_clamp 1
		.amdhsa_ieee_mode 1
		.amdhsa_fp16_overflow 0
		.amdhsa_tg_split 0
		.amdhsa_exception_fp_ieee_invalid_op 0
		.amdhsa_exception_fp_denorm_src 0
		.amdhsa_exception_fp_ieee_div_zero 0
		.amdhsa_exception_fp_ieee_overflow 0
		.amdhsa_exception_fp_ieee_underflow 0
		.amdhsa_exception_fp_ieee_inexact 0
		.amdhsa_exception_int_div_zero 0
	.end_amdhsa_kernel
	.section	.text._ZN9rocsolver6v33100L23getf2_npvt_small_kernelILi61EfiiPfEEvT1_T3_lS3_lPT2_S3_S3_,"axG",@progbits,_ZN9rocsolver6v33100L23getf2_npvt_small_kernelILi61EfiiPfEEvT1_T3_lS3_lPT2_S3_S3_,comdat
.Lfunc_end121:
	.size	_ZN9rocsolver6v33100L23getf2_npvt_small_kernelILi61EfiiPfEEvT1_T3_lS3_lPT2_S3_S3_, .Lfunc_end121-_ZN9rocsolver6v33100L23getf2_npvt_small_kernelILi61EfiiPfEEvT1_T3_lS3_lPT2_S3_S3_
                                        ; -- End function
	.set _ZN9rocsolver6v33100L23getf2_npvt_small_kernelILi61EfiiPfEEvT1_T3_lS3_lPT2_S3_S3_.num_vgpr, 253
	.set _ZN9rocsolver6v33100L23getf2_npvt_small_kernelILi61EfiiPfEEvT1_T3_lS3_lPT2_S3_S3_.num_agpr, 0
	.set _ZN9rocsolver6v33100L23getf2_npvt_small_kernelILi61EfiiPfEEvT1_T3_lS3_lPT2_S3_S3_.numbered_sgpr, 16
	.set _ZN9rocsolver6v33100L23getf2_npvt_small_kernelILi61EfiiPfEEvT1_T3_lS3_lPT2_S3_S3_.num_named_barrier, 0
	.set _ZN9rocsolver6v33100L23getf2_npvt_small_kernelILi61EfiiPfEEvT1_T3_lS3_lPT2_S3_S3_.private_seg_size, 0
	.set _ZN9rocsolver6v33100L23getf2_npvt_small_kernelILi61EfiiPfEEvT1_T3_lS3_lPT2_S3_S3_.uses_vcc, 1
	.set _ZN9rocsolver6v33100L23getf2_npvt_small_kernelILi61EfiiPfEEvT1_T3_lS3_lPT2_S3_S3_.uses_flat_scratch, 0
	.set _ZN9rocsolver6v33100L23getf2_npvt_small_kernelILi61EfiiPfEEvT1_T3_lS3_lPT2_S3_S3_.has_dyn_sized_stack, 0
	.set _ZN9rocsolver6v33100L23getf2_npvt_small_kernelILi61EfiiPfEEvT1_T3_lS3_lPT2_S3_S3_.has_recursion, 0
	.set _ZN9rocsolver6v33100L23getf2_npvt_small_kernelILi61EfiiPfEEvT1_T3_lS3_lPT2_S3_S3_.has_indirect_call, 0
	.section	.AMDGPU.csdata,"",@progbits
; Kernel info:
; codeLenInByte = 48112
; TotalNumSgprs: 22
; NumVgprs: 253
; NumAgprs: 0
; TotalNumVgprs: 253
; ScratchSize: 0
; MemoryBound: 0
; FloatMode: 240
; IeeeMode: 1
; LDSByteSize: 0 bytes/workgroup (compile time only)
; SGPRBlocks: 2
; VGPRBlocks: 31
; NumSGPRsForWavesPerEU: 22
; NumVGPRsForWavesPerEU: 253
; AccumOffset: 256
; Occupancy: 2
; WaveLimiterHint : 0
; COMPUTE_PGM_RSRC2:SCRATCH_EN: 0
; COMPUTE_PGM_RSRC2:USER_SGPR: 2
; COMPUTE_PGM_RSRC2:TRAP_HANDLER: 0
; COMPUTE_PGM_RSRC2:TGID_X_EN: 1
; COMPUTE_PGM_RSRC2:TGID_Y_EN: 1
; COMPUTE_PGM_RSRC2:TGID_Z_EN: 0
; COMPUTE_PGM_RSRC2:TIDIG_COMP_CNT: 1
; COMPUTE_PGM_RSRC3_GFX90A:ACCUM_OFFSET: 63
; COMPUTE_PGM_RSRC3_GFX90A:TG_SPLIT: 0
	.section	.text._ZN9rocsolver6v33100L18getf2_small_kernelILi62EfiiPfEEvT1_T3_lS3_lPS3_llPT2_S3_S3_S5_l,"axG",@progbits,_ZN9rocsolver6v33100L18getf2_small_kernelILi62EfiiPfEEvT1_T3_lS3_lPS3_llPT2_S3_S3_S5_l,comdat
	.globl	_ZN9rocsolver6v33100L18getf2_small_kernelILi62EfiiPfEEvT1_T3_lS3_lPS3_llPT2_S3_S3_S5_l ; -- Begin function _ZN9rocsolver6v33100L18getf2_small_kernelILi62EfiiPfEEvT1_T3_lS3_lPS3_llPT2_S3_S3_S5_l
	.p2align	8
	.type	_ZN9rocsolver6v33100L18getf2_small_kernelILi62EfiiPfEEvT1_T3_lS3_lPS3_llPT2_S3_S3_S5_l,@function
_ZN9rocsolver6v33100L18getf2_small_kernelILi62EfiiPfEEvT1_T3_lS3_lPS3_llPT2_S3_S3_S5_l: ; @_ZN9rocsolver6v33100L18getf2_small_kernelILi62EfiiPfEEvT1_T3_lS3_lPS3_llPT2_S3_S3_S5_l
; %bb.0:
	s_load_dword s2, s[0:1], 0x6c
	s_load_dwordx2 s[18:19], s[0:1], 0x48
	v_bfe_u32 v67, v0, 10, 10
	s_waitcnt lgkmcnt(0)
	s_lshr_b32 s2, s2, 16
	s_mul_i32 s3, s3, s2
	v_add_u32_e32 v2, s3, v67
	v_cmp_gt_i32_e32 vcc, s18, v2
	s_and_saveexec_b64 s[2:3], vcc
	s_cbranch_execz .LBB122_1051
; %bb.1:
	s_load_dwordx4 s[4:7], s[0:1], 0x50
	v_ashrrev_i32_e32 v3, 31, v2
	v_mov_b64_e32 v[4:5], 0
	s_waitcnt lgkmcnt(0)
	s_cmp_eq_u64 s[4:5], 0
	s_cselect_b64 s[20:21], -1, 0
	s_and_b64 vcc, exec, s[20:21]
	s_cbranch_vccnz .LBB122_3
; %bb.2:
	v_mul_lo_u32 v1, s7, v2
	v_mul_lo_u32 v6, s6, v3
	v_mad_u64_u32 v[4:5], s[2:3], s6, v2, 0
	v_add3_u32 v5, v5, v6, v1
	v_lshl_add_u64 v[4:5], v[4:5], 2, s[4:5]
.LBB122_3:
	s_load_dwordx4 s[12:15], s[0:1], 0x8
	s_load_dwordx8 s[4:11], s[0:1], 0x20
	s_load_dword s16, s[0:1], 0x18
	s_load_dword s22, s[0:1], 0x0
	v_and_b32_e32 v78, 0x3ff, v0
	s_waitcnt lgkmcnt(0)
	v_mov_b32_e32 v6, s12
	v_mul_lo_u32 v1, s5, v2
	v_mul_lo_u32 v10, s4, v3
	v_mad_u64_u32 v[8:9], s[2:3], s4, v2, 0
	v_mov_b32_e32 v7, s13
	v_add3_u32 v9, v9, v10, v1
	s_add_i32 s18, s16, s16
	v_lshl_add_u64 v[6:7], v[8:9], 2, v[6:7]
	v_add_u32_e32 v0, s18, v78
	v_lshl_add_u64 v[6:7], s[14:15], 2, v[6:7]
	v_ashrrev_i32_e32 v1, 31, v0
	v_lshl_add_u64 v[60:61], v[0:1], 2, v[6:7]
	v_add_u32_e32 v0, s16, v0
	v_ashrrev_i32_e32 v1, 31, v0
	v_lshl_add_u64 v[62:63], v[0:1], 2, v[6:7]
	v_add_u32_e32 v0, s16, v0
	;; [unrolled: 3-line block ×3, first 2 shown]
	v_add_u32_e32 v72, s16, v0
	v_ashrrev_i32_e32 v1, 31, v0
	v_add_u32_e32 v74, s16, v72
	v_lshl_add_u64 v[70:71], v[0:1], 2, v[6:7]
	v_add_u32_e32 v0, s16, v74
	v_ashrrev_i32_e32 v1, 31, v0
	v_lshl_add_u64 v[8:9], v[0:1], 2, v[6:7]
	v_add_u32_e32 v0, s16, v0
	v_ashrrev_i32_e32 v1, 31, v0
	v_lshl_add_u64 v[10:11], v[0:1], 2, v[6:7]
	v_add_u32_e32 v0, s16, v0
	v_ashrrev_i32_e32 v1, 31, v0
	v_lshl_add_u64 v[12:13], v[0:1], 2, v[6:7]
	v_add_u32_e32 v0, s16, v0
	v_ashrrev_i32_e32 v1, 31, v0
	v_lshl_add_u64 v[14:15], v[0:1], 2, v[6:7]
	v_add_u32_e32 v0, s16, v0
	v_ashrrev_i32_e32 v1, 31, v0
	v_lshl_add_u64 v[16:17], v[0:1], 2, v[6:7]
	v_add_u32_e32 v0, s16, v0
	v_ashrrev_i32_e32 v1, 31, v0
	v_lshl_add_u64 v[18:19], v[0:1], 2, v[6:7]
	v_add_u32_e32 v0, s16, v0
	v_ashrrev_i32_e32 v1, 31, v0
	v_lshl_add_u64 v[20:21], v[0:1], 2, v[6:7]
	v_add_u32_e32 v0, s16, v0
	v_ashrrev_i32_e32 v1, 31, v0
	v_lshl_add_u64 v[22:23], v[0:1], 2, v[6:7]
	v_add_u32_e32 v0, s16, v0
	v_ashrrev_i32_e32 v1, 31, v0
	global_load_dword v58, v[8:9], off
	global_load_dword v59, v[10:11], off
	global_load_dword v54, v[12:13], off
	global_load_dword v55, v[14:15], off
	global_load_dword v48, v[16:17], off
	global_load_dword v49, v[18:19], off
	global_load_dword v40, v[20:21], off
	global_load_dword v41, v[22:23], off
	v_lshl_add_u64 v[8:9], v[0:1], 2, v[6:7]
	v_add_u32_e32 v0, s16, v0
	v_ashrrev_i32_e32 v1, 31, v0
	v_lshl_add_u64 v[10:11], v[0:1], 2, v[6:7]
	v_add_u32_e32 v0, s16, v0
	v_ashrrev_i32_e32 v1, 31, v0
	v_lshl_add_u64 v[12:13], v[0:1], 2, v[6:7]
	v_add_u32_e32 v0, s16, v0
	v_ashrrev_i32_e32 v1, 31, v0
	v_lshl_add_u64 v[14:15], v[0:1], 2, v[6:7]
	v_add_u32_e32 v0, s16, v0
	v_ashrrev_i32_e32 v1, 31, v0
	v_lshl_add_u64 v[16:17], v[0:1], 2, v[6:7]
	v_add_u32_e32 v0, s16, v0
	v_ashrrev_i32_e32 v1, 31, v0
	v_lshl_add_u64 v[18:19], v[0:1], 2, v[6:7]
	v_add_u32_e32 v0, s16, v0
	v_ashrrev_i32_e32 v1, 31, v0
	v_lshl_add_u64 v[20:21], v[0:1], 2, v[6:7]
	v_add_u32_e32 v0, s16, v0
	v_ashrrev_i32_e32 v1, 31, v0
	v_lshl_add_u64 v[22:23], v[0:1], 2, v[6:7]
	v_add_u32_e32 v0, s16, v0
	v_ashrrev_i32_e32 v1, 31, v0
	global_load_dword v56, v[8:9], off
	global_load_dword v57, v[10:11], off
	global_load_dword v50, v[12:13], off
	global_load_dword v51, v[14:15], off
	global_load_dword v42, v[16:17], off
	global_load_dword v43, v[18:19], off
	global_load_dword v32, v[20:21], off
	global_load_dword v33, v[22:23], off
	v_lshl_add_u64 v[8:9], v[0:1], 2, v[6:7]
	v_add_u32_e32 v0, s16, v0
	v_ashrrev_i32_e32 v1, 31, v0
	v_lshl_add_u64 v[10:11], v[0:1], 2, v[6:7]
	v_add_u32_e32 v0, s16, v0
	v_ashrrev_i32_e32 v1, 31, v0
	v_lshl_add_u64 v[12:13], v[0:1], 2, v[6:7]
	v_add_u32_e32 v0, s16, v0
	v_ashrrev_i32_e32 v1, 31, v0
	v_lshl_add_u64 v[14:15], v[0:1], 2, v[6:7]
	v_add_u32_e32 v0, s16, v0
	v_ashrrev_i32_e32 v1, 31, v0
	v_lshl_add_u64 v[16:17], v[0:1], 2, v[6:7]
	v_add_u32_e32 v0, s16, v0
	v_ashrrev_i32_e32 v1, 31, v0
	v_lshl_add_u64 v[18:19], v[0:1], 2, v[6:7]
	v_add_u32_e32 v0, s16, v0
	v_ashrrev_i32_e32 v1, 31, v0
	v_lshl_add_u64 v[20:21], v[0:1], 2, v[6:7]
	v_add_u32_e32 v0, s16, v0
	v_ashrrev_i32_e32 v1, 31, v0
	v_lshl_add_u64 v[22:23], v[0:1], 2, v[6:7]
	v_add_u32_e32 v0, s16, v0
	v_ashrrev_i32_e32 v1, 31, v0
	;; [unrolled: 32-line block ×4, first 2 shown]
	global_load_dword v38, v[8:9], off
	global_load_dword v39, v[10:11], off
	;; [unrolled: 1-line block ×8, first 2 shown]
	v_lshl_add_u64 v[8:9], v[0:1], 2, v[6:7]
	v_add_u32_e32 v0, s16, v0
	v_ashrrev_i32_e32 v1, 31, v0
	v_lshl_add_u64 v[10:11], v[0:1], 2, v[6:7]
	v_add_u32_e32 v0, s16, v0
	v_ashrrev_i32_e32 v1, 31, v0
	;; [unrolled: 3-line block ×5, first 2 shown]
	v_lshl_add_u64 v[76:77], v[0:1], 2, v[6:7]
	v_add_u32_e32 v0, s16, v0
	v_add_u32_e32 v82, s16, v0
	v_ashrrev_i32_e32 v1, 31, v0
	v_ashrrev_i32_e32 v83, 31, v82
	v_lshl_add_u64 v[80:81], v[0:1], 2, v[6:7]
	v_lshl_add_u64 v[84:85], v[82:83], 2, v[6:7]
	global_load_dword v30, v[8:9], off
	global_load_dword v31, v[10:11], off
	;; [unrolled: 1-line block ×4, first 2 shown]
                                        ; kill: killed $vgpr16_vgpr17
                                        ; kill: killed $vgpr8_vgpr9
                                        ; kill: killed $vgpr10_vgpr11
                                        ; kill: killed $vgpr12_vgpr13
	s_nop 0
	global_load_dword v16, v[64:65], off
	global_load_dword v17, v[76:77], off
	;; [unrolled: 1-line block ×4, first 2 shown]
	v_add_u32_e32 v8, s16, v82
	v_ashrrev_i32_e32 v9, 31, v8
	v_lshl_add_u64 v[12:13], v[8:9], 2, v[6:7]
	v_add_u32_e32 v8, s16, v8
	v_ashrrev_i32_e32 v9, 31, v8
	v_lshl_add_u64 v[64:65], v[8:9], 2, v[6:7]
	v_add_u32_e32 v8, s16, v8
	v_ashrrev_i32_e32 v9, 31, v8
	global_load_dword v10, v[12:13], off
	global_load_dword v11, v[64:65], off
	v_lshl_add_u64 v[64:65], v[8:9], 2, v[6:7]
	v_add_u32_e32 v8, s16, v8
	v_ashrrev_i32_e32 v9, 31, v8
	v_lshl_add_u64 v[76:77], v[8:9], 2, v[6:7]
	v_add_u32_e32 v8, s16, v8
	v_ashrrev_i32_e32 v9, 31, v8
	;; [unrolled: 3-line block ×3, first 2 shown]
	v_lshl_add_u64 v[82:83], v[8:9], 2, v[6:7]
	global_load_dword v12, v[64:65], off
	global_load_dword v13, v[76:77], off
	;; [unrolled: 1-line block ×3, first 2 shown]
                                        ; kill: killed $vgpr80_vgpr81
                                        ; kill: killed $vgpr64_vgpr65
                                        ; kill: killed $vgpr76_vgpr77
	global_load_dword v9, v[82:83], off
	v_lshlrev_b32_e32 v76, 2, v78
	v_mov_b32_e32 v77, 0
	v_ashrrev_i32_e32 v73, 31, v72
	v_lshl_add_u64 v[80:81], v[6:7], 0, v[76:77]
	v_ashrrev_i32_e32 v75, 31, v74
	s_ashr_i32 s17, s16, 31
	global_load_dword v64, v[60:61], off
	global_load_dword v65, v[62:63], off
	;; [unrolled: 1-line block ×3, first 2 shown]
	v_lshl_add_u64 v[72:73], v[72:73], 2, v[6:7]
	v_lshl_add_u64 v[74:75], v[74:75], 2, v[6:7]
	;; [unrolled: 1-line block ×3, first 2 shown]
	global_load_dword v62, v[68:69], off
	global_load_dword v63, v[70:71], off
	global_load_dword v60, v[72:73], off
                                        ; kill: killed $vgpr70_vgpr71
                                        ; kill: killed $vgpr72_vgpr73
                                        ; kill: killed $vgpr68_vgpr69
	global_load_dword v61, v[74:75], off
	s_nop 0
	global_load_dword v68, v[80:81], off
	s_max_i32 s2, s22, 62
	v_mul_lo_u32 v70, s2, v67
	v_lshl_add_u32 v67, v70, 2, 0
	v_add_u32_e32 v69, v67, v76
	s_load_dwordx2 s[4:5], s[0:1], 0x40
	s_cmp_lt_i32 s22, 2
	v_lshlrev_b32_e32 v72, 2, v70
	s_waitcnt vmcnt(5)
	ds_write_b32 v69, v66
	s_waitcnt lgkmcnt(0)
	s_barrier
	ds_read_b32 v69, v67
	s_cbranch_scc1 .LBB122_6
; %bb.4:
	v_add3_u32 v70, v72, 0, 4
	v_mov_b32_e32 v77, 0
	s_mov_b32 s0, 1
.LBB122_5:                              ; =>This Inner Loop Header: Depth=1
	ds_read_b32 v71, v70
	v_mov_b32_e32 v73, s0
	s_add_i32 s0, s0, 1
	v_add_u32_e32 v70, 4, v70
	s_cmp_eq_u32 s22, s0
	s_waitcnt lgkmcnt(0)
	v_cmp_lt_f32_e64 vcc, |v69|, |v71|
	s_nop 1
	v_cndmask_b32_e32 v69, v69, v71, vcc
	v_cndmask_b32_e32 v77, v77, v73, vcc
	s_cbranch_scc0 .LBB122_5
.LBB122_6:
	v_cmp_ne_u32_e32 vcc, v78, v77
                                        ; implicit-def: $vgpr73
	s_and_saveexec_b64 s[0:1], vcc
	s_xor_b64 s[0:1], exec, s[0:1]
	s_cbranch_execz .LBB122_12
; %bb.7:
	v_cmp_eq_u32_e32 vcc, 0, v78
	s_and_saveexec_b64 s[2:3], vcc
	s_cbranch_execz .LBB122_11
; %bb.8:
	v_cmp_ne_u32_e32 vcc, 0, v77
	s_xor_b64 s[12:13], s[20:21], -1
	s_and_b64 s[14:15], s[12:13], vcc
	s_and_saveexec_b64 s[12:13], s[14:15]
	s_cbranch_execz .LBB122_10
; %bb.9:
	v_ashrrev_i32_e32 v71, 31, v77
	v_mov_b32_e32 v70, v77
	v_lshl_add_u64 v[70:71], v[70:71], 2, v[4:5]
	global_load_dword v73, v[70:71], off
	global_load_dword v74, v[4:5], off
	s_waitcnt vmcnt(1)
	global_store_dword v[4:5], v73, off
	s_waitcnt vmcnt(1)
	global_store_dword v[70:71], v74, off
.LBB122_10:
	s_or_b64 exec, exec, s[12:13]
	v_mov_b32_e32 v78, v77
.LBB122_11:
	s_or_b64 exec, exec, s[2:3]
	v_mov_b32_e32 v73, v78
                                        ; implicit-def: $vgpr78
.LBB122_12:
	s_or_saveexec_b64 s[0:1], s[0:1]
	v_mov_b32_e32 v71, v73
	s_xor_b64 exec, exec, s[0:1]
	s_cbranch_execz .LBB122_14
; %bb.13:
	v_mov_b32_e32 v73, 0
	v_mov_b32_e32 v71, v78
	s_waitcnt vmcnt(0)
	ds_write2_b32 v67, v68, v64 offset0:1 offset1:2
	ds_write2_b32 v67, v65, v62 offset0:3 offset1:4
	;; [unrolled: 1-line block ×30, first 2 shown]
	ds_write_b32 v67, v9 offset:244
.LBB122_14:
	s_or_b64 exec, exec, s[0:1]
	s_waitcnt lgkmcnt(0)
	v_cmp_eq_f32_e64 s[0:1], 0, v69
	v_cmp_lt_i32_e32 vcc, 0, v73
	s_barrier
	s_and_saveexec_b64 s[2:3], vcc
	s_cbranch_execz .LBB122_16
; %bb.15:
	v_div_scale_f32 v70, s[12:13], v69, v69, 1.0
	v_rcp_f32_e32 v74, v70
	s_nop 0
	v_fma_f32 v75, -v70, v74, 1.0
	v_fmac_f32_e32 v74, v75, v74
	v_div_scale_f32 v75, vcc, 1.0, v69, 1.0
	v_mul_f32_e32 v76, v75, v74
	v_fma_f32 v77, -v70, v76, v75
	v_fmac_f32_e32 v76, v77, v74
	v_fma_f32 v70, -v70, v76, v75
	v_div_fmas_f32 v70, v70, v74, v76
	v_div_fixup_f32 v70, v70, v69, 1.0
	v_cndmask_b32_e64 v69, v70, v69, s[0:1]
	v_mul_f32_e32 v66, v69, v66
	ds_read_b32 v69, v67 offset:4
	ds_read2_b32 v[74:75], v67 offset0:2 offset1:3
	s_waitcnt vmcnt(0) lgkmcnt(1)
	v_fma_f32 v68, -v66, v69, v68
	s_waitcnt lgkmcnt(0)
	v_pk_fma_f32 v[64:65], v[66:67], v[74:75], v[64:65] op_sel_hi:[0,1,1] neg_lo:[1,0,0] neg_hi:[1,0,0]
	ds_read2_b32 v[74:75], v67 offset0:4 offset1:5
	s_waitcnt lgkmcnt(0)
	v_pk_fma_f32 v[62:63], v[66:67], v[74:75], v[62:63] op_sel_hi:[0,1,1] neg_lo:[1,0,0] neg_hi:[1,0,0]
	ds_read2_b32 v[74:75], v67 offset0:6 offset1:7
	;; [unrolled: 3-line block ×29, first 2 shown]
	s_waitcnt lgkmcnt(0)
	v_pk_fma_f32 v[8:9], v[66:67], v[74:75], v[8:9] op_sel_hi:[0,1,1] neg_lo:[1,0,0] neg_hi:[1,0,0]
.LBB122_16:
	s_or_b64 exec, exec, s[2:3]
	v_lshl_add_u32 v69, v73, 2, v67
	s_barrier
	s_waitcnt vmcnt(0)
	ds_write_b32 v69, v68
	s_waitcnt lgkmcnt(0)
	s_barrier
	ds_read_b32 v69, v67 offset:4
	s_mov_b32 s2, 2
	s_cmp_lt_i32 s22, 3
	v_mov_b32_e32 v70, 1
	s_cbranch_scc1 .LBB122_19
; %bb.17:
	v_add3_u32 v74, v72, 0, 8
	v_mov_b32_e32 v70, 1
.LBB122_18:                             ; =>This Inner Loop Header: Depth=1
	ds_read_b32 v75, v74
	v_mov_b32_e32 v76, s2
	s_add_i32 s2, s2, 1
	v_add_u32_e32 v74, 4, v74
	s_cmp_lg_u32 s22, s2
	s_waitcnt lgkmcnt(0)
	v_cmp_lt_f32_e64 vcc, |v69|, |v75|
	s_nop 1
	v_cndmask_b32_e32 v69, v69, v75, vcc
	v_cndmask_b32_e32 v70, v70, v76, vcc
	s_cbranch_scc1 .LBB122_18
.LBB122_19:
	v_cmp_ne_u32_e32 vcc, v73, v70
	s_and_saveexec_b64 s[2:3], vcc
	s_xor_b64 s[2:3], exec, s[2:3]
	s_cbranch_execz .LBB122_25
; %bb.20:
	v_cmp_eq_u32_e32 vcc, 1, v73
	s_and_saveexec_b64 s[12:13], vcc
	s_cbranch_execz .LBB122_24
; %bb.21:
	v_cmp_ne_u32_e32 vcc, 1, v70
	s_xor_b64 s[14:15], s[20:21], -1
	s_and_b64 s[24:25], s[14:15], vcc
	s_and_saveexec_b64 s[14:15], s[24:25]
	s_cbranch_execz .LBB122_23
; %bb.22:
	v_ashrrev_i32_e32 v71, 31, v70
	v_lshl_add_u64 v[74:75], v[70:71], 2, v[4:5]
	global_load_dword v71, v[74:75], off
	global_load_dword v73, v[4:5], off offset:4
	s_waitcnt vmcnt(1)
	global_store_dword v[4:5], v71, off offset:4
	s_waitcnt vmcnt(1)
	global_store_dword v[74:75], v73, off
.LBB122_23:
	s_or_b64 exec, exec, s[14:15]
	v_mov_b32_e32 v71, v70
	v_mov_b32_e32 v73, v70
.LBB122_24:
	s_or_b64 exec, exec, s[12:13]
.LBB122_25:
	s_andn2_saveexec_b64 s[2:3], s[2:3]
	s_cbranch_execz .LBB122_27
; %bb.26:
	v_mov_b32_e32 v73, 1
	ds_write2_b32 v67, v64, v65 offset0:2 offset1:3
	ds_write2_b32 v67, v62, v63 offset0:4 offset1:5
	;; [unrolled: 1-line block ×30, first 2 shown]
.LBB122_27:
	s_or_b64 exec, exec, s[2:3]
	s_waitcnt lgkmcnt(0)
	v_cmp_neq_f32_e64 s[2:3], 0, v69
	v_cmp_lt_i32_e32 vcc, 1, v73
	s_barrier
	s_and_saveexec_b64 s[12:13], vcc
	s_cbranch_execz .LBB122_29
; %bb.28:
	v_div_scale_f32 v70, s[14:15], v69, v69, 1.0
	v_rcp_f32_e32 v74, v70
	s_nop 0
	v_fma_f32 v75, -v70, v74, 1.0
	v_fmac_f32_e32 v74, v75, v74
	v_div_scale_f32 v75, vcc, 1.0, v69, 1.0
	v_mul_f32_e32 v76, v75, v74
	v_fma_f32 v77, -v70, v76, v75
	v_fmac_f32_e32 v76, v77, v74
	v_fma_f32 v70, -v70, v76, v75
	v_div_fmas_f32 v70, v70, v74, v76
	ds_read2_b32 v[74:75], v67 offset0:2 offset1:3
	v_div_fixup_f32 v70, v70, v69, 1.0
	v_cndmask_b32_e64 v69, v69, v70, s[2:3]
	v_mul_f32_e32 v68, v69, v68
	s_waitcnt lgkmcnt(0)
	v_pk_fma_f32 v[64:65], v[68:69], v[74:75], v[64:65] op_sel_hi:[0,1,1] neg_lo:[1,0,0] neg_hi:[1,0,0]
	ds_read2_b32 v[74:75], v67 offset0:4 offset1:5
	s_waitcnt lgkmcnt(0)
	v_pk_fma_f32 v[62:63], v[68:69], v[74:75], v[62:63] op_sel_hi:[0,1,1] neg_lo:[1,0,0] neg_hi:[1,0,0]
	ds_read2_b32 v[74:75], v67 offset0:6 offset1:7
	;; [unrolled: 3-line block ×29, first 2 shown]
	s_waitcnt lgkmcnt(0)
	v_pk_fma_f32 v[8:9], v[68:69], v[74:75], v[8:9] op_sel_hi:[0,1,1] neg_lo:[1,0,0] neg_hi:[1,0,0]
.LBB122_29:
	s_or_b64 exec, exec, s[12:13]
	v_lshl_add_u32 v69, v73, 2, v67
	s_barrier
	ds_write_b32 v69, v64
	s_waitcnt lgkmcnt(0)
	s_barrier
	ds_read_b32 v74, v67 offset:8
	s_cmp_lt_i32 s22, 4
	v_mov_b32_e32 v70, 2
	s_cbranch_scc1 .LBB122_32
; %bb.30:
	v_mov_b32_e32 v70, 2
	v_add3_u32 v69, v72, 0, 12
	s_mov_b32 s12, 3
.LBB122_31:                             ; =>This Inner Loop Header: Depth=1
	ds_read_b32 v75, v69
	v_mov_b32_e32 v76, s12
	s_add_i32 s12, s12, 1
	v_add_u32_e32 v69, 4, v69
	s_cmp_lg_u32 s22, s12
	s_waitcnt lgkmcnt(0)
	v_cmp_lt_f32_e64 vcc, |v74|, |v75|
	s_nop 1
	v_cndmask_b32_e32 v74, v74, v75, vcc
	v_cndmask_b32_e32 v70, v70, v76, vcc
	s_cbranch_scc1 .LBB122_31
.LBB122_32:
	v_cndmask_b32_e64 v69, 2, 1, s[0:1]
	v_cndmask_b32_e64 v75, 0, 1, s[0:1]
	;; [unrolled: 1-line block ×3, first 2 shown]
	s_waitcnt lgkmcnt(0)
	v_cmp_eq_f32_e32 vcc, 0, v74
	s_and_saveexec_b64 s[0:1], vcc
	s_xor_b64 s[0:1], exec, s[0:1]
; %bb.33:
	v_cmp_ne_u32_e32 vcc, 0, v69
	s_nop 1
	v_cndmask_b32_e32 v69, 3, v69, vcc
; %bb.34:
	s_andn2_saveexec_b64 s[0:1], s[0:1]
	s_cbranch_execz .LBB122_36
; %bb.35:
	v_div_scale_f32 v75, s[2:3], v74, v74, 1.0
	v_rcp_f32_e32 v76, v75
	v_div_scale_f32 v77, vcc, 1.0, v74, 1.0
	v_fma_f32 v78, -v75, v76, 1.0
	v_fmac_f32_e32 v76, v78, v76
	v_mul_f32_e32 v78, v77, v76
	v_fma_f32 v79, -v75, v78, v77
	v_fmac_f32_e32 v78, v79, v76
	v_fma_f32 v75, -v75, v78, v77
	v_div_fmas_f32 v75, v75, v76, v78
	v_div_fixup_f32 v74, v75, v74, 1.0
.LBB122_36:
	s_or_b64 exec, exec, s[0:1]
	v_cmp_ne_u32_e32 vcc, v73, v70
	s_and_saveexec_b64 s[0:1], vcc
	s_xor_b64 s[0:1], exec, s[0:1]
	s_cbranch_execz .LBB122_42
; %bb.37:
	v_cmp_eq_u32_e32 vcc, 2, v73
	s_and_saveexec_b64 s[2:3], vcc
	s_cbranch_execz .LBB122_41
; %bb.38:
	v_cmp_ne_u32_e32 vcc, 2, v70
	s_xor_b64 s[12:13], s[20:21], -1
	s_and_b64 s[14:15], s[12:13], vcc
	s_and_saveexec_b64 s[12:13], s[14:15]
	s_cbranch_execz .LBB122_40
; %bb.39:
	v_ashrrev_i32_e32 v71, 31, v70
	v_lshl_add_u64 v[76:77], v[70:71], 2, v[4:5]
	global_load_dword v71, v[76:77], off
	global_load_dword v73, v[4:5], off offset:8
	s_waitcnt vmcnt(1)
	global_store_dword v[4:5], v71, off offset:8
	s_waitcnt vmcnt(1)
	global_store_dword v[76:77], v73, off
.LBB122_40:
	s_or_b64 exec, exec, s[12:13]
	v_mov_b32_e32 v71, v70
	v_mov_b32_e32 v73, v70
.LBB122_41:
	s_or_b64 exec, exec, s[2:3]
.LBB122_42:
	s_andn2_saveexec_b64 s[0:1], s[0:1]
	s_cbranch_execz .LBB122_44
; %bb.43:
	v_pk_mov_b32 v[76:77], v[64:65], v[62:63] op_sel:[1,0]
	ds_write2_b32 v67, v76, v77 offset0:3 offset1:4
	v_pk_mov_b32 v[76:77], v[62:63], v[60:61] op_sel:[1,0]
	ds_write2_b32 v67, v76, v77 offset0:5 offset1:6
	;; [unrolled: 2-line block ×28, first 2 shown]
	v_pk_mov_b32 v[76:77], v[12:13], v[8:9] op_sel:[1,0]
	v_mov_b32_e32 v73, 2
	ds_write2_b32 v67, v76, v77 offset0:59 offset1:60
	ds_write_b32 v67, v9 offset:244
.LBB122_44:
	s_or_b64 exec, exec, s[0:1]
	v_cmp_lt_i32_e32 vcc, 2, v73
	s_waitcnt lgkmcnt(0)
	s_barrier
	s_and_saveexec_b64 s[0:1], vcc
	s_cbranch_execz .LBB122_46
; %bb.45:
	ds_read_b32 v70, v67 offset:12
	v_mul_f32_e32 v64, v74, v64
	ds_read2_b32 v[74:75], v67 offset0:4 offset1:5
	s_waitcnt lgkmcnt(1)
	v_fma_f32 v65, -v64, v70, v65
	s_waitcnt lgkmcnt(0)
	v_pk_fma_f32 v[62:63], v[64:65], v[74:75], v[62:63] op_sel_hi:[0,1,1] neg_lo:[1,0,0] neg_hi:[1,0,0]
	ds_read2_b32 v[74:75], v67 offset0:6 offset1:7
	s_waitcnt lgkmcnt(0)
	v_pk_fma_f32 v[60:61], v[64:65], v[74:75], v[60:61] op_sel_hi:[0,1,1] neg_lo:[1,0,0] neg_hi:[1,0,0]
	ds_read2_b32 v[74:75], v67 offset0:8 offset1:9
	;; [unrolled: 3-line block ×28, first 2 shown]
	s_waitcnt lgkmcnt(0)
	v_pk_fma_f32 v[8:9], v[64:65], v[74:75], v[8:9] op_sel_hi:[0,1,1] neg_lo:[1,0,0] neg_hi:[1,0,0]
.LBB122_46:
	s_or_b64 exec, exec, s[0:1]
	v_lshl_add_u32 v70, v73, 2, v67
	s_barrier
	ds_write_b32 v70, v65
	s_waitcnt lgkmcnt(0)
	s_barrier
	ds_read_b32 v74, v67 offset:12
	s_cmp_lt_i32 s22, 5
	v_mov_b32_e32 v70, 3
	s_cbranch_scc1 .LBB122_49
; %bb.47:
	v_add3_u32 v75, v72, 0, 16
	v_mov_b32_e32 v70, 3
	s_mov_b32 s0, 4
.LBB122_48:                             ; =>This Inner Loop Header: Depth=1
	ds_read_b32 v76, v75
	v_mov_b32_e32 v77, s0
	s_add_i32 s0, s0, 1
	v_add_u32_e32 v75, 4, v75
	s_cmp_lg_u32 s22, s0
	s_waitcnt lgkmcnt(0)
	v_cmp_lt_f32_e64 vcc, |v74|, |v76|
	s_nop 1
	v_cndmask_b32_e32 v74, v74, v76, vcc
	v_cndmask_b32_e32 v70, v70, v77, vcc
	s_cbranch_scc1 .LBB122_48
.LBB122_49:
	s_waitcnt lgkmcnt(0)
	v_cmp_eq_f32_e32 vcc, 0, v74
	s_and_saveexec_b64 s[0:1], vcc
	s_xor_b64 s[0:1], exec, s[0:1]
; %bb.50:
	v_cmp_ne_u32_e32 vcc, 0, v69
	s_nop 1
	v_cndmask_b32_e32 v69, 4, v69, vcc
; %bb.51:
	s_andn2_saveexec_b64 s[0:1], s[0:1]
	s_cbranch_execz .LBB122_53
; %bb.52:
	v_div_scale_f32 v75, s[2:3], v74, v74, 1.0
	v_rcp_f32_e32 v76, v75
	v_div_scale_f32 v77, vcc, 1.0, v74, 1.0
	v_fma_f32 v78, -v75, v76, 1.0
	v_fmac_f32_e32 v76, v78, v76
	v_mul_f32_e32 v78, v77, v76
	v_fma_f32 v79, -v75, v78, v77
	v_fmac_f32_e32 v78, v79, v76
	v_fma_f32 v75, -v75, v78, v77
	v_div_fmas_f32 v75, v75, v76, v78
	v_div_fixup_f32 v74, v75, v74, 1.0
.LBB122_53:
	s_or_b64 exec, exec, s[0:1]
	v_cmp_ne_u32_e32 vcc, v73, v70
	s_and_saveexec_b64 s[0:1], vcc
	s_xor_b64 s[0:1], exec, s[0:1]
	s_cbranch_execz .LBB122_59
; %bb.54:
	v_cmp_eq_u32_e32 vcc, 3, v73
	s_and_saveexec_b64 s[2:3], vcc
	s_cbranch_execz .LBB122_58
; %bb.55:
	v_cmp_ne_u32_e32 vcc, 3, v70
	s_xor_b64 s[12:13], s[20:21], -1
	s_and_b64 s[14:15], s[12:13], vcc
	s_and_saveexec_b64 s[12:13], s[14:15]
	s_cbranch_execz .LBB122_57
; %bb.56:
	v_ashrrev_i32_e32 v71, 31, v70
	v_lshl_add_u64 v[76:77], v[70:71], 2, v[4:5]
	global_load_dword v71, v[76:77], off
	global_load_dword v73, v[4:5], off offset:12
	s_waitcnt vmcnt(1)
	global_store_dword v[4:5], v71, off offset:12
	s_waitcnt vmcnt(1)
	global_store_dword v[76:77], v73, off
.LBB122_57:
	s_or_b64 exec, exec, s[12:13]
	v_mov_b32_e32 v71, v70
	v_mov_b32_e32 v73, v70
.LBB122_58:
	s_or_b64 exec, exec, s[2:3]
.LBB122_59:
	s_andn2_saveexec_b64 s[0:1], s[0:1]
	s_cbranch_execz .LBB122_61
; %bb.60:
	v_mov_b32_e32 v73, 3
	ds_write2_b32 v67, v62, v63 offset0:4 offset1:5
	ds_write2_b32 v67, v60, v61 offset0:6 offset1:7
	;; [unrolled: 1-line block ×29, first 2 shown]
.LBB122_61:
	s_or_b64 exec, exec, s[0:1]
	v_cmp_lt_i32_e32 vcc, 3, v73
	s_waitcnt lgkmcnt(0)
	s_barrier
	s_and_saveexec_b64 s[0:1], vcc
	s_cbranch_execz .LBB122_63
; %bb.62:
	v_mul_f32_e32 v70, v74, v65
	ds_read2_b32 v[74:75], v67 offset0:4 offset1:5
	v_mov_b32_e32 v65, v70
	s_waitcnt lgkmcnt(0)
	v_pk_fma_f32 v[62:63], v[70:71], v[74:75], v[62:63] op_sel_hi:[0,1,1] neg_lo:[1,0,0] neg_hi:[1,0,0]
	ds_read2_b32 v[74:75], v67 offset0:6 offset1:7
	s_waitcnt lgkmcnt(0)
	v_pk_fma_f32 v[60:61], v[70:71], v[74:75], v[60:61] op_sel_hi:[0,1,1] neg_lo:[1,0,0] neg_hi:[1,0,0]
	ds_read2_b32 v[74:75], v67 offset0:8 offset1:9
	;; [unrolled: 3-line block ×28, first 2 shown]
	s_waitcnt lgkmcnt(0)
	v_pk_fma_f32 v[8:9], v[70:71], v[74:75], v[8:9] op_sel_hi:[0,1,1] neg_lo:[1,0,0] neg_hi:[1,0,0]
.LBB122_63:
	s_or_b64 exec, exec, s[0:1]
	v_lshl_add_u32 v70, v73, 2, v67
	s_barrier
	ds_write_b32 v70, v62
	s_waitcnt lgkmcnt(0)
	s_barrier
	ds_read_b32 v74, v67 offset:16
	s_cmp_lt_i32 s22, 6
	v_mov_b32_e32 v70, 4
	s_cbranch_scc1 .LBB122_66
; %bb.64:
	v_add3_u32 v75, v72, 0, 20
	v_mov_b32_e32 v70, 4
	s_mov_b32 s0, 5
.LBB122_65:                             ; =>This Inner Loop Header: Depth=1
	ds_read_b32 v76, v75
	v_mov_b32_e32 v77, s0
	s_add_i32 s0, s0, 1
	v_add_u32_e32 v75, 4, v75
	s_cmp_lg_u32 s22, s0
	s_waitcnt lgkmcnt(0)
	v_cmp_lt_f32_e64 vcc, |v74|, |v76|
	s_nop 1
	v_cndmask_b32_e32 v74, v74, v76, vcc
	v_cndmask_b32_e32 v70, v70, v77, vcc
	s_cbranch_scc1 .LBB122_65
.LBB122_66:
	s_waitcnt lgkmcnt(0)
	v_cmp_eq_f32_e32 vcc, 0, v74
	s_and_saveexec_b64 s[0:1], vcc
	s_xor_b64 s[0:1], exec, s[0:1]
; %bb.67:
	v_cmp_ne_u32_e32 vcc, 0, v69
	s_nop 1
	v_cndmask_b32_e32 v69, 5, v69, vcc
; %bb.68:
	s_andn2_saveexec_b64 s[0:1], s[0:1]
	s_cbranch_execz .LBB122_70
; %bb.69:
	v_div_scale_f32 v75, s[2:3], v74, v74, 1.0
	v_rcp_f32_e32 v76, v75
	v_div_scale_f32 v77, vcc, 1.0, v74, 1.0
	v_fma_f32 v78, -v75, v76, 1.0
	v_fmac_f32_e32 v76, v78, v76
	v_mul_f32_e32 v78, v77, v76
	v_fma_f32 v79, -v75, v78, v77
	v_fmac_f32_e32 v78, v79, v76
	v_fma_f32 v75, -v75, v78, v77
	v_div_fmas_f32 v75, v75, v76, v78
	v_div_fixup_f32 v74, v75, v74, 1.0
.LBB122_70:
	s_or_b64 exec, exec, s[0:1]
	v_cmp_ne_u32_e32 vcc, v73, v70
	s_and_saveexec_b64 s[0:1], vcc
	s_xor_b64 s[0:1], exec, s[0:1]
	s_cbranch_execz .LBB122_76
; %bb.71:
	v_cmp_eq_u32_e32 vcc, 4, v73
	s_and_saveexec_b64 s[2:3], vcc
	s_cbranch_execz .LBB122_75
; %bb.72:
	v_cmp_ne_u32_e32 vcc, 4, v70
	s_xor_b64 s[12:13], s[20:21], -1
	s_and_b64 s[14:15], s[12:13], vcc
	s_and_saveexec_b64 s[12:13], s[14:15]
	s_cbranch_execz .LBB122_74
; %bb.73:
	v_ashrrev_i32_e32 v71, 31, v70
	v_lshl_add_u64 v[76:77], v[70:71], 2, v[4:5]
	global_load_dword v71, v[76:77], off
	global_load_dword v73, v[4:5], off offset:16
	s_waitcnt vmcnt(1)
	global_store_dword v[4:5], v71, off offset:16
	s_waitcnt vmcnt(1)
	global_store_dword v[76:77], v73, off
.LBB122_74:
	s_or_b64 exec, exec, s[12:13]
	v_mov_b32_e32 v71, v70
	v_mov_b32_e32 v73, v70
.LBB122_75:
	s_or_b64 exec, exec, s[2:3]
.LBB122_76:
	s_andn2_saveexec_b64 s[0:1], s[0:1]
	s_cbranch_execz .LBB122_78
; %bb.77:
	v_pk_mov_b32 v[76:77], v[62:63], v[60:61] op_sel:[1,0]
	ds_write2_b32 v67, v76, v77 offset0:5 offset1:6
	v_pk_mov_b32 v[76:77], v[60:61], v[58:59] op_sel:[1,0]
	ds_write2_b32 v67, v76, v77 offset0:7 offset1:8
	;; [unrolled: 2-line block ×27, first 2 shown]
	v_pk_mov_b32 v[76:77], v[12:13], v[8:9] op_sel:[1,0]
	v_mov_b32_e32 v73, 4
	ds_write2_b32 v67, v76, v77 offset0:59 offset1:60
	ds_write_b32 v67, v9 offset:244
.LBB122_78:
	s_or_b64 exec, exec, s[0:1]
	v_cmp_lt_i32_e32 vcc, 4, v73
	s_waitcnt lgkmcnt(0)
	s_barrier
	s_and_saveexec_b64 s[0:1], vcc
	s_cbranch_execz .LBB122_80
; %bb.79:
	ds_read_b32 v70, v67 offset:20
	v_mul_f32_e32 v62, v74, v62
	ds_read2_b32 v[74:75], v67 offset0:6 offset1:7
	s_waitcnt lgkmcnt(1)
	v_fma_f32 v63, -v62, v70, v63
	s_waitcnt lgkmcnt(0)
	v_pk_fma_f32 v[60:61], v[62:63], v[74:75], v[60:61] op_sel_hi:[0,1,1] neg_lo:[1,0,0] neg_hi:[1,0,0]
	ds_read2_b32 v[74:75], v67 offset0:8 offset1:9
	s_waitcnt lgkmcnt(0)
	v_pk_fma_f32 v[58:59], v[62:63], v[74:75], v[58:59] op_sel_hi:[0,1,1] neg_lo:[1,0,0] neg_hi:[1,0,0]
	ds_read2_b32 v[74:75], v67 offset0:10 offset1:11
	;; [unrolled: 3-line block ×27, first 2 shown]
	s_waitcnt lgkmcnt(0)
	v_pk_fma_f32 v[8:9], v[62:63], v[74:75], v[8:9] op_sel_hi:[0,1,1] neg_lo:[1,0,0] neg_hi:[1,0,0]
.LBB122_80:
	s_or_b64 exec, exec, s[0:1]
	v_lshl_add_u32 v70, v73, 2, v67
	s_barrier
	ds_write_b32 v70, v63
	s_waitcnt lgkmcnt(0)
	s_barrier
	ds_read_b32 v74, v67 offset:20
	s_cmp_lt_i32 s22, 7
	v_mov_b32_e32 v70, 5
	s_cbranch_scc1 .LBB122_83
; %bb.81:
	v_add3_u32 v75, v72, 0, 24
	v_mov_b32_e32 v70, 5
	s_mov_b32 s0, 6
.LBB122_82:                             ; =>This Inner Loop Header: Depth=1
	ds_read_b32 v76, v75
	v_mov_b32_e32 v77, s0
	s_add_i32 s0, s0, 1
	v_add_u32_e32 v75, 4, v75
	s_cmp_lg_u32 s22, s0
	s_waitcnt lgkmcnt(0)
	v_cmp_lt_f32_e64 vcc, |v74|, |v76|
	s_nop 1
	v_cndmask_b32_e32 v74, v74, v76, vcc
	v_cndmask_b32_e32 v70, v70, v77, vcc
	s_cbranch_scc1 .LBB122_82
.LBB122_83:
	s_waitcnt lgkmcnt(0)
	v_cmp_eq_f32_e32 vcc, 0, v74
	s_and_saveexec_b64 s[0:1], vcc
	s_xor_b64 s[0:1], exec, s[0:1]
; %bb.84:
	v_cmp_ne_u32_e32 vcc, 0, v69
	s_nop 1
	v_cndmask_b32_e32 v69, 6, v69, vcc
; %bb.85:
	s_andn2_saveexec_b64 s[0:1], s[0:1]
	s_cbranch_execz .LBB122_87
; %bb.86:
	v_div_scale_f32 v75, s[2:3], v74, v74, 1.0
	v_rcp_f32_e32 v76, v75
	v_div_scale_f32 v77, vcc, 1.0, v74, 1.0
	v_fma_f32 v78, -v75, v76, 1.0
	v_fmac_f32_e32 v76, v78, v76
	v_mul_f32_e32 v78, v77, v76
	v_fma_f32 v79, -v75, v78, v77
	v_fmac_f32_e32 v78, v79, v76
	v_fma_f32 v75, -v75, v78, v77
	v_div_fmas_f32 v75, v75, v76, v78
	v_div_fixup_f32 v74, v75, v74, 1.0
.LBB122_87:
	s_or_b64 exec, exec, s[0:1]
	v_cmp_ne_u32_e32 vcc, v73, v70
	s_and_saveexec_b64 s[0:1], vcc
	s_xor_b64 s[0:1], exec, s[0:1]
	s_cbranch_execz .LBB122_93
; %bb.88:
	v_cmp_eq_u32_e32 vcc, 5, v73
	s_and_saveexec_b64 s[2:3], vcc
	s_cbranch_execz .LBB122_92
; %bb.89:
	v_cmp_ne_u32_e32 vcc, 5, v70
	s_xor_b64 s[12:13], s[20:21], -1
	s_and_b64 s[14:15], s[12:13], vcc
	s_and_saveexec_b64 s[12:13], s[14:15]
	s_cbranch_execz .LBB122_91
; %bb.90:
	v_ashrrev_i32_e32 v71, 31, v70
	v_lshl_add_u64 v[76:77], v[70:71], 2, v[4:5]
	global_load_dword v71, v[76:77], off
	global_load_dword v73, v[4:5], off offset:20
	s_waitcnt vmcnt(1)
	global_store_dword v[4:5], v71, off offset:20
	s_waitcnt vmcnt(1)
	global_store_dword v[76:77], v73, off
.LBB122_91:
	s_or_b64 exec, exec, s[12:13]
	v_mov_b32_e32 v71, v70
	v_mov_b32_e32 v73, v70
.LBB122_92:
	s_or_b64 exec, exec, s[2:3]
.LBB122_93:
	s_andn2_saveexec_b64 s[0:1], s[0:1]
	s_cbranch_execz .LBB122_95
; %bb.94:
	v_mov_b32_e32 v73, 5
	ds_write2_b32 v67, v60, v61 offset0:6 offset1:7
	ds_write2_b32 v67, v58, v59 offset0:8 offset1:9
	;; [unrolled: 1-line block ×28, first 2 shown]
.LBB122_95:
	s_or_b64 exec, exec, s[0:1]
	v_cmp_lt_i32_e32 vcc, 5, v73
	s_waitcnt lgkmcnt(0)
	s_barrier
	s_and_saveexec_b64 s[0:1], vcc
	s_cbranch_execz .LBB122_97
; %bb.96:
	v_mul_f32_e32 v70, v74, v63
	ds_read2_b32 v[74:75], v67 offset0:6 offset1:7
	v_mov_b32_e32 v63, v70
	s_waitcnt lgkmcnt(0)
	v_pk_fma_f32 v[60:61], v[70:71], v[74:75], v[60:61] op_sel_hi:[0,1,1] neg_lo:[1,0,0] neg_hi:[1,0,0]
	ds_read2_b32 v[74:75], v67 offset0:8 offset1:9
	s_waitcnt lgkmcnt(0)
	v_pk_fma_f32 v[58:59], v[70:71], v[74:75], v[58:59] op_sel_hi:[0,1,1] neg_lo:[1,0,0] neg_hi:[1,0,0]
	ds_read2_b32 v[74:75], v67 offset0:10 offset1:11
	;; [unrolled: 3-line block ×27, first 2 shown]
	s_waitcnt lgkmcnt(0)
	v_pk_fma_f32 v[8:9], v[70:71], v[74:75], v[8:9] op_sel_hi:[0,1,1] neg_lo:[1,0,0] neg_hi:[1,0,0]
.LBB122_97:
	s_or_b64 exec, exec, s[0:1]
	v_lshl_add_u32 v70, v73, 2, v67
	s_barrier
	ds_write_b32 v70, v60
	s_waitcnt lgkmcnt(0)
	s_barrier
	ds_read_b32 v74, v67 offset:24
	s_cmp_lt_i32 s22, 8
	v_mov_b32_e32 v70, 6
	s_cbranch_scc1 .LBB122_100
; %bb.98:
	v_add3_u32 v75, v72, 0, 28
	v_mov_b32_e32 v70, 6
	s_mov_b32 s0, 7
.LBB122_99:                             ; =>This Inner Loop Header: Depth=1
	ds_read_b32 v76, v75
	v_mov_b32_e32 v77, s0
	s_add_i32 s0, s0, 1
	v_add_u32_e32 v75, 4, v75
	s_cmp_lg_u32 s22, s0
	s_waitcnt lgkmcnt(0)
	v_cmp_lt_f32_e64 vcc, |v74|, |v76|
	s_nop 1
	v_cndmask_b32_e32 v74, v74, v76, vcc
	v_cndmask_b32_e32 v70, v70, v77, vcc
	s_cbranch_scc1 .LBB122_99
.LBB122_100:
	s_waitcnt lgkmcnt(0)
	v_cmp_eq_f32_e32 vcc, 0, v74
	s_and_saveexec_b64 s[0:1], vcc
	s_xor_b64 s[0:1], exec, s[0:1]
; %bb.101:
	v_cmp_ne_u32_e32 vcc, 0, v69
	s_nop 1
	v_cndmask_b32_e32 v69, 7, v69, vcc
; %bb.102:
	s_andn2_saveexec_b64 s[0:1], s[0:1]
	s_cbranch_execz .LBB122_104
; %bb.103:
	v_div_scale_f32 v75, s[2:3], v74, v74, 1.0
	v_rcp_f32_e32 v76, v75
	v_div_scale_f32 v77, vcc, 1.0, v74, 1.0
	v_fma_f32 v78, -v75, v76, 1.0
	v_fmac_f32_e32 v76, v78, v76
	v_mul_f32_e32 v78, v77, v76
	v_fma_f32 v79, -v75, v78, v77
	v_fmac_f32_e32 v78, v79, v76
	v_fma_f32 v75, -v75, v78, v77
	v_div_fmas_f32 v75, v75, v76, v78
	v_div_fixup_f32 v74, v75, v74, 1.0
.LBB122_104:
	s_or_b64 exec, exec, s[0:1]
	v_cmp_ne_u32_e32 vcc, v73, v70
	s_and_saveexec_b64 s[0:1], vcc
	s_xor_b64 s[0:1], exec, s[0:1]
	s_cbranch_execz .LBB122_110
; %bb.105:
	v_cmp_eq_u32_e32 vcc, 6, v73
	s_and_saveexec_b64 s[2:3], vcc
	s_cbranch_execz .LBB122_109
; %bb.106:
	v_cmp_ne_u32_e32 vcc, 6, v70
	s_xor_b64 s[12:13], s[20:21], -1
	s_and_b64 s[14:15], s[12:13], vcc
	s_and_saveexec_b64 s[12:13], s[14:15]
	s_cbranch_execz .LBB122_108
; %bb.107:
	v_ashrrev_i32_e32 v71, 31, v70
	v_lshl_add_u64 v[76:77], v[70:71], 2, v[4:5]
	global_load_dword v71, v[76:77], off
	global_load_dword v73, v[4:5], off offset:24
	s_waitcnt vmcnt(1)
	global_store_dword v[4:5], v71, off offset:24
	s_waitcnt vmcnt(1)
	global_store_dword v[76:77], v73, off
.LBB122_108:
	s_or_b64 exec, exec, s[12:13]
	v_mov_b32_e32 v71, v70
	v_mov_b32_e32 v73, v70
.LBB122_109:
	s_or_b64 exec, exec, s[2:3]
.LBB122_110:
	s_andn2_saveexec_b64 s[0:1], s[0:1]
	s_cbranch_execz .LBB122_112
; %bb.111:
	v_pk_mov_b32 v[76:77], v[60:61], v[58:59] op_sel:[1,0]
	ds_write2_b32 v67, v76, v77 offset0:7 offset1:8
	v_pk_mov_b32 v[76:77], v[58:59], v[54:55] op_sel:[1,0]
	ds_write2_b32 v67, v76, v77 offset0:9 offset1:10
	;; [unrolled: 2-line block ×26, first 2 shown]
	v_pk_mov_b32 v[76:77], v[12:13], v[8:9] op_sel:[1,0]
	v_mov_b32_e32 v73, 6
	ds_write2_b32 v67, v76, v77 offset0:59 offset1:60
	ds_write_b32 v67, v9 offset:244
.LBB122_112:
	s_or_b64 exec, exec, s[0:1]
	v_cmp_lt_i32_e32 vcc, 6, v73
	s_waitcnt lgkmcnt(0)
	s_barrier
	s_and_saveexec_b64 s[0:1], vcc
	s_cbranch_execz .LBB122_114
; %bb.113:
	ds_read_b32 v70, v67 offset:28
	v_mul_f32_e32 v60, v74, v60
	ds_read2_b32 v[74:75], v67 offset0:8 offset1:9
	s_waitcnt lgkmcnt(1)
	v_fma_f32 v61, -v60, v70, v61
	s_waitcnt lgkmcnt(0)
	v_pk_fma_f32 v[58:59], v[60:61], v[74:75], v[58:59] op_sel_hi:[0,1,1] neg_lo:[1,0,0] neg_hi:[1,0,0]
	ds_read2_b32 v[74:75], v67 offset0:10 offset1:11
	s_waitcnt lgkmcnt(0)
	v_pk_fma_f32 v[54:55], v[60:61], v[74:75], v[54:55] op_sel_hi:[0,1,1] neg_lo:[1,0,0] neg_hi:[1,0,0]
	ds_read2_b32 v[74:75], v67 offset0:12 offset1:13
	;; [unrolled: 3-line block ×26, first 2 shown]
	s_waitcnt lgkmcnt(0)
	v_pk_fma_f32 v[8:9], v[60:61], v[74:75], v[8:9] op_sel_hi:[0,1,1] neg_lo:[1,0,0] neg_hi:[1,0,0]
.LBB122_114:
	s_or_b64 exec, exec, s[0:1]
	v_lshl_add_u32 v70, v73, 2, v67
	s_barrier
	ds_write_b32 v70, v61
	s_waitcnt lgkmcnt(0)
	s_barrier
	ds_read_b32 v74, v67 offset:28
	s_cmp_lt_i32 s22, 9
	v_mov_b32_e32 v70, 7
	s_cbranch_scc1 .LBB122_117
; %bb.115:
	v_add3_u32 v75, v72, 0, 32
	v_mov_b32_e32 v70, 7
	s_mov_b32 s0, 8
.LBB122_116:                            ; =>This Inner Loop Header: Depth=1
	ds_read_b32 v76, v75
	v_mov_b32_e32 v77, s0
	s_add_i32 s0, s0, 1
	v_add_u32_e32 v75, 4, v75
	s_cmp_lg_u32 s22, s0
	s_waitcnt lgkmcnt(0)
	v_cmp_lt_f32_e64 vcc, |v74|, |v76|
	s_nop 1
	v_cndmask_b32_e32 v74, v74, v76, vcc
	v_cndmask_b32_e32 v70, v70, v77, vcc
	s_cbranch_scc1 .LBB122_116
.LBB122_117:
	s_waitcnt lgkmcnt(0)
	v_cmp_eq_f32_e32 vcc, 0, v74
	s_and_saveexec_b64 s[0:1], vcc
	s_xor_b64 s[0:1], exec, s[0:1]
; %bb.118:
	v_cmp_ne_u32_e32 vcc, 0, v69
	s_nop 1
	v_cndmask_b32_e32 v69, 8, v69, vcc
; %bb.119:
	s_andn2_saveexec_b64 s[0:1], s[0:1]
	s_cbranch_execz .LBB122_121
; %bb.120:
	v_div_scale_f32 v75, s[2:3], v74, v74, 1.0
	v_rcp_f32_e32 v76, v75
	v_div_scale_f32 v77, vcc, 1.0, v74, 1.0
	v_fma_f32 v78, -v75, v76, 1.0
	v_fmac_f32_e32 v76, v78, v76
	v_mul_f32_e32 v78, v77, v76
	v_fma_f32 v79, -v75, v78, v77
	v_fmac_f32_e32 v78, v79, v76
	v_fma_f32 v75, -v75, v78, v77
	v_div_fmas_f32 v75, v75, v76, v78
	v_div_fixup_f32 v74, v75, v74, 1.0
.LBB122_121:
	s_or_b64 exec, exec, s[0:1]
	v_cmp_ne_u32_e32 vcc, v73, v70
	s_and_saveexec_b64 s[0:1], vcc
	s_xor_b64 s[0:1], exec, s[0:1]
	s_cbranch_execz .LBB122_127
; %bb.122:
	v_cmp_eq_u32_e32 vcc, 7, v73
	s_and_saveexec_b64 s[2:3], vcc
	s_cbranch_execz .LBB122_126
; %bb.123:
	v_cmp_ne_u32_e32 vcc, 7, v70
	s_xor_b64 s[12:13], s[20:21], -1
	s_and_b64 s[14:15], s[12:13], vcc
	s_and_saveexec_b64 s[12:13], s[14:15]
	s_cbranch_execz .LBB122_125
; %bb.124:
	v_ashrrev_i32_e32 v71, 31, v70
	v_lshl_add_u64 v[76:77], v[70:71], 2, v[4:5]
	global_load_dword v71, v[76:77], off
	global_load_dword v73, v[4:5], off offset:28
	s_waitcnt vmcnt(1)
	global_store_dword v[4:5], v71, off offset:28
	s_waitcnt vmcnt(1)
	global_store_dword v[76:77], v73, off
.LBB122_125:
	s_or_b64 exec, exec, s[12:13]
	v_mov_b32_e32 v71, v70
	v_mov_b32_e32 v73, v70
.LBB122_126:
	s_or_b64 exec, exec, s[2:3]
.LBB122_127:
	s_andn2_saveexec_b64 s[0:1], s[0:1]
	s_cbranch_execz .LBB122_129
; %bb.128:
	v_mov_b32_e32 v73, 7
	ds_write2_b32 v67, v58, v59 offset0:8 offset1:9
	ds_write2_b32 v67, v54, v55 offset0:10 offset1:11
	;; [unrolled: 1-line block ×27, first 2 shown]
.LBB122_129:
	s_or_b64 exec, exec, s[0:1]
	v_cmp_lt_i32_e32 vcc, 7, v73
	s_waitcnt lgkmcnt(0)
	s_barrier
	s_and_saveexec_b64 s[0:1], vcc
	s_cbranch_execz .LBB122_131
; %bb.130:
	v_mul_f32_e32 v70, v74, v61
	ds_read2_b32 v[74:75], v67 offset0:8 offset1:9
	v_mov_b32_e32 v61, v70
	s_waitcnt lgkmcnt(0)
	v_pk_fma_f32 v[58:59], v[70:71], v[74:75], v[58:59] op_sel_hi:[0,1,1] neg_lo:[1,0,0] neg_hi:[1,0,0]
	ds_read2_b32 v[74:75], v67 offset0:10 offset1:11
	s_waitcnt lgkmcnt(0)
	v_pk_fma_f32 v[54:55], v[70:71], v[74:75], v[54:55] op_sel_hi:[0,1,1] neg_lo:[1,0,0] neg_hi:[1,0,0]
	ds_read2_b32 v[74:75], v67 offset0:12 offset1:13
	;; [unrolled: 3-line block ×26, first 2 shown]
	s_waitcnt lgkmcnt(0)
	v_pk_fma_f32 v[8:9], v[70:71], v[74:75], v[8:9] op_sel_hi:[0,1,1] neg_lo:[1,0,0] neg_hi:[1,0,0]
.LBB122_131:
	s_or_b64 exec, exec, s[0:1]
	v_lshl_add_u32 v70, v73, 2, v67
	s_barrier
	ds_write_b32 v70, v58
	s_waitcnt lgkmcnt(0)
	s_barrier
	ds_read_b32 v74, v67 offset:32
	s_cmp_lt_i32 s22, 10
	v_mov_b32_e32 v70, 8
	s_cbranch_scc1 .LBB122_134
; %bb.132:
	v_add3_u32 v75, v72, 0, 36
	v_mov_b32_e32 v70, 8
	s_mov_b32 s0, 9
.LBB122_133:                            ; =>This Inner Loop Header: Depth=1
	ds_read_b32 v76, v75
	v_mov_b32_e32 v77, s0
	s_add_i32 s0, s0, 1
	v_add_u32_e32 v75, 4, v75
	s_cmp_lg_u32 s22, s0
	s_waitcnt lgkmcnt(0)
	v_cmp_lt_f32_e64 vcc, |v74|, |v76|
	s_nop 1
	v_cndmask_b32_e32 v74, v74, v76, vcc
	v_cndmask_b32_e32 v70, v70, v77, vcc
	s_cbranch_scc1 .LBB122_133
.LBB122_134:
	s_waitcnt lgkmcnt(0)
	v_cmp_eq_f32_e32 vcc, 0, v74
	s_and_saveexec_b64 s[0:1], vcc
	s_xor_b64 s[0:1], exec, s[0:1]
; %bb.135:
	v_cmp_ne_u32_e32 vcc, 0, v69
	s_nop 1
	v_cndmask_b32_e32 v69, 9, v69, vcc
; %bb.136:
	s_andn2_saveexec_b64 s[0:1], s[0:1]
	s_cbranch_execz .LBB122_138
; %bb.137:
	v_div_scale_f32 v75, s[2:3], v74, v74, 1.0
	v_rcp_f32_e32 v76, v75
	v_div_scale_f32 v77, vcc, 1.0, v74, 1.0
	v_fma_f32 v78, -v75, v76, 1.0
	v_fmac_f32_e32 v76, v78, v76
	v_mul_f32_e32 v78, v77, v76
	v_fma_f32 v79, -v75, v78, v77
	v_fmac_f32_e32 v78, v79, v76
	v_fma_f32 v75, -v75, v78, v77
	v_div_fmas_f32 v75, v75, v76, v78
	v_div_fixup_f32 v74, v75, v74, 1.0
.LBB122_138:
	s_or_b64 exec, exec, s[0:1]
	v_cmp_ne_u32_e32 vcc, v73, v70
	s_and_saveexec_b64 s[0:1], vcc
	s_xor_b64 s[0:1], exec, s[0:1]
	s_cbranch_execz .LBB122_144
; %bb.139:
	v_cmp_eq_u32_e32 vcc, 8, v73
	s_and_saveexec_b64 s[2:3], vcc
	s_cbranch_execz .LBB122_143
; %bb.140:
	v_cmp_ne_u32_e32 vcc, 8, v70
	s_xor_b64 s[12:13], s[20:21], -1
	s_and_b64 s[14:15], s[12:13], vcc
	s_and_saveexec_b64 s[12:13], s[14:15]
	s_cbranch_execz .LBB122_142
; %bb.141:
	v_ashrrev_i32_e32 v71, 31, v70
	v_lshl_add_u64 v[76:77], v[70:71], 2, v[4:5]
	global_load_dword v71, v[76:77], off
	global_load_dword v73, v[4:5], off offset:32
	s_waitcnt vmcnt(1)
	global_store_dword v[4:5], v71, off offset:32
	s_waitcnt vmcnt(1)
	global_store_dword v[76:77], v73, off
.LBB122_142:
	s_or_b64 exec, exec, s[12:13]
	v_mov_b32_e32 v71, v70
	v_mov_b32_e32 v73, v70
.LBB122_143:
	s_or_b64 exec, exec, s[2:3]
.LBB122_144:
	s_andn2_saveexec_b64 s[0:1], s[0:1]
	s_cbranch_execz .LBB122_146
; %bb.145:
	v_pk_mov_b32 v[76:77], v[58:59], v[54:55] op_sel:[1,0]
	ds_write2_b32 v67, v76, v77 offset0:9 offset1:10
	v_pk_mov_b32 v[76:77], v[54:55], v[48:49] op_sel:[1,0]
	ds_write2_b32 v67, v76, v77 offset0:11 offset1:12
	;; [unrolled: 2-line block ×25, first 2 shown]
	v_pk_mov_b32 v[76:77], v[12:13], v[8:9] op_sel:[1,0]
	v_mov_b32_e32 v73, 8
	ds_write2_b32 v67, v76, v77 offset0:59 offset1:60
	ds_write_b32 v67, v9 offset:244
.LBB122_146:
	s_or_b64 exec, exec, s[0:1]
	v_cmp_lt_i32_e32 vcc, 8, v73
	s_waitcnt lgkmcnt(0)
	s_barrier
	s_and_saveexec_b64 s[0:1], vcc
	s_cbranch_execz .LBB122_148
; %bb.147:
	ds_read_b32 v70, v67 offset:36
	v_mul_f32_e32 v58, v74, v58
	ds_read2_b32 v[74:75], v67 offset0:10 offset1:11
	s_waitcnt lgkmcnt(1)
	v_fma_f32 v59, -v58, v70, v59
	s_waitcnt lgkmcnt(0)
	v_pk_fma_f32 v[54:55], v[58:59], v[74:75], v[54:55] op_sel_hi:[0,1,1] neg_lo:[1,0,0] neg_hi:[1,0,0]
	ds_read2_b32 v[74:75], v67 offset0:12 offset1:13
	s_waitcnt lgkmcnt(0)
	v_pk_fma_f32 v[48:49], v[58:59], v[74:75], v[48:49] op_sel_hi:[0,1,1] neg_lo:[1,0,0] neg_hi:[1,0,0]
	ds_read2_b32 v[74:75], v67 offset0:14 offset1:15
	s_waitcnt lgkmcnt(0)
	v_pk_fma_f32 v[40:41], v[58:59], v[74:75], v[40:41] op_sel_hi:[0,1,1] neg_lo:[1,0,0] neg_hi:[1,0,0]
	ds_read2_b32 v[74:75], v67 offset0:16 offset1:17
	s_waitcnt lgkmcnt(0)
	v_pk_fma_f32 v[56:57], v[58:59], v[74:75], v[56:57] op_sel_hi:[0,1,1] neg_lo:[1,0,0] neg_hi:[1,0,0]
	ds_read2_b32 v[74:75], v67 offset0:18 offset1:19
	s_waitcnt lgkmcnt(0)
	v_pk_fma_f32 v[50:51], v[58:59], v[74:75], v[50:51] op_sel_hi:[0,1,1] neg_lo:[1,0,0] neg_hi:[1,0,0]
	ds_read2_b32 v[74:75], v67 offset0:20 offset1:21
	s_waitcnt lgkmcnt(0)
	v_pk_fma_f32 v[42:43], v[58:59], v[74:75], v[42:43] op_sel_hi:[0,1,1] neg_lo:[1,0,0] neg_hi:[1,0,0]
	ds_read2_b32 v[74:75], v67 offset0:22 offset1:23
	s_waitcnt lgkmcnt(0)
	v_pk_fma_f32 v[32:33], v[58:59], v[74:75], v[32:33] op_sel_hi:[0,1,1] neg_lo:[1,0,0] neg_hi:[1,0,0]
	ds_read2_b32 v[74:75], v67 offset0:24 offset1:25
	s_waitcnt lgkmcnt(0)
	v_pk_fma_f32 v[52:53], v[58:59], v[74:75], v[52:53] op_sel_hi:[0,1,1] neg_lo:[1,0,0] neg_hi:[1,0,0]
	ds_read2_b32 v[74:75], v67 offset0:26 offset1:27
	s_waitcnt lgkmcnt(0)
	v_pk_fma_f32 v[44:45], v[58:59], v[74:75], v[44:45] op_sel_hi:[0,1,1] neg_lo:[1,0,0] neg_hi:[1,0,0]
	ds_read2_b32 v[74:75], v67 offset0:28 offset1:29
	s_waitcnt lgkmcnt(0)
	v_pk_fma_f32 v[34:35], v[58:59], v[74:75], v[34:35] op_sel_hi:[0,1,1] neg_lo:[1,0,0] neg_hi:[1,0,0]
	ds_read2_b32 v[74:75], v67 offset0:30 offset1:31
	s_waitcnt lgkmcnt(0)
	v_pk_fma_f32 v[24:25], v[58:59], v[74:75], v[24:25] op_sel_hi:[0,1,1] neg_lo:[1,0,0] neg_hi:[1,0,0]
	ds_read2_b32 v[74:75], v67 offset0:32 offset1:33
	s_waitcnt lgkmcnt(0)
	v_pk_fma_f32 v[46:47], v[58:59], v[74:75], v[46:47] op_sel_hi:[0,1,1] neg_lo:[1,0,0] neg_hi:[1,0,0]
	ds_read2_b32 v[74:75], v67 offset0:34 offset1:35
	s_waitcnt lgkmcnt(0)
	v_pk_fma_f32 v[36:37], v[58:59], v[74:75], v[36:37] op_sel_hi:[0,1,1] neg_lo:[1,0,0] neg_hi:[1,0,0]
	ds_read2_b32 v[74:75], v67 offset0:36 offset1:37
	s_waitcnt lgkmcnt(0)
	v_pk_fma_f32 v[26:27], v[58:59], v[74:75], v[26:27] op_sel_hi:[0,1,1] neg_lo:[1,0,0] neg_hi:[1,0,0]
	ds_read2_b32 v[74:75], v67 offset0:38 offset1:39
	s_waitcnt lgkmcnt(0)
	v_pk_fma_f32 v[18:19], v[58:59], v[74:75], v[18:19] op_sel_hi:[0,1,1] neg_lo:[1,0,0] neg_hi:[1,0,0]
	ds_read2_b32 v[74:75], v67 offset0:40 offset1:41
	s_waitcnt lgkmcnt(0)
	v_pk_fma_f32 v[38:39], v[58:59], v[74:75], v[38:39] op_sel_hi:[0,1,1] neg_lo:[1,0,0] neg_hi:[1,0,0]
	ds_read2_b32 v[74:75], v67 offset0:42 offset1:43
	s_waitcnt lgkmcnt(0)
	v_pk_fma_f32 v[28:29], v[58:59], v[74:75], v[28:29] op_sel_hi:[0,1,1] neg_lo:[1,0,0] neg_hi:[1,0,0]
	ds_read2_b32 v[74:75], v67 offset0:44 offset1:45
	s_waitcnt lgkmcnt(0)
	v_pk_fma_f32 v[20:21], v[58:59], v[74:75], v[20:21] op_sel_hi:[0,1,1] neg_lo:[1,0,0] neg_hi:[1,0,0]
	ds_read2_b32 v[74:75], v67 offset0:46 offset1:47
	s_waitcnt lgkmcnt(0)
	v_pk_fma_f32 v[14:15], v[58:59], v[74:75], v[14:15] op_sel_hi:[0,1,1] neg_lo:[1,0,0] neg_hi:[1,0,0]
	ds_read2_b32 v[74:75], v67 offset0:48 offset1:49
	s_waitcnt lgkmcnt(0)
	v_pk_fma_f32 v[30:31], v[58:59], v[74:75], v[30:31] op_sel_hi:[0,1,1] neg_lo:[1,0,0] neg_hi:[1,0,0]
	ds_read2_b32 v[74:75], v67 offset0:50 offset1:51
	s_waitcnt lgkmcnt(0)
	v_pk_fma_f32 v[22:23], v[58:59], v[74:75], v[22:23] op_sel_hi:[0,1,1] neg_lo:[1,0,0] neg_hi:[1,0,0]
	ds_read2_b32 v[74:75], v67 offset0:52 offset1:53
	s_waitcnt lgkmcnt(0)
	v_pk_fma_f32 v[16:17], v[58:59], v[74:75], v[16:17] op_sel_hi:[0,1,1] neg_lo:[1,0,0] neg_hi:[1,0,0]
	ds_read2_b32 v[74:75], v67 offset0:54 offset1:55
	s_waitcnt lgkmcnt(0)
	v_pk_fma_f32 v[0:1], v[58:59], v[74:75], v[0:1] op_sel_hi:[0,1,1] neg_lo:[1,0,0] neg_hi:[1,0,0]
	ds_read2_b32 v[74:75], v67 offset0:56 offset1:57
	s_waitcnt lgkmcnt(0)
	v_pk_fma_f32 v[10:11], v[58:59], v[74:75], v[10:11] op_sel_hi:[0,1,1] neg_lo:[1,0,0] neg_hi:[1,0,0]
	ds_read2_b32 v[74:75], v67 offset0:58 offset1:59
	s_waitcnt lgkmcnt(0)
	v_pk_fma_f32 v[12:13], v[58:59], v[74:75], v[12:13] op_sel_hi:[0,1,1] neg_lo:[1,0,0] neg_hi:[1,0,0]
	ds_read2_b32 v[74:75], v67 offset0:60 offset1:61
	s_waitcnt lgkmcnt(0)
	v_pk_fma_f32 v[8:9], v[58:59], v[74:75], v[8:9] op_sel_hi:[0,1,1] neg_lo:[1,0,0] neg_hi:[1,0,0]
.LBB122_148:
	s_or_b64 exec, exec, s[0:1]
	v_lshl_add_u32 v70, v73, 2, v67
	s_barrier
	ds_write_b32 v70, v59
	s_waitcnt lgkmcnt(0)
	s_barrier
	ds_read_b32 v74, v67 offset:36
	s_cmp_lt_i32 s22, 11
	v_mov_b32_e32 v70, 9
	s_cbranch_scc1 .LBB122_151
; %bb.149:
	v_add3_u32 v75, v72, 0, 40
	v_mov_b32_e32 v70, 9
	s_mov_b32 s0, 10
.LBB122_150:                            ; =>This Inner Loop Header: Depth=1
	ds_read_b32 v76, v75
	v_mov_b32_e32 v77, s0
	s_add_i32 s0, s0, 1
	v_add_u32_e32 v75, 4, v75
	s_cmp_lg_u32 s22, s0
	s_waitcnt lgkmcnt(0)
	v_cmp_lt_f32_e64 vcc, |v74|, |v76|
	s_nop 1
	v_cndmask_b32_e32 v74, v74, v76, vcc
	v_cndmask_b32_e32 v70, v70, v77, vcc
	s_cbranch_scc1 .LBB122_150
.LBB122_151:
	s_waitcnt lgkmcnt(0)
	v_cmp_eq_f32_e32 vcc, 0, v74
	s_and_saveexec_b64 s[0:1], vcc
	s_xor_b64 s[0:1], exec, s[0:1]
; %bb.152:
	v_cmp_ne_u32_e32 vcc, 0, v69
	s_nop 1
	v_cndmask_b32_e32 v69, 10, v69, vcc
; %bb.153:
	s_andn2_saveexec_b64 s[0:1], s[0:1]
	s_cbranch_execz .LBB122_155
; %bb.154:
	v_div_scale_f32 v75, s[2:3], v74, v74, 1.0
	v_rcp_f32_e32 v76, v75
	v_div_scale_f32 v77, vcc, 1.0, v74, 1.0
	v_fma_f32 v78, -v75, v76, 1.0
	v_fmac_f32_e32 v76, v78, v76
	v_mul_f32_e32 v78, v77, v76
	v_fma_f32 v79, -v75, v78, v77
	v_fmac_f32_e32 v78, v79, v76
	v_fma_f32 v75, -v75, v78, v77
	v_div_fmas_f32 v75, v75, v76, v78
	v_div_fixup_f32 v74, v75, v74, 1.0
.LBB122_155:
	s_or_b64 exec, exec, s[0:1]
	v_cmp_ne_u32_e32 vcc, v73, v70
	s_and_saveexec_b64 s[0:1], vcc
	s_xor_b64 s[0:1], exec, s[0:1]
	s_cbranch_execz .LBB122_161
; %bb.156:
	v_cmp_eq_u32_e32 vcc, 9, v73
	s_and_saveexec_b64 s[2:3], vcc
	s_cbranch_execz .LBB122_160
; %bb.157:
	v_cmp_ne_u32_e32 vcc, 9, v70
	s_xor_b64 s[12:13], s[20:21], -1
	s_and_b64 s[14:15], s[12:13], vcc
	s_and_saveexec_b64 s[12:13], s[14:15]
	s_cbranch_execz .LBB122_159
; %bb.158:
	v_ashrrev_i32_e32 v71, 31, v70
	v_lshl_add_u64 v[76:77], v[70:71], 2, v[4:5]
	global_load_dword v71, v[76:77], off
	global_load_dword v73, v[4:5], off offset:36
	s_waitcnt vmcnt(1)
	global_store_dword v[4:5], v71, off offset:36
	s_waitcnt vmcnt(1)
	global_store_dword v[76:77], v73, off
.LBB122_159:
	s_or_b64 exec, exec, s[12:13]
	v_mov_b32_e32 v71, v70
	v_mov_b32_e32 v73, v70
.LBB122_160:
	s_or_b64 exec, exec, s[2:3]
.LBB122_161:
	s_andn2_saveexec_b64 s[0:1], s[0:1]
	s_cbranch_execz .LBB122_163
; %bb.162:
	v_mov_b32_e32 v73, 9
	ds_write2_b32 v67, v54, v55 offset0:10 offset1:11
	ds_write2_b32 v67, v48, v49 offset0:12 offset1:13
	;; [unrolled: 1-line block ×26, first 2 shown]
.LBB122_163:
	s_or_b64 exec, exec, s[0:1]
	v_cmp_lt_i32_e32 vcc, 9, v73
	s_waitcnt lgkmcnt(0)
	s_barrier
	s_and_saveexec_b64 s[0:1], vcc
	s_cbranch_execz .LBB122_165
; %bb.164:
	v_mul_f32_e32 v70, v74, v59
	ds_read2_b32 v[74:75], v67 offset0:10 offset1:11
	v_mov_b32_e32 v59, v70
	s_waitcnt lgkmcnt(0)
	v_pk_fma_f32 v[54:55], v[70:71], v[74:75], v[54:55] op_sel_hi:[0,1,1] neg_lo:[1,0,0] neg_hi:[1,0,0]
	ds_read2_b32 v[74:75], v67 offset0:12 offset1:13
	s_waitcnt lgkmcnt(0)
	v_pk_fma_f32 v[48:49], v[70:71], v[74:75], v[48:49] op_sel_hi:[0,1,1] neg_lo:[1,0,0] neg_hi:[1,0,0]
	ds_read2_b32 v[74:75], v67 offset0:14 offset1:15
	;; [unrolled: 3-line block ×25, first 2 shown]
	s_waitcnt lgkmcnt(0)
	v_pk_fma_f32 v[8:9], v[70:71], v[74:75], v[8:9] op_sel_hi:[0,1,1] neg_lo:[1,0,0] neg_hi:[1,0,0]
.LBB122_165:
	s_or_b64 exec, exec, s[0:1]
	v_lshl_add_u32 v70, v73, 2, v67
	s_barrier
	ds_write_b32 v70, v54
	s_waitcnt lgkmcnt(0)
	s_barrier
	ds_read_b32 v74, v67 offset:40
	s_cmp_lt_i32 s22, 12
	v_mov_b32_e32 v70, 10
	s_cbranch_scc1 .LBB122_168
; %bb.166:
	v_add3_u32 v75, v72, 0, 44
	v_mov_b32_e32 v70, 10
	s_mov_b32 s0, 11
.LBB122_167:                            ; =>This Inner Loop Header: Depth=1
	ds_read_b32 v76, v75
	v_mov_b32_e32 v77, s0
	s_add_i32 s0, s0, 1
	v_add_u32_e32 v75, 4, v75
	s_cmp_lg_u32 s22, s0
	s_waitcnt lgkmcnt(0)
	v_cmp_lt_f32_e64 vcc, |v74|, |v76|
	s_nop 1
	v_cndmask_b32_e32 v74, v74, v76, vcc
	v_cndmask_b32_e32 v70, v70, v77, vcc
	s_cbranch_scc1 .LBB122_167
.LBB122_168:
	s_waitcnt lgkmcnt(0)
	v_cmp_eq_f32_e32 vcc, 0, v74
	s_and_saveexec_b64 s[0:1], vcc
	s_xor_b64 s[0:1], exec, s[0:1]
; %bb.169:
	v_cmp_ne_u32_e32 vcc, 0, v69
	s_nop 1
	v_cndmask_b32_e32 v69, 11, v69, vcc
; %bb.170:
	s_andn2_saveexec_b64 s[0:1], s[0:1]
	s_cbranch_execz .LBB122_172
; %bb.171:
	v_div_scale_f32 v75, s[2:3], v74, v74, 1.0
	v_rcp_f32_e32 v76, v75
	v_div_scale_f32 v77, vcc, 1.0, v74, 1.0
	v_fma_f32 v78, -v75, v76, 1.0
	v_fmac_f32_e32 v76, v78, v76
	v_mul_f32_e32 v78, v77, v76
	v_fma_f32 v79, -v75, v78, v77
	v_fmac_f32_e32 v78, v79, v76
	v_fma_f32 v75, -v75, v78, v77
	v_div_fmas_f32 v75, v75, v76, v78
	v_div_fixup_f32 v74, v75, v74, 1.0
.LBB122_172:
	s_or_b64 exec, exec, s[0:1]
	v_cmp_ne_u32_e32 vcc, v73, v70
	s_and_saveexec_b64 s[0:1], vcc
	s_xor_b64 s[0:1], exec, s[0:1]
	s_cbranch_execz .LBB122_178
; %bb.173:
	v_cmp_eq_u32_e32 vcc, 10, v73
	s_and_saveexec_b64 s[2:3], vcc
	s_cbranch_execz .LBB122_177
; %bb.174:
	v_cmp_ne_u32_e32 vcc, 10, v70
	s_xor_b64 s[12:13], s[20:21], -1
	s_and_b64 s[14:15], s[12:13], vcc
	s_and_saveexec_b64 s[12:13], s[14:15]
	s_cbranch_execz .LBB122_176
; %bb.175:
	v_ashrrev_i32_e32 v71, 31, v70
	v_lshl_add_u64 v[76:77], v[70:71], 2, v[4:5]
	global_load_dword v71, v[76:77], off
	global_load_dword v73, v[4:5], off offset:40
	s_waitcnt vmcnt(1)
	global_store_dword v[4:5], v71, off offset:40
	s_waitcnt vmcnt(1)
	global_store_dword v[76:77], v73, off
.LBB122_176:
	s_or_b64 exec, exec, s[12:13]
	v_mov_b32_e32 v71, v70
	v_mov_b32_e32 v73, v70
.LBB122_177:
	s_or_b64 exec, exec, s[2:3]
.LBB122_178:
	s_andn2_saveexec_b64 s[0:1], s[0:1]
	s_cbranch_execz .LBB122_180
; %bb.179:
	v_pk_mov_b32 v[76:77], v[54:55], v[48:49] op_sel:[1,0]
	ds_write2_b32 v67, v76, v77 offset0:11 offset1:12
	v_pk_mov_b32 v[76:77], v[48:49], v[40:41] op_sel:[1,0]
	ds_write2_b32 v67, v76, v77 offset0:13 offset1:14
	;; [unrolled: 2-line block ×24, first 2 shown]
	v_pk_mov_b32 v[76:77], v[12:13], v[8:9] op_sel:[1,0]
	v_mov_b32_e32 v73, 10
	ds_write2_b32 v67, v76, v77 offset0:59 offset1:60
	ds_write_b32 v67, v9 offset:244
.LBB122_180:
	s_or_b64 exec, exec, s[0:1]
	v_cmp_lt_i32_e32 vcc, 10, v73
	s_waitcnt lgkmcnt(0)
	s_barrier
	s_and_saveexec_b64 s[0:1], vcc
	s_cbranch_execz .LBB122_182
; %bb.181:
	ds_read_b32 v70, v67 offset:44
	v_mul_f32_e32 v54, v74, v54
	ds_read2_b32 v[74:75], v67 offset0:12 offset1:13
	s_waitcnt lgkmcnt(1)
	v_fma_f32 v55, -v54, v70, v55
	s_waitcnt lgkmcnt(0)
	v_pk_fma_f32 v[48:49], v[54:55], v[74:75], v[48:49] op_sel_hi:[0,1,1] neg_lo:[1,0,0] neg_hi:[1,0,0]
	ds_read2_b32 v[74:75], v67 offset0:14 offset1:15
	s_waitcnt lgkmcnt(0)
	v_pk_fma_f32 v[40:41], v[54:55], v[74:75], v[40:41] op_sel_hi:[0,1,1] neg_lo:[1,0,0] neg_hi:[1,0,0]
	ds_read2_b32 v[74:75], v67 offset0:16 offset1:17
	;; [unrolled: 3-line block ×24, first 2 shown]
	s_waitcnt lgkmcnt(0)
	v_pk_fma_f32 v[8:9], v[54:55], v[74:75], v[8:9] op_sel_hi:[0,1,1] neg_lo:[1,0,0] neg_hi:[1,0,0]
.LBB122_182:
	s_or_b64 exec, exec, s[0:1]
	v_lshl_add_u32 v70, v73, 2, v67
	s_barrier
	ds_write_b32 v70, v55
	s_waitcnt lgkmcnt(0)
	s_barrier
	ds_read_b32 v74, v67 offset:44
	s_cmp_lt_i32 s22, 13
	v_mov_b32_e32 v70, 11
	s_cbranch_scc1 .LBB122_185
; %bb.183:
	v_add3_u32 v75, v72, 0, 48
	v_mov_b32_e32 v70, 11
	s_mov_b32 s0, 12
.LBB122_184:                            ; =>This Inner Loop Header: Depth=1
	ds_read_b32 v76, v75
	v_mov_b32_e32 v77, s0
	s_add_i32 s0, s0, 1
	v_add_u32_e32 v75, 4, v75
	s_cmp_lg_u32 s22, s0
	s_waitcnt lgkmcnt(0)
	v_cmp_lt_f32_e64 vcc, |v74|, |v76|
	s_nop 1
	v_cndmask_b32_e32 v74, v74, v76, vcc
	v_cndmask_b32_e32 v70, v70, v77, vcc
	s_cbranch_scc1 .LBB122_184
.LBB122_185:
	s_waitcnt lgkmcnt(0)
	v_cmp_eq_f32_e32 vcc, 0, v74
	s_and_saveexec_b64 s[0:1], vcc
	s_xor_b64 s[0:1], exec, s[0:1]
; %bb.186:
	v_cmp_ne_u32_e32 vcc, 0, v69
	s_nop 1
	v_cndmask_b32_e32 v69, 12, v69, vcc
; %bb.187:
	s_andn2_saveexec_b64 s[0:1], s[0:1]
	s_cbranch_execz .LBB122_189
; %bb.188:
	v_div_scale_f32 v75, s[2:3], v74, v74, 1.0
	v_rcp_f32_e32 v76, v75
	v_div_scale_f32 v77, vcc, 1.0, v74, 1.0
	v_fma_f32 v78, -v75, v76, 1.0
	v_fmac_f32_e32 v76, v78, v76
	v_mul_f32_e32 v78, v77, v76
	v_fma_f32 v79, -v75, v78, v77
	v_fmac_f32_e32 v78, v79, v76
	v_fma_f32 v75, -v75, v78, v77
	v_div_fmas_f32 v75, v75, v76, v78
	v_div_fixup_f32 v74, v75, v74, 1.0
.LBB122_189:
	s_or_b64 exec, exec, s[0:1]
	v_cmp_ne_u32_e32 vcc, v73, v70
	s_and_saveexec_b64 s[0:1], vcc
	s_xor_b64 s[0:1], exec, s[0:1]
	s_cbranch_execz .LBB122_195
; %bb.190:
	v_cmp_eq_u32_e32 vcc, 11, v73
	s_and_saveexec_b64 s[2:3], vcc
	s_cbranch_execz .LBB122_194
; %bb.191:
	v_cmp_ne_u32_e32 vcc, 11, v70
	s_xor_b64 s[12:13], s[20:21], -1
	s_and_b64 s[14:15], s[12:13], vcc
	s_and_saveexec_b64 s[12:13], s[14:15]
	s_cbranch_execz .LBB122_193
; %bb.192:
	v_ashrrev_i32_e32 v71, 31, v70
	v_lshl_add_u64 v[76:77], v[70:71], 2, v[4:5]
	global_load_dword v71, v[76:77], off
	global_load_dword v73, v[4:5], off offset:44
	s_waitcnt vmcnt(1)
	global_store_dword v[4:5], v71, off offset:44
	s_waitcnt vmcnt(1)
	global_store_dword v[76:77], v73, off
.LBB122_193:
	s_or_b64 exec, exec, s[12:13]
	v_mov_b32_e32 v71, v70
	v_mov_b32_e32 v73, v70
.LBB122_194:
	s_or_b64 exec, exec, s[2:3]
.LBB122_195:
	s_andn2_saveexec_b64 s[0:1], s[0:1]
	s_cbranch_execz .LBB122_197
; %bb.196:
	v_mov_b32_e32 v73, 11
	ds_write2_b32 v67, v48, v49 offset0:12 offset1:13
	ds_write2_b32 v67, v40, v41 offset0:14 offset1:15
	;; [unrolled: 1-line block ×25, first 2 shown]
.LBB122_197:
	s_or_b64 exec, exec, s[0:1]
	v_cmp_lt_i32_e32 vcc, 11, v73
	s_waitcnt lgkmcnt(0)
	s_barrier
	s_and_saveexec_b64 s[0:1], vcc
	s_cbranch_execz .LBB122_199
; %bb.198:
	v_mul_f32_e32 v70, v74, v55
	ds_read2_b32 v[74:75], v67 offset0:12 offset1:13
	v_mov_b32_e32 v55, v70
	s_waitcnt lgkmcnt(0)
	v_pk_fma_f32 v[48:49], v[70:71], v[74:75], v[48:49] op_sel_hi:[0,1,1] neg_lo:[1,0,0] neg_hi:[1,0,0]
	ds_read2_b32 v[74:75], v67 offset0:14 offset1:15
	s_waitcnt lgkmcnt(0)
	v_pk_fma_f32 v[40:41], v[70:71], v[74:75], v[40:41] op_sel_hi:[0,1,1] neg_lo:[1,0,0] neg_hi:[1,0,0]
	ds_read2_b32 v[74:75], v67 offset0:16 offset1:17
	;; [unrolled: 3-line block ×24, first 2 shown]
	s_waitcnt lgkmcnt(0)
	v_pk_fma_f32 v[8:9], v[70:71], v[74:75], v[8:9] op_sel_hi:[0,1,1] neg_lo:[1,0,0] neg_hi:[1,0,0]
.LBB122_199:
	s_or_b64 exec, exec, s[0:1]
	v_lshl_add_u32 v70, v73, 2, v67
	s_barrier
	ds_write_b32 v70, v48
	s_waitcnt lgkmcnt(0)
	s_barrier
	ds_read_b32 v74, v67 offset:48
	s_cmp_lt_i32 s22, 14
	v_mov_b32_e32 v70, 12
	s_cbranch_scc1 .LBB122_202
; %bb.200:
	v_add3_u32 v75, v72, 0, 52
	v_mov_b32_e32 v70, 12
	s_mov_b32 s0, 13
.LBB122_201:                            ; =>This Inner Loop Header: Depth=1
	ds_read_b32 v76, v75
	v_mov_b32_e32 v77, s0
	s_add_i32 s0, s0, 1
	v_add_u32_e32 v75, 4, v75
	s_cmp_lg_u32 s22, s0
	s_waitcnt lgkmcnt(0)
	v_cmp_lt_f32_e64 vcc, |v74|, |v76|
	s_nop 1
	v_cndmask_b32_e32 v74, v74, v76, vcc
	v_cndmask_b32_e32 v70, v70, v77, vcc
	s_cbranch_scc1 .LBB122_201
.LBB122_202:
	s_waitcnt lgkmcnt(0)
	v_cmp_eq_f32_e32 vcc, 0, v74
	s_and_saveexec_b64 s[0:1], vcc
	s_xor_b64 s[0:1], exec, s[0:1]
; %bb.203:
	v_cmp_ne_u32_e32 vcc, 0, v69
	s_nop 1
	v_cndmask_b32_e32 v69, 13, v69, vcc
; %bb.204:
	s_andn2_saveexec_b64 s[0:1], s[0:1]
	s_cbranch_execz .LBB122_206
; %bb.205:
	v_div_scale_f32 v75, s[2:3], v74, v74, 1.0
	v_rcp_f32_e32 v76, v75
	v_div_scale_f32 v77, vcc, 1.0, v74, 1.0
	v_fma_f32 v78, -v75, v76, 1.0
	v_fmac_f32_e32 v76, v78, v76
	v_mul_f32_e32 v78, v77, v76
	v_fma_f32 v79, -v75, v78, v77
	v_fmac_f32_e32 v78, v79, v76
	v_fma_f32 v75, -v75, v78, v77
	v_div_fmas_f32 v75, v75, v76, v78
	v_div_fixup_f32 v74, v75, v74, 1.0
.LBB122_206:
	s_or_b64 exec, exec, s[0:1]
	v_cmp_ne_u32_e32 vcc, v73, v70
	s_and_saveexec_b64 s[0:1], vcc
	s_xor_b64 s[0:1], exec, s[0:1]
	s_cbranch_execz .LBB122_212
; %bb.207:
	v_cmp_eq_u32_e32 vcc, 12, v73
	s_and_saveexec_b64 s[2:3], vcc
	s_cbranch_execz .LBB122_211
; %bb.208:
	v_cmp_ne_u32_e32 vcc, 12, v70
	s_xor_b64 s[12:13], s[20:21], -1
	s_and_b64 s[14:15], s[12:13], vcc
	s_and_saveexec_b64 s[12:13], s[14:15]
	s_cbranch_execz .LBB122_210
; %bb.209:
	v_ashrrev_i32_e32 v71, 31, v70
	v_lshl_add_u64 v[76:77], v[70:71], 2, v[4:5]
	global_load_dword v71, v[76:77], off
	global_load_dword v73, v[4:5], off offset:48
	s_waitcnt vmcnt(1)
	global_store_dword v[4:5], v71, off offset:48
	s_waitcnt vmcnt(1)
	global_store_dword v[76:77], v73, off
.LBB122_210:
	s_or_b64 exec, exec, s[12:13]
	v_mov_b32_e32 v71, v70
	v_mov_b32_e32 v73, v70
.LBB122_211:
	s_or_b64 exec, exec, s[2:3]
.LBB122_212:
	s_andn2_saveexec_b64 s[0:1], s[0:1]
	s_cbranch_execz .LBB122_214
; %bb.213:
	v_pk_mov_b32 v[76:77], v[48:49], v[40:41] op_sel:[1,0]
	ds_write2_b32 v67, v76, v77 offset0:13 offset1:14
	v_pk_mov_b32 v[76:77], v[40:41], v[56:57] op_sel:[1,0]
	ds_write2_b32 v67, v76, v77 offset0:15 offset1:16
	v_pk_mov_b32 v[76:77], v[56:57], v[50:51] op_sel:[1,0]
	ds_write2_b32 v67, v76, v77 offset0:17 offset1:18
	v_pk_mov_b32 v[76:77], v[50:51], v[42:43] op_sel:[1,0]
	ds_write2_b32 v67, v76, v77 offset0:19 offset1:20
	v_pk_mov_b32 v[76:77], v[42:43], v[32:33] op_sel:[1,0]
	ds_write2_b32 v67, v76, v77 offset0:21 offset1:22
	v_pk_mov_b32 v[76:77], v[32:33], v[52:53] op_sel:[1,0]
	ds_write2_b32 v67, v76, v77 offset0:23 offset1:24
	v_pk_mov_b32 v[76:77], v[52:53], v[44:45] op_sel:[1,0]
	ds_write2_b32 v67, v76, v77 offset0:25 offset1:26
	v_pk_mov_b32 v[76:77], v[44:45], v[34:35] op_sel:[1,0]
	ds_write2_b32 v67, v76, v77 offset0:27 offset1:28
	v_pk_mov_b32 v[76:77], v[34:35], v[24:25] op_sel:[1,0]
	ds_write2_b32 v67, v76, v77 offset0:29 offset1:30
	v_pk_mov_b32 v[76:77], v[24:25], v[46:47] op_sel:[1,0]
	ds_write2_b32 v67, v76, v77 offset0:31 offset1:32
	v_pk_mov_b32 v[76:77], v[46:47], v[36:37] op_sel:[1,0]
	ds_write2_b32 v67, v76, v77 offset0:33 offset1:34
	v_pk_mov_b32 v[76:77], v[36:37], v[26:27] op_sel:[1,0]
	ds_write2_b32 v67, v76, v77 offset0:35 offset1:36
	v_pk_mov_b32 v[76:77], v[26:27], v[18:19] op_sel:[1,0]
	ds_write2_b32 v67, v76, v77 offset0:37 offset1:38
	v_pk_mov_b32 v[76:77], v[18:19], v[38:39] op_sel:[1,0]
	ds_write2_b32 v67, v76, v77 offset0:39 offset1:40
	v_pk_mov_b32 v[76:77], v[38:39], v[28:29] op_sel:[1,0]
	ds_write2_b32 v67, v76, v77 offset0:41 offset1:42
	v_pk_mov_b32 v[76:77], v[28:29], v[20:21] op_sel:[1,0]
	ds_write2_b32 v67, v76, v77 offset0:43 offset1:44
	v_pk_mov_b32 v[76:77], v[20:21], v[14:15] op_sel:[1,0]
	ds_write2_b32 v67, v76, v77 offset0:45 offset1:46
	v_pk_mov_b32 v[76:77], v[14:15], v[30:31] op_sel:[1,0]
	ds_write2_b32 v67, v76, v77 offset0:47 offset1:48
	v_pk_mov_b32 v[76:77], v[30:31], v[22:23] op_sel:[1,0]
	ds_write2_b32 v67, v76, v77 offset0:49 offset1:50
	v_pk_mov_b32 v[76:77], v[22:23], v[16:17] op_sel:[1,0]
	ds_write2_b32 v67, v76, v77 offset0:51 offset1:52
	v_pk_mov_b32 v[76:77], v[16:17], v[0:1] op_sel:[1,0]
	ds_write2_b32 v67, v76, v77 offset0:53 offset1:54
	v_pk_mov_b32 v[76:77], v[0:1], v[10:11] op_sel:[1,0]
	ds_write2_b32 v67, v76, v77 offset0:55 offset1:56
	v_pk_mov_b32 v[76:77], v[10:11], v[12:13] op_sel:[1,0]
	ds_write2_b32 v67, v76, v77 offset0:57 offset1:58
	v_pk_mov_b32 v[76:77], v[12:13], v[8:9] op_sel:[1,0]
	v_mov_b32_e32 v73, 12
	ds_write2_b32 v67, v76, v77 offset0:59 offset1:60
	ds_write_b32 v67, v9 offset:244
.LBB122_214:
	s_or_b64 exec, exec, s[0:1]
	v_cmp_lt_i32_e32 vcc, 12, v73
	s_waitcnt lgkmcnt(0)
	s_barrier
	s_and_saveexec_b64 s[0:1], vcc
	s_cbranch_execz .LBB122_216
; %bb.215:
	ds_read_b32 v70, v67 offset:52
	v_mul_f32_e32 v48, v74, v48
	ds_read2_b32 v[74:75], v67 offset0:14 offset1:15
	s_waitcnt lgkmcnt(1)
	v_fma_f32 v49, -v48, v70, v49
	s_waitcnt lgkmcnt(0)
	v_pk_fma_f32 v[40:41], v[48:49], v[74:75], v[40:41] op_sel_hi:[0,1,1] neg_lo:[1,0,0] neg_hi:[1,0,0]
	ds_read2_b32 v[74:75], v67 offset0:16 offset1:17
	s_waitcnt lgkmcnt(0)
	v_pk_fma_f32 v[56:57], v[48:49], v[74:75], v[56:57] op_sel_hi:[0,1,1] neg_lo:[1,0,0] neg_hi:[1,0,0]
	ds_read2_b32 v[74:75], v67 offset0:18 offset1:19
	;; [unrolled: 3-line block ×23, first 2 shown]
	s_waitcnt lgkmcnt(0)
	v_pk_fma_f32 v[8:9], v[48:49], v[74:75], v[8:9] op_sel_hi:[0,1,1] neg_lo:[1,0,0] neg_hi:[1,0,0]
.LBB122_216:
	s_or_b64 exec, exec, s[0:1]
	v_lshl_add_u32 v70, v73, 2, v67
	s_barrier
	ds_write_b32 v70, v49
	s_waitcnt lgkmcnt(0)
	s_barrier
	ds_read_b32 v74, v67 offset:52
	s_cmp_lt_i32 s22, 15
	v_mov_b32_e32 v70, 13
	s_cbranch_scc1 .LBB122_219
; %bb.217:
	v_add3_u32 v75, v72, 0, 56
	v_mov_b32_e32 v70, 13
	s_mov_b32 s0, 14
.LBB122_218:                            ; =>This Inner Loop Header: Depth=1
	ds_read_b32 v76, v75
	v_mov_b32_e32 v77, s0
	s_add_i32 s0, s0, 1
	v_add_u32_e32 v75, 4, v75
	s_cmp_lg_u32 s22, s0
	s_waitcnt lgkmcnt(0)
	v_cmp_lt_f32_e64 vcc, |v74|, |v76|
	s_nop 1
	v_cndmask_b32_e32 v74, v74, v76, vcc
	v_cndmask_b32_e32 v70, v70, v77, vcc
	s_cbranch_scc1 .LBB122_218
.LBB122_219:
	s_waitcnt lgkmcnt(0)
	v_cmp_eq_f32_e32 vcc, 0, v74
	s_and_saveexec_b64 s[0:1], vcc
	s_xor_b64 s[0:1], exec, s[0:1]
; %bb.220:
	v_cmp_ne_u32_e32 vcc, 0, v69
	s_nop 1
	v_cndmask_b32_e32 v69, 14, v69, vcc
; %bb.221:
	s_andn2_saveexec_b64 s[0:1], s[0:1]
	s_cbranch_execz .LBB122_223
; %bb.222:
	v_div_scale_f32 v75, s[2:3], v74, v74, 1.0
	v_rcp_f32_e32 v76, v75
	v_div_scale_f32 v77, vcc, 1.0, v74, 1.0
	v_fma_f32 v78, -v75, v76, 1.0
	v_fmac_f32_e32 v76, v78, v76
	v_mul_f32_e32 v78, v77, v76
	v_fma_f32 v79, -v75, v78, v77
	v_fmac_f32_e32 v78, v79, v76
	v_fma_f32 v75, -v75, v78, v77
	v_div_fmas_f32 v75, v75, v76, v78
	v_div_fixup_f32 v74, v75, v74, 1.0
.LBB122_223:
	s_or_b64 exec, exec, s[0:1]
	v_cmp_ne_u32_e32 vcc, v73, v70
	s_and_saveexec_b64 s[0:1], vcc
	s_xor_b64 s[0:1], exec, s[0:1]
	s_cbranch_execz .LBB122_229
; %bb.224:
	v_cmp_eq_u32_e32 vcc, 13, v73
	s_and_saveexec_b64 s[2:3], vcc
	s_cbranch_execz .LBB122_228
; %bb.225:
	v_cmp_ne_u32_e32 vcc, 13, v70
	s_xor_b64 s[12:13], s[20:21], -1
	s_and_b64 s[14:15], s[12:13], vcc
	s_and_saveexec_b64 s[12:13], s[14:15]
	s_cbranch_execz .LBB122_227
; %bb.226:
	v_ashrrev_i32_e32 v71, 31, v70
	v_lshl_add_u64 v[76:77], v[70:71], 2, v[4:5]
	global_load_dword v71, v[76:77], off
	global_load_dword v73, v[4:5], off offset:52
	s_waitcnt vmcnt(1)
	global_store_dword v[4:5], v71, off offset:52
	s_waitcnt vmcnt(1)
	global_store_dword v[76:77], v73, off
.LBB122_227:
	s_or_b64 exec, exec, s[12:13]
	v_mov_b32_e32 v71, v70
	v_mov_b32_e32 v73, v70
.LBB122_228:
	s_or_b64 exec, exec, s[2:3]
.LBB122_229:
	s_andn2_saveexec_b64 s[0:1], s[0:1]
	s_cbranch_execz .LBB122_231
; %bb.230:
	v_mov_b32_e32 v73, 13
	ds_write2_b32 v67, v40, v41 offset0:14 offset1:15
	ds_write2_b32 v67, v56, v57 offset0:16 offset1:17
	;; [unrolled: 1-line block ×24, first 2 shown]
.LBB122_231:
	s_or_b64 exec, exec, s[0:1]
	v_cmp_lt_i32_e32 vcc, 13, v73
	s_waitcnt lgkmcnt(0)
	s_barrier
	s_and_saveexec_b64 s[0:1], vcc
	s_cbranch_execz .LBB122_233
; %bb.232:
	v_mul_f32_e32 v70, v74, v49
	ds_read2_b32 v[74:75], v67 offset0:14 offset1:15
	v_mov_b32_e32 v49, v70
	s_waitcnt lgkmcnt(0)
	v_pk_fma_f32 v[40:41], v[70:71], v[74:75], v[40:41] op_sel_hi:[0,1,1] neg_lo:[1,0,0] neg_hi:[1,0,0]
	ds_read2_b32 v[74:75], v67 offset0:16 offset1:17
	s_waitcnt lgkmcnt(0)
	v_pk_fma_f32 v[56:57], v[70:71], v[74:75], v[56:57] op_sel_hi:[0,1,1] neg_lo:[1,0,0] neg_hi:[1,0,0]
	ds_read2_b32 v[74:75], v67 offset0:18 offset1:19
	;; [unrolled: 3-line block ×23, first 2 shown]
	s_waitcnt lgkmcnt(0)
	v_pk_fma_f32 v[8:9], v[70:71], v[74:75], v[8:9] op_sel_hi:[0,1,1] neg_lo:[1,0,0] neg_hi:[1,0,0]
.LBB122_233:
	s_or_b64 exec, exec, s[0:1]
	v_lshl_add_u32 v70, v73, 2, v67
	s_barrier
	ds_write_b32 v70, v40
	s_waitcnt lgkmcnt(0)
	s_barrier
	ds_read_b32 v74, v67 offset:56
	s_cmp_lt_i32 s22, 16
	v_mov_b32_e32 v70, 14
	s_cbranch_scc1 .LBB122_236
; %bb.234:
	v_add3_u32 v75, v72, 0, 60
	v_mov_b32_e32 v70, 14
	s_mov_b32 s0, 15
.LBB122_235:                            ; =>This Inner Loop Header: Depth=1
	ds_read_b32 v76, v75
	v_mov_b32_e32 v77, s0
	s_add_i32 s0, s0, 1
	v_add_u32_e32 v75, 4, v75
	s_cmp_lg_u32 s22, s0
	s_waitcnt lgkmcnt(0)
	v_cmp_lt_f32_e64 vcc, |v74|, |v76|
	s_nop 1
	v_cndmask_b32_e32 v74, v74, v76, vcc
	v_cndmask_b32_e32 v70, v70, v77, vcc
	s_cbranch_scc1 .LBB122_235
.LBB122_236:
	s_waitcnt lgkmcnt(0)
	v_cmp_eq_f32_e32 vcc, 0, v74
	s_and_saveexec_b64 s[0:1], vcc
	s_xor_b64 s[0:1], exec, s[0:1]
; %bb.237:
	v_cmp_ne_u32_e32 vcc, 0, v69
	s_nop 1
	v_cndmask_b32_e32 v69, 15, v69, vcc
; %bb.238:
	s_andn2_saveexec_b64 s[0:1], s[0:1]
	s_cbranch_execz .LBB122_240
; %bb.239:
	v_div_scale_f32 v75, s[2:3], v74, v74, 1.0
	v_rcp_f32_e32 v76, v75
	v_div_scale_f32 v77, vcc, 1.0, v74, 1.0
	v_fma_f32 v78, -v75, v76, 1.0
	v_fmac_f32_e32 v76, v78, v76
	v_mul_f32_e32 v78, v77, v76
	v_fma_f32 v79, -v75, v78, v77
	v_fmac_f32_e32 v78, v79, v76
	v_fma_f32 v75, -v75, v78, v77
	v_div_fmas_f32 v75, v75, v76, v78
	v_div_fixup_f32 v74, v75, v74, 1.0
.LBB122_240:
	s_or_b64 exec, exec, s[0:1]
	v_cmp_ne_u32_e32 vcc, v73, v70
	s_and_saveexec_b64 s[0:1], vcc
	s_xor_b64 s[0:1], exec, s[0:1]
	s_cbranch_execz .LBB122_246
; %bb.241:
	v_cmp_eq_u32_e32 vcc, 14, v73
	s_and_saveexec_b64 s[2:3], vcc
	s_cbranch_execz .LBB122_245
; %bb.242:
	v_cmp_ne_u32_e32 vcc, 14, v70
	s_xor_b64 s[12:13], s[20:21], -1
	s_and_b64 s[14:15], s[12:13], vcc
	s_and_saveexec_b64 s[12:13], s[14:15]
	s_cbranch_execz .LBB122_244
; %bb.243:
	v_ashrrev_i32_e32 v71, 31, v70
	v_lshl_add_u64 v[76:77], v[70:71], 2, v[4:5]
	global_load_dword v71, v[76:77], off
	global_load_dword v73, v[4:5], off offset:56
	s_waitcnt vmcnt(1)
	global_store_dword v[4:5], v71, off offset:56
	s_waitcnt vmcnt(1)
	global_store_dword v[76:77], v73, off
.LBB122_244:
	s_or_b64 exec, exec, s[12:13]
	v_mov_b32_e32 v71, v70
	v_mov_b32_e32 v73, v70
.LBB122_245:
	s_or_b64 exec, exec, s[2:3]
.LBB122_246:
	s_andn2_saveexec_b64 s[0:1], s[0:1]
	s_cbranch_execz .LBB122_248
; %bb.247:
	v_pk_mov_b32 v[76:77], v[40:41], v[56:57] op_sel:[1,0]
	ds_write2_b32 v67, v76, v77 offset0:15 offset1:16
	v_pk_mov_b32 v[76:77], v[56:57], v[50:51] op_sel:[1,0]
	ds_write2_b32 v67, v76, v77 offset0:17 offset1:18
	;; [unrolled: 2-line block ×22, first 2 shown]
	v_pk_mov_b32 v[76:77], v[12:13], v[8:9] op_sel:[1,0]
	v_mov_b32_e32 v73, 14
	ds_write2_b32 v67, v76, v77 offset0:59 offset1:60
	ds_write_b32 v67, v9 offset:244
.LBB122_248:
	s_or_b64 exec, exec, s[0:1]
	v_cmp_lt_i32_e32 vcc, 14, v73
	s_waitcnt lgkmcnt(0)
	s_barrier
	s_and_saveexec_b64 s[0:1], vcc
	s_cbranch_execz .LBB122_250
; %bb.249:
	ds_read_b32 v70, v67 offset:60
	v_mul_f32_e32 v40, v74, v40
	ds_read2_b32 v[74:75], v67 offset0:16 offset1:17
	s_waitcnt lgkmcnt(1)
	v_fma_f32 v41, -v40, v70, v41
	s_waitcnt lgkmcnt(0)
	v_pk_fma_f32 v[56:57], v[40:41], v[74:75], v[56:57] op_sel_hi:[0,1,1] neg_lo:[1,0,0] neg_hi:[1,0,0]
	ds_read2_b32 v[74:75], v67 offset0:18 offset1:19
	s_waitcnt lgkmcnt(0)
	v_pk_fma_f32 v[50:51], v[40:41], v[74:75], v[50:51] op_sel_hi:[0,1,1] neg_lo:[1,0,0] neg_hi:[1,0,0]
	ds_read2_b32 v[74:75], v67 offset0:20 offset1:21
	;; [unrolled: 3-line block ×22, first 2 shown]
	s_waitcnt lgkmcnt(0)
	v_pk_fma_f32 v[8:9], v[40:41], v[74:75], v[8:9] op_sel_hi:[0,1,1] neg_lo:[1,0,0] neg_hi:[1,0,0]
.LBB122_250:
	s_or_b64 exec, exec, s[0:1]
	v_lshl_add_u32 v70, v73, 2, v67
	s_barrier
	ds_write_b32 v70, v41
	s_waitcnt lgkmcnt(0)
	s_barrier
	ds_read_b32 v74, v67 offset:60
	s_cmp_lt_i32 s22, 17
	v_mov_b32_e32 v70, 15
	s_cbranch_scc1 .LBB122_253
; %bb.251:
	v_add3_u32 v72, v72, 0, 64
	v_mov_b32_e32 v70, 15
	s_mov_b32 s0, 16
.LBB122_252:                            ; =>This Inner Loop Header: Depth=1
	ds_read_b32 v75, v72
	v_mov_b32_e32 v76, s0
	s_add_i32 s0, s0, 1
	v_add_u32_e32 v72, 4, v72
	s_cmp_lg_u32 s22, s0
	s_waitcnt lgkmcnt(0)
	v_cmp_lt_f32_e64 vcc, |v74|, |v75|
	s_nop 1
	v_cndmask_b32_e32 v74, v74, v75, vcc
	v_cndmask_b32_e32 v70, v70, v76, vcc
	s_cbranch_scc1 .LBB122_252
.LBB122_253:
	s_waitcnt lgkmcnt(0)
	v_cmp_eq_f32_e32 vcc, 0, v74
	s_and_saveexec_b64 s[0:1], vcc
	s_xor_b64 s[0:1], exec, s[0:1]
; %bb.254:
	v_cmp_ne_u32_e32 vcc, 0, v69
	s_nop 1
	v_cndmask_b32_e32 v69, 16, v69, vcc
; %bb.255:
	s_andn2_saveexec_b64 s[0:1], s[0:1]
	s_cbranch_execz .LBB122_257
; %bb.256:
	v_div_scale_f32 v72, s[2:3], v74, v74, 1.0
	v_rcp_f32_e32 v75, v72
	v_div_scale_f32 v76, vcc, 1.0, v74, 1.0
	v_fma_f32 v77, -v72, v75, 1.0
	v_fmac_f32_e32 v75, v77, v75
	v_mul_f32_e32 v77, v76, v75
	v_fma_f32 v78, -v72, v77, v76
	v_fmac_f32_e32 v77, v78, v75
	v_fma_f32 v72, -v72, v77, v76
	v_div_fmas_f32 v72, v72, v75, v77
	v_div_fixup_f32 v74, v72, v74, 1.0
.LBB122_257:
	s_or_b64 exec, exec, s[0:1]
	v_cmp_ne_u32_e32 vcc, v73, v70
	s_and_saveexec_b64 s[0:1], vcc
	s_xor_b64 s[0:1], exec, s[0:1]
	s_cbranch_execz .LBB122_263
; %bb.258:
	v_cmp_eq_u32_e32 vcc, 15, v73
	s_and_saveexec_b64 s[2:3], vcc
	s_cbranch_execz .LBB122_262
; %bb.259:
	v_cmp_ne_u32_e32 vcc, 15, v70
	s_xor_b64 s[12:13], s[20:21], -1
	s_and_b64 s[14:15], s[12:13], vcc
	s_and_saveexec_b64 s[12:13], s[14:15]
	s_cbranch_execz .LBB122_261
; %bb.260:
	v_ashrrev_i32_e32 v71, 31, v70
	v_lshl_add_u64 v[72:73], v[70:71], 2, v[4:5]
	global_load_dword v71, v[72:73], off
	global_load_dword v75, v[4:5], off offset:60
	s_waitcnt vmcnt(1)
	global_store_dword v[4:5], v71, off offset:60
	s_waitcnt vmcnt(1)
	global_store_dword v[72:73], v75, off
.LBB122_261:
	s_or_b64 exec, exec, s[12:13]
	v_mov_b32_e32 v71, v70
	v_mov_b32_e32 v73, v70
.LBB122_262:
	s_or_b64 exec, exec, s[2:3]
.LBB122_263:
	s_andn2_saveexec_b64 s[0:1], s[0:1]
	s_cbranch_execz .LBB122_265
; %bb.264:
	v_mov_b32_e32 v73, 15
	ds_write2_b32 v67, v56, v57 offset0:16 offset1:17
	ds_write2_b32 v67, v50, v51 offset0:18 offset1:19
	;; [unrolled: 1-line block ×23, first 2 shown]
.LBB122_265:
	s_or_b64 exec, exec, s[0:1]
	v_cmp_lt_i32_e32 vcc, 15, v73
	s_waitcnt lgkmcnt(0)
	s_barrier
	s_and_saveexec_b64 s[0:1], vcc
	s_cbranch_execz .LBB122_267
; %bb.266:
	v_mul_f32_e32 v70, v74, v41
	ds_read2_b32 v[74:75], v67 offset0:16 offset1:17
	v_mov_b32_e32 v41, v70
	s_waitcnt lgkmcnt(0)
	v_pk_fma_f32 v[56:57], v[70:71], v[74:75], v[56:57] op_sel_hi:[0,1,1] neg_lo:[1,0,0] neg_hi:[1,0,0]
	ds_read2_b32 v[74:75], v67 offset0:18 offset1:19
	s_waitcnt lgkmcnt(0)
	v_pk_fma_f32 v[50:51], v[70:71], v[74:75], v[50:51] op_sel_hi:[0,1,1] neg_lo:[1,0,0] neg_hi:[1,0,0]
	ds_read2_b32 v[74:75], v67 offset0:20 offset1:21
	;; [unrolled: 3-line block ×22, first 2 shown]
	s_waitcnt lgkmcnt(0)
	v_pk_fma_f32 v[8:9], v[70:71], v[74:75], v[8:9] op_sel_hi:[0,1,1] neg_lo:[1,0,0] neg_hi:[1,0,0]
.LBB122_267:
	s_or_b64 exec, exec, s[0:1]
	v_lshl_add_u32 v70, v73, 2, v67
	s_barrier
	ds_write_b32 v70, v56
	s_waitcnt lgkmcnt(0)
	s_barrier
	ds_read_b32 v72, v67 offset:64
	s_cmp_lt_i32 s22, 18
	v_mov_b32_e32 v70, 16
	s_cbranch_scc1 .LBB122_270
; %bb.268:
	v_add_u32_e32 v74, 0x44, v67
	v_mov_b32_e32 v70, 16
	s_mov_b32 s0, 17
.LBB122_269:                            ; =>This Inner Loop Header: Depth=1
	ds_read_b32 v75, v74
	v_mov_b32_e32 v76, s0
	s_add_i32 s0, s0, 1
	v_add_u32_e32 v74, 4, v74
	s_cmp_lg_u32 s22, s0
	s_waitcnt lgkmcnt(0)
	v_cmp_lt_f32_e64 vcc, |v72|, |v75|
	s_nop 1
	v_cndmask_b32_e32 v72, v72, v75, vcc
	v_cndmask_b32_e32 v70, v70, v76, vcc
	s_cbranch_scc1 .LBB122_269
.LBB122_270:
	s_waitcnt lgkmcnt(0)
	v_cmp_eq_f32_e32 vcc, 0, v72
	s_and_saveexec_b64 s[0:1], vcc
	s_xor_b64 s[0:1], exec, s[0:1]
; %bb.271:
	v_cmp_ne_u32_e32 vcc, 0, v69
	s_nop 1
	v_cndmask_b32_e32 v69, 17, v69, vcc
; %bb.272:
	s_andn2_saveexec_b64 s[0:1], s[0:1]
	s_cbranch_execz .LBB122_274
; %bb.273:
	v_div_scale_f32 v74, s[2:3], v72, v72, 1.0
	v_rcp_f32_e32 v75, v74
	v_div_scale_f32 v76, vcc, 1.0, v72, 1.0
	v_fma_f32 v77, -v74, v75, 1.0
	v_fmac_f32_e32 v75, v77, v75
	v_mul_f32_e32 v77, v76, v75
	v_fma_f32 v78, -v74, v77, v76
	v_fmac_f32_e32 v77, v78, v75
	v_fma_f32 v74, -v74, v77, v76
	v_div_fmas_f32 v74, v74, v75, v77
	v_div_fixup_f32 v72, v74, v72, 1.0
.LBB122_274:
	s_or_b64 exec, exec, s[0:1]
	v_cmp_ne_u32_e32 vcc, v73, v70
	s_and_saveexec_b64 s[0:1], vcc
	s_xor_b64 s[0:1], exec, s[0:1]
	s_cbranch_execz .LBB122_280
; %bb.275:
	v_cmp_eq_u32_e32 vcc, 16, v73
	s_and_saveexec_b64 s[2:3], vcc
	s_cbranch_execz .LBB122_279
; %bb.276:
	v_cmp_ne_u32_e32 vcc, 16, v70
	s_xor_b64 s[12:13], s[20:21], -1
	s_and_b64 s[14:15], s[12:13], vcc
	s_and_saveexec_b64 s[12:13], s[14:15]
	s_cbranch_execz .LBB122_278
; %bb.277:
	v_ashrrev_i32_e32 v71, 31, v70
	v_lshl_add_u64 v[74:75], v[70:71], 2, v[4:5]
	global_load_dword v71, v[74:75], off
	global_load_dword v73, v[4:5], off offset:64
	s_waitcnt vmcnt(1)
	global_store_dword v[4:5], v71, off offset:64
	s_waitcnt vmcnt(1)
	global_store_dword v[74:75], v73, off
.LBB122_278:
	s_or_b64 exec, exec, s[12:13]
	v_mov_b32_e32 v71, v70
	v_mov_b32_e32 v73, v70
.LBB122_279:
	s_or_b64 exec, exec, s[2:3]
.LBB122_280:
	s_andn2_saveexec_b64 s[0:1], s[0:1]
	s_cbranch_execz .LBB122_282
; %bb.281:
	v_pk_mov_b32 v[74:75], v[56:57], v[50:51] op_sel:[1,0]
	ds_write2_b32 v67, v74, v75 offset0:17 offset1:18
	v_pk_mov_b32 v[74:75], v[50:51], v[42:43] op_sel:[1,0]
	ds_write2_b32 v67, v74, v75 offset0:19 offset1:20
	;; [unrolled: 2-line block ×21, first 2 shown]
	v_pk_mov_b32 v[74:75], v[12:13], v[8:9] op_sel:[1,0]
	v_mov_b32_e32 v73, 16
	ds_write2_b32 v67, v74, v75 offset0:59 offset1:60
	ds_write_b32 v67, v9 offset:244
.LBB122_282:
	s_or_b64 exec, exec, s[0:1]
	v_cmp_lt_i32_e32 vcc, 16, v73
	s_waitcnt lgkmcnt(0)
	s_barrier
	s_and_saveexec_b64 s[0:1], vcc
	s_cbranch_execz .LBB122_284
; %bb.283:
	ds_read_b32 v70, v67 offset:68
	ds_read2_b32 v[74:75], v67 offset0:18 offset1:19
	v_mul_f32_e32 v56, v72, v56
	s_waitcnt lgkmcnt(1)
	v_fma_f32 v57, -v56, v70, v57
	s_waitcnt lgkmcnt(0)
	v_pk_fma_f32 v[50:51], v[56:57], v[74:75], v[50:51] op_sel_hi:[0,1,1] neg_lo:[1,0,0] neg_hi:[1,0,0]
	ds_read2_b32 v[74:75], v67 offset0:20 offset1:21
	s_waitcnt lgkmcnt(0)
	v_pk_fma_f32 v[42:43], v[56:57], v[74:75], v[42:43] op_sel_hi:[0,1,1] neg_lo:[1,0,0] neg_hi:[1,0,0]
	ds_read2_b32 v[74:75], v67 offset0:22 offset1:23
	;; [unrolled: 3-line block ×21, first 2 shown]
	s_waitcnt lgkmcnt(0)
	v_pk_fma_f32 v[8:9], v[56:57], v[74:75], v[8:9] op_sel_hi:[0,1,1] neg_lo:[1,0,0] neg_hi:[1,0,0]
.LBB122_284:
	s_or_b64 exec, exec, s[0:1]
	v_lshl_add_u32 v70, v73, 2, v67
	s_barrier
	ds_write_b32 v70, v57
	s_waitcnt lgkmcnt(0)
	s_barrier
	ds_read_b32 v72, v67 offset:68
	s_cmp_lt_i32 s22, 19
	v_mov_b32_e32 v70, 17
	s_cbranch_scc1 .LBB122_287
; %bb.285:
	v_add_u32_e32 v74, 0x48, v67
	v_mov_b32_e32 v70, 17
	s_mov_b32 s0, 18
.LBB122_286:                            ; =>This Inner Loop Header: Depth=1
	ds_read_b32 v75, v74
	v_mov_b32_e32 v76, s0
	s_add_i32 s0, s0, 1
	v_add_u32_e32 v74, 4, v74
	s_cmp_lg_u32 s22, s0
	s_waitcnt lgkmcnt(0)
	v_cmp_lt_f32_e64 vcc, |v72|, |v75|
	s_nop 1
	v_cndmask_b32_e32 v72, v72, v75, vcc
	v_cndmask_b32_e32 v70, v70, v76, vcc
	s_cbranch_scc1 .LBB122_286
.LBB122_287:
	s_waitcnt lgkmcnt(0)
	v_cmp_eq_f32_e32 vcc, 0, v72
	s_and_saveexec_b64 s[0:1], vcc
	s_xor_b64 s[0:1], exec, s[0:1]
; %bb.288:
	v_cmp_ne_u32_e32 vcc, 0, v69
	s_nop 1
	v_cndmask_b32_e32 v69, 18, v69, vcc
; %bb.289:
	s_andn2_saveexec_b64 s[0:1], s[0:1]
	s_cbranch_execz .LBB122_291
; %bb.290:
	v_div_scale_f32 v74, s[2:3], v72, v72, 1.0
	v_rcp_f32_e32 v75, v74
	v_div_scale_f32 v76, vcc, 1.0, v72, 1.0
	v_fma_f32 v77, -v74, v75, 1.0
	v_fmac_f32_e32 v75, v77, v75
	v_mul_f32_e32 v77, v76, v75
	v_fma_f32 v78, -v74, v77, v76
	v_fmac_f32_e32 v77, v78, v75
	v_fma_f32 v74, -v74, v77, v76
	v_div_fmas_f32 v74, v74, v75, v77
	v_div_fixup_f32 v72, v74, v72, 1.0
.LBB122_291:
	s_or_b64 exec, exec, s[0:1]
	v_cmp_ne_u32_e32 vcc, v73, v70
	s_and_saveexec_b64 s[0:1], vcc
	s_xor_b64 s[0:1], exec, s[0:1]
	s_cbranch_execz .LBB122_297
; %bb.292:
	v_cmp_eq_u32_e32 vcc, 17, v73
	s_and_saveexec_b64 s[2:3], vcc
	s_cbranch_execz .LBB122_296
; %bb.293:
	v_cmp_ne_u32_e32 vcc, 17, v70
	s_xor_b64 s[12:13], s[20:21], -1
	s_and_b64 s[14:15], s[12:13], vcc
	s_and_saveexec_b64 s[12:13], s[14:15]
	s_cbranch_execz .LBB122_295
; %bb.294:
	v_ashrrev_i32_e32 v71, 31, v70
	v_lshl_add_u64 v[74:75], v[70:71], 2, v[4:5]
	global_load_dword v71, v[74:75], off
	global_load_dword v73, v[4:5], off offset:68
	s_waitcnt vmcnt(1)
	global_store_dword v[4:5], v71, off offset:68
	s_waitcnt vmcnt(1)
	global_store_dword v[74:75], v73, off
.LBB122_295:
	s_or_b64 exec, exec, s[12:13]
	v_mov_b32_e32 v71, v70
	v_mov_b32_e32 v73, v70
.LBB122_296:
	s_or_b64 exec, exec, s[2:3]
.LBB122_297:
	s_andn2_saveexec_b64 s[0:1], s[0:1]
	s_cbranch_execz .LBB122_299
; %bb.298:
	v_mov_b32_e32 v73, 17
	ds_write2_b32 v67, v50, v51 offset0:18 offset1:19
	ds_write2_b32 v67, v42, v43 offset0:20 offset1:21
	;; [unrolled: 1-line block ×22, first 2 shown]
.LBB122_299:
	s_or_b64 exec, exec, s[0:1]
	v_cmp_lt_i32_e32 vcc, 17, v73
	s_waitcnt lgkmcnt(0)
	s_barrier
	s_and_saveexec_b64 s[0:1], vcc
	s_cbranch_execz .LBB122_301
; %bb.300:
	ds_read2_b32 v[74:75], v67 offset0:18 offset1:19
	v_mul_f32_e32 v70, v72, v57
	v_mov_b32_e32 v57, v70
	s_waitcnt lgkmcnt(0)
	v_pk_fma_f32 v[50:51], v[70:71], v[74:75], v[50:51] op_sel_hi:[0,1,1] neg_lo:[1,0,0] neg_hi:[1,0,0]
	ds_read2_b32 v[74:75], v67 offset0:20 offset1:21
	s_waitcnt lgkmcnt(0)
	v_pk_fma_f32 v[42:43], v[70:71], v[74:75], v[42:43] op_sel_hi:[0,1,1] neg_lo:[1,0,0] neg_hi:[1,0,0]
	ds_read2_b32 v[74:75], v67 offset0:22 offset1:23
	s_waitcnt lgkmcnt(0)
	v_pk_fma_f32 v[32:33], v[70:71], v[74:75], v[32:33] op_sel_hi:[0,1,1] neg_lo:[1,0,0] neg_hi:[1,0,0]
	ds_read2_b32 v[74:75], v67 offset0:24 offset1:25
	s_waitcnt lgkmcnt(0)
	v_pk_fma_f32 v[52:53], v[70:71], v[74:75], v[52:53] op_sel_hi:[0,1,1] neg_lo:[1,0,0] neg_hi:[1,0,0]
	ds_read2_b32 v[74:75], v67 offset0:26 offset1:27
	s_waitcnt lgkmcnt(0)
	v_pk_fma_f32 v[44:45], v[70:71], v[74:75], v[44:45] op_sel_hi:[0,1,1] neg_lo:[1,0,0] neg_hi:[1,0,0]
	ds_read2_b32 v[74:75], v67 offset0:28 offset1:29
	s_waitcnt lgkmcnt(0)
	v_pk_fma_f32 v[34:35], v[70:71], v[74:75], v[34:35] op_sel_hi:[0,1,1] neg_lo:[1,0,0] neg_hi:[1,0,0]
	ds_read2_b32 v[74:75], v67 offset0:30 offset1:31
	s_waitcnt lgkmcnt(0)
	v_pk_fma_f32 v[24:25], v[70:71], v[74:75], v[24:25] op_sel_hi:[0,1,1] neg_lo:[1,0,0] neg_hi:[1,0,0]
	ds_read2_b32 v[74:75], v67 offset0:32 offset1:33
	s_waitcnt lgkmcnt(0)
	v_pk_fma_f32 v[46:47], v[70:71], v[74:75], v[46:47] op_sel_hi:[0,1,1] neg_lo:[1,0,0] neg_hi:[1,0,0]
	ds_read2_b32 v[74:75], v67 offset0:34 offset1:35
	s_waitcnt lgkmcnt(0)
	v_pk_fma_f32 v[36:37], v[70:71], v[74:75], v[36:37] op_sel_hi:[0,1,1] neg_lo:[1,0,0] neg_hi:[1,0,0]
	ds_read2_b32 v[74:75], v67 offset0:36 offset1:37
	s_waitcnt lgkmcnt(0)
	v_pk_fma_f32 v[26:27], v[70:71], v[74:75], v[26:27] op_sel_hi:[0,1,1] neg_lo:[1,0,0] neg_hi:[1,0,0]
	ds_read2_b32 v[74:75], v67 offset0:38 offset1:39
	s_waitcnt lgkmcnt(0)
	v_pk_fma_f32 v[18:19], v[70:71], v[74:75], v[18:19] op_sel_hi:[0,1,1] neg_lo:[1,0,0] neg_hi:[1,0,0]
	ds_read2_b32 v[74:75], v67 offset0:40 offset1:41
	s_waitcnt lgkmcnt(0)
	v_pk_fma_f32 v[38:39], v[70:71], v[74:75], v[38:39] op_sel_hi:[0,1,1] neg_lo:[1,0,0] neg_hi:[1,0,0]
	ds_read2_b32 v[74:75], v67 offset0:42 offset1:43
	s_waitcnt lgkmcnt(0)
	v_pk_fma_f32 v[28:29], v[70:71], v[74:75], v[28:29] op_sel_hi:[0,1,1] neg_lo:[1,0,0] neg_hi:[1,0,0]
	ds_read2_b32 v[74:75], v67 offset0:44 offset1:45
	s_waitcnt lgkmcnt(0)
	v_pk_fma_f32 v[20:21], v[70:71], v[74:75], v[20:21] op_sel_hi:[0,1,1] neg_lo:[1,0,0] neg_hi:[1,0,0]
	ds_read2_b32 v[74:75], v67 offset0:46 offset1:47
	s_waitcnt lgkmcnt(0)
	v_pk_fma_f32 v[14:15], v[70:71], v[74:75], v[14:15] op_sel_hi:[0,1,1] neg_lo:[1,0,0] neg_hi:[1,0,0]
	ds_read2_b32 v[74:75], v67 offset0:48 offset1:49
	s_waitcnt lgkmcnt(0)
	v_pk_fma_f32 v[30:31], v[70:71], v[74:75], v[30:31] op_sel_hi:[0,1,1] neg_lo:[1,0,0] neg_hi:[1,0,0]
	ds_read2_b32 v[74:75], v67 offset0:50 offset1:51
	s_waitcnt lgkmcnt(0)
	v_pk_fma_f32 v[22:23], v[70:71], v[74:75], v[22:23] op_sel_hi:[0,1,1] neg_lo:[1,0,0] neg_hi:[1,0,0]
	ds_read2_b32 v[74:75], v67 offset0:52 offset1:53
	s_waitcnt lgkmcnt(0)
	v_pk_fma_f32 v[16:17], v[70:71], v[74:75], v[16:17] op_sel_hi:[0,1,1] neg_lo:[1,0,0] neg_hi:[1,0,0]
	ds_read2_b32 v[74:75], v67 offset0:54 offset1:55
	s_waitcnt lgkmcnt(0)
	v_pk_fma_f32 v[0:1], v[70:71], v[74:75], v[0:1] op_sel_hi:[0,1,1] neg_lo:[1,0,0] neg_hi:[1,0,0]
	ds_read2_b32 v[74:75], v67 offset0:56 offset1:57
	s_waitcnt lgkmcnt(0)
	v_pk_fma_f32 v[10:11], v[70:71], v[74:75], v[10:11] op_sel_hi:[0,1,1] neg_lo:[1,0,0] neg_hi:[1,0,0]
	ds_read2_b32 v[74:75], v67 offset0:58 offset1:59
	s_waitcnt lgkmcnt(0)
	v_pk_fma_f32 v[12:13], v[70:71], v[74:75], v[12:13] op_sel_hi:[0,1,1] neg_lo:[1,0,0] neg_hi:[1,0,0]
	ds_read2_b32 v[74:75], v67 offset0:60 offset1:61
	s_waitcnt lgkmcnt(0)
	v_pk_fma_f32 v[8:9], v[70:71], v[74:75], v[8:9] op_sel_hi:[0,1,1] neg_lo:[1,0,0] neg_hi:[1,0,0]
.LBB122_301:
	s_or_b64 exec, exec, s[0:1]
	v_lshl_add_u32 v70, v73, 2, v67
	s_barrier
	ds_write_b32 v70, v50
	s_waitcnt lgkmcnt(0)
	s_barrier
	ds_read_b32 v72, v67 offset:72
	s_cmp_lt_i32 s22, 20
	v_mov_b32_e32 v70, 18
	s_cbranch_scc1 .LBB122_304
; %bb.302:
	v_add_u32_e32 v74, 0x4c, v67
	v_mov_b32_e32 v70, 18
	s_mov_b32 s0, 19
.LBB122_303:                            ; =>This Inner Loop Header: Depth=1
	ds_read_b32 v75, v74
	v_mov_b32_e32 v76, s0
	s_add_i32 s0, s0, 1
	v_add_u32_e32 v74, 4, v74
	s_cmp_lg_u32 s22, s0
	s_waitcnt lgkmcnt(0)
	v_cmp_lt_f32_e64 vcc, |v72|, |v75|
	s_nop 1
	v_cndmask_b32_e32 v72, v72, v75, vcc
	v_cndmask_b32_e32 v70, v70, v76, vcc
	s_cbranch_scc1 .LBB122_303
.LBB122_304:
	s_waitcnt lgkmcnt(0)
	v_cmp_eq_f32_e32 vcc, 0, v72
	s_and_saveexec_b64 s[0:1], vcc
	s_xor_b64 s[0:1], exec, s[0:1]
; %bb.305:
	v_cmp_ne_u32_e32 vcc, 0, v69
	s_nop 1
	v_cndmask_b32_e32 v69, 19, v69, vcc
; %bb.306:
	s_andn2_saveexec_b64 s[0:1], s[0:1]
	s_cbranch_execz .LBB122_308
; %bb.307:
	v_div_scale_f32 v74, s[2:3], v72, v72, 1.0
	v_rcp_f32_e32 v75, v74
	v_div_scale_f32 v76, vcc, 1.0, v72, 1.0
	v_fma_f32 v77, -v74, v75, 1.0
	v_fmac_f32_e32 v75, v77, v75
	v_mul_f32_e32 v77, v76, v75
	v_fma_f32 v78, -v74, v77, v76
	v_fmac_f32_e32 v77, v78, v75
	v_fma_f32 v74, -v74, v77, v76
	v_div_fmas_f32 v74, v74, v75, v77
	v_div_fixup_f32 v72, v74, v72, 1.0
.LBB122_308:
	s_or_b64 exec, exec, s[0:1]
	v_cmp_ne_u32_e32 vcc, v73, v70
	s_and_saveexec_b64 s[0:1], vcc
	s_xor_b64 s[0:1], exec, s[0:1]
	s_cbranch_execz .LBB122_314
; %bb.309:
	v_cmp_eq_u32_e32 vcc, 18, v73
	s_and_saveexec_b64 s[2:3], vcc
	s_cbranch_execz .LBB122_313
; %bb.310:
	v_cmp_ne_u32_e32 vcc, 18, v70
	s_xor_b64 s[12:13], s[20:21], -1
	s_and_b64 s[14:15], s[12:13], vcc
	s_and_saveexec_b64 s[12:13], s[14:15]
	s_cbranch_execz .LBB122_312
; %bb.311:
	v_ashrrev_i32_e32 v71, 31, v70
	v_lshl_add_u64 v[74:75], v[70:71], 2, v[4:5]
	global_load_dword v71, v[74:75], off
	global_load_dword v73, v[4:5], off offset:72
	s_waitcnt vmcnt(1)
	global_store_dword v[4:5], v71, off offset:72
	s_waitcnt vmcnt(1)
	global_store_dword v[74:75], v73, off
.LBB122_312:
	s_or_b64 exec, exec, s[12:13]
	v_mov_b32_e32 v71, v70
	v_mov_b32_e32 v73, v70
.LBB122_313:
	s_or_b64 exec, exec, s[2:3]
.LBB122_314:
	s_andn2_saveexec_b64 s[0:1], s[0:1]
	s_cbranch_execz .LBB122_316
; %bb.315:
	v_pk_mov_b32 v[74:75], v[50:51], v[42:43] op_sel:[1,0]
	ds_write2_b32 v67, v74, v75 offset0:19 offset1:20
	v_pk_mov_b32 v[74:75], v[42:43], v[32:33] op_sel:[1,0]
	ds_write2_b32 v67, v74, v75 offset0:21 offset1:22
	;; [unrolled: 2-line block ×20, first 2 shown]
	v_pk_mov_b32 v[74:75], v[12:13], v[8:9] op_sel:[1,0]
	v_mov_b32_e32 v73, 18
	ds_write2_b32 v67, v74, v75 offset0:59 offset1:60
	ds_write_b32 v67, v9 offset:244
.LBB122_316:
	s_or_b64 exec, exec, s[0:1]
	v_cmp_lt_i32_e32 vcc, 18, v73
	s_waitcnt lgkmcnt(0)
	s_barrier
	s_and_saveexec_b64 s[0:1], vcc
	s_cbranch_execz .LBB122_318
; %bb.317:
	ds_read_b32 v70, v67 offset:76
	ds_read2_b32 v[74:75], v67 offset0:20 offset1:21
	v_mul_f32_e32 v50, v72, v50
	s_waitcnt lgkmcnt(1)
	v_fma_f32 v51, -v50, v70, v51
	s_waitcnt lgkmcnt(0)
	v_pk_fma_f32 v[42:43], v[50:51], v[74:75], v[42:43] op_sel_hi:[0,1,1] neg_lo:[1,0,0] neg_hi:[1,0,0]
	ds_read2_b32 v[74:75], v67 offset0:22 offset1:23
	s_waitcnt lgkmcnt(0)
	v_pk_fma_f32 v[32:33], v[50:51], v[74:75], v[32:33] op_sel_hi:[0,1,1] neg_lo:[1,0,0] neg_hi:[1,0,0]
	ds_read2_b32 v[74:75], v67 offset0:24 offset1:25
	;; [unrolled: 3-line block ×20, first 2 shown]
	s_waitcnt lgkmcnt(0)
	v_pk_fma_f32 v[8:9], v[50:51], v[74:75], v[8:9] op_sel_hi:[0,1,1] neg_lo:[1,0,0] neg_hi:[1,0,0]
.LBB122_318:
	s_or_b64 exec, exec, s[0:1]
	v_lshl_add_u32 v70, v73, 2, v67
	s_barrier
	ds_write_b32 v70, v51
	s_waitcnt lgkmcnt(0)
	s_barrier
	ds_read_b32 v72, v67 offset:76
	s_cmp_lt_i32 s22, 21
	v_mov_b32_e32 v70, 19
	s_cbranch_scc1 .LBB122_321
; %bb.319:
	v_add_u32_e32 v74, 0x50, v67
	v_mov_b32_e32 v70, 19
	s_mov_b32 s0, 20
.LBB122_320:                            ; =>This Inner Loop Header: Depth=1
	ds_read_b32 v75, v74
	v_mov_b32_e32 v76, s0
	s_add_i32 s0, s0, 1
	v_add_u32_e32 v74, 4, v74
	s_cmp_lg_u32 s22, s0
	s_waitcnt lgkmcnt(0)
	v_cmp_lt_f32_e64 vcc, |v72|, |v75|
	s_nop 1
	v_cndmask_b32_e32 v72, v72, v75, vcc
	v_cndmask_b32_e32 v70, v70, v76, vcc
	s_cbranch_scc1 .LBB122_320
.LBB122_321:
	s_waitcnt lgkmcnt(0)
	v_cmp_eq_f32_e32 vcc, 0, v72
	s_and_saveexec_b64 s[0:1], vcc
	s_xor_b64 s[0:1], exec, s[0:1]
; %bb.322:
	v_cmp_ne_u32_e32 vcc, 0, v69
	s_nop 1
	v_cndmask_b32_e32 v69, 20, v69, vcc
; %bb.323:
	s_andn2_saveexec_b64 s[0:1], s[0:1]
	s_cbranch_execz .LBB122_325
; %bb.324:
	v_div_scale_f32 v74, s[2:3], v72, v72, 1.0
	v_rcp_f32_e32 v75, v74
	v_div_scale_f32 v76, vcc, 1.0, v72, 1.0
	v_fma_f32 v77, -v74, v75, 1.0
	v_fmac_f32_e32 v75, v77, v75
	v_mul_f32_e32 v77, v76, v75
	v_fma_f32 v78, -v74, v77, v76
	v_fmac_f32_e32 v77, v78, v75
	v_fma_f32 v74, -v74, v77, v76
	v_div_fmas_f32 v74, v74, v75, v77
	v_div_fixup_f32 v72, v74, v72, 1.0
.LBB122_325:
	s_or_b64 exec, exec, s[0:1]
	v_cmp_ne_u32_e32 vcc, v73, v70
	s_and_saveexec_b64 s[0:1], vcc
	s_xor_b64 s[0:1], exec, s[0:1]
	s_cbranch_execz .LBB122_331
; %bb.326:
	v_cmp_eq_u32_e32 vcc, 19, v73
	s_and_saveexec_b64 s[2:3], vcc
	s_cbranch_execz .LBB122_330
; %bb.327:
	v_cmp_ne_u32_e32 vcc, 19, v70
	s_xor_b64 s[12:13], s[20:21], -1
	s_and_b64 s[14:15], s[12:13], vcc
	s_and_saveexec_b64 s[12:13], s[14:15]
	s_cbranch_execz .LBB122_329
; %bb.328:
	v_ashrrev_i32_e32 v71, 31, v70
	v_lshl_add_u64 v[74:75], v[70:71], 2, v[4:5]
	global_load_dword v71, v[74:75], off
	global_load_dword v73, v[4:5], off offset:76
	s_waitcnt vmcnt(1)
	global_store_dword v[4:5], v71, off offset:76
	s_waitcnt vmcnt(1)
	global_store_dword v[74:75], v73, off
.LBB122_329:
	s_or_b64 exec, exec, s[12:13]
	v_mov_b32_e32 v71, v70
	v_mov_b32_e32 v73, v70
.LBB122_330:
	s_or_b64 exec, exec, s[2:3]
.LBB122_331:
	s_andn2_saveexec_b64 s[0:1], s[0:1]
	s_cbranch_execz .LBB122_333
; %bb.332:
	v_mov_b32_e32 v73, 19
	ds_write2_b32 v67, v42, v43 offset0:20 offset1:21
	ds_write2_b32 v67, v32, v33 offset0:22 offset1:23
	;; [unrolled: 1-line block ×21, first 2 shown]
.LBB122_333:
	s_or_b64 exec, exec, s[0:1]
	v_cmp_lt_i32_e32 vcc, 19, v73
	s_waitcnt lgkmcnt(0)
	s_barrier
	s_and_saveexec_b64 s[0:1], vcc
	s_cbranch_execz .LBB122_335
; %bb.334:
	ds_read2_b32 v[74:75], v67 offset0:20 offset1:21
	v_mul_f32_e32 v70, v72, v51
	v_mov_b32_e32 v51, v70
	s_waitcnt lgkmcnt(0)
	v_pk_fma_f32 v[42:43], v[70:71], v[74:75], v[42:43] op_sel_hi:[0,1,1] neg_lo:[1,0,0] neg_hi:[1,0,0]
	ds_read2_b32 v[74:75], v67 offset0:22 offset1:23
	s_waitcnt lgkmcnt(0)
	v_pk_fma_f32 v[32:33], v[70:71], v[74:75], v[32:33] op_sel_hi:[0,1,1] neg_lo:[1,0,0] neg_hi:[1,0,0]
	ds_read2_b32 v[74:75], v67 offset0:24 offset1:25
	;; [unrolled: 3-line block ×20, first 2 shown]
	s_waitcnt lgkmcnt(0)
	v_pk_fma_f32 v[8:9], v[70:71], v[74:75], v[8:9] op_sel_hi:[0,1,1] neg_lo:[1,0,0] neg_hi:[1,0,0]
.LBB122_335:
	s_or_b64 exec, exec, s[0:1]
	v_lshl_add_u32 v70, v73, 2, v67
	s_barrier
	ds_write_b32 v70, v42
	s_waitcnt lgkmcnt(0)
	s_barrier
	ds_read_b32 v72, v67 offset:80
	s_cmp_lt_i32 s22, 22
	v_mov_b32_e32 v70, 20
	s_cbranch_scc1 .LBB122_338
; %bb.336:
	v_add_u32_e32 v74, 0x54, v67
	v_mov_b32_e32 v70, 20
	s_mov_b32 s0, 21
.LBB122_337:                            ; =>This Inner Loop Header: Depth=1
	ds_read_b32 v75, v74
	v_mov_b32_e32 v76, s0
	s_add_i32 s0, s0, 1
	v_add_u32_e32 v74, 4, v74
	s_cmp_lg_u32 s22, s0
	s_waitcnt lgkmcnt(0)
	v_cmp_lt_f32_e64 vcc, |v72|, |v75|
	s_nop 1
	v_cndmask_b32_e32 v72, v72, v75, vcc
	v_cndmask_b32_e32 v70, v70, v76, vcc
	s_cbranch_scc1 .LBB122_337
.LBB122_338:
	s_waitcnt lgkmcnt(0)
	v_cmp_eq_f32_e32 vcc, 0, v72
	s_and_saveexec_b64 s[0:1], vcc
	s_xor_b64 s[0:1], exec, s[0:1]
; %bb.339:
	v_cmp_ne_u32_e32 vcc, 0, v69
	s_nop 1
	v_cndmask_b32_e32 v69, 21, v69, vcc
; %bb.340:
	s_andn2_saveexec_b64 s[0:1], s[0:1]
	s_cbranch_execz .LBB122_342
; %bb.341:
	v_div_scale_f32 v74, s[2:3], v72, v72, 1.0
	v_rcp_f32_e32 v75, v74
	v_div_scale_f32 v76, vcc, 1.0, v72, 1.0
	v_fma_f32 v77, -v74, v75, 1.0
	v_fmac_f32_e32 v75, v77, v75
	v_mul_f32_e32 v77, v76, v75
	v_fma_f32 v78, -v74, v77, v76
	v_fmac_f32_e32 v77, v78, v75
	v_fma_f32 v74, -v74, v77, v76
	v_div_fmas_f32 v74, v74, v75, v77
	v_div_fixup_f32 v72, v74, v72, 1.0
.LBB122_342:
	s_or_b64 exec, exec, s[0:1]
	v_cmp_ne_u32_e32 vcc, v73, v70
	s_and_saveexec_b64 s[0:1], vcc
	s_xor_b64 s[0:1], exec, s[0:1]
	s_cbranch_execz .LBB122_348
; %bb.343:
	v_cmp_eq_u32_e32 vcc, 20, v73
	s_and_saveexec_b64 s[2:3], vcc
	s_cbranch_execz .LBB122_347
; %bb.344:
	v_cmp_ne_u32_e32 vcc, 20, v70
	s_xor_b64 s[12:13], s[20:21], -1
	s_and_b64 s[14:15], s[12:13], vcc
	s_and_saveexec_b64 s[12:13], s[14:15]
	s_cbranch_execz .LBB122_346
; %bb.345:
	v_ashrrev_i32_e32 v71, 31, v70
	v_lshl_add_u64 v[74:75], v[70:71], 2, v[4:5]
	global_load_dword v71, v[74:75], off
	global_load_dword v73, v[4:5], off offset:80
	s_waitcnt vmcnt(1)
	global_store_dword v[4:5], v71, off offset:80
	s_waitcnt vmcnt(1)
	global_store_dword v[74:75], v73, off
.LBB122_346:
	s_or_b64 exec, exec, s[12:13]
	v_mov_b32_e32 v71, v70
	v_mov_b32_e32 v73, v70
.LBB122_347:
	s_or_b64 exec, exec, s[2:3]
.LBB122_348:
	s_andn2_saveexec_b64 s[0:1], s[0:1]
	s_cbranch_execz .LBB122_350
; %bb.349:
	v_pk_mov_b32 v[74:75], v[42:43], v[32:33] op_sel:[1,0]
	ds_write2_b32 v67, v74, v75 offset0:21 offset1:22
	v_pk_mov_b32 v[74:75], v[32:33], v[52:53] op_sel:[1,0]
	ds_write2_b32 v67, v74, v75 offset0:23 offset1:24
	;; [unrolled: 2-line block ×19, first 2 shown]
	v_pk_mov_b32 v[74:75], v[12:13], v[8:9] op_sel:[1,0]
	v_mov_b32_e32 v73, 20
	ds_write2_b32 v67, v74, v75 offset0:59 offset1:60
	ds_write_b32 v67, v9 offset:244
.LBB122_350:
	s_or_b64 exec, exec, s[0:1]
	v_cmp_lt_i32_e32 vcc, 20, v73
	s_waitcnt lgkmcnt(0)
	s_barrier
	s_and_saveexec_b64 s[0:1], vcc
	s_cbranch_execz .LBB122_352
; %bb.351:
	ds_read_b32 v70, v67 offset:84
	ds_read2_b32 v[74:75], v67 offset0:22 offset1:23
	v_mul_f32_e32 v42, v72, v42
	s_waitcnt lgkmcnt(1)
	v_fma_f32 v43, -v42, v70, v43
	s_waitcnt lgkmcnt(0)
	v_pk_fma_f32 v[32:33], v[42:43], v[74:75], v[32:33] op_sel_hi:[0,1,1] neg_lo:[1,0,0] neg_hi:[1,0,0]
	ds_read2_b32 v[74:75], v67 offset0:24 offset1:25
	s_waitcnt lgkmcnt(0)
	v_pk_fma_f32 v[52:53], v[42:43], v[74:75], v[52:53] op_sel_hi:[0,1,1] neg_lo:[1,0,0] neg_hi:[1,0,0]
	ds_read2_b32 v[74:75], v67 offset0:26 offset1:27
	;; [unrolled: 3-line block ×19, first 2 shown]
	s_waitcnt lgkmcnt(0)
	v_pk_fma_f32 v[8:9], v[42:43], v[74:75], v[8:9] op_sel_hi:[0,1,1] neg_lo:[1,0,0] neg_hi:[1,0,0]
.LBB122_352:
	s_or_b64 exec, exec, s[0:1]
	v_lshl_add_u32 v70, v73, 2, v67
	s_barrier
	ds_write_b32 v70, v43
	s_waitcnt lgkmcnt(0)
	s_barrier
	ds_read_b32 v72, v67 offset:84
	s_cmp_lt_i32 s22, 23
	v_mov_b32_e32 v70, 21
	s_cbranch_scc1 .LBB122_355
; %bb.353:
	v_add_u32_e32 v74, 0x58, v67
	v_mov_b32_e32 v70, 21
	s_mov_b32 s0, 22
.LBB122_354:                            ; =>This Inner Loop Header: Depth=1
	ds_read_b32 v75, v74
	v_mov_b32_e32 v76, s0
	s_add_i32 s0, s0, 1
	v_add_u32_e32 v74, 4, v74
	s_cmp_lg_u32 s22, s0
	s_waitcnt lgkmcnt(0)
	v_cmp_lt_f32_e64 vcc, |v72|, |v75|
	s_nop 1
	v_cndmask_b32_e32 v72, v72, v75, vcc
	v_cndmask_b32_e32 v70, v70, v76, vcc
	s_cbranch_scc1 .LBB122_354
.LBB122_355:
	s_waitcnt lgkmcnt(0)
	v_cmp_eq_f32_e32 vcc, 0, v72
	s_and_saveexec_b64 s[0:1], vcc
	s_xor_b64 s[0:1], exec, s[0:1]
; %bb.356:
	v_cmp_ne_u32_e32 vcc, 0, v69
	s_nop 1
	v_cndmask_b32_e32 v69, 22, v69, vcc
; %bb.357:
	s_andn2_saveexec_b64 s[0:1], s[0:1]
	s_cbranch_execz .LBB122_359
; %bb.358:
	v_div_scale_f32 v74, s[2:3], v72, v72, 1.0
	v_rcp_f32_e32 v75, v74
	v_div_scale_f32 v76, vcc, 1.0, v72, 1.0
	v_fma_f32 v77, -v74, v75, 1.0
	v_fmac_f32_e32 v75, v77, v75
	v_mul_f32_e32 v77, v76, v75
	v_fma_f32 v78, -v74, v77, v76
	v_fmac_f32_e32 v77, v78, v75
	v_fma_f32 v74, -v74, v77, v76
	v_div_fmas_f32 v74, v74, v75, v77
	v_div_fixup_f32 v72, v74, v72, 1.0
.LBB122_359:
	s_or_b64 exec, exec, s[0:1]
	v_cmp_ne_u32_e32 vcc, v73, v70
	s_and_saveexec_b64 s[0:1], vcc
	s_xor_b64 s[0:1], exec, s[0:1]
	s_cbranch_execz .LBB122_365
; %bb.360:
	v_cmp_eq_u32_e32 vcc, 21, v73
	s_and_saveexec_b64 s[2:3], vcc
	s_cbranch_execz .LBB122_364
; %bb.361:
	v_cmp_ne_u32_e32 vcc, 21, v70
	s_xor_b64 s[12:13], s[20:21], -1
	s_and_b64 s[14:15], s[12:13], vcc
	s_and_saveexec_b64 s[12:13], s[14:15]
	s_cbranch_execz .LBB122_363
; %bb.362:
	v_ashrrev_i32_e32 v71, 31, v70
	v_lshl_add_u64 v[74:75], v[70:71], 2, v[4:5]
	global_load_dword v71, v[74:75], off
	global_load_dword v73, v[4:5], off offset:84
	s_waitcnt vmcnt(1)
	global_store_dword v[4:5], v71, off offset:84
	s_waitcnt vmcnt(1)
	global_store_dword v[74:75], v73, off
.LBB122_363:
	s_or_b64 exec, exec, s[12:13]
	v_mov_b32_e32 v71, v70
	v_mov_b32_e32 v73, v70
.LBB122_364:
	s_or_b64 exec, exec, s[2:3]
.LBB122_365:
	s_andn2_saveexec_b64 s[0:1], s[0:1]
	s_cbranch_execz .LBB122_367
; %bb.366:
	v_mov_b32_e32 v73, 21
	ds_write2_b32 v67, v32, v33 offset0:22 offset1:23
	ds_write2_b32 v67, v52, v53 offset0:24 offset1:25
	;; [unrolled: 1-line block ×20, first 2 shown]
.LBB122_367:
	s_or_b64 exec, exec, s[0:1]
	v_cmp_lt_i32_e32 vcc, 21, v73
	s_waitcnt lgkmcnt(0)
	s_barrier
	s_and_saveexec_b64 s[0:1], vcc
	s_cbranch_execz .LBB122_369
; %bb.368:
	ds_read2_b32 v[74:75], v67 offset0:22 offset1:23
	v_mul_f32_e32 v70, v72, v43
	v_mov_b32_e32 v43, v70
	s_waitcnt lgkmcnt(0)
	v_pk_fma_f32 v[32:33], v[70:71], v[74:75], v[32:33] op_sel_hi:[0,1,1] neg_lo:[1,0,0] neg_hi:[1,0,0]
	ds_read2_b32 v[74:75], v67 offset0:24 offset1:25
	s_waitcnt lgkmcnt(0)
	v_pk_fma_f32 v[52:53], v[70:71], v[74:75], v[52:53] op_sel_hi:[0,1,1] neg_lo:[1,0,0] neg_hi:[1,0,0]
	ds_read2_b32 v[74:75], v67 offset0:26 offset1:27
	;; [unrolled: 3-line block ×19, first 2 shown]
	s_waitcnt lgkmcnt(0)
	v_pk_fma_f32 v[8:9], v[70:71], v[74:75], v[8:9] op_sel_hi:[0,1,1] neg_lo:[1,0,0] neg_hi:[1,0,0]
.LBB122_369:
	s_or_b64 exec, exec, s[0:1]
	v_lshl_add_u32 v70, v73, 2, v67
	s_barrier
	ds_write_b32 v70, v32
	s_waitcnt lgkmcnt(0)
	s_barrier
	ds_read_b32 v72, v67 offset:88
	s_cmp_lt_i32 s22, 24
	v_mov_b32_e32 v70, 22
	s_cbranch_scc1 .LBB122_372
; %bb.370:
	v_add_u32_e32 v74, 0x5c, v67
	v_mov_b32_e32 v70, 22
	s_mov_b32 s0, 23
.LBB122_371:                            ; =>This Inner Loop Header: Depth=1
	ds_read_b32 v75, v74
	v_mov_b32_e32 v76, s0
	s_add_i32 s0, s0, 1
	v_add_u32_e32 v74, 4, v74
	s_cmp_lg_u32 s22, s0
	s_waitcnt lgkmcnt(0)
	v_cmp_lt_f32_e64 vcc, |v72|, |v75|
	s_nop 1
	v_cndmask_b32_e32 v72, v72, v75, vcc
	v_cndmask_b32_e32 v70, v70, v76, vcc
	s_cbranch_scc1 .LBB122_371
.LBB122_372:
	s_waitcnt lgkmcnt(0)
	v_cmp_eq_f32_e32 vcc, 0, v72
	s_and_saveexec_b64 s[0:1], vcc
	s_xor_b64 s[0:1], exec, s[0:1]
; %bb.373:
	v_cmp_ne_u32_e32 vcc, 0, v69
	s_nop 1
	v_cndmask_b32_e32 v69, 23, v69, vcc
; %bb.374:
	s_andn2_saveexec_b64 s[0:1], s[0:1]
	s_cbranch_execz .LBB122_376
; %bb.375:
	v_div_scale_f32 v74, s[2:3], v72, v72, 1.0
	v_rcp_f32_e32 v75, v74
	v_div_scale_f32 v76, vcc, 1.0, v72, 1.0
	v_fma_f32 v77, -v74, v75, 1.0
	v_fmac_f32_e32 v75, v77, v75
	v_mul_f32_e32 v77, v76, v75
	v_fma_f32 v78, -v74, v77, v76
	v_fmac_f32_e32 v77, v78, v75
	v_fma_f32 v74, -v74, v77, v76
	v_div_fmas_f32 v74, v74, v75, v77
	v_div_fixup_f32 v72, v74, v72, 1.0
.LBB122_376:
	s_or_b64 exec, exec, s[0:1]
	v_cmp_ne_u32_e32 vcc, v73, v70
	s_and_saveexec_b64 s[0:1], vcc
	s_xor_b64 s[0:1], exec, s[0:1]
	s_cbranch_execz .LBB122_382
; %bb.377:
	v_cmp_eq_u32_e32 vcc, 22, v73
	s_and_saveexec_b64 s[2:3], vcc
	s_cbranch_execz .LBB122_381
; %bb.378:
	v_cmp_ne_u32_e32 vcc, 22, v70
	s_xor_b64 s[12:13], s[20:21], -1
	s_and_b64 s[14:15], s[12:13], vcc
	s_and_saveexec_b64 s[12:13], s[14:15]
	s_cbranch_execz .LBB122_380
; %bb.379:
	v_ashrrev_i32_e32 v71, 31, v70
	v_lshl_add_u64 v[74:75], v[70:71], 2, v[4:5]
	global_load_dword v71, v[74:75], off
	global_load_dword v73, v[4:5], off offset:88
	s_waitcnt vmcnt(1)
	global_store_dword v[4:5], v71, off offset:88
	s_waitcnt vmcnt(1)
	global_store_dword v[74:75], v73, off
.LBB122_380:
	s_or_b64 exec, exec, s[12:13]
	v_mov_b32_e32 v71, v70
	v_mov_b32_e32 v73, v70
.LBB122_381:
	s_or_b64 exec, exec, s[2:3]
.LBB122_382:
	s_andn2_saveexec_b64 s[0:1], s[0:1]
	s_cbranch_execz .LBB122_384
; %bb.383:
	v_pk_mov_b32 v[74:75], v[32:33], v[52:53] op_sel:[1,0]
	ds_write2_b32 v67, v74, v75 offset0:23 offset1:24
	v_pk_mov_b32 v[74:75], v[52:53], v[44:45] op_sel:[1,0]
	ds_write2_b32 v67, v74, v75 offset0:25 offset1:26
	;; [unrolled: 2-line block ×18, first 2 shown]
	v_pk_mov_b32 v[74:75], v[12:13], v[8:9] op_sel:[1,0]
	v_mov_b32_e32 v73, 22
	ds_write2_b32 v67, v74, v75 offset0:59 offset1:60
	ds_write_b32 v67, v9 offset:244
.LBB122_384:
	s_or_b64 exec, exec, s[0:1]
	v_cmp_lt_i32_e32 vcc, 22, v73
	s_waitcnt lgkmcnt(0)
	s_barrier
	s_and_saveexec_b64 s[0:1], vcc
	s_cbranch_execz .LBB122_386
; %bb.385:
	ds_read_b32 v70, v67 offset:92
	ds_read2_b32 v[74:75], v67 offset0:24 offset1:25
	v_mul_f32_e32 v32, v72, v32
	s_waitcnt lgkmcnt(1)
	v_fma_f32 v33, -v32, v70, v33
	s_waitcnt lgkmcnt(0)
	v_pk_fma_f32 v[52:53], v[32:33], v[74:75], v[52:53] op_sel_hi:[0,1,1] neg_lo:[1,0,0] neg_hi:[1,0,0]
	ds_read2_b32 v[74:75], v67 offset0:26 offset1:27
	s_waitcnt lgkmcnt(0)
	v_pk_fma_f32 v[44:45], v[32:33], v[74:75], v[44:45] op_sel_hi:[0,1,1] neg_lo:[1,0,0] neg_hi:[1,0,0]
	ds_read2_b32 v[74:75], v67 offset0:28 offset1:29
	;; [unrolled: 3-line block ×18, first 2 shown]
	s_waitcnt lgkmcnt(0)
	v_pk_fma_f32 v[8:9], v[32:33], v[74:75], v[8:9] op_sel_hi:[0,1,1] neg_lo:[1,0,0] neg_hi:[1,0,0]
.LBB122_386:
	s_or_b64 exec, exec, s[0:1]
	v_lshl_add_u32 v70, v73, 2, v67
	s_barrier
	ds_write_b32 v70, v33
	s_waitcnt lgkmcnt(0)
	s_barrier
	ds_read_b32 v72, v67 offset:92
	s_cmp_lt_i32 s22, 25
	v_mov_b32_e32 v70, 23
	s_cbranch_scc1 .LBB122_389
; %bb.387:
	v_add_u32_e32 v74, 0x60, v67
	v_mov_b32_e32 v70, 23
	s_mov_b32 s0, 24
.LBB122_388:                            ; =>This Inner Loop Header: Depth=1
	ds_read_b32 v75, v74
	v_mov_b32_e32 v76, s0
	s_add_i32 s0, s0, 1
	v_add_u32_e32 v74, 4, v74
	s_cmp_lg_u32 s22, s0
	s_waitcnt lgkmcnt(0)
	v_cmp_lt_f32_e64 vcc, |v72|, |v75|
	s_nop 1
	v_cndmask_b32_e32 v72, v72, v75, vcc
	v_cndmask_b32_e32 v70, v70, v76, vcc
	s_cbranch_scc1 .LBB122_388
.LBB122_389:
	s_waitcnt lgkmcnt(0)
	v_cmp_eq_f32_e32 vcc, 0, v72
	s_and_saveexec_b64 s[0:1], vcc
	s_xor_b64 s[0:1], exec, s[0:1]
; %bb.390:
	v_cmp_ne_u32_e32 vcc, 0, v69
	s_nop 1
	v_cndmask_b32_e32 v69, 24, v69, vcc
; %bb.391:
	s_andn2_saveexec_b64 s[0:1], s[0:1]
	s_cbranch_execz .LBB122_393
; %bb.392:
	v_div_scale_f32 v74, s[2:3], v72, v72, 1.0
	v_rcp_f32_e32 v75, v74
	v_div_scale_f32 v76, vcc, 1.0, v72, 1.0
	v_fma_f32 v77, -v74, v75, 1.0
	v_fmac_f32_e32 v75, v77, v75
	v_mul_f32_e32 v77, v76, v75
	v_fma_f32 v78, -v74, v77, v76
	v_fmac_f32_e32 v77, v78, v75
	v_fma_f32 v74, -v74, v77, v76
	v_div_fmas_f32 v74, v74, v75, v77
	v_div_fixup_f32 v72, v74, v72, 1.0
.LBB122_393:
	s_or_b64 exec, exec, s[0:1]
	v_cmp_ne_u32_e32 vcc, v73, v70
	s_and_saveexec_b64 s[0:1], vcc
	s_xor_b64 s[0:1], exec, s[0:1]
	s_cbranch_execz .LBB122_399
; %bb.394:
	v_cmp_eq_u32_e32 vcc, 23, v73
	s_and_saveexec_b64 s[2:3], vcc
	s_cbranch_execz .LBB122_398
; %bb.395:
	v_cmp_ne_u32_e32 vcc, 23, v70
	s_xor_b64 s[12:13], s[20:21], -1
	s_and_b64 s[14:15], s[12:13], vcc
	s_and_saveexec_b64 s[12:13], s[14:15]
	s_cbranch_execz .LBB122_397
; %bb.396:
	v_ashrrev_i32_e32 v71, 31, v70
	v_lshl_add_u64 v[74:75], v[70:71], 2, v[4:5]
	global_load_dword v71, v[74:75], off
	global_load_dword v73, v[4:5], off offset:92
	s_waitcnt vmcnt(1)
	global_store_dword v[4:5], v71, off offset:92
	s_waitcnt vmcnt(1)
	global_store_dword v[74:75], v73, off
.LBB122_397:
	s_or_b64 exec, exec, s[12:13]
	v_mov_b32_e32 v71, v70
	v_mov_b32_e32 v73, v70
.LBB122_398:
	s_or_b64 exec, exec, s[2:3]
.LBB122_399:
	s_andn2_saveexec_b64 s[0:1], s[0:1]
	s_cbranch_execz .LBB122_401
; %bb.400:
	v_mov_b32_e32 v73, 23
	ds_write2_b32 v67, v52, v53 offset0:24 offset1:25
	ds_write2_b32 v67, v44, v45 offset0:26 offset1:27
	;; [unrolled: 1-line block ×19, first 2 shown]
.LBB122_401:
	s_or_b64 exec, exec, s[0:1]
	v_cmp_lt_i32_e32 vcc, 23, v73
	s_waitcnt lgkmcnt(0)
	s_barrier
	s_and_saveexec_b64 s[0:1], vcc
	s_cbranch_execz .LBB122_403
; %bb.402:
	ds_read2_b32 v[74:75], v67 offset0:24 offset1:25
	v_mul_f32_e32 v70, v72, v33
	v_mov_b32_e32 v33, v70
	s_waitcnt lgkmcnt(0)
	v_pk_fma_f32 v[52:53], v[70:71], v[74:75], v[52:53] op_sel_hi:[0,1,1] neg_lo:[1,0,0] neg_hi:[1,0,0]
	ds_read2_b32 v[74:75], v67 offset0:26 offset1:27
	s_waitcnt lgkmcnt(0)
	v_pk_fma_f32 v[44:45], v[70:71], v[74:75], v[44:45] op_sel_hi:[0,1,1] neg_lo:[1,0,0] neg_hi:[1,0,0]
	ds_read2_b32 v[74:75], v67 offset0:28 offset1:29
	;; [unrolled: 3-line block ×18, first 2 shown]
	s_waitcnt lgkmcnt(0)
	v_pk_fma_f32 v[8:9], v[70:71], v[74:75], v[8:9] op_sel_hi:[0,1,1] neg_lo:[1,0,0] neg_hi:[1,0,0]
.LBB122_403:
	s_or_b64 exec, exec, s[0:1]
	v_lshl_add_u32 v70, v73, 2, v67
	s_barrier
	ds_write_b32 v70, v52
	s_waitcnt lgkmcnt(0)
	s_barrier
	ds_read_b32 v72, v67 offset:96
	s_cmp_lt_i32 s22, 26
	v_mov_b32_e32 v70, 24
	s_cbranch_scc1 .LBB122_406
; %bb.404:
	v_add_u32_e32 v74, 0x64, v67
	v_mov_b32_e32 v70, 24
	s_mov_b32 s0, 25
.LBB122_405:                            ; =>This Inner Loop Header: Depth=1
	ds_read_b32 v75, v74
	v_mov_b32_e32 v76, s0
	s_add_i32 s0, s0, 1
	v_add_u32_e32 v74, 4, v74
	s_cmp_lg_u32 s22, s0
	s_waitcnt lgkmcnt(0)
	v_cmp_lt_f32_e64 vcc, |v72|, |v75|
	s_nop 1
	v_cndmask_b32_e32 v72, v72, v75, vcc
	v_cndmask_b32_e32 v70, v70, v76, vcc
	s_cbranch_scc1 .LBB122_405
.LBB122_406:
	s_waitcnt lgkmcnt(0)
	v_cmp_eq_f32_e32 vcc, 0, v72
	s_and_saveexec_b64 s[0:1], vcc
	s_xor_b64 s[0:1], exec, s[0:1]
; %bb.407:
	v_cmp_ne_u32_e32 vcc, 0, v69
	s_nop 1
	v_cndmask_b32_e32 v69, 25, v69, vcc
; %bb.408:
	s_andn2_saveexec_b64 s[0:1], s[0:1]
	s_cbranch_execz .LBB122_410
; %bb.409:
	v_div_scale_f32 v74, s[2:3], v72, v72, 1.0
	v_rcp_f32_e32 v75, v74
	v_div_scale_f32 v76, vcc, 1.0, v72, 1.0
	v_fma_f32 v77, -v74, v75, 1.0
	v_fmac_f32_e32 v75, v77, v75
	v_mul_f32_e32 v77, v76, v75
	v_fma_f32 v78, -v74, v77, v76
	v_fmac_f32_e32 v77, v78, v75
	v_fma_f32 v74, -v74, v77, v76
	v_div_fmas_f32 v74, v74, v75, v77
	v_div_fixup_f32 v72, v74, v72, 1.0
.LBB122_410:
	s_or_b64 exec, exec, s[0:1]
	v_cmp_ne_u32_e32 vcc, v73, v70
	s_and_saveexec_b64 s[0:1], vcc
	s_xor_b64 s[0:1], exec, s[0:1]
	s_cbranch_execz .LBB122_416
; %bb.411:
	v_cmp_eq_u32_e32 vcc, 24, v73
	s_and_saveexec_b64 s[2:3], vcc
	s_cbranch_execz .LBB122_415
; %bb.412:
	v_cmp_ne_u32_e32 vcc, 24, v70
	s_xor_b64 s[12:13], s[20:21], -1
	s_and_b64 s[14:15], s[12:13], vcc
	s_and_saveexec_b64 s[12:13], s[14:15]
	s_cbranch_execz .LBB122_414
; %bb.413:
	v_ashrrev_i32_e32 v71, 31, v70
	v_lshl_add_u64 v[74:75], v[70:71], 2, v[4:5]
	global_load_dword v71, v[74:75], off
	global_load_dword v73, v[4:5], off offset:96
	s_waitcnt vmcnt(1)
	global_store_dword v[4:5], v71, off offset:96
	s_waitcnt vmcnt(1)
	global_store_dword v[74:75], v73, off
.LBB122_414:
	s_or_b64 exec, exec, s[12:13]
	v_mov_b32_e32 v71, v70
	v_mov_b32_e32 v73, v70
.LBB122_415:
	s_or_b64 exec, exec, s[2:3]
.LBB122_416:
	s_andn2_saveexec_b64 s[0:1], s[0:1]
	s_cbranch_execz .LBB122_418
; %bb.417:
	v_pk_mov_b32 v[74:75], v[52:53], v[44:45] op_sel:[1,0]
	ds_write2_b32 v67, v74, v75 offset0:25 offset1:26
	v_pk_mov_b32 v[74:75], v[44:45], v[34:35] op_sel:[1,0]
	ds_write2_b32 v67, v74, v75 offset0:27 offset1:28
	;; [unrolled: 2-line block ×17, first 2 shown]
	v_pk_mov_b32 v[74:75], v[12:13], v[8:9] op_sel:[1,0]
	v_mov_b32_e32 v73, 24
	ds_write2_b32 v67, v74, v75 offset0:59 offset1:60
	ds_write_b32 v67, v9 offset:244
.LBB122_418:
	s_or_b64 exec, exec, s[0:1]
	v_cmp_lt_i32_e32 vcc, 24, v73
	s_waitcnt lgkmcnt(0)
	s_barrier
	s_and_saveexec_b64 s[0:1], vcc
	s_cbranch_execz .LBB122_420
; %bb.419:
	ds_read_b32 v70, v67 offset:100
	ds_read2_b32 v[74:75], v67 offset0:26 offset1:27
	v_mul_f32_e32 v52, v72, v52
	s_waitcnt lgkmcnt(1)
	v_fma_f32 v53, -v52, v70, v53
	s_waitcnt lgkmcnt(0)
	v_pk_fma_f32 v[44:45], v[52:53], v[74:75], v[44:45] op_sel_hi:[0,1,1] neg_lo:[1,0,0] neg_hi:[1,0,0]
	ds_read2_b32 v[74:75], v67 offset0:28 offset1:29
	s_waitcnt lgkmcnt(0)
	v_pk_fma_f32 v[34:35], v[52:53], v[74:75], v[34:35] op_sel_hi:[0,1,1] neg_lo:[1,0,0] neg_hi:[1,0,0]
	ds_read2_b32 v[74:75], v67 offset0:30 offset1:31
	;; [unrolled: 3-line block ×17, first 2 shown]
	s_waitcnt lgkmcnt(0)
	v_pk_fma_f32 v[8:9], v[52:53], v[74:75], v[8:9] op_sel_hi:[0,1,1] neg_lo:[1,0,0] neg_hi:[1,0,0]
.LBB122_420:
	s_or_b64 exec, exec, s[0:1]
	v_lshl_add_u32 v70, v73, 2, v67
	s_barrier
	ds_write_b32 v70, v53
	s_waitcnt lgkmcnt(0)
	s_barrier
	ds_read_b32 v72, v67 offset:100
	s_cmp_lt_i32 s22, 27
	v_mov_b32_e32 v70, 25
	s_cbranch_scc1 .LBB122_423
; %bb.421:
	v_add_u32_e32 v74, 0x68, v67
	v_mov_b32_e32 v70, 25
	s_mov_b32 s0, 26
.LBB122_422:                            ; =>This Inner Loop Header: Depth=1
	ds_read_b32 v75, v74
	v_mov_b32_e32 v76, s0
	s_add_i32 s0, s0, 1
	v_add_u32_e32 v74, 4, v74
	s_cmp_lg_u32 s22, s0
	s_waitcnt lgkmcnt(0)
	v_cmp_lt_f32_e64 vcc, |v72|, |v75|
	s_nop 1
	v_cndmask_b32_e32 v72, v72, v75, vcc
	v_cndmask_b32_e32 v70, v70, v76, vcc
	s_cbranch_scc1 .LBB122_422
.LBB122_423:
	s_waitcnt lgkmcnt(0)
	v_cmp_eq_f32_e32 vcc, 0, v72
	s_and_saveexec_b64 s[0:1], vcc
	s_xor_b64 s[0:1], exec, s[0:1]
; %bb.424:
	v_cmp_ne_u32_e32 vcc, 0, v69
	s_nop 1
	v_cndmask_b32_e32 v69, 26, v69, vcc
; %bb.425:
	s_andn2_saveexec_b64 s[0:1], s[0:1]
	s_cbranch_execz .LBB122_427
; %bb.426:
	v_div_scale_f32 v74, s[2:3], v72, v72, 1.0
	v_rcp_f32_e32 v75, v74
	v_div_scale_f32 v76, vcc, 1.0, v72, 1.0
	v_fma_f32 v77, -v74, v75, 1.0
	v_fmac_f32_e32 v75, v77, v75
	v_mul_f32_e32 v77, v76, v75
	v_fma_f32 v78, -v74, v77, v76
	v_fmac_f32_e32 v77, v78, v75
	v_fma_f32 v74, -v74, v77, v76
	v_div_fmas_f32 v74, v74, v75, v77
	v_div_fixup_f32 v72, v74, v72, 1.0
.LBB122_427:
	s_or_b64 exec, exec, s[0:1]
	v_cmp_ne_u32_e32 vcc, v73, v70
	s_and_saveexec_b64 s[0:1], vcc
	s_xor_b64 s[0:1], exec, s[0:1]
	s_cbranch_execz .LBB122_433
; %bb.428:
	v_cmp_eq_u32_e32 vcc, 25, v73
	s_and_saveexec_b64 s[2:3], vcc
	s_cbranch_execz .LBB122_432
; %bb.429:
	v_cmp_ne_u32_e32 vcc, 25, v70
	s_xor_b64 s[12:13], s[20:21], -1
	s_and_b64 s[14:15], s[12:13], vcc
	s_and_saveexec_b64 s[12:13], s[14:15]
	s_cbranch_execz .LBB122_431
; %bb.430:
	v_ashrrev_i32_e32 v71, 31, v70
	v_lshl_add_u64 v[74:75], v[70:71], 2, v[4:5]
	global_load_dword v71, v[74:75], off
	global_load_dword v73, v[4:5], off offset:100
	s_waitcnt vmcnt(1)
	global_store_dword v[4:5], v71, off offset:100
	s_waitcnt vmcnt(1)
	global_store_dword v[74:75], v73, off
.LBB122_431:
	s_or_b64 exec, exec, s[12:13]
	v_mov_b32_e32 v71, v70
	v_mov_b32_e32 v73, v70
.LBB122_432:
	s_or_b64 exec, exec, s[2:3]
.LBB122_433:
	s_andn2_saveexec_b64 s[0:1], s[0:1]
	s_cbranch_execz .LBB122_435
; %bb.434:
	v_mov_b32_e32 v73, 25
	ds_write2_b32 v67, v44, v45 offset0:26 offset1:27
	ds_write2_b32 v67, v34, v35 offset0:28 offset1:29
	;; [unrolled: 1-line block ×18, first 2 shown]
.LBB122_435:
	s_or_b64 exec, exec, s[0:1]
	v_cmp_lt_i32_e32 vcc, 25, v73
	s_waitcnt lgkmcnt(0)
	s_barrier
	s_and_saveexec_b64 s[0:1], vcc
	s_cbranch_execz .LBB122_437
; %bb.436:
	ds_read2_b32 v[74:75], v67 offset0:26 offset1:27
	v_mul_f32_e32 v70, v72, v53
	v_mov_b32_e32 v53, v70
	s_waitcnt lgkmcnt(0)
	v_pk_fma_f32 v[44:45], v[70:71], v[74:75], v[44:45] op_sel_hi:[0,1,1] neg_lo:[1,0,0] neg_hi:[1,0,0]
	ds_read2_b32 v[74:75], v67 offset0:28 offset1:29
	s_waitcnt lgkmcnt(0)
	v_pk_fma_f32 v[34:35], v[70:71], v[74:75], v[34:35] op_sel_hi:[0,1,1] neg_lo:[1,0,0] neg_hi:[1,0,0]
	ds_read2_b32 v[74:75], v67 offset0:30 offset1:31
	;; [unrolled: 3-line block ×17, first 2 shown]
	s_waitcnt lgkmcnt(0)
	v_pk_fma_f32 v[8:9], v[70:71], v[74:75], v[8:9] op_sel_hi:[0,1,1] neg_lo:[1,0,0] neg_hi:[1,0,0]
.LBB122_437:
	s_or_b64 exec, exec, s[0:1]
	v_lshl_add_u32 v70, v73, 2, v67
	s_barrier
	ds_write_b32 v70, v44
	s_waitcnt lgkmcnt(0)
	s_barrier
	ds_read_b32 v72, v67 offset:104
	s_cmp_lt_i32 s22, 28
	v_mov_b32_e32 v70, 26
	s_cbranch_scc1 .LBB122_440
; %bb.438:
	v_add_u32_e32 v74, 0x6c, v67
	v_mov_b32_e32 v70, 26
	s_mov_b32 s0, 27
.LBB122_439:                            ; =>This Inner Loop Header: Depth=1
	ds_read_b32 v75, v74
	v_mov_b32_e32 v76, s0
	s_add_i32 s0, s0, 1
	v_add_u32_e32 v74, 4, v74
	s_cmp_lg_u32 s22, s0
	s_waitcnt lgkmcnt(0)
	v_cmp_lt_f32_e64 vcc, |v72|, |v75|
	s_nop 1
	v_cndmask_b32_e32 v72, v72, v75, vcc
	v_cndmask_b32_e32 v70, v70, v76, vcc
	s_cbranch_scc1 .LBB122_439
.LBB122_440:
	s_waitcnt lgkmcnt(0)
	v_cmp_eq_f32_e32 vcc, 0, v72
	s_and_saveexec_b64 s[0:1], vcc
	s_xor_b64 s[0:1], exec, s[0:1]
; %bb.441:
	v_cmp_ne_u32_e32 vcc, 0, v69
	s_nop 1
	v_cndmask_b32_e32 v69, 27, v69, vcc
; %bb.442:
	s_andn2_saveexec_b64 s[0:1], s[0:1]
	s_cbranch_execz .LBB122_444
; %bb.443:
	v_div_scale_f32 v74, s[2:3], v72, v72, 1.0
	v_rcp_f32_e32 v75, v74
	v_div_scale_f32 v76, vcc, 1.0, v72, 1.0
	v_fma_f32 v77, -v74, v75, 1.0
	v_fmac_f32_e32 v75, v77, v75
	v_mul_f32_e32 v77, v76, v75
	v_fma_f32 v78, -v74, v77, v76
	v_fmac_f32_e32 v77, v78, v75
	v_fma_f32 v74, -v74, v77, v76
	v_div_fmas_f32 v74, v74, v75, v77
	v_div_fixup_f32 v72, v74, v72, 1.0
.LBB122_444:
	s_or_b64 exec, exec, s[0:1]
	v_cmp_ne_u32_e32 vcc, v73, v70
	s_and_saveexec_b64 s[0:1], vcc
	s_xor_b64 s[0:1], exec, s[0:1]
	s_cbranch_execz .LBB122_450
; %bb.445:
	v_cmp_eq_u32_e32 vcc, 26, v73
	s_and_saveexec_b64 s[2:3], vcc
	s_cbranch_execz .LBB122_449
; %bb.446:
	v_cmp_ne_u32_e32 vcc, 26, v70
	s_xor_b64 s[12:13], s[20:21], -1
	s_and_b64 s[14:15], s[12:13], vcc
	s_and_saveexec_b64 s[12:13], s[14:15]
	s_cbranch_execz .LBB122_448
; %bb.447:
	v_ashrrev_i32_e32 v71, 31, v70
	v_lshl_add_u64 v[74:75], v[70:71], 2, v[4:5]
	global_load_dword v71, v[74:75], off
	global_load_dword v73, v[4:5], off offset:104
	s_waitcnt vmcnt(1)
	global_store_dword v[4:5], v71, off offset:104
	s_waitcnt vmcnt(1)
	global_store_dword v[74:75], v73, off
.LBB122_448:
	s_or_b64 exec, exec, s[12:13]
	v_mov_b32_e32 v71, v70
	v_mov_b32_e32 v73, v70
.LBB122_449:
	s_or_b64 exec, exec, s[2:3]
.LBB122_450:
	s_andn2_saveexec_b64 s[0:1], s[0:1]
	s_cbranch_execz .LBB122_452
; %bb.451:
	v_pk_mov_b32 v[74:75], v[44:45], v[34:35] op_sel:[1,0]
	ds_write2_b32 v67, v74, v75 offset0:27 offset1:28
	v_pk_mov_b32 v[74:75], v[34:35], v[24:25] op_sel:[1,0]
	ds_write2_b32 v67, v74, v75 offset0:29 offset1:30
	;; [unrolled: 2-line block ×16, first 2 shown]
	v_pk_mov_b32 v[74:75], v[12:13], v[8:9] op_sel:[1,0]
	v_mov_b32_e32 v73, 26
	ds_write2_b32 v67, v74, v75 offset0:59 offset1:60
	ds_write_b32 v67, v9 offset:244
.LBB122_452:
	s_or_b64 exec, exec, s[0:1]
	v_cmp_lt_i32_e32 vcc, 26, v73
	s_waitcnt lgkmcnt(0)
	s_barrier
	s_and_saveexec_b64 s[0:1], vcc
	s_cbranch_execz .LBB122_454
; %bb.453:
	ds_read_b32 v70, v67 offset:108
	ds_read2_b32 v[74:75], v67 offset0:28 offset1:29
	v_mul_f32_e32 v44, v72, v44
	s_waitcnt lgkmcnt(1)
	v_fma_f32 v45, -v44, v70, v45
	s_waitcnt lgkmcnt(0)
	v_pk_fma_f32 v[34:35], v[44:45], v[74:75], v[34:35] op_sel_hi:[0,1,1] neg_lo:[1,0,0] neg_hi:[1,0,0]
	ds_read2_b32 v[74:75], v67 offset0:30 offset1:31
	s_waitcnt lgkmcnt(0)
	v_pk_fma_f32 v[24:25], v[44:45], v[74:75], v[24:25] op_sel_hi:[0,1,1] neg_lo:[1,0,0] neg_hi:[1,0,0]
	ds_read2_b32 v[74:75], v67 offset0:32 offset1:33
	;; [unrolled: 3-line block ×16, first 2 shown]
	s_waitcnt lgkmcnt(0)
	v_pk_fma_f32 v[8:9], v[44:45], v[74:75], v[8:9] op_sel_hi:[0,1,1] neg_lo:[1,0,0] neg_hi:[1,0,0]
.LBB122_454:
	s_or_b64 exec, exec, s[0:1]
	v_lshl_add_u32 v70, v73, 2, v67
	s_barrier
	ds_write_b32 v70, v45
	s_waitcnt lgkmcnt(0)
	s_barrier
	ds_read_b32 v72, v67 offset:108
	s_cmp_lt_i32 s22, 29
	v_mov_b32_e32 v70, 27
	s_cbranch_scc1 .LBB122_457
; %bb.455:
	v_add_u32_e32 v74, 0x70, v67
	v_mov_b32_e32 v70, 27
	s_mov_b32 s0, 28
.LBB122_456:                            ; =>This Inner Loop Header: Depth=1
	ds_read_b32 v75, v74
	v_mov_b32_e32 v76, s0
	s_add_i32 s0, s0, 1
	v_add_u32_e32 v74, 4, v74
	s_cmp_lg_u32 s22, s0
	s_waitcnt lgkmcnt(0)
	v_cmp_lt_f32_e64 vcc, |v72|, |v75|
	s_nop 1
	v_cndmask_b32_e32 v72, v72, v75, vcc
	v_cndmask_b32_e32 v70, v70, v76, vcc
	s_cbranch_scc1 .LBB122_456
.LBB122_457:
	s_waitcnt lgkmcnt(0)
	v_cmp_eq_f32_e32 vcc, 0, v72
	s_and_saveexec_b64 s[0:1], vcc
	s_xor_b64 s[0:1], exec, s[0:1]
; %bb.458:
	v_cmp_ne_u32_e32 vcc, 0, v69
	s_nop 1
	v_cndmask_b32_e32 v69, 28, v69, vcc
; %bb.459:
	s_andn2_saveexec_b64 s[0:1], s[0:1]
	s_cbranch_execz .LBB122_461
; %bb.460:
	v_div_scale_f32 v74, s[2:3], v72, v72, 1.0
	v_rcp_f32_e32 v75, v74
	v_div_scale_f32 v76, vcc, 1.0, v72, 1.0
	v_fma_f32 v77, -v74, v75, 1.0
	v_fmac_f32_e32 v75, v77, v75
	v_mul_f32_e32 v77, v76, v75
	v_fma_f32 v78, -v74, v77, v76
	v_fmac_f32_e32 v77, v78, v75
	v_fma_f32 v74, -v74, v77, v76
	v_div_fmas_f32 v74, v74, v75, v77
	v_div_fixup_f32 v72, v74, v72, 1.0
.LBB122_461:
	s_or_b64 exec, exec, s[0:1]
	v_cmp_ne_u32_e32 vcc, v73, v70
	s_and_saveexec_b64 s[0:1], vcc
	s_xor_b64 s[0:1], exec, s[0:1]
	s_cbranch_execz .LBB122_467
; %bb.462:
	v_cmp_eq_u32_e32 vcc, 27, v73
	s_and_saveexec_b64 s[2:3], vcc
	s_cbranch_execz .LBB122_466
; %bb.463:
	v_cmp_ne_u32_e32 vcc, 27, v70
	s_xor_b64 s[12:13], s[20:21], -1
	s_and_b64 s[14:15], s[12:13], vcc
	s_and_saveexec_b64 s[12:13], s[14:15]
	s_cbranch_execz .LBB122_465
; %bb.464:
	v_ashrrev_i32_e32 v71, 31, v70
	v_lshl_add_u64 v[74:75], v[70:71], 2, v[4:5]
	global_load_dword v71, v[74:75], off
	global_load_dword v73, v[4:5], off offset:108
	s_waitcnt vmcnt(1)
	global_store_dword v[4:5], v71, off offset:108
	s_waitcnt vmcnt(1)
	global_store_dword v[74:75], v73, off
.LBB122_465:
	s_or_b64 exec, exec, s[12:13]
	v_mov_b32_e32 v71, v70
	v_mov_b32_e32 v73, v70
.LBB122_466:
	s_or_b64 exec, exec, s[2:3]
.LBB122_467:
	s_andn2_saveexec_b64 s[0:1], s[0:1]
	s_cbranch_execz .LBB122_469
; %bb.468:
	v_mov_b32_e32 v73, 27
	ds_write2_b32 v67, v34, v35 offset0:28 offset1:29
	ds_write2_b32 v67, v24, v25 offset0:30 offset1:31
	;; [unrolled: 1-line block ×17, first 2 shown]
.LBB122_469:
	s_or_b64 exec, exec, s[0:1]
	v_cmp_lt_i32_e32 vcc, 27, v73
	s_waitcnt lgkmcnt(0)
	s_barrier
	s_and_saveexec_b64 s[0:1], vcc
	s_cbranch_execz .LBB122_471
; %bb.470:
	ds_read2_b32 v[74:75], v67 offset0:28 offset1:29
	v_mul_f32_e32 v70, v72, v45
	v_mov_b32_e32 v45, v70
	s_waitcnt lgkmcnt(0)
	v_pk_fma_f32 v[34:35], v[70:71], v[74:75], v[34:35] op_sel_hi:[0,1,1] neg_lo:[1,0,0] neg_hi:[1,0,0]
	ds_read2_b32 v[74:75], v67 offset0:30 offset1:31
	s_waitcnt lgkmcnt(0)
	v_pk_fma_f32 v[24:25], v[70:71], v[74:75], v[24:25] op_sel_hi:[0,1,1] neg_lo:[1,0,0] neg_hi:[1,0,0]
	ds_read2_b32 v[74:75], v67 offset0:32 offset1:33
	;; [unrolled: 3-line block ×16, first 2 shown]
	s_waitcnt lgkmcnt(0)
	v_pk_fma_f32 v[8:9], v[70:71], v[74:75], v[8:9] op_sel_hi:[0,1,1] neg_lo:[1,0,0] neg_hi:[1,0,0]
.LBB122_471:
	s_or_b64 exec, exec, s[0:1]
	v_lshl_add_u32 v70, v73, 2, v67
	s_barrier
	ds_write_b32 v70, v34
	s_waitcnt lgkmcnt(0)
	s_barrier
	ds_read_b32 v72, v67 offset:112
	s_cmp_lt_i32 s22, 30
	v_mov_b32_e32 v70, 28
	s_cbranch_scc1 .LBB122_474
; %bb.472:
	v_add_u32_e32 v74, 0x74, v67
	v_mov_b32_e32 v70, 28
	s_mov_b32 s0, 29
.LBB122_473:                            ; =>This Inner Loop Header: Depth=1
	ds_read_b32 v75, v74
	v_mov_b32_e32 v76, s0
	s_add_i32 s0, s0, 1
	v_add_u32_e32 v74, 4, v74
	s_cmp_lg_u32 s22, s0
	s_waitcnt lgkmcnt(0)
	v_cmp_lt_f32_e64 vcc, |v72|, |v75|
	s_nop 1
	v_cndmask_b32_e32 v72, v72, v75, vcc
	v_cndmask_b32_e32 v70, v70, v76, vcc
	s_cbranch_scc1 .LBB122_473
.LBB122_474:
	s_waitcnt lgkmcnt(0)
	v_cmp_eq_f32_e32 vcc, 0, v72
	s_and_saveexec_b64 s[0:1], vcc
	s_xor_b64 s[0:1], exec, s[0:1]
; %bb.475:
	v_cmp_ne_u32_e32 vcc, 0, v69
	s_nop 1
	v_cndmask_b32_e32 v69, 29, v69, vcc
; %bb.476:
	s_andn2_saveexec_b64 s[0:1], s[0:1]
	s_cbranch_execz .LBB122_478
; %bb.477:
	v_div_scale_f32 v74, s[2:3], v72, v72, 1.0
	v_rcp_f32_e32 v75, v74
	v_div_scale_f32 v76, vcc, 1.0, v72, 1.0
	v_fma_f32 v77, -v74, v75, 1.0
	v_fmac_f32_e32 v75, v77, v75
	v_mul_f32_e32 v77, v76, v75
	v_fma_f32 v78, -v74, v77, v76
	v_fmac_f32_e32 v77, v78, v75
	v_fma_f32 v74, -v74, v77, v76
	v_div_fmas_f32 v74, v74, v75, v77
	v_div_fixup_f32 v72, v74, v72, 1.0
.LBB122_478:
	s_or_b64 exec, exec, s[0:1]
	v_cmp_ne_u32_e32 vcc, v73, v70
	s_and_saveexec_b64 s[0:1], vcc
	s_xor_b64 s[0:1], exec, s[0:1]
	s_cbranch_execz .LBB122_484
; %bb.479:
	v_cmp_eq_u32_e32 vcc, 28, v73
	s_and_saveexec_b64 s[2:3], vcc
	s_cbranch_execz .LBB122_483
; %bb.480:
	v_cmp_ne_u32_e32 vcc, 28, v70
	s_xor_b64 s[12:13], s[20:21], -1
	s_and_b64 s[14:15], s[12:13], vcc
	s_and_saveexec_b64 s[12:13], s[14:15]
	s_cbranch_execz .LBB122_482
; %bb.481:
	v_ashrrev_i32_e32 v71, 31, v70
	v_lshl_add_u64 v[74:75], v[70:71], 2, v[4:5]
	global_load_dword v71, v[74:75], off
	global_load_dword v73, v[4:5], off offset:112
	s_waitcnt vmcnt(1)
	global_store_dword v[4:5], v71, off offset:112
	s_waitcnt vmcnt(1)
	global_store_dword v[74:75], v73, off
.LBB122_482:
	s_or_b64 exec, exec, s[12:13]
	v_mov_b32_e32 v71, v70
	v_mov_b32_e32 v73, v70
.LBB122_483:
	s_or_b64 exec, exec, s[2:3]
.LBB122_484:
	s_andn2_saveexec_b64 s[0:1], s[0:1]
	s_cbranch_execz .LBB122_486
; %bb.485:
	v_pk_mov_b32 v[74:75], v[34:35], v[24:25] op_sel:[1,0]
	ds_write2_b32 v67, v74, v75 offset0:29 offset1:30
	v_pk_mov_b32 v[74:75], v[24:25], v[46:47] op_sel:[1,0]
	ds_write2_b32 v67, v74, v75 offset0:31 offset1:32
	;; [unrolled: 2-line block ×15, first 2 shown]
	v_pk_mov_b32 v[74:75], v[12:13], v[8:9] op_sel:[1,0]
	v_mov_b32_e32 v73, 28
	ds_write2_b32 v67, v74, v75 offset0:59 offset1:60
	ds_write_b32 v67, v9 offset:244
.LBB122_486:
	s_or_b64 exec, exec, s[0:1]
	v_cmp_lt_i32_e32 vcc, 28, v73
	s_waitcnt lgkmcnt(0)
	s_barrier
	s_and_saveexec_b64 s[0:1], vcc
	s_cbranch_execz .LBB122_488
; %bb.487:
	ds_read_b32 v70, v67 offset:116
	ds_read2_b32 v[74:75], v67 offset0:30 offset1:31
	v_mul_f32_e32 v34, v72, v34
	s_waitcnt lgkmcnt(1)
	v_fma_f32 v35, -v34, v70, v35
	s_waitcnt lgkmcnt(0)
	v_pk_fma_f32 v[24:25], v[34:35], v[74:75], v[24:25] op_sel_hi:[0,1,1] neg_lo:[1,0,0] neg_hi:[1,0,0]
	ds_read2_b32 v[74:75], v67 offset0:32 offset1:33
	s_waitcnt lgkmcnt(0)
	v_pk_fma_f32 v[46:47], v[34:35], v[74:75], v[46:47] op_sel_hi:[0,1,1] neg_lo:[1,0,0] neg_hi:[1,0,0]
	ds_read2_b32 v[74:75], v67 offset0:34 offset1:35
	;; [unrolled: 3-line block ×15, first 2 shown]
	s_waitcnt lgkmcnt(0)
	v_pk_fma_f32 v[8:9], v[34:35], v[74:75], v[8:9] op_sel_hi:[0,1,1] neg_lo:[1,0,0] neg_hi:[1,0,0]
.LBB122_488:
	s_or_b64 exec, exec, s[0:1]
	v_lshl_add_u32 v70, v73, 2, v67
	s_barrier
	ds_write_b32 v70, v35
	s_waitcnt lgkmcnt(0)
	s_barrier
	ds_read_b32 v72, v67 offset:116
	s_cmp_lt_i32 s22, 31
	v_mov_b32_e32 v70, 29
	s_cbranch_scc1 .LBB122_491
; %bb.489:
	v_add_u32_e32 v74, 0x78, v67
	v_mov_b32_e32 v70, 29
	s_mov_b32 s0, 30
.LBB122_490:                            ; =>This Inner Loop Header: Depth=1
	ds_read_b32 v75, v74
	v_mov_b32_e32 v76, s0
	s_add_i32 s0, s0, 1
	v_add_u32_e32 v74, 4, v74
	s_cmp_lg_u32 s22, s0
	s_waitcnt lgkmcnt(0)
	v_cmp_lt_f32_e64 vcc, |v72|, |v75|
	s_nop 1
	v_cndmask_b32_e32 v72, v72, v75, vcc
	v_cndmask_b32_e32 v70, v70, v76, vcc
	s_cbranch_scc1 .LBB122_490
.LBB122_491:
	s_waitcnt lgkmcnt(0)
	v_cmp_eq_f32_e32 vcc, 0, v72
	s_and_saveexec_b64 s[0:1], vcc
	s_xor_b64 s[0:1], exec, s[0:1]
; %bb.492:
	v_cmp_ne_u32_e32 vcc, 0, v69
	s_nop 1
	v_cndmask_b32_e32 v69, 30, v69, vcc
; %bb.493:
	s_andn2_saveexec_b64 s[0:1], s[0:1]
	s_cbranch_execz .LBB122_495
; %bb.494:
	v_div_scale_f32 v74, s[2:3], v72, v72, 1.0
	v_rcp_f32_e32 v75, v74
	v_div_scale_f32 v76, vcc, 1.0, v72, 1.0
	v_fma_f32 v77, -v74, v75, 1.0
	v_fmac_f32_e32 v75, v77, v75
	v_mul_f32_e32 v77, v76, v75
	v_fma_f32 v78, -v74, v77, v76
	v_fmac_f32_e32 v77, v78, v75
	v_fma_f32 v74, -v74, v77, v76
	v_div_fmas_f32 v74, v74, v75, v77
	v_div_fixup_f32 v72, v74, v72, 1.0
.LBB122_495:
	s_or_b64 exec, exec, s[0:1]
	v_cmp_ne_u32_e32 vcc, v73, v70
	s_and_saveexec_b64 s[0:1], vcc
	s_xor_b64 s[0:1], exec, s[0:1]
	s_cbranch_execz .LBB122_501
; %bb.496:
	v_cmp_eq_u32_e32 vcc, 29, v73
	s_and_saveexec_b64 s[2:3], vcc
	s_cbranch_execz .LBB122_500
; %bb.497:
	v_cmp_ne_u32_e32 vcc, 29, v70
	s_xor_b64 s[12:13], s[20:21], -1
	s_and_b64 s[14:15], s[12:13], vcc
	s_and_saveexec_b64 s[12:13], s[14:15]
	s_cbranch_execz .LBB122_499
; %bb.498:
	v_ashrrev_i32_e32 v71, 31, v70
	v_lshl_add_u64 v[74:75], v[70:71], 2, v[4:5]
	global_load_dword v71, v[74:75], off
	global_load_dword v73, v[4:5], off offset:116
	s_waitcnt vmcnt(1)
	global_store_dword v[4:5], v71, off offset:116
	s_waitcnt vmcnt(1)
	global_store_dword v[74:75], v73, off
.LBB122_499:
	s_or_b64 exec, exec, s[12:13]
	v_mov_b32_e32 v71, v70
	v_mov_b32_e32 v73, v70
.LBB122_500:
	s_or_b64 exec, exec, s[2:3]
.LBB122_501:
	s_andn2_saveexec_b64 s[0:1], s[0:1]
	s_cbranch_execz .LBB122_503
; %bb.502:
	v_mov_b32_e32 v73, 29
	ds_write2_b32 v67, v24, v25 offset0:30 offset1:31
	ds_write2_b32 v67, v46, v47 offset0:32 offset1:33
	;; [unrolled: 1-line block ×16, first 2 shown]
.LBB122_503:
	s_or_b64 exec, exec, s[0:1]
	v_cmp_lt_i32_e32 vcc, 29, v73
	s_waitcnt lgkmcnt(0)
	s_barrier
	s_and_saveexec_b64 s[0:1], vcc
	s_cbranch_execz .LBB122_505
; %bb.504:
	ds_read2_b32 v[74:75], v67 offset0:30 offset1:31
	v_mul_f32_e32 v70, v72, v35
	v_mov_b32_e32 v35, v70
	s_waitcnt lgkmcnt(0)
	v_pk_fma_f32 v[24:25], v[70:71], v[74:75], v[24:25] op_sel_hi:[0,1,1] neg_lo:[1,0,0] neg_hi:[1,0,0]
	ds_read2_b32 v[74:75], v67 offset0:32 offset1:33
	s_waitcnt lgkmcnt(0)
	v_pk_fma_f32 v[46:47], v[70:71], v[74:75], v[46:47] op_sel_hi:[0,1,1] neg_lo:[1,0,0] neg_hi:[1,0,0]
	ds_read2_b32 v[74:75], v67 offset0:34 offset1:35
	;; [unrolled: 3-line block ×15, first 2 shown]
	s_waitcnt lgkmcnt(0)
	v_pk_fma_f32 v[8:9], v[70:71], v[74:75], v[8:9] op_sel_hi:[0,1,1] neg_lo:[1,0,0] neg_hi:[1,0,0]
.LBB122_505:
	s_or_b64 exec, exec, s[0:1]
	v_lshl_add_u32 v70, v73, 2, v67
	s_barrier
	ds_write_b32 v70, v24
	s_waitcnt lgkmcnt(0)
	s_barrier
	ds_read_b32 v72, v67 offset:120
	s_cmp_lt_i32 s22, 32
	v_mov_b32_e32 v70, 30
	s_cbranch_scc1 .LBB122_508
; %bb.506:
	v_add_u32_e32 v74, 0x7c, v67
	v_mov_b32_e32 v70, 30
	s_mov_b32 s0, 31
.LBB122_507:                            ; =>This Inner Loop Header: Depth=1
	ds_read_b32 v75, v74
	v_mov_b32_e32 v76, s0
	s_add_i32 s0, s0, 1
	v_add_u32_e32 v74, 4, v74
	s_cmp_lg_u32 s22, s0
	s_waitcnt lgkmcnt(0)
	v_cmp_lt_f32_e64 vcc, |v72|, |v75|
	s_nop 1
	v_cndmask_b32_e32 v72, v72, v75, vcc
	v_cndmask_b32_e32 v70, v70, v76, vcc
	s_cbranch_scc1 .LBB122_507
.LBB122_508:
	s_waitcnt lgkmcnt(0)
	v_cmp_eq_f32_e32 vcc, 0, v72
	s_and_saveexec_b64 s[0:1], vcc
	s_xor_b64 s[0:1], exec, s[0:1]
; %bb.509:
	v_cmp_ne_u32_e32 vcc, 0, v69
	s_nop 1
	v_cndmask_b32_e32 v69, 31, v69, vcc
; %bb.510:
	s_andn2_saveexec_b64 s[0:1], s[0:1]
	s_cbranch_execz .LBB122_512
; %bb.511:
	v_div_scale_f32 v74, s[2:3], v72, v72, 1.0
	v_rcp_f32_e32 v75, v74
	v_div_scale_f32 v76, vcc, 1.0, v72, 1.0
	v_fma_f32 v77, -v74, v75, 1.0
	v_fmac_f32_e32 v75, v77, v75
	v_mul_f32_e32 v77, v76, v75
	v_fma_f32 v78, -v74, v77, v76
	v_fmac_f32_e32 v77, v78, v75
	v_fma_f32 v74, -v74, v77, v76
	v_div_fmas_f32 v74, v74, v75, v77
	v_div_fixup_f32 v72, v74, v72, 1.0
.LBB122_512:
	s_or_b64 exec, exec, s[0:1]
	v_cmp_ne_u32_e32 vcc, v73, v70
	s_and_saveexec_b64 s[0:1], vcc
	s_xor_b64 s[0:1], exec, s[0:1]
	s_cbranch_execz .LBB122_518
; %bb.513:
	v_cmp_eq_u32_e32 vcc, 30, v73
	s_and_saveexec_b64 s[2:3], vcc
	s_cbranch_execz .LBB122_517
; %bb.514:
	v_cmp_ne_u32_e32 vcc, 30, v70
	s_xor_b64 s[12:13], s[20:21], -1
	s_and_b64 s[14:15], s[12:13], vcc
	s_and_saveexec_b64 s[12:13], s[14:15]
	s_cbranch_execz .LBB122_516
; %bb.515:
	v_ashrrev_i32_e32 v71, 31, v70
	v_lshl_add_u64 v[74:75], v[70:71], 2, v[4:5]
	global_load_dword v71, v[74:75], off
	global_load_dword v73, v[4:5], off offset:120
	s_waitcnt vmcnt(1)
	global_store_dword v[4:5], v71, off offset:120
	s_waitcnt vmcnt(1)
	global_store_dword v[74:75], v73, off
.LBB122_516:
	s_or_b64 exec, exec, s[12:13]
	v_mov_b32_e32 v71, v70
	v_mov_b32_e32 v73, v70
.LBB122_517:
	s_or_b64 exec, exec, s[2:3]
.LBB122_518:
	s_andn2_saveexec_b64 s[0:1], s[0:1]
	s_cbranch_execz .LBB122_520
; %bb.519:
	v_pk_mov_b32 v[74:75], v[24:25], v[46:47] op_sel:[1,0]
	ds_write2_b32 v67, v74, v75 offset0:31 offset1:32
	v_pk_mov_b32 v[74:75], v[46:47], v[36:37] op_sel:[1,0]
	ds_write2_b32 v67, v74, v75 offset0:33 offset1:34
	;; [unrolled: 2-line block ×14, first 2 shown]
	v_pk_mov_b32 v[74:75], v[12:13], v[8:9] op_sel:[1,0]
	v_mov_b32_e32 v73, 30
	ds_write2_b32 v67, v74, v75 offset0:59 offset1:60
	ds_write_b32 v67, v9 offset:244
.LBB122_520:
	s_or_b64 exec, exec, s[0:1]
	v_cmp_lt_i32_e32 vcc, 30, v73
	s_waitcnt lgkmcnt(0)
	s_barrier
	s_and_saveexec_b64 s[0:1], vcc
	s_cbranch_execz .LBB122_522
; %bb.521:
	ds_read_b32 v70, v67 offset:124
	ds_read2_b32 v[74:75], v67 offset0:32 offset1:33
	v_mul_f32_e32 v24, v72, v24
	s_waitcnt lgkmcnt(1)
	v_fma_f32 v25, -v24, v70, v25
	s_waitcnt lgkmcnt(0)
	v_pk_fma_f32 v[46:47], v[24:25], v[74:75], v[46:47] op_sel_hi:[0,1,1] neg_lo:[1,0,0] neg_hi:[1,0,0]
	ds_read2_b32 v[74:75], v67 offset0:34 offset1:35
	s_waitcnt lgkmcnt(0)
	v_pk_fma_f32 v[36:37], v[24:25], v[74:75], v[36:37] op_sel_hi:[0,1,1] neg_lo:[1,0,0] neg_hi:[1,0,0]
	ds_read2_b32 v[74:75], v67 offset0:36 offset1:37
	;; [unrolled: 3-line block ×14, first 2 shown]
	s_waitcnt lgkmcnt(0)
	v_pk_fma_f32 v[8:9], v[24:25], v[74:75], v[8:9] op_sel_hi:[0,1,1] neg_lo:[1,0,0] neg_hi:[1,0,0]
.LBB122_522:
	s_or_b64 exec, exec, s[0:1]
	v_lshl_add_u32 v70, v73, 2, v67
	s_barrier
	ds_write_b32 v70, v25
	s_waitcnt lgkmcnt(0)
	s_barrier
	ds_read_b32 v72, v67 offset:124
	s_cmp_lt_i32 s22, 33
	v_mov_b32_e32 v70, 31
	s_cbranch_scc1 .LBB122_525
; %bb.523:
	v_add_u32_e32 v74, 0x80, v67
	v_mov_b32_e32 v70, 31
	s_mov_b32 s0, 32
.LBB122_524:                            ; =>This Inner Loop Header: Depth=1
	ds_read_b32 v75, v74
	v_mov_b32_e32 v76, s0
	s_add_i32 s0, s0, 1
	v_add_u32_e32 v74, 4, v74
	s_cmp_lg_u32 s22, s0
	s_waitcnt lgkmcnt(0)
	v_cmp_lt_f32_e64 vcc, |v72|, |v75|
	s_nop 1
	v_cndmask_b32_e32 v72, v72, v75, vcc
	v_cndmask_b32_e32 v70, v70, v76, vcc
	s_cbranch_scc1 .LBB122_524
.LBB122_525:
	s_waitcnt lgkmcnt(0)
	v_cmp_eq_f32_e32 vcc, 0, v72
	s_and_saveexec_b64 s[0:1], vcc
	s_xor_b64 s[0:1], exec, s[0:1]
; %bb.526:
	v_cmp_ne_u32_e32 vcc, 0, v69
	s_nop 1
	v_cndmask_b32_e32 v69, 32, v69, vcc
; %bb.527:
	s_andn2_saveexec_b64 s[0:1], s[0:1]
	s_cbranch_execz .LBB122_529
; %bb.528:
	v_div_scale_f32 v74, s[2:3], v72, v72, 1.0
	v_rcp_f32_e32 v75, v74
	v_div_scale_f32 v76, vcc, 1.0, v72, 1.0
	v_fma_f32 v77, -v74, v75, 1.0
	v_fmac_f32_e32 v75, v77, v75
	v_mul_f32_e32 v77, v76, v75
	v_fma_f32 v78, -v74, v77, v76
	v_fmac_f32_e32 v77, v78, v75
	v_fma_f32 v74, -v74, v77, v76
	v_div_fmas_f32 v74, v74, v75, v77
	v_div_fixup_f32 v72, v74, v72, 1.0
.LBB122_529:
	s_or_b64 exec, exec, s[0:1]
	v_cmp_ne_u32_e32 vcc, v73, v70
	s_and_saveexec_b64 s[0:1], vcc
	s_xor_b64 s[0:1], exec, s[0:1]
	s_cbranch_execz .LBB122_535
; %bb.530:
	v_cmp_eq_u32_e32 vcc, 31, v73
	s_and_saveexec_b64 s[2:3], vcc
	s_cbranch_execz .LBB122_534
; %bb.531:
	v_cmp_ne_u32_e32 vcc, 31, v70
	s_xor_b64 s[12:13], s[20:21], -1
	s_and_b64 s[14:15], s[12:13], vcc
	s_and_saveexec_b64 s[12:13], s[14:15]
	s_cbranch_execz .LBB122_533
; %bb.532:
	v_ashrrev_i32_e32 v71, 31, v70
	v_lshl_add_u64 v[74:75], v[70:71], 2, v[4:5]
	global_load_dword v71, v[74:75], off
	global_load_dword v73, v[4:5], off offset:124
	s_waitcnt vmcnt(1)
	global_store_dword v[4:5], v71, off offset:124
	s_waitcnt vmcnt(1)
	global_store_dword v[74:75], v73, off
.LBB122_533:
	s_or_b64 exec, exec, s[12:13]
	v_mov_b32_e32 v71, v70
	v_mov_b32_e32 v73, v70
.LBB122_534:
	s_or_b64 exec, exec, s[2:3]
.LBB122_535:
	s_andn2_saveexec_b64 s[0:1], s[0:1]
	s_cbranch_execz .LBB122_537
; %bb.536:
	v_mov_b32_e32 v73, 31
	ds_write2_b32 v67, v46, v47 offset0:32 offset1:33
	ds_write2_b32 v67, v36, v37 offset0:34 offset1:35
	;; [unrolled: 1-line block ×15, first 2 shown]
.LBB122_537:
	s_or_b64 exec, exec, s[0:1]
	v_cmp_lt_i32_e32 vcc, 31, v73
	s_waitcnt lgkmcnt(0)
	s_barrier
	s_and_saveexec_b64 s[0:1], vcc
	s_cbranch_execz .LBB122_539
; %bb.538:
	ds_read2_b32 v[74:75], v67 offset0:32 offset1:33
	v_mul_f32_e32 v70, v72, v25
	v_mov_b32_e32 v25, v70
	s_waitcnt lgkmcnt(0)
	v_pk_fma_f32 v[46:47], v[70:71], v[74:75], v[46:47] op_sel_hi:[0,1,1] neg_lo:[1,0,0] neg_hi:[1,0,0]
	ds_read2_b32 v[74:75], v67 offset0:34 offset1:35
	s_waitcnt lgkmcnt(0)
	v_pk_fma_f32 v[36:37], v[70:71], v[74:75], v[36:37] op_sel_hi:[0,1,1] neg_lo:[1,0,0] neg_hi:[1,0,0]
	ds_read2_b32 v[74:75], v67 offset0:36 offset1:37
	;; [unrolled: 3-line block ×14, first 2 shown]
	s_waitcnt lgkmcnt(0)
	v_pk_fma_f32 v[8:9], v[70:71], v[74:75], v[8:9] op_sel_hi:[0,1,1] neg_lo:[1,0,0] neg_hi:[1,0,0]
.LBB122_539:
	s_or_b64 exec, exec, s[0:1]
	v_lshl_add_u32 v70, v73, 2, v67
	s_barrier
	ds_write_b32 v70, v46
	s_waitcnt lgkmcnt(0)
	s_barrier
	ds_read_b32 v72, v67 offset:128
	s_cmp_lt_i32 s22, 34
	v_mov_b32_e32 v70, 32
	s_cbranch_scc1 .LBB122_542
; %bb.540:
	v_add_u32_e32 v74, 0x84, v67
	v_mov_b32_e32 v70, 32
	s_mov_b32 s0, 33
.LBB122_541:                            ; =>This Inner Loop Header: Depth=1
	ds_read_b32 v75, v74
	v_mov_b32_e32 v76, s0
	s_add_i32 s0, s0, 1
	v_add_u32_e32 v74, 4, v74
	s_cmp_lg_u32 s22, s0
	s_waitcnt lgkmcnt(0)
	v_cmp_lt_f32_e64 vcc, |v72|, |v75|
	s_nop 1
	v_cndmask_b32_e32 v72, v72, v75, vcc
	v_cndmask_b32_e32 v70, v70, v76, vcc
	s_cbranch_scc1 .LBB122_541
.LBB122_542:
	s_waitcnt lgkmcnt(0)
	v_cmp_eq_f32_e32 vcc, 0, v72
	s_and_saveexec_b64 s[0:1], vcc
	s_xor_b64 s[0:1], exec, s[0:1]
; %bb.543:
	v_cmp_ne_u32_e32 vcc, 0, v69
	s_nop 1
	v_cndmask_b32_e32 v69, 33, v69, vcc
; %bb.544:
	s_andn2_saveexec_b64 s[0:1], s[0:1]
	s_cbranch_execz .LBB122_546
; %bb.545:
	v_div_scale_f32 v74, s[2:3], v72, v72, 1.0
	v_rcp_f32_e32 v75, v74
	v_div_scale_f32 v76, vcc, 1.0, v72, 1.0
	v_fma_f32 v77, -v74, v75, 1.0
	v_fmac_f32_e32 v75, v77, v75
	v_mul_f32_e32 v77, v76, v75
	v_fma_f32 v78, -v74, v77, v76
	v_fmac_f32_e32 v77, v78, v75
	v_fma_f32 v74, -v74, v77, v76
	v_div_fmas_f32 v74, v74, v75, v77
	v_div_fixup_f32 v72, v74, v72, 1.0
.LBB122_546:
	s_or_b64 exec, exec, s[0:1]
	v_cmp_ne_u32_e32 vcc, v73, v70
	s_and_saveexec_b64 s[0:1], vcc
	s_xor_b64 s[0:1], exec, s[0:1]
	s_cbranch_execz .LBB122_552
; %bb.547:
	v_cmp_eq_u32_e32 vcc, 32, v73
	s_and_saveexec_b64 s[2:3], vcc
	s_cbranch_execz .LBB122_551
; %bb.548:
	v_cmp_ne_u32_e32 vcc, 32, v70
	s_xor_b64 s[12:13], s[20:21], -1
	s_and_b64 s[14:15], s[12:13], vcc
	s_and_saveexec_b64 s[12:13], s[14:15]
	s_cbranch_execz .LBB122_550
; %bb.549:
	v_ashrrev_i32_e32 v71, 31, v70
	v_lshl_add_u64 v[74:75], v[70:71], 2, v[4:5]
	global_load_dword v71, v[74:75], off
	global_load_dword v73, v[4:5], off offset:128
	s_waitcnt vmcnt(1)
	global_store_dword v[4:5], v71, off offset:128
	s_waitcnt vmcnt(1)
	global_store_dword v[74:75], v73, off
.LBB122_550:
	s_or_b64 exec, exec, s[12:13]
	v_mov_b32_e32 v71, v70
	v_mov_b32_e32 v73, v70
.LBB122_551:
	s_or_b64 exec, exec, s[2:3]
.LBB122_552:
	s_andn2_saveexec_b64 s[0:1], s[0:1]
	s_cbranch_execz .LBB122_554
; %bb.553:
	v_pk_mov_b32 v[74:75], v[46:47], v[36:37] op_sel:[1,0]
	ds_write2_b32 v67, v74, v75 offset0:33 offset1:34
	v_pk_mov_b32 v[74:75], v[36:37], v[26:27] op_sel:[1,0]
	ds_write2_b32 v67, v74, v75 offset0:35 offset1:36
	;; [unrolled: 2-line block ×13, first 2 shown]
	v_pk_mov_b32 v[74:75], v[12:13], v[8:9] op_sel:[1,0]
	v_mov_b32_e32 v73, 32
	ds_write2_b32 v67, v74, v75 offset0:59 offset1:60
	ds_write_b32 v67, v9 offset:244
.LBB122_554:
	s_or_b64 exec, exec, s[0:1]
	v_cmp_lt_i32_e32 vcc, 32, v73
	s_waitcnt lgkmcnt(0)
	s_barrier
	s_and_saveexec_b64 s[0:1], vcc
	s_cbranch_execz .LBB122_556
; %bb.555:
	ds_read_b32 v70, v67 offset:132
	ds_read2_b32 v[74:75], v67 offset0:34 offset1:35
	v_mul_f32_e32 v46, v72, v46
	s_waitcnt lgkmcnt(1)
	v_fma_f32 v47, -v46, v70, v47
	s_waitcnt lgkmcnt(0)
	v_pk_fma_f32 v[36:37], v[46:47], v[74:75], v[36:37] op_sel_hi:[0,1,1] neg_lo:[1,0,0] neg_hi:[1,0,0]
	ds_read2_b32 v[74:75], v67 offset0:36 offset1:37
	s_waitcnt lgkmcnt(0)
	v_pk_fma_f32 v[26:27], v[46:47], v[74:75], v[26:27] op_sel_hi:[0,1,1] neg_lo:[1,0,0] neg_hi:[1,0,0]
	ds_read2_b32 v[74:75], v67 offset0:38 offset1:39
	;; [unrolled: 3-line block ×13, first 2 shown]
	s_waitcnt lgkmcnt(0)
	v_pk_fma_f32 v[8:9], v[46:47], v[74:75], v[8:9] op_sel_hi:[0,1,1] neg_lo:[1,0,0] neg_hi:[1,0,0]
.LBB122_556:
	s_or_b64 exec, exec, s[0:1]
	v_lshl_add_u32 v70, v73, 2, v67
	s_barrier
	ds_write_b32 v70, v47
	s_waitcnt lgkmcnt(0)
	s_barrier
	ds_read_b32 v72, v67 offset:132
	s_cmp_lt_i32 s22, 35
	v_mov_b32_e32 v70, 33
	s_cbranch_scc1 .LBB122_559
; %bb.557:
	v_add_u32_e32 v74, 0x88, v67
	v_mov_b32_e32 v70, 33
	s_mov_b32 s0, 34
.LBB122_558:                            ; =>This Inner Loop Header: Depth=1
	ds_read_b32 v75, v74
	v_mov_b32_e32 v76, s0
	s_add_i32 s0, s0, 1
	v_add_u32_e32 v74, 4, v74
	s_cmp_lg_u32 s22, s0
	s_waitcnt lgkmcnt(0)
	v_cmp_lt_f32_e64 vcc, |v72|, |v75|
	s_nop 1
	v_cndmask_b32_e32 v72, v72, v75, vcc
	v_cndmask_b32_e32 v70, v70, v76, vcc
	s_cbranch_scc1 .LBB122_558
.LBB122_559:
	s_waitcnt lgkmcnt(0)
	v_cmp_eq_f32_e32 vcc, 0, v72
	s_and_saveexec_b64 s[0:1], vcc
	s_xor_b64 s[0:1], exec, s[0:1]
; %bb.560:
	v_cmp_ne_u32_e32 vcc, 0, v69
	s_nop 1
	v_cndmask_b32_e32 v69, 34, v69, vcc
; %bb.561:
	s_andn2_saveexec_b64 s[0:1], s[0:1]
	s_cbranch_execz .LBB122_563
; %bb.562:
	v_div_scale_f32 v74, s[2:3], v72, v72, 1.0
	v_rcp_f32_e32 v75, v74
	v_div_scale_f32 v76, vcc, 1.0, v72, 1.0
	v_fma_f32 v77, -v74, v75, 1.0
	v_fmac_f32_e32 v75, v77, v75
	v_mul_f32_e32 v77, v76, v75
	v_fma_f32 v78, -v74, v77, v76
	v_fmac_f32_e32 v77, v78, v75
	v_fma_f32 v74, -v74, v77, v76
	v_div_fmas_f32 v74, v74, v75, v77
	v_div_fixup_f32 v72, v74, v72, 1.0
.LBB122_563:
	s_or_b64 exec, exec, s[0:1]
	v_cmp_ne_u32_e32 vcc, v73, v70
	s_and_saveexec_b64 s[0:1], vcc
	s_xor_b64 s[0:1], exec, s[0:1]
	s_cbranch_execz .LBB122_569
; %bb.564:
	v_cmp_eq_u32_e32 vcc, 33, v73
	s_and_saveexec_b64 s[2:3], vcc
	s_cbranch_execz .LBB122_568
; %bb.565:
	v_cmp_ne_u32_e32 vcc, 33, v70
	s_xor_b64 s[12:13], s[20:21], -1
	s_and_b64 s[14:15], s[12:13], vcc
	s_and_saveexec_b64 s[12:13], s[14:15]
	s_cbranch_execz .LBB122_567
; %bb.566:
	v_ashrrev_i32_e32 v71, 31, v70
	v_lshl_add_u64 v[74:75], v[70:71], 2, v[4:5]
	global_load_dword v71, v[74:75], off
	global_load_dword v73, v[4:5], off offset:132
	s_waitcnt vmcnt(1)
	global_store_dword v[4:5], v71, off offset:132
	s_waitcnt vmcnt(1)
	global_store_dword v[74:75], v73, off
.LBB122_567:
	s_or_b64 exec, exec, s[12:13]
	v_mov_b32_e32 v71, v70
	v_mov_b32_e32 v73, v70
.LBB122_568:
	s_or_b64 exec, exec, s[2:3]
.LBB122_569:
	s_andn2_saveexec_b64 s[0:1], s[0:1]
	s_cbranch_execz .LBB122_571
; %bb.570:
	v_mov_b32_e32 v73, 33
	ds_write2_b32 v67, v36, v37 offset0:34 offset1:35
	ds_write2_b32 v67, v26, v27 offset0:36 offset1:37
	;; [unrolled: 1-line block ×14, first 2 shown]
.LBB122_571:
	s_or_b64 exec, exec, s[0:1]
	v_cmp_lt_i32_e32 vcc, 33, v73
	s_waitcnt lgkmcnt(0)
	s_barrier
	s_and_saveexec_b64 s[0:1], vcc
	s_cbranch_execz .LBB122_573
; %bb.572:
	ds_read2_b32 v[74:75], v67 offset0:34 offset1:35
	v_mul_f32_e32 v70, v72, v47
	v_mov_b32_e32 v47, v70
	s_waitcnt lgkmcnt(0)
	v_pk_fma_f32 v[36:37], v[70:71], v[74:75], v[36:37] op_sel_hi:[0,1,1] neg_lo:[1,0,0] neg_hi:[1,0,0]
	ds_read2_b32 v[74:75], v67 offset0:36 offset1:37
	s_waitcnt lgkmcnt(0)
	v_pk_fma_f32 v[26:27], v[70:71], v[74:75], v[26:27] op_sel_hi:[0,1,1] neg_lo:[1,0,0] neg_hi:[1,0,0]
	ds_read2_b32 v[74:75], v67 offset0:38 offset1:39
	s_waitcnt lgkmcnt(0)
	v_pk_fma_f32 v[18:19], v[70:71], v[74:75], v[18:19] op_sel_hi:[0,1,1] neg_lo:[1,0,0] neg_hi:[1,0,0]
	ds_read2_b32 v[74:75], v67 offset0:40 offset1:41
	s_waitcnt lgkmcnt(0)
	v_pk_fma_f32 v[38:39], v[70:71], v[74:75], v[38:39] op_sel_hi:[0,1,1] neg_lo:[1,0,0] neg_hi:[1,0,0]
	ds_read2_b32 v[74:75], v67 offset0:42 offset1:43
	s_waitcnt lgkmcnt(0)
	v_pk_fma_f32 v[28:29], v[70:71], v[74:75], v[28:29] op_sel_hi:[0,1,1] neg_lo:[1,0,0] neg_hi:[1,0,0]
	ds_read2_b32 v[74:75], v67 offset0:44 offset1:45
	s_waitcnt lgkmcnt(0)
	v_pk_fma_f32 v[20:21], v[70:71], v[74:75], v[20:21] op_sel_hi:[0,1,1] neg_lo:[1,0,0] neg_hi:[1,0,0]
	ds_read2_b32 v[74:75], v67 offset0:46 offset1:47
	s_waitcnt lgkmcnt(0)
	v_pk_fma_f32 v[14:15], v[70:71], v[74:75], v[14:15] op_sel_hi:[0,1,1] neg_lo:[1,0,0] neg_hi:[1,0,0]
	ds_read2_b32 v[74:75], v67 offset0:48 offset1:49
	s_waitcnt lgkmcnt(0)
	v_pk_fma_f32 v[30:31], v[70:71], v[74:75], v[30:31] op_sel_hi:[0,1,1] neg_lo:[1,0,0] neg_hi:[1,0,0]
	ds_read2_b32 v[74:75], v67 offset0:50 offset1:51
	s_waitcnt lgkmcnt(0)
	v_pk_fma_f32 v[22:23], v[70:71], v[74:75], v[22:23] op_sel_hi:[0,1,1] neg_lo:[1,0,0] neg_hi:[1,0,0]
	ds_read2_b32 v[74:75], v67 offset0:52 offset1:53
	s_waitcnt lgkmcnt(0)
	v_pk_fma_f32 v[16:17], v[70:71], v[74:75], v[16:17] op_sel_hi:[0,1,1] neg_lo:[1,0,0] neg_hi:[1,0,0]
	ds_read2_b32 v[74:75], v67 offset0:54 offset1:55
	s_waitcnt lgkmcnt(0)
	v_pk_fma_f32 v[0:1], v[70:71], v[74:75], v[0:1] op_sel_hi:[0,1,1] neg_lo:[1,0,0] neg_hi:[1,0,0]
	ds_read2_b32 v[74:75], v67 offset0:56 offset1:57
	s_waitcnt lgkmcnt(0)
	v_pk_fma_f32 v[10:11], v[70:71], v[74:75], v[10:11] op_sel_hi:[0,1,1] neg_lo:[1,0,0] neg_hi:[1,0,0]
	ds_read2_b32 v[74:75], v67 offset0:58 offset1:59
	s_waitcnt lgkmcnt(0)
	v_pk_fma_f32 v[12:13], v[70:71], v[74:75], v[12:13] op_sel_hi:[0,1,1] neg_lo:[1,0,0] neg_hi:[1,0,0]
	ds_read2_b32 v[74:75], v67 offset0:60 offset1:61
	s_waitcnt lgkmcnt(0)
	v_pk_fma_f32 v[8:9], v[70:71], v[74:75], v[8:9] op_sel_hi:[0,1,1] neg_lo:[1,0,0] neg_hi:[1,0,0]
.LBB122_573:
	s_or_b64 exec, exec, s[0:1]
	v_lshl_add_u32 v70, v73, 2, v67
	s_barrier
	ds_write_b32 v70, v36
	s_waitcnt lgkmcnt(0)
	s_barrier
	ds_read_b32 v72, v67 offset:136
	s_cmp_lt_i32 s22, 36
	v_mov_b32_e32 v70, 34
	s_cbranch_scc1 .LBB122_576
; %bb.574:
	v_add_u32_e32 v74, 0x8c, v67
	v_mov_b32_e32 v70, 34
	s_mov_b32 s0, 35
.LBB122_575:                            ; =>This Inner Loop Header: Depth=1
	ds_read_b32 v75, v74
	v_mov_b32_e32 v76, s0
	s_add_i32 s0, s0, 1
	v_add_u32_e32 v74, 4, v74
	s_cmp_lg_u32 s22, s0
	s_waitcnt lgkmcnt(0)
	v_cmp_lt_f32_e64 vcc, |v72|, |v75|
	s_nop 1
	v_cndmask_b32_e32 v72, v72, v75, vcc
	v_cndmask_b32_e32 v70, v70, v76, vcc
	s_cbranch_scc1 .LBB122_575
.LBB122_576:
	s_waitcnt lgkmcnt(0)
	v_cmp_eq_f32_e32 vcc, 0, v72
	s_and_saveexec_b64 s[0:1], vcc
	s_xor_b64 s[0:1], exec, s[0:1]
; %bb.577:
	v_cmp_ne_u32_e32 vcc, 0, v69
	s_nop 1
	v_cndmask_b32_e32 v69, 35, v69, vcc
; %bb.578:
	s_andn2_saveexec_b64 s[0:1], s[0:1]
	s_cbranch_execz .LBB122_580
; %bb.579:
	v_div_scale_f32 v74, s[2:3], v72, v72, 1.0
	v_rcp_f32_e32 v75, v74
	v_div_scale_f32 v76, vcc, 1.0, v72, 1.0
	v_fma_f32 v77, -v74, v75, 1.0
	v_fmac_f32_e32 v75, v77, v75
	v_mul_f32_e32 v77, v76, v75
	v_fma_f32 v78, -v74, v77, v76
	v_fmac_f32_e32 v77, v78, v75
	v_fma_f32 v74, -v74, v77, v76
	v_div_fmas_f32 v74, v74, v75, v77
	v_div_fixup_f32 v72, v74, v72, 1.0
.LBB122_580:
	s_or_b64 exec, exec, s[0:1]
	v_cmp_ne_u32_e32 vcc, v73, v70
	s_and_saveexec_b64 s[0:1], vcc
	s_xor_b64 s[0:1], exec, s[0:1]
	s_cbranch_execz .LBB122_586
; %bb.581:
	v_cmp_eq_u32_e32 vcc, 34, v73
	s_and_saveexec_b64 s[2:3], vcc
	s_cbranch_execz .LBB122_585
; %bb.582:
	v_cmp_ne_u32_e32 vcc, 34, v70
	s_xor_b64 s[12:13], s[20:21], -1
	s_and_b64 s[14:15], s[12:13], vcc
	s_and_saveexec_b64 s[12:13], s[14:15]
	s_cbranch_execz .LBB122_584
; %bb.583:
	v_ashrrev_i32_e32 v71, 31, v70
	v_lshl_add_u64 v[74:75], v[70:71], 2, v[4:5]
	global_load_dword v71, v[74:75], off
	global_load_dword v73, v[4:5], off offset:136
	s_waitcnt vmcnt(1)
	global_store_dword v[4:5], v71, off offset:136
	s_waitcnt vmcnt(1)
	global_store_dword v[74:75], v73, off
.LBB122_584:
	s_or_b64 exec, exec, s[12:13]
	v_mov_b32_e32 v71, v70
	v_mov_b32_e32 v73, v70
.LBB122_585:
	s_or_b64 exec, exec, s[2:3]
.LBB122_586:
	s_andn2_saveexec_b64 s[0:1], s[0:1]
	s_cbranch_execz .LBB122_588
; %bb.587:
	v_pk_mov_b32 v[74:75], v[36:37], v[26:27] op_sel:[1,0]
	ds_write2_b32 v67, v74, v75 offset0:35 offset1:36
	v_pk_mov_b32 v[74:75], v[26:27], v[18:19] op_sel:[1,0]
	ds_write2_b32 v67, v74, v75 offset0:37 offset1:38
	;; [unrolled: 2-line block ×12, first 2 shown]
	v_pk_mov_b32 v[74:75], v[12:13], v[8:9] op_sel:[1,0]
	v_mov_b32_e32 v73, 34
	ds_write2_b32 v67, v74, v75 offset0:59 offset1:60
	ds_write_b32 v67, v9 offset:244
.LBB122_588:
	s_or_b64 exec, exec, s[0:1]
	v_cmp_lt_i32_e32 vcc, 34, v73
	s_waitcnt lgkmcnt(0)
	s_barrier
	s_and_saveexec_b64 s[0:1], vcc
	s_cbranch_execz .LBB122_590
; %bb.589:
	ds_read_b32 v70, v67 offset:140
	ds_read2_b32 v[74:75], v67 offset0:36 offset1:37
	v_mul_f32_e32 v36, v72, v36
	s_waitcnt lgkmcnt(1)
	v_fma_f32 v37, -v36, v70, v37
	s_waitcnt lgkmcnt(0)
	v_pk_fma_f32 v[26:27], v[36:37], v[74:75], v[26:27] op_sel_hi:[0,1,1] neg_lo:[1,0,0] neg_hi:[1,0,0]
	ds_read2_b32 v[74:75], v67 offset0:38 offset1:39
	s_waitcnt lgkmcnt(0)
	v_pk_fma_f32 v[18:19], v[36:37], v[74:75], v[18:19] op_sel_hi:[0,1,1] neg_lo:[1,0,0] neg_hi:[1,0,0]
	ds_read2_b32 v[74:75], v67 offset0:40 offset1:41
	;; [unrolled: 3-line block ×12, first 2 shown]
	s_waitcnt lgkmcnt(0)
	v_pk_fma_f32 v[8:9], v[36:37], v[74:75], v[8:9] op_sel_hi:[0,1,1] neg_lo:[1,0,0] neg_hi:[1,0,0]
.LBB122_590:
	s_or_b64 exec, exec, s[0:1]
	v_lshl_add_u32 v70, v73, 2, v67
	s_barrier
	ds_write_b32 v70, v37
	s_waitcnt lgkmcnt(0)
	s_barrier
	ds_read_b32 v72, v67 offset:140
	s_cmp_lt_i32 s22, 37
	v_mov_b32_e32 v70, 35
	s_cbranch_scc1 .LBB122_593
; %bb.591:
	v_add_u32_e32 v74, 0x90, v67
	v_mov_b32_e32 v70, 35
	s_mov_b32 s0, 36
.LBB122_592:                            ; =>This Inner Loop Header: Depth=1
	ds_read_b32 v75, v74
	v_mov_b32_e32 v76, s0
	s_add_i32 s0, s0, 1
	v_add_u32_e32 v74, 4, v74
	s_cmp_lg_u32 s22, s0
	s_waitcnt lgkmcnt(0)
	v_cmp_lt_f32_e64 vcc, |v72|, |v75|
	s_nop 1
	v_cndmask_b32_e32 v72, v72, v75, vcc
	v_cndmask_b32_e32 v70, v70, v76, vcc
	s_cbranch_scc1 .LBB122_592
.LBB122_593:
	s_waitcnt lgkmcnt(0)
	v_cmp_eq_f32_e32 vcc, 0, v72
	s_and_saveexec_b64 s[0:1], vcc
	s_xor_b64 s[0:1], exec, s[0:1]
; %bb.594:
	v_cmp_ne_u32_e32 vcc, 0, v69
	s_nop 1
	v_cndmask_b32_e32 v69, 36, v69, vcc
; %bb.595:
	s_andn2_saveexec_b64 s[0:1], s[0:1]
	s_cbranch_execz .LBB122_597
; %bb.596:
	v_div_scale_f32 v74, s[2:3], v72, v72, 1.0
	v_rcp_f32_e32 v75, v74
	v_div_scale_f32 v76, vcc, 1.0, v72, 1.0
	v_fma_f32 v77, -v74, v75, 1.0
	v_fmac_f32_e32 v75, v77, v75
	v_mul_f32_e32 v77, v76, v75
	v_fma_f32 v78, -v74, v77, v76
	v_fmac_f32_e32 v77, v78, v75
	v_fma_f32 v74, -v74, v77, v76
	v_div_fmas_f32 v74, v74, v75, v77
	v_div_fixup_f32 v72, v74, v72, 1.0
.LBB122_597:
	s_or_b64 exec, exec, s[0:1]
	v_cmp_ne_u32_e32 vcc, v73, v70
	s_and_saveexec_b64 s[0:1], vcc
	s_xor_b64 s[0:1], exec, s[0:1]
	s_cbranch_execz .LBB122_603
; %bb.598:
	v_cmp_eq_u32_e32 vcc, 35, v73
	s_and_saveexec_b64 s[2:3], vcc
	s_cbranch_execz .LBB122_602
; %bb.599:
	v_cmp_ne_u32_e32 vcc, 35, v70
	s_xor_b64 s[12:13], s[20:21], -1
	s_and_b64 s[14:15], s[12:13], vcc
	s_and_saveexec_b64 s[12:13], s[14:15]
	s_cbranch_execz .LBB122_601
; %bb.600:
	v_ashrrev_i32_e32 v71, 31, v70
	v_lshl_add_u64 v[74:75], v[70:71], 2, v[4:5]
	global_load_dword v71, v[74:75], off
	global_load_dword v73, v[4:5], off offset:140
	s_waitcnt vmcnt(1)
	global_store_dword v[4:5], v71, off offset:140
	s_waitcnt vmcnt(1)
	global_store_dword v[74:75], v73, off
.LBB122_601:
	s_or_b64 exec, exec, s[12:13]
	v_mov_b32_e32 v71, v70
	v_mov_b32_e32 v73, v70
.LBB122_602:
	s_or_b64 exec, exec, s[2:3]
.LBB122_603:
	s_andn2_saveexec_b64 s[0:1], s[0:1]
	s_cbranch_execz .LBB122_605
; %bb.604:
	v_mov_b32_e32 v73, 35
	ds_write2_b32 v67, v26, v27 offset0:36 offset1:37
	ds_write2_b32 v67, v18, v19 offset0:38 offset1:39
	;; [unrolled: 1-line block ×13, first 2 shown]
.LBB122_605:
	s_or_b64 exec, exec, s[0:1]
	v_cmp_lt_i32_e32 vcc, 35, v73
	s_waitcnt lgkmcnt(0)
	s_barrier
	s_and_saveexec_b64 s[0:1], vcc
	s_cbranch_execz .LBB122_607
; %bb.606:
	ds_read2_b32 v[74:75], v67 offset0:36 offset1:37
	v_mul_f32_e32 v70, v72, v37
	v_mov_b32_e32 v37, v70
	s_waitcnt lgkmcnt(0)
	v_pk_fma_f32 v[26:27], v[70:71], v[74:75], v[26:27] op_sel_hi:[0,1,1] neg_lo:[1,0,0] neg_hi:[1,0,0]
	ds_read2_b32 v[74:75], v67 offset0:38 offset1:39
	s_waitcnt lgkmcnt(0)
	v_pk_fma_f32 v[18:19], v[70:71], v[74:75], v[18:19] op_sel_hi:[0,1,1] neg_lo:[1,0,0] neg_hi:[1,0,0]
	ds_read2_b32 v[74:75], v67 offset0:40 offset1:41
	;; [unrolled: 3-line block ×12, first 2 shown]
	s_waitcnt lgkmcnt(0)
	v_pk_fma_f32 v[8:9], v[70:71], v[74:75], v[8:9] op_sel_hi:[0,1,1] neg_lo:[1,0,0] neg_hi:[1,0,0]
.LBB122_607:
	s_or_b64 exec, exec, s[0:1]
	v_lshl_add_u32 v70, v73, 2, v67
	s_barrier
	ds_write_b32 v70, v26
	s_waitcnt lgkmcnt(0)
	s_barrier
	ds_read_b32 v72, v67 offset:144
	s_cmp_lt_i32 s22, 38
	v_mov_b32_e32 v70, 36
	s_cbranch_scc1 .LBB122_610
; %bb.608:
	v_add_u32_e32 v74, 0x94, v67
	v_mov_b32_e32 v70, 36
	s_mov_b32 s0, 37
.LBB122_609:                            ; =>This Inner Loop Header: Depth=1
	ds_read_b32 v75, v74
	v_mov_b32_e32 v76, s0
	s_add_i32 s0, s0, 1
	v_add_u32_e32 v74, 4, v74
	s_cmp_lg_u32 s22, s0
	s_waitcnt lgkmcnt(0)
	v_cmp_lt_f32_e64 vcc, |v72|, |v75|
	s_nop 1
	v_cndmask_b32_e32 v72, v72, v75, vcc
	v_cndmask_b32_e32 v70, v70, v76, vcc
	s_cbranch_scc1 .LBB122_609
.LBB122_610:
	s_waitcnt lgkmcnt(0)
	v_cmp_eq_f32_e32 vcc, 0, v72
	s_and_saveexec_b64 s[0:1], vcc
	s_xor_b64 s[0:1], exec, s[0:1]
; %bb.611:
	v_cmp_ne_u32_e32 vcc, 0, v69
	s_nop 1
	v_cndmask_b32_e32 v69, 37, v69, vcc
; %bb.612:
	s_andn2_saveexec_b64 s[0:1], s[0:1]
	s_cbranch_execz .LBB122_614
; %bb.613:
	v_div_scale_f32 v74, s[2:3], v72, v72, 1.0
	v_rcp_f32_e32 v75, v74
	v_div_scale_f32 v76, vcc, 1.0, v72, 1.0
	v_fma_f32 v77, -v74, v75, 1.0
	v_fmac_f32_e32 v75, v77, v75
	v_mul_f32_e32 v77, v76, v75
	v_fma_f32 v78, -v74, v77, v76
	v_fmac_f32_e32 v77, v78, v75
	v_fma_f32 v74, -v74, v77, v76
	v_div_fmas_f32 v74, v74, v75, v77
	v_div_fixup_f32 v72, v74, v72, 1.0
.LBB122_614:
	s_or_b64 exec, exec, s[0:1]
	v_cmp_ne_u32_e32 vcc, v73, v70
	s_and_saveexec_b64 s[0:1], vcc
	s_xor_b64 s[0:1], exec, s[0:1]
	s_cbranch_execz .LBB122_620
; %bb.615:
	v_cmp_eq_u32_e32 vcc, 36, v73
	s_and_saveexec_b64 s[2:3], vcc
	s_cbranch_execz .LBB122_619
; %bb.616:
	v_cmp_ne_u32_e32 vcc, 36, v70
	s_xor_b64 s[12:13], s[20:21], -1
	s_and_b64 s[14:15], s[12:13], vcc
	s_and_saveexec_b64 s[12:13], s[14:15]
	s_cbranch_execz .LBB122_618
; %bb.617:
	v_ashrrev_i32_e32 v71, 31, v70
	v_lshl_add_u64 v[74:75], v[70:71], 2, v[4:5]
	global_load_dword v71, v[74:75], off
	global_load_dword v73, v[4:5], off offset:144
	s_waitcnt vmcnt(1)
	global_store_dword v[4:5], v71, off offset:144
	s_waitcnt vmcnt(1)
	global_store_dword v[74:75], v73, off
.LBB122_618:
	s_or_b64 exec, exec, s[12:13]
	v_mov_b32_e32 v71, v70
	v_mov_b32_e32 v73, v70
.LBB122_619:
	s_or_b64 exec, exec, s[2:3]
.LBB122_620:
	s_andn2_saveexec_b64 s[0:1], s[0:1]
	s_cbranch_execz .LBB122_622
; %bb.621:
	v_pk_mov_b32 v[74:75], v[26:27], v[18:19] op_sel:[1,0]
	ds_write2_b32 v67, v74, v75 offset0:37 offset1:38
	v_pk_mov_b32 v[74:75], v[18:19], v[38:39] op_sel:[1,0]
	ds_write2_b32 v67, v74, v75 offset0:39 offset1:40
	v_pk_mov_b32 v[74:75], v[38:39], v[28:29] op_sel:[1,0]
	ds_write2_b32 v67, v74, v75 offset0:41 offset1:42
	v_pk_mov_b32 v[74:75], v[28:29], v[20:21] op_sel:[1,0]
	ds_write2_b32 v67, v74, v75 offset0:43 offset1:44
	v_pk_mov_b32 v[74:75], v[20:21], v[14:15] op_sel:[1,0]
	ds_write2_b32 v67, v74, v75 offset0:45 offset1:46
	v_pk_mov_b32 v[74:75], v[14:15], v[30:31] op_sel:[1,0]
	ds_write2_b32 v67, v74, v75 offset0:47 offset1:48
	v_pk_mov_b32 v[74:75], v[30:31], v[22:23] op_sel:[1,0]
	ds_write2_b32 v67, v74, v75 offset0:49 offset1:50
	v_pk_mov_b32 v[74:75], v[22:23], v[16:17] op_sel:[1,0]
	ds_write2_b32 v67, v74, v75 offset0:51 offset1:52
	v_pk_mov_b32 v[74:75], v[16:17], v[0:1] op_sel:[1,0]
	ds_write2_b32 v67, v74, v75 offset0:53 offset1:54
	v_pk_mov_b32 v[74:75], v[0:1], v[10:11] op_sel:[1,0]
	ds_write2_b32 v67, v74, v75 offset0:55 offset1:56
	v_pk_mov_b32 v[74:75], v[10:11], v[12:13] op_sel:[1,0]
	ds_write2_b32 v67, v74, v75 offset0:57 offset1:58
	v_pk_mov_b32 v[74:75], v[12:13], v[8:9] op_sel:[1,0]
	v_mov_b32_e32 v73, 36
	ds_write2_b32 v67, v74, v75 offset0:59 offset1:60
	ds_write_b32 v67, v9 offset:244
.LBB122_622:
	s_or_b64 exec, exec, s[0:1]
	v_cmp_lt_i32_e32 vcc, 36, v73
	s_waitcnt lgkmcnt(0)
	s_barrier
	s_and_saveexec_b64 s[0:1], vcc
	s_cbranch_execz .LBB122_624
; %bb.623:
	ds_read_b32 v70, v67 offset:148
	ds_read2_b32 v[74:75], v67 offset0:38 offset1:39
	v_mul_f32_e32 v26, v72, v26
	s_waitcnt lgkmcnt(1)
	v_fma_f32 v27, -v26, v70, v27
	s_waitcnt lgkmcnt(0)
	v_pk_fma_f32 v[18:19], v[26:27], v[74:75], v[18:19] op_sel_hi:[0,1,1] neg_lo:[1,0,0] neg_hi:[1,0,0]
	ds_read2_b32 v[74:75], v67 offset0:40 offset1:41
	s_waitcnt lgkmcnt(0)
	v_pk_fma_f32 v[38:39], v[26:27], v[74:75], v[38:39] op_sel_hi:[0,1,1] neg_lo:[1,0,0] neg_hi:[1,0,0]
	ds_read2_b32 v[74:75], v67 offset0:42 offset1:43
	;; [unrolled: 3-line block ×11, first 2 shown]
	s_waitcnt lgkmcnt(0)
	v_pk_fma_f32 v[8:9], v[26:27], v[74:75], v[8:9] op_sel_hi:[0,1,1] neg_lo:[1,0,0] neg_hi:[1,0,0]
.LBB122_624:
	s_or_b64 exec, exec, s[0:1]
	v_lshl_add_u32 v70, v73, 2, v67
	s_barrier
	ds_write_b32 v70, v27
	s_waitcnt lgkmcnt(0)
	s_barrier
	ds_read_b32 v72, v67 offset:148
	s_cmp_lt_i32 s22, 39
	v_mov_b32_e32 v70, 37
	s_cbranch_scc1 .LBB122_627
; %bb.625:
	v_add_u32_e32 v74, 0x98, v67
	v_mov_b32_e32 v70, 37
	s_mov_b32 s0, 38
.LBB122_626:                            ; =>This Inner Loop Header: Depth=1
	ds_read_b32 v75, v74
	v_mov_b32_e32 v76, s0
	s_add_i32 s0, s0, 1
	v_add_u32_e32 v74, 4, v74
	s_cmp_lg_u32 s22, s0
	s_waitcnt lgkmcnt(0)
	v_cmp_lt_f32_e64 vcc, |v72|, |v75|
	s_nop 1
	v_cndmask_b32_e32 v72, v72, v75, vcc
	v_cndmask_b32_e32 v70, v70, v76, vcc
	s_cbranch_scc1 .LBB122_626
.LBB122_627:
	s_waitcnt lgkmcnt(0)
	v_cmp_eq_f32_e32 vcc, 0, v72
	s_and_saveexec_b64 s[0:1], vcc
	s_xor_b64 s[0:1], exec, s[0:1]
; %bb.628:
	v_cmp_ne_u32_e32 vcc, 0, v69
	s_nop 1
	v_cndmask_b32_e32 v69, 38, v69, vcc
; %bb.629:
	s_andn2_saveexec_b64 s[0:1], s[0:1]
	s_cbranch_execz .LBB122_631
; %bb.630:
	v_div_scale_f32 v74, s[2:3], v72, v72, 1.0
	v_rcp_f32_e32 v75, v74
	v_div_scale_f32 v76, vcc, 1.0, v72, 1.0
	v_fma_f32 v77, -v74, v75, 1.0
	v_fmac_f32_e32 v75, v77, v75
	v_mul_f32_e32 v77, v76, v75
	v_fma_f32 v78, -v74, v77, v76
	v_fmac_f32_e32 v77, v78, v75
	v_fma_f32 v74, -v74, v77, v76
	v_div_fmas_f32 v74, v74, v75, v77
	v_div_fixup_f32 v72, v74, v72, 1.0
.LBB122_631:
	s_or_b64 exec, exec, s[0:1]
	v_cmp_ne_u32_e32 vcc, v73, v70
	s_and_saveexec_b64 s[0:1], vcc
	s_xor_b64 s[0:1], exec, s[0:1]
	s_cbranch_execz .LBB122_637
; %bb.632:
	v_cmp_eq_u32_e32 vcc, 37, v73
	s_and_saveexec_b64 s[2:3], vcc
	s_cbranch_execz .LBB122_636
; %bb.633:
	v_cmp_ne_u32_e32 vcc, 37, v70
	s_xor_b64 s[12:13], s[20:21], -1
	s_and_b64 s[14:15], s[12:13], vcc
	s_and_saveexec_b64 s[12:13], s[14:15]
	s_cbranch_execz .LBB122_635
; %bb.634:
	v_ashrrev_i32_e32 v71, 31, v70
	v_lshl_add_u64 v[74:75], v[70:71], 2, v[4:5]
	global_load_dword v71, v[74:75], off
	global_load_dword v73, v[4:5], off offset:148
	s_waitcnt vmcnt(1)
	global_store_dword v[4:5], v71, off offset:148
	s_waitcnt vmcnt(1)
	global_store_dword v[74:75], v73, off
.LBB122_635:
	s_or_b64 exec, exec, s[12:13]
	v_mov_b32_e32 v71, v70
	v_mov_b32_e32 v73, v70
.LBB122_636:
	s_or_b64 exec, exec, s[2:3]
.LBB122_637:
	s_andn2_saveexec_b64 s[0:1], s[0:1]
	s_cbranch_execz .LBB122_639
; %bb.638:
	v_mov_b32_e32 v73, 37
	ds_write2_b32 v67, v18, v19 offset0:38 offset1:39
	ds_write2_b32 v67, v38, v39 offset0:40 offset1:41
	;; [unrolled: 1-line block ×12, first 2 shown]
.LBB122_639:
	s_or_b64 exec, exec, s[0:1]
	v_cmp_lt_i32_e32 vcc, 37, v73
	s_waitcnt lgkmcnt(0)
	s_barrier
	s_and_saveexec_b64 s[0:1], vcc
	s_cbranch_execz .LBB122_641
; %bb.640:
	ds_read2_b32 v[74:75], v67 offset0:38 offset1:39
	v_mul_f32_e32 v70, v72, v27
	v_mov_b32_e32 v27, v70
	s_waitcnt lgkmcnt(0)
	v_pk_fma_f32 v[18:19], v[70:71], v[74:75], v[18:19] op_sel_hi:[0,1,1] neg_lo:[1,0,0] neg_hi:[1,0,0]
	ds_read2_b32 v[74:75], v67 offset0:40 offset1:41
	s_waitcnt lgkmcnt(0)
	v_pk_fma_f32 v[38:39], v[70:71], v[74:75], v[38:39] op_sel_hi:[0,1,1] neg_lo:[1,0,0] neg_hi:[1,0,0]
	ds_read2_b32 v[74:75], v67 offset0:42 offset1:43
	;; [unrolled: 3-line block ×11, first 2 shown]
	s_waitcnt lgkmcnt(0)
	v_pk_fma_f32 v[8:9], v[70:71], v[74:75], v[8:9] op_sel_hi:[0,1,1] neg_lo:[1,0,0] neg_hi:[1,0,0]
.LBB122_641:
	s_or_b64 exec, exec, s[0:1]
	v_lshl_add_u32 v70, v73, 2, v67
	s_barrier
	ds_write_b32 v70, v18
	s_waitcnt lgkmcnt(0)
	s_barrier
	ds_read_b32 v72, v67 offset:152
	s_cmp_lt_i32 s22, 40
	v_mov_b32_e32 v70, 38
	s_cbranch_scc1 .LBB122_644
; %bb.642:
	v_add_u32_e32 v74, 0x9c, v67
	v_mov_b32_e32 v70, 38
	s_mov_b32 s0, 39
.LBB122_643:                            ; =>This Inner Loop Header: Depth=1
	ds_read_b32 v75, v74
	v_mov_b32_e32 v76, s0
	s_add_i32 s0, s0, 1
	v_add_u32_e32 v74, 4, v74
	s_cmp_lg_u32 s22, s0
	s_waitcnt lgkmcnt(0)
	v_cmp_lt_f32_e64 vcc, |v72|, |v75|
	s_nop 1
	v_cndmask_b32_e32 v72, v72, v75, vcc
	v_cndmask_b32_e32 v70, v70, v76, vcc
	s_cbranch_scc1 .LBB122_643
.LBB122_644:
	s_waitcnt lgkmcnt(0)
	v_cmp_eq_f32_e32 vcc, 0, v72
	s_and_saveexec_b64 s[0:1], vcc
	s_xor_b64 s[0:1], exec, s[0:1]
; %bb.645:
	v_cmp_ne_u32_e32 vcc, 0, v69
	s_nop 1
	v_cndmask_b32_e32 v69, 39, v69, vcc
; %bb.646:
	s_andn2_saveexec_b64 s[0:1], s[0:1]
	s_cbranch_execz .LBB122_648
; %bb.647:
	v_div_scale_f32 v74, s[2:3], v72, v72, 1.0
	v_rcp_f32_e32 v75, v74
	v_div_scale_f32 v76, vcc, 1.0, v72, 1.0
	v_fma_f32 v77, -v74, v75, 1.0
	v_fmac_f32_e32 v75, v77, v75
	v_mul_f32_e32 v77, v76, v75
	v_fma_f32 v78, -v74, v77, v76
	v_fmac_f32_e32 v77, v78, v75
	v_fma_f32 v74, -v74, v77, v76
	v_div_fmas_f32 v74, v74, v75, v77
	v_div_fixup_f32 v72, v74, v72, 1.0
.LBB122_648:
	s_or_b64 exec, exec, s[0:1]
	v_cmp_ne_u32_e32 vcc, v73, v70
	s_and_saveexec_b64 s[0:1], vcc
	s_xor_b64 s[0:1], exec, s[0:1]
	s_cbranch_execz .LBB122_654
; %bb.649:
	v_cmp_eq_u32_e32 vcc, 38, v73
	s_and_saveexec_b64 s[2:3], vcc
	s_cbranch_execz .LBB122_653
; %bb.650:
	v_cmp_ne_u32_e32 vcc, 38, v70
	s_xor_b64 s[12:13], s[20:21], -1
	s_and_b64 s[14:15], s[12:13], vcc
	s_and_saveexec_b64 s[12:13], s[14:15]
	s_cbranch_execz .LBB122_652
; %bb.651:
	v_ashrrev_i32_e32 v71, 31, v70
	v_lshl_add_u64 v[74:75], v[70:71], 2, v[4:5]
	global_load_dword v71, v[74:75], off
	global_load_dword v73, v[4:5], off offset:152
	s_waitcnt vmcnt(1)
	global_store_dword v[4:5], v71, off offset:152
	s_waitcnt vmcnt(1)
	global_store_dword v[74:75], v73, off
.LBB122_652:
	s_or_b64 exec, exec, s[12:13]
	v_mov_b32_e32 v71, v70
	v_mov_b32_e32 v73, v70
.LBB122_653:
	s_or_b64 exec, exec, s[2:3]
.LBB122_654:
	s_andn2_saveexec_b64 s[0:1], s[0:1]
	s_cbranch_execz .LBB122_656
; %bb.655:
	v_pk_mov_b32 v[74:75], v[18:19], v[38:39] op_sel:[1,0]
	ds_write2_b32 v67, v74, v75 offset0:39 offset1:40
	v_pk_mov_b32 v[74:75], v[38:39], v[28:29] op_sel:[1,0]
	ds_write2_b32 v67, v74, v75 offset0:41 offset1:42
	;; [unrolled: 2-line block ×10, first 2 shown]
	v_pk_mov_b32 v[74:75], v[12:13], v[8:9] op_sel:[1,0]
	v_mov_b32_e32 v73, 38
	ds_write2_b32 v67, v74, v75 offset0:59 offset1:60
	ds_write_b32 v67, v9 offset:244
.LBB122_656:
	s_or_b64 exec, exec, s[0:1]
	v_cmp_lt_i32_e32 vcc, 38, v73
	s_waitcnt lgkmcnt(0)
	s_barrier
	s_and_saveexec_b64 s[0:1], vcc
	s_cbranch_execz .LBB122_658
; %bb.657:
	ds_read_b32 v70, v67 offset:156
	ds_read2_b32 v[74:75], v67 offset0:40 offset1:41
	v_mul_f32_e32 v18, v72, v18
	s_waitcnt lgkmcnt(1)
	v_fma_f32 v19, -v18, v70, v19
	s_waitcnt lgkmcnt(0)
	v_pk_fma_f32 v[38:39], v[18:19], v[74:75], v[38:39] op_sel_hi:[0,1,1] neg_lo:[1,0,0] neg_hi:[1,0,0]
	ds_read2_b32 v[74:75], v67 offset0:42 offset1:43
	s_waitcnt lgkmcnt(0)
	v_pk_fma_f32 v[28:29], v[18:19], v[74:75], v[28:29] op_sel_hi:[0,1,1] neg_lo:[1,0,0] neg_hi:[1,0,0]
	ds_read2_b32 v[74:75], v67 offset0:44 offset1:45
	;; [unrolled: 3-line block ×10, first 2 shown]
	s_waitcnt lgkmcnt(0)
	v_pk_fma_f32 v[8:9], v[18:19], v[74:75], v[8:9] op_sel_hi:[0,1,1] neg_lo:[1,0,0] neg_hi:[1,0,0]
.LBB122_658:
	s_or_b64 exec, exec, s[0:1]
	v_lshl_add_u32 v70, v73, 2, v67
	s_barrier
	ds_write_b32 v70, v19
	s_waitcnt lgkmcnt(0)
	s_barrier
	ds_read_b32 v72, v67 offset:156
	s_cmp_lt_i32 s22, 41
	v_mov_b32_e32 v70, 39
	s_cbranch_scc1 .LBB122_661
; %bb.659:
	v_add_u32_e32 v74, 0xa0, v67
	v_mov_b32_e32 v70, 39
	s_mov_b32 s0, 40
.LBB122_660:                            ; =>This Inner Loop Header: Depth=1
	ds_read_b32 v75, v74
	v_mov_b32_e32 v76, s0
	s_add_i32 s0, s0, 1
	v_add_u32_e32 v74, 4, v74
	s_cmp_lg_u32 s22, s0
	s_waitcnt lgkmcnt(0)
	v_cmp_lt_f32_e64 vcc, |v72|, |v75|
	s_nop 1
	v_cndmask_b32_e32 v72, v72, v75, vcc
	v_cndmask_b32_e32 v70, v70, v76, vcc
	s_cbranch_scc1 .LBB122_660
.LBB122_661:
	s_waitcnt lgkmcnt(0)
	v_cmp_eq_f32_e32 vcc, 0, v72
	s_and_saveexec_b64 s[0:1], vcc
	s_xor_b64 s[0:1], exec, s[0:1]
; %bb.662:
	v_cmp_ne_u32_e32 vcc, 0, v69
	s_nop 1
	v_cndmask_b32_e32 v69, 40, v69, vcc
; %bb.663:
	s_andn2_saveexec_b64 s[0:1], s[0:1]
	s_cbranch_execz .LBB122_665
; %bb.664:
	v_div_scale_f32 v74, s[2:3], v72, v72, 1.0
	v_rcp_f32_e32 v75, v74
	v_div_scale_f32 v76, vcc, 1.0, v72, 1.0
	v_fma_f32 v77, -v74, v75, 1.0
	v_fmac_f32_e32 v75, v77, v75
	v_mul_f32_e32 v77, v76, v75
	v_fma_f32 v78, -v74, v77, v76
	v_fmac_f32_e32 v77, v78, v75
	v_fma_f32 v74, -v74, v77, v76
	v_div_fmas_f32 v74, v74, v75, v77
	v_div_fixup_f32 v72, v74, v72, 1.0
.LBB122_665:
	s_or_b64 exec, exec, s[0:1]
	v_cmp_ne_u32_e32 vcc, v73, v70
	s_and_saveexec_b64 s[0:1], vcc
	s_xor_b64 s[0:1], exec, s[0:1]
	s_cbranch_execz .LBB122_671
; %bb.666:
	v_cmp_eq_u32_e32 vcc, 39, v73
	s_and_saveexec_b64 s[2:3], vcc
	s_cbranch_execz .LBB122_670
; %bb.667:
	v_cmp_ne_u32_e32 vcc, 39, v70
	s_xor_b64 s[12:13], s[20:21], -1
	s_and_b64 s[14:15], s[12:13], vcc
	s_and_saveexec_b64 s[12:13], s[14:15]
	s_cbranch_execz .LBB122_669
; %bb.668:
	v_ashrrev_i32_e32 v71, 31, v70
	v_lshl_add_u64 v[74:75], v[70:71], 2, v[4:5]
	global_load_dword v71, v[74:75], off
	global_load_dword v73, v[4:5], off offset:156
	s_waitcnt vmcnt(1)
	global_store_dword v[4:5], v71, off offset:156
	s_waitcnt vmcnt(1)
	global_store_dword v[74:75], v73, off
.LBB122_669:
	s_or_b64 exec, exec, s[12:13]
	v_mov_b32_e32 v71, v70
	v_mov_b32_e32 v73, v70
.LBB122_670:
	s_or_b64 exec, exec, s[2:3]
.LBB122_671:
	s_andn2_saveexec_b64 s[0:1], s[0:1]
	s_cbranch_execz .LBB122_673
; %bb.672:
	v_mov_b32_e32 v73, 39
	ds_write2_b32 v67, v38, v39 offset0:40 offset1:41
	ds_write2_b32 v67, v28, v29 offset0:42 offset1:43
	;; [unrolled: 1-line block ×11, first 2 shown]
.LBB122_673:
	s_or_b64 exec, exec, s[0:1]
	v_cmp_lt_i32_e32 vcc, 39, v73
	s_waitcnt lgkmcnt(0)
	s_barrier
	s_and_saveexec_b64 s[0:1], vcc
	s_cbranch_execz .LBB122_675
; %bb.674:
	ds_read2_b32 v[74:75], v67 offset0:40 offset1:41
	v_mul_f32_e32 v70, v72, v19
	v_mov_b32_e32 v19, v70
	s_waitcnt lgkmcnt(0)
	v_pk_fma_f32 v[38:39], v[70:71], v[74:75], v[38:39] op_sel_hi:[0,1,1] neg_lo:[1,0,0] neg_hi:[1,0,0]
	ds_read2_b32 v[74:75], v67 offset0:42 offset1:43
	s_waitcnt lgkmcnt(0)
	v_pk_fma_f32 v[28:29], v[70:71], v[74:75], v[28:29] op_sel_hi:[0,1,1] neg_lo:[1,0,0] neg_hi:[1,0,0]
	ds_read2_b32 v[74:75], v67 offset0:44 offset1:45
	;; [unrolled: 3-line block ×10, first 2 shown]
	s_waitcnt lgkmcnt(0)
	v_pk_fma_f32 v[8:9], v[70:71], v[74:75], v[8:9] op_sel_hi:[0,1,1] neg_lo:[1,0,0] neg_hi:[1,0,0]
.LBB122_675:
	s_or_b64 exec, exec, s[0:1]
	v_lshl_add_u32 v70, v73, 2, v67
	s_barrier
	ds_write_b32 v70, v38
	s_waitcnt lgkmcnt(0)
	s_barrier
	ds_read_b32 v72, v67 offset:160
	s_cmp_lt_i32 s22, 42
	v_mov_b32_e32 v70, 40
	s_cbranch_scc1 .LBB122_678
; %bb.676:
	v_add_u32_e32 v74, 0xa4, v67
	v_mov_b32_e32 v70, 40
	s_mov_b32 s0, 41
.LBB122_677:                            ; =>This Inner Loop Header: Depth=1
	ds_read_b32 v75, v74
	v_mov_b32_e32 v76, s0
	s_add_i32 s0, s0, 1
	v_add_u32_e32 v74, 4, v74
	s_cmp_lg_u32 s22, s0
	s_waitcnt lgkmcnt(0)
	v_cmp_lt_f32_e64 vcc, |v72|, |v75|
	s_nop 1
	v_cndmask_b32_e32 v72, v72, v75, vcc
	v_cndmask_b32_e32 v70, v70, v76, vcc
	s_cbranch_scc1 .LBB122_677
.LBB122_678:
	s_waitcnt lgkmcnt(0)
	v_cmp_eq_f32_e32 vcc, 0, v72
	s_and_saveexec_b64 s[0:1], vcc
	s_xor_b64 s[0:1], exec, s[0:1]
; %bb.679:
	v_cmp_ne_u32_e32 vcc, 0, v69
	s_nop 1
	v_cndmask_b32_e32 v69, 41, v69, vcc
; %bb.680:
	s_andn2_saveexec_b64 s[0:1], s[0:1]
	s_cbranch_execz .LBB122_682
; %bb.681:
	v_div_scale_f32 v74, s[2:3], v72, v72, 1.0
	v_rcp_f32_e32 v75, v74
	v_div_scale_f32 v76, vcc, 1.0, v72, 1.0
	v_fma_f32 v77, -v74, v75, 1.0
	v_fmac_f32_e32 v75, v77, v75
	v_mul_f32_e32 v77, v76, v75
	v_fma_f32 v78, -v74, v77, v76
	v_fmac_f32_e32 v77, v78, v75
	v_fma_f32 v74, -v74, v77, v76
	v_div_fmas_f32 v74, v74, v75, v77
	v_div_fixup_f32 v72, v74, v72, 1.0
.LBB122_682:
	s_or_b64 exec, exec, s[0:1]
	v_cmp_ne_u32_e32 vcc, v73, v70
	s_and_saveexec_b64 s[0:1], vcc
	s_xor_b64 s[0:1], exec, s[0:1]
	s_cbranch_execz .LBB122_688
; %bb.683:
	v_cmp_eq_u32_e32 vcc, 40, v73
	s_and_saveexec_b64 s[2:3], vcc
	s_cbranch_execz .LBB122_687
; %bb.684:
	v_cmp_ne_u32_e32 vcc, 40, v70
	s_xor_b64 s[12:13], s[20:21], -1
	s_and_b64 s[14:15], s[12:13], vcc
	s_and_saveexec_b64 s[12:13], s[14:15]
	s_cbranch_execz .LBB122_686
; %bb.685:
	v_ashrrev_i32_e32 v71, 31, v70
	v_lshl_add_u64 v[74:75], v[70:71], 2, v[4:5]
	global_load_dword v71, v[74:75], off
	global_load_dword v73, v[4:5], off offset:160
	s_waitcnt vmcnt(1)
	global_store_dword v[4:5], v71, off offset:160
	s_waitcnt vmcnt(1)
	global_store_dword v[74:75], v73, off
.LBB122_686:
	s_or_b64 exec, exec, s[12:13]
	v_mov_b32_e32 v71, v70
	v_mov_b32_e32 v73, v70
.LBB122_687:
	s_or_b64 exec, exec, s[2:3]
.LBB122_688:
	s_andn2_saveexec_b64 s[0:1], s[0:1]
	s_cbranch_execz .LBB122_690
; %bb.689:
	v_pk_mov_b32 v[74:75], v[38:39], v[28:29] op_sel:[1,0]
	ds_write2_b32 v67, v74, v75 offset0:41 offset1:42
	v_pk_mov_b32 v[74:75], v[28:29], v[20:21] op_sel:[1,0]
	ds_write2_b32 v67, v74, v75 offset0:43 offset1:44
	;; [unrolled: 2-line block ×9, first 2 shown]
	v_pk_mov_b32 v[74:75], v[12:13], v[8:9] op_sel:[1,0]
	v_mov_b32_e32 v73, 40
	ds_write2_b32 v67, v74, v75 offset0:59 offset1:60
	ds_write_b32 v67, v9 offset:244
.LBB122_690:
	s_or_b64 exec, exec, s[0:1]
	v_cmp_lt_i32_e32 vcc, 40, v73
	s_waitcnt lgkmcnt(0)
	s_barrier
	s_and_saveexec_b64 s[0:1], vcc
	s_cbranch_execz .LBB122_692
; %bb.691:
	ds_read_b32 v70, v67 offset:164
	ds_read2_b32 v[74:75], v67 offset0:42 offset1:43
	v_mul_f32_e32 v38, v72, v38
	s_waitcnt lgkmcnt(1)
	v_fma_f32 v39, -v38, v70, v39
	s_waitcnt lgkmcnt(0)
	v_pk_fma_f32 v[28:29], v[38:39], v[74:75], v[28:29] op_sel_hi:[0,1,1] neg_lo:[1,0,0] neg_hi:[1,0,0]
	ds_read2_b32 v[74:75], v67 offset0:44 offset1:45
	s_waitcnt lgkmcnt(0)
	v_pk_fma_f32 v[20:21], v[38:39], v[74:75], v[20:21] op_sel_hi:[0,1,1] neg_lo:[1,0,0] neg_hi:[1,0,0]
	ds_read2_b32 v[74:75], v67 offset0:46 offset1:47
	;; [unrolled: 3-line block ×9, first 2 shown]
	s_waitcnt lgkmcnt(0)
	v_pk_fma_f32 v[8:9], v[38:39], v[74:75], v[8:9] op_sel_hi:[0,1,1] neg_lo:[1,0,0] neg_hi:[1,0,0]
.LBB122_692:
	s_or_b64 exec, exec, s[0:1]
	v_lshl_add_u32 v70, v73, 2, v67
	s_barrier
	ds_write_b32 v70, v39
	s_waitcnt lgkmcnt(0)
	s_barrier
	ds_read_b32 v72, v67 offset:164
	s_cmp_lt_i32 s22, 43
	v_mov_b32_e32 v70, 41
	s_cbranch_scc1 .LBB122_695
; %bb.693:
	v_add_u32_e32 v74, 0xa8, v67
	v_mov_b32_e32 v70, 41
	s_mov_b32 s0, 42
.LBB122_694:                            ; =>This Inner Loop Header: Depth=1
	ds_read_b32 v75, v74
	v_mov_b32_e32 v76, s0
	s_add_i32 s0, s0, 1
	v_add_u32_e32 v74, 4, v74
	s_cmp_lg_u32 s22, s0
	s_waitcnt lgkmcnt(0)
	v_cmp_lt_f32_e64 vcc, |v72|, |v75|
	s_nop 1
	v_cndmask_b32_e32 v72, v72, v75, vcc
	v_cndmask_b32_e32 v70, v70, v76, vcc
	s_cbranch_scc1 .LBB122_694
.LBB122_695:
	s_waitcnt lgkmcnt(0)
	v_cmp_eq_f32_e32 vcc, 0, v72
	s_and_saveexec_b64 s[0:1], vcc
	s_xor_b64 s[0:1], exec, s[0:1]
; %bb.696:
	v_cmp_ne_u32_e32 vcc, 0, v69
	s_nop 1
	v_cndmask_b32_e32 v69, 42, v69, vcc
; %bb.697:
	s_andn2_saveexec_b64 s[0:1], s[0:1]
	s_cbranch_execz .LBB122_699
; %bb.698:
	v_div_scale_f32 v74, s[2:3], v72, v72, 1.0
	v_rcp_f32_e32 v75, v74
	v_div_scale_f32 v76, vcc, 1.0, v72, 1.0
	v_fma_f32 v77, -v74, v75, 1.0
	v_fmac_f32_e32 v75, v77, v75
	v_mul_f32_e32 v77, v76, v75
	v_fma_f32 v78, -v74, v77, v76
	v_fmac_f32_e32 v77, v78, v75
	v_fma_f32 v74, -v74, v77, v76
	v_div_fmas_f32 v74, v74, v75, v77
	v_div_fixup_f32 v72, v74, v72, 1.0
.LBB122_699:
	s_or_b64 exec, exec, s[0:1]
	v_cmp_ne_u32_e32 vcc, v73, v70
	s_and_saveexec_b64 s[0:1], vcc
	s_xor_b64 s[0:1], exec, s[0:1]
	s_cbranch_execz .LBB122_705
; %bb.700:
	v_cmp_eq_u32_e32 vcc, 41, v73
	s_and_saveexec_b64 s[2:3], vcc
	s_cbranch_execz .LBB122_704
; %bb.701:
	v_cmp_ne_u32_e32 vcc, 41, v70
	s_xor_b64 s[12:13], s[20:21], -1
	s_and_b64 s[14:15], s[12:13], vcc
	s_and_saveexec_b64 s[12:13], s[14:15]
	s_cbranch_execz .LBB122_703
; %bb.702:
	v_ashrrev_i32_e32 v71, 31, v70
	v_lshl_add_u64 v[74:75], v[70:71], 2, v[4:5]
	global_load_dword v71, v[74:75], off
	global_load_dword v73, v[4:5], off offset:164
	s_waitcnt vmcnt(1)
	global_store_dword v[4:5], v71, off offset:164
	s_waitcnt vmcnt(1)
	global_store_dword v[74:75], v73, off
.LBB122_703:
	s_or_b64 exec, exec, s[12:13]
	v_mov_b32_e32 v71, v70
	v_mov_b32_e32 v73, v70
.LBB122_704:
	s_or_b64 exec, exec, s[2:3]
.LBB122_705:
	s_andn2_saveexec_b64 s[0:1], s[0:1]
	s_cbranch_execz .LBB122_707
; %bb.706:
	v_mov_b32_e32 v73, 41
	ds_write2_b32 v67, v28, v29 offset0:42 offset1:43
	ds_write2_b32 v67, v20, v21 offset0:44 offset1:45
	ds_write2_b32 v67, v14, v15 offset0:46 offset1:47
	ds_write2_b32 v67, v30, v31 offset0:48 offset1:49
	ds_write2_b32 v67, v22, v23 offset0:50 offset1:51
	ds_write2_b32 v67, v16, v17 offset0:52 offset1:53
	ds_write2_b32 v67, v0, v1 offset0:54 offset1:55
	ds_write2_b32 v67, v10, v11 offset0:56 offset1:57
	ds_write2_b32 v67, v12, v13 offset0:58 offset1:59
	ds_write2_b32 v67, v8, v9 offset0:60 offset1:61
.LBB122_707:
	s_or_b64 exec, exec, s[0:1]
	v_cmp_lt_i32_e32 vcc, 41, v73
	s_waitcnt lgkmcnt(0)
	s_barrier
	s_and_saveexec_b64 s[0:1], vcc
	s_cbranch_execz .LBB122_709
; %bb.708:
	ds_read2_b32 v[74:75], v67 offset0:42 offset1:43
	v_mul_f32_e32 v70, v72, v39
	v_mov_b32_e32 v39, v70
	s_waitcnt lgkmcnt(0)
	v_pk_fma_f32 v[28:29], v[70:71], v[74:75], v[28:29] op_sel_hi:[0,1,1] neg_lo:[1,0,0] neg_hi:[1,0,0]
	ds_read2_b32 v[74:75], v67 offset0:44 offset1:45
	s_waitcnt lgkmcnt(0)
	v_pk_fma_f32 v[20:21], v[70:71], v[74:75], v[20:21] op_sel_hi:[0,1,1] neg_lo:[1,0,0] neg_hi:[1,0,0]
	ds_read2_b32 v[74:75], v67 offset0:46 offset1:47
	;; [unrolled: 3-line block ×9, first 2 shown]
	s_waitcnt lgkmcnt(0)
	v_pk_fma_f32 v[8:9], v[70:71], v[74:75], v[8:9] op_sel_hi:[0,1,1] neg_lo:[1,0,0] neg_hi:[1,0,0]
.LBB122_709:
	s_or_b64 exec, exec, s[0:1]
	v_lshl_add_u32 v70, v73, 2, v67
	s_barrier
	ds_write_b32 v70, v28
	s_waitcnt lgkmcnt(0)
	s_barrier
	ds_read_b32 v72, v67 offset:168
	s_cmp_lt_i32 s22, 44
	v_mov_b32_e32 v70, 42
	s_cbranch_scc1 .LBB122_712
; %bb.710:
	v_add_u32_e32 v74, 0xac, v67
	v_mov_b32_e32 v70, 42
	s_mov_b32 s0, 43
.LBB122_711:                            ; =>This Inner Loop Header: Depth=1
	ds_read_b32 v75, v74
	v_mov_b32_e32 v76, s0
	s_add_i32 s0, s0, 1
	v_add_u32_e32 v74, 4, v74
	s_cmp_lg_u32 s22, s0
	s_waitcnt lgkmcnt(0)
	v_cmp_lt_f32_e64 vcc, |v72|, |v75|
	s_nop 1
	v_cndmask_b32_e32 v72, v72, v75, vcc
	v_cndmask_b32_e32 v70, v70, v76, vcc
	s_cbranch_scc1 .LBB122_711
.LBB122_712:
	s_waitcnt lgkmcnt(0)
	v_cmp_eq_f32_e32 vcc, 0, v72
	s_and_saveexec_b64 s[0:1], vcc
	s_xor_b64 s[0:1], exec, s[0:1]
; %bb.713:
	v_cmp_ne_u32_e32 vcc, 0, v69
	s_nop 1
	v_cndmask_b32_e32 v69, 43, v69, vcc
; %bb.714:
	s_andn2_saveexec_b64 s[0:1], s[0:1]
	s_cbranch_execz .LBB122_716
; %bb.715:
	v_div_scale_f32 v74, s[2:3], v72, v72, 1.0
	v_rcp_f32_e32 v75, v74
	v_div_scale_f32 v76, vcc, 1.0, v72, 1.0
	v_fma_f32 v77, -v74, v75, 1.0
	v_fmac_f32_e32 v75, v77, v75
	v_mul_f32_e32 v77, v76, v75
	v_fma_f32 v78, -v74, v77, v76
	v_fmac_f32_e32 v77, v78, v75
	v_fma_f32 v74, -v74, v77, v76
	v_div_fmas_f32 v74, v74, v75, v77
	v_div_fixup_f32 v72, v74, v72, 1.0
.LBB122_716:
	s_or_b64 exec, exec, s[0:1]
	v_cmp_ne_u32_e32 vcc, v73, v70
	s_and_saveexec_b64 s[0:1], vcc
	s_xor_b64 s[0:1], exec, s[0:1]
	s_cbranch_execz .LBB122_722
; %bb.717:
	v_cmp_eq_u32_e32 vcc, 42, v73
	s_and_saveexec_b64 s[2:3], vcc
	s_cbranch_execz .LBB122_721
; %bb.718:
	v_cmp_ne_u32_e32 vcc, 42, v70
	s_xor_b64 s[12:13], s[20:21], -1
	s_and_b64 s[14:15], s[12:13], vcc
	s_and_saveexec_b64 s[12:13], s[14:15]
	s_cbranch_execz .LBB122_720
; %bb.719:
	v_ashrrev_i32_e32 v71, 31, v70
	v_lshl_add_u64 v[74:75], v[70:71], 2, v[4:5]
	global_load_dword v71, v[74:75], off
	global_load_dword v73, v[4:5], off offset:168
	s_waitcnt vmcnt(1)
	global_store_dword v[4:5], v71, off offset:168
	s_waitcnt vmcnt(1)
	global_store_dword v[74:75], v73, off
.LBB122_720:
	s_or_b64 exec, exec, s[12:13]
	v_mov_b32_e32 v71, v70
	v_mov_b32_e32 v73, v70
.LBB122_721:
	s_or_b64 exec, exec, s[2:3]
.LBB122_722:
	s_andn2_saveexec_b64 s[0:1], s[0:1]
	s_cbranch_execz .LBB122_724
; %bb.723:
	v_pk_mov_b32 v[74:75], v[28:29], v[20:21] op_sel:[1,0]
	ds_write2_b32 v67, v74, v75 offset0:43 offset1:44
	v_pk_mov_b32 v[74:75], v[20:21], v[14:15] op_sel:[1,0]
	ds_write2_b32 v67, v74, v75 offset0:45 offset1:46
	;; [unrolled: 2-line block ×8, first 2 shown]
	v_pk_mov_b32 v[74:75], v[12:13], v[8:9] op_sel:[1,0]
	v_mov_b32_e32 v73, 42
	ds_write2_b32 v67, v74, v75 offset0:59 offset1:60
	ds_write_b32 v67, v9 offset:244
.LBB122_724:
	s_or_b64 exec, exec, s[0:1]
	v_cmp_lt_i32_e32 vcc, 42, v73
	s_waitcnt lgkmcnt(0)
	s_barrier
	s_and_saveexec_b64 s[0:1], vcc
	s_cbranch_execz .LBB122_726
; %bb.725:
	ds_read_b32 v70, v67 offset:172
	ds_read2_b32 v[74:75], v67 offset0:44 offset1:45
	v_mul_f32_e32 v28, v72, v28
	s_waitcnt lgkmcnt(1)
	v_fma_f32 v29, -v28, v70, v29
	s_waitcnt lgkmcnt(0)
	v_pk_fma_f32 v[20:21], v[28:29], v[74:75], v[20:21] op_sel_hi:[0,1,1] neg_lo:[1,0,0] neg_hi:[1,0,0]
	ds_read2_b32 v[74:75], v67 offset0:46 offset1:47
	s_waitcnt lgkmcnt(0)
	v_pk_fma_f32 v[14:15], v[28:29], v[74:75], v[14:15] op_sel_hi:[0,1,1] neg_lo:[1,0,0] neg_hi:[1,0,0]
	ds_read2_b32 v[74:75], v67 offset0:48 offset1:49
	;; [unrolled: 3-line block ×8, first 2 shown]
	s_waitcnt lgkmcnt(0)
	v_pk_fma_f32 v[8:9], v[28:29], v[74:75], v[8:9] op_sel_hi:[0,1,1] neg_lo:[1,0,0] neg_hi:[1,0,0]
.LBB122_726:
	s_or_b64 exec, exec, s[0:1]
	v_lshl_add_u32 v70, v73, 2, v67
	s_barrier
	ds_write_b32 v70, v29
	s_waitcnt lgkmcnt(0)
	s_barrier
	ds_read_b32 v72, v67 offset:172
	s_cmp_lt_i32 s22, 45
	v_mov_b32_e32 v70, 43
	s_cbranch_scc1 .LBB122_729
; %bb.727:
	v_add_u32_e32 v74, 0xb0, v67
	v_mov_b32_e32 v70, 43
	s_mov_b32 s0, 44
.LBB122_728:                            ; =>This Inner Loop Header: Depth=1
	ds_read_b32 v75, v74
	v_mov_b32_e32 v76, s0
	s_add_i32 s0, s0, 1
	v_add_u32_e32 v74, 4, v74
	s_cmp_lg_u32 s22, s0
	s_waitcnt lgkmcnt(0)
	v_cmp_lt_f32_e64 vcc, |v72|, |v75|
	s_nop 1
	v_cndmask_b32_e32 v72, v72, v75, vcc
	v_cndmask_b32_e32 v70, v70, v76, vcc
	s_cbranch_scc1 .LBB122_728
.LBB122_729:
	s_waitcnt lgkmcnt(0)
	v_cmp_eq_f32_e32 vcc, 0, v72
	s_and_saveexec_b64 s[0:1], vcc
	s_xor_b64 s[0:1], exec, s[0:1]
; %bb.730:
	v_cmp_ne_u32_e32 vcc, 0, v69
	s_nop 1
	v_cndmask_b32_e32 v69, 44, v69, vcc
; %bb.731:
	s_andn2_saveexec_b64 s[0:1], s[0:1]
	s_cbranch_execz .LBB122_733
; %bb.732:
	v_div_scale_f32 v74, s[2:3], v72, v72, 1.0
	v_rcp_f32_e32 v75, v74
	v_div_scale_f32 v76, vcc, 1.0, v72, 1.0
	v_fma_f32 v77, -v74, v75, 1.0
	v_fmac_f32_e32 v75, v77, v75
	v_mul_f32_e32 v77, v76, v75
	v_fma_f32 v78, -v74, v77, v76
	v_fmac_f32_e32 v77, v78, v75
	v_fma_f32 v74, -v74, v77, v76
	v_div_fmas_f32 v74, v74, v75, v77
	v_div_fixup_f32 v72, v74, v72, 1.0
.LBB122_733:
	s_or_b64 exec, exec, s[0:1]
	v_cmp_ne_u32_e32 vcc, v73, v70
	s_and_saveexec_b64 s[0:1], vcc
	s_xor_b64 s[0:1], exec, s[0:1]
	s_cbranch_execz .LBB122_739
; %bb.734:
	v_cmp_eq_u32_e32 vcc, 43, v73
	s_and_saveexec_b64 s[2:3], vcc
	s_cbranch_execz .LBB122_738
; %bb.735:
	v_cmp_ne_u32_e32 vcc, 43, v70
	s_xor_b64 s[12:13], s[20:21], -1
	s_and_b64 s[14:15], s[12:13], vcc
	s_and_saveexec_b64 s[12:13], s[14:15]
	s_cbranch_execz .LBB122_737
; %bb.736:
	v_ashrrev_i32_e32 v71, 31, v70
	v_lshl_add_u64 v[74:75], v[70:71], 2, v[4:5]
	global_load_dword v71, v[74:75], off
	global_load_dword v73, v[4:5], off offset:172
	s_waitcnt vmcnt(1)
	global_store_dword v[4:5], v71, off offset:172
	s_waitcnt vmcnt(1)
	global_store_dword v[74:75], v73, off
.LBB122_737:
	s_or_b64 exec, exec, s[12:13]
	v_mov_b32_e32 v71, v70
	v_mov_b32_e32 v73, v70
.LBB122_738:
	s_or_b64 exec, exec, s[2:3]
.LBB122_739:
	s_andn2_saveexec_b64 s[0:1], s[0:1]
	s_cbranch_execz .LBB122_741
; %bb.740:
	v_mov_b32_e32 v73, 43
	ds_write2_b32 v67, v20, v21 offset0:44 offset1:45
	ds_write2_b32 v67, v14, v15 offset0:46 offset1:47
	;; [unrolled: 1-line block ×9, first 2 shown]
.LBB122_741:
	s_or_b64 exec, exec, s[0:1]
	v_cmp_lt_i32_e32 vcc, 43, v73
	s_waitcnt lgkmcnt(0)
	s_barrier
	s_and_saveexec_b64 s[0:1], vcc
	s_cbranch_execz .LBB122_743
; %bb.742:
	ds_read2_b32 v[74:75], v67 offset0:44 offset1:45
	v_mul_f32_e32 v70, v72, v29
	v_mov_b32_e32 v29, v70
	s_waitcnt lgkmcnt(0)
	v_pk_fma_f32 v[20:21], v[70:71], v[74:75], v[20:21] op_sel_hi:[0,1,1] neg_lo:[1,0,0] neg_hi:[1,0,0]
	ds_read2_b32 v[74:75], v67 offset0:46 offset1:47
	s_waitcnt lgkmcnt(0)
	v_pk_fma_f32 v[14:15], v[70:71], v[74:75], v[14:15] op_sel_hi:[0,1,1] neg_lo:[1,0,0] neg_hi:[1,0,0]
	ds_read2_b32 v[74:75], v67 offset0:48 offset1:49
	;; [unrolled: 3-line block ×8, first 2 shown]
	s_waitcnt lgkmcnt(0)
	v_pk_fma_f32 v[8:9], v[70:71], v[74:75], v[8:9] op_sel_hi:[0,1,1] neg_lo:[1,0,0] neg_hi:[1,0,0]
.LBB122_743:
	s_or_b64 exec, exec, s[0:1]
	v_lshl_add_u32 v70, v73, 2, v67
	s_barrier
	ds_write_b32 v70, v20
	s_waitcnt lgkmcnt(0)
	s_barrier
	ds_read_b32 v72, v67 offset:176
	s_cmp_lt_i32 s22, 46
	v_mov_b32_e32 v70, 44
	s_cbranch_scc1 .LBB122_746
; %bb.744:
	v_add_u32_e32 v74, 0xb4, v67
	v_mov_b32_e32 v70, 44
	s_mov_b32 s0, 45
.LBB122_745:                            ; =>This Inner Loop Header: Depth=1
	ds_read_b32 v75, v74
	v_mov_b32_e32 v76, s0
	s_add_i32 s0, s0, 1
	v_add_u32_e32 v74, 4, v74
	s_cmp_lg_u32 s22, s0
	s_waitcnt lgkmcnt(0)
	v_cmp_lt_f32_e64 vcc, |v72|, |v75|
	s_nop 1
	v_cndmask_b32_e32 v72, v72, v75, vcc
	v_cndmask_b32_e32 v70, v70, v76, vcc
	s_cbranch_scc1 .LBB122_745
.LBB122_746:
	s_waitcnt lgkmcnt(0)
	v_cmp_eq_f32_e32 vcc, 0, v72
	s_and_saveexec_b64 s[0:1], vcc
	s_xor_b64 s[0:1], exec, s[0:1]
; %bb.747:
	v_cmp_ne_u32_e32 vcc, 0, v69
	s_nop 1
	v_cndmask_b32_e32 v69, 45, v69, vcc
; %bb.748:
	s_andn2_saveexec_b64 s[0:1], s[0:1]
	s_cbranch_execz .LBB122_750
; %bb.749:
	v_div_scale_f32 v74, s[2:3], v72, v72, 1.0
	v_rcp_f32_e32 v75, v74
	v_div_scale_f32 v76, vcc, 1.0, v72, 1.0
	v_fma_f32 v77, -v74, v75, 1.0
	v_fmac_f32_e32 v75, v77, v75
	v_mul_f32_e32 v77, v76, v75
	v_fma_f32 v78, -v74, v77, v76
	v_fmac_f32_e32 v77, v78, v75
	v_fma_f32 v74, -v74, v77, v76
	v_div_fmas_f32 v74, v74, v75, v77
	v_div_fixup_f32 v72, v74, v72, 1.0
.LBB122_750:
	s_or_b64 exec, exec, s[0:1]
	v_cmp_ne_u32_e32 vcc, v73, v70
	s_and_saveexec_b64 s[0:1], vcc
	s_xor_b64 s[0:1], exec, s[0:1]
	s_cbranch_execz .LBB122_756
; %bb.751:
	v_cmp_eq_u32_e32 vcc, 44, v73
	s_and_saveexec_b64 s[2:3], vcc
	s_cbranch_execz .LBB122_755
; %bb.752:
	v_cmp_ne_u32_e32 vcc, 44, v70
	s_xor_b64 s[12:13], s[20:21], -1
	s_and_b64 s[14:15], s[12:13], vcc
	s_and_saveexec_b64 s[12:13], s[14:15]
	s_cbranch_execz .LBB122_754
; %bb.753:
	v_ashrrev_i32_e32 v71, 31, v70
	v_lshl_add_u64 v[74:75], v[70:71], 2, v[4:5]
	global_load_dword v71, v[74:75], off
	global_load_dword v73, v[4:5], off offset:176
	s_waitcnt vmcnt(1)
	global_store_dword v[4:5], v71, off offset:176
	s_waitcnt vmcnt(1)
	global_store_dword v[74:75], v73, off
.LBB122_754:
	s_or_b64 exec, exec, s[12:13]
	v_mov_b32_e32 v71, v70
	v_mov_b32_e32 v73, v70
.LBB122_755:
	s_or_b64 exec, exec, s[2:3]
.LBB122_756:
	s_andn2_saveexec_b64 s[0:1], s[0:1]
	s_cbranch_execz .LBB122_758
; %bb.757:
	v_pk_mov_b32 v[74:75], v[20:21], v[14:15] op_sel:[1,0]
	ds_write2_b32 v67, v74, v75 offset0:45 offset1:46
	v_pk_mov_b32 v[74:75], v[14:15], v[30:31] op_sel:[1,0]
	ds_write2_b32 v67, v74, v75 offset0:47 offset1:48
	;; [unrolled: 2-line block ×7, first 2 shown]
	v_pk_mov_b32 v[74:75], v[12:13], v[8:9] op_sel:[1,0]
	v_mov_b32_e32 v73, 44
	ds_write2_b32 v67, v74, v75 offset0:59 offset1:60
	ds_write_b32 v67, v9 offset:244
.LBB122_758:
	s_or_b64 exec, exec, s[0:1]
	v_cmp_lt_i32_e32 vcc, 44, v73
	s_waitcnt lgkmcnt(0)
	s_barrier
	s_and_saveexec_b64 s[0:1], vcc
	s_cbranch_execz .LBB122_760
; %bb.759:
	ds_read_b32 v70, v67 offset:180
	ds_read2_b32 v[74:75], v67 offset0:46 offset1:47
	v_mul_f32_e32 v20, v72, v20
	s_waitcnt lgkmcnt(1)
	v_fma_f32 v21, -v20, v70, v21
	s_waitcnt lgkmcnt(0)
	v_pk_fma_f32 v[14:15], v[20:21], v[74:75], v[14:15] op_sel_hi:[0,1,1] neg_lo:[1,0,0] neg_hi:[1,0,0]
	ds_read2_b32 v[74:75], v67 offset0:48 offset1:49
	s_waitcnt lgkmcnt(0)
	v_pk_fma_f32 v[30:31], v[20:21], v[74:75], v[30:31] op_sel_hi:[0,1,1] neg_lo:[1,0,0] neg_hi:[1,0,0]
	ds_read2_b32 v[74:75], v67 offset0:50 offset1:51
	;; [unrolled: 3-line block ×7, first 2 shown]
	s_waitcnt lgkmcnt(0)
	v_pk_fma_f32 v[8:9], v[20:21], v[74:75], v[8:9] op_sel_hi:[0,1,1] neg_lo:[1,0,0] neg_hi:[1,0,0]
.LBB122_760:
	s_or_b64 exec, exec, s[0:1]
	v_lshl_add_u32 v70, v73, 2, v67
	s_barrier
	ds_write_b32 v70, v21
	s_waitcnt lgkmcnt(0)
	s_barrier
	ds_read_b32 v72, v67 offset:180
	s_cmp_lt_i32 s22, 47
	v_mov_b32_e32 v70, 45
	s_cbranch_scc1 .LBB122_763
; %bb.761:
	v_add_u32_e32 v74, 0xb8, v67
	v_mov_b32_e32 v70, 45
	s_mov_b32 s0, 46
.LBB122_762:                            ; =>This Inner Loop Header: Depth=1
	ds_read_b32 v75, v74
	v_mov_b32_e32 v76, s0
	s_add_i32 s0, s0, 1
	v_add_u32_e32 v74, 4, v74
	s_cmp_lg_u32 s22, s0
	s_waitcnt lgkmcnt(0)
	v_cmp_lt_f32_e64 vcc, |v72|, |v75|
	s_nop 1
	v_cndmask_b32_e32 v72, v72, v75, vcc
	v_cndmask_b32_e32 v70, v70, v76, vcc
	s_cbranch_scc1 .LBB122_762
.LBB122_763:
	s_waitcnt lgkmcnt(0)
	v_cmp_eq_f32_e32 vcc, 0, v72
	s_and_saveexec_b64 s[0:1], vcc
	s_xor_b64 s[0:1], exec, s[0:1]
; %bb.764:
	v_cmp_ne_u32_e32 vcc, 0, v69
	s_nop 1
	v_cndmask_b32_e32 v69, 46, v69, vcc
; %bb.765:
	s_andn2_saveexec_b64 s[0:1], s[0:1]
	s_cbranch_execz .LBB122_767
; %bb.766:
	v_div_scale_f32 v74, s[2:3], v72, v72, 1.0
	v_rcp_f32_e32 v75, v74
	v_div_scale_f32 v76, vcc, 1.0, v72, 1.0
	v_fma_f32 v77, -v74, v75, 1.0
	v_fmac_f32_e32 v75, v77, v75
	v_mul_f32_e32 v77, v76, v75
	v_fma_f32 v78, -v74, v77, v76
	v_fmac_f32_e32 v77, v78, v75
	v_fma_f32 v74, -v74, v77, v76
	v_div_fmas_f32 v74, v74, v75, v77
	v_div_fixup_f32 v72, v74, v72, 1.0
.LBB122_767:
	s_or_b64 exec, exec, s[0:1]
	v_cmp_ne_u32_e32 vcc, v73, v70
	s_and_saveexec_b64 s[0:1], vcc
	s_xor_b64 s[0:1], exec, s[0:1]
	s_cbranch_execz .LBB122_773
; %bb.768:
	v_cmp_eq_u32_e32 vcc, 45, v73
	s_and_saveexec_b64 s[2:3], vcc
	s_cbranch_execz .LBB122_772
; %bb.769:
	v_cmp_ne_u32_e32 vcc, 45, v70
	s_xor_b64 s[12:13], s[20:21], -1
	s_and_b64 s[14:15], s[12:13], vcc
	s_and_saveexec_b64 s[12:13], s[14:15]
	s_cbranch_execz .LBB122_771
; %bb.770:
	v_ashrrev_i32_e32 v71, 31, v70
	v_lshl_add_u64 v[74:75], v[70:71], 2, v[4:5]
	global_load_dword v71, v[74:75], off
	global_load_dword v73, v[4:5], off offset:180
	s_waitcnt vmcnt(1)
	global_store_dword v[4:5], v71, off offset:180
	s_waitcnt vmcnt(1)
	global_store_dword v[74:75], v73, off
.LBB122_771:
	s_or_b64 exec, exec, s[12:13]
	v_mov_b32_e32 v71, v70
	v_mov_b32_e32 v73, v70
.LBB122_772:
	s_or_b64 exec, exec, s[2:3]
.LBB122_773:
	s_andn2_saveexec_b64 s[0:1], s[0:1]
	s_cbranch_execz .LBB122_775
; %bb.774:
	v_mov_b32_e32 v73, 45
	ds_write2_b32 v67, v14, v15 offset0:46 offset1:47
	ds_write2_b32 v67, v30, v31 offset0:48 offset1:49
	;; [unrolled: 1-line block ×8, first 2 shown]
.LBB122_775:
	s_or_b64 exec, exec, s[0:1]
	v_cmp_lt_i32_e32 vcc, 45, v73
	s_waitcnt lgkmcnt(0)
	s_barrier
	s_and_saveexec_b64 s[0:1], vcc
	s_cbranch_execz .LBB122_777
; %bb.776:
	ds_read2_b32 v[74:75], v67 offset0:46 offset1:47
	v_mul_f32_e32 v70, v72, v21
	v_mov_b32_e32 v21, v70
	s_waitcnt lgkmcnt(0)
	v_pk_fma_f32 v[14:15], v[70:71], v[74:75], v[14:15] op_sel_hi:[0,1,1] neg_lo:[1,0,0] neg_hi:[1,0,0]
	ds_read2_b32 v[74:75], v67 offset0:48 offset1:49
	s_waitcnt lgkmcnt(0)
	v_pk_fma_f32 v[30:31], v[70:71], v[74:75], v[30:31] op_sel_hi:[0,1,1] neg_lo:[1,0,0] neg_hi:[1,0,0]
	ds_read2_b32 v[74:75], v67 offset0:50 offset1:51
	;; [unrolled: 3-line block ×7, first 2 shown]
	s_waitcnt lgkmcnt(0)
	v_pk_fma_f32 v[8:9], v[70:71], v[74:75], v[8:9] op_sel_hi:[0,1,1] neg_lo:[1,0,0] neg_hi:[1,0,0]
.LBB122_777:
	s_or_b64 exec, exec, s[0:1]
	v_lshl_add_u32 v70, v73, 2, v67
	s_barrier
	ds_write_b32 v70, v14
	s_waitcnt lgkmcnt(0)
	s_barrier
	ds_read_b32 v72, v67 offset:184
	s_cmp_lt_i32 s22, 48
	v_mov_b32_e32 v70, 46
	s_cbranch_scc1 .LBB122_780
; %bb.778:
	v_add_u32_e32 v74, 0xbc, v67
	v_mov_b32_e32 v70, 46
	s_mov_b32 s0, 47
.LBB122_779:                            ; =>This Inner Loop Header: Depth=1
	ds_read_b32 v75, v74
	v_mov_b32_e32 v76, s0
	s_add_i32 s0, s0, 1
	v_add_u32_e32 v74, 4, v74
	s_cmp_lg_u32 s22, s0
	s_waitcnt lgkmcnt(0)
	v_cmp_lt_f32_e64 vcc, |v72|, |v75|
	s_nop 1
	v_cndmask_b32_e32 v72, v72, v75, vcc
	v_cndmask_b32_e32 v70, v70, v76, vcc
	s_cbranch_scc1 .LBB122_779
.LBB122_780:
	s_waitcnt lgkmcnt(0)
	v_cmp_eq_f32_e32 vcc, 0, v72
	s_and_saveexec_b64 s[0:1], vcc
	s_xor_b64 s[0:1], exec, s[0:1]
; %bb.781:
	v_cmp_ne_u32_e32 vcc, 0, v69
	s_nop 1
	v_cndmask_b32_e32 v69, 47, v69, vcc
; %bb.782:
	s_andn2_saveexec_b64 s[0:1], s[0:1]
	s_cbranch_execz .LBB122_784
; %bb.783:
	v_div_scale_f32 v74, s[2:3], v72, v72, 1.0
	v_rcp_f32_e32 v75, v74
	v_div_scale_f32 v76, vcc, 1.0, v72, 1.0
	v_fma_f32 v77, -v74, v75, 1.0
	v_fmac_f32_e32 v75, v77, v75
	v_mul_f32_e32 v77, v76, v75
	v_fma_f32 v78, -v74, v77, v76
	v_fmac_f32_e32 v77, v78, v75
	v_fma_f32 v74, -v74, v77, v76
	v_div_fmas_f32 v74, v74, v75, v77
	v_div_fixup_f32 v72, v74, v72, 1.0
.LBB122_784:
	s_or_b64 exec, exec, s[0:1]
	v_cmp_ne_u32_e32 vcc, v73, v70
	s_and_saveexec_b64 s[0:1], vcc
	s_xor_b64 s[0:1], exec, s[0:1]
	s_cbranch_execz .LBB122_790
; %bb.785:
	v_cmp_eq_u32_e32 vcc, 46, v73
	s_and_saveexec_b64 s[2:3], vcc
	s_cbranch_execz .LBB122_789
; %bb.786:
	v_cmp_ne_u32_e32 vcc, 46, v70
	s_xor_b64 s[12:13], s[20:21], -1
	s_and_b64 s[14:15], s[12:13], vcc
	s_and_saveexec_b64 s[12:13], s[14:15]
	s_cbranch_execz .LBB122_788
; %bb.787:
	v_ashrrev_i32_e32 v71, 31, v70
	v_lshl_add_u64 v[74:75], v[70:71], 2, v[4:5]
	global_load_dword v71, v[74:75], off
	global_load_dword v73, v[4:5], off offset:184
	s_waitcnt vmcnt(1)
	global_store_dword v[4:5], v71, off offset:184
	s_waitcnt vmcnt(1)
	global_store_dword v[74:75], v73, off
.LBB122_788:
	s_or_b64 exec, exec, s[12:13]
	v_mov_b32_e32 v71, v70
	v_mov_b32_e32 v73, v70
.LBB122_789:
	s_or_b64 exec, exec, s[2:3]
.LBB122_790:
	s_andn2_saveexec_b64 s[0:1], s[0:1]
	s_cbranch_execz .LBB122_792
; %bb.791:
	v_pk_mov_b32 v[74:75], v[14:15], v[30:31] op_sel:[1,0]
	ds_write2_b32 v67, v74, v75 offset0:47 offset1:48
	v_pk_mov_b32 v[74:75], v[30:31], v[22:23] op_sel:[1,0]
	ds_write2_b32 v67, v74, v75 offset0:49 offset1:50
	;; [unrolled: 2-line block ×6, first 2 shown]
	v_pk_mov_b32 v[74:75], v[12:13], v[8:9] op_sel:[1,0]
	v_mov_b32_e32 v73, 46
	ds_write2_b32 v67, v74, v75 offset0:59 offset1:60
	ds_write_b32 v67, v9 offset:244
.LBB122_792:
	s_or_b64 exec, exec, s[0:1]
	v_cmp_lt_i32_e32 vcc, 46, v73
	s_waitcnt lgkmcnt(0)
	s_barrier
	s_and_saveexec_b64 s[0:1], vcc
	s_cbranch_execz .LBB122_794
; %bb.793:
	ds_read_b32 v70, v67 offset:188
	ds_read2_b32 v[74:75], v67 offset0:48 offset1:49
	v_mul_f32_e32 v14, v72, v14
	s_waitcnt lgkmcnt(1)
	v_fma_f32 v15, -v14, v70, v15
	s_waitcnt lgkmcnt(0)
	v_pk_fma_f32 v[30:31], v[14:15], v[74:75], v[30:31] op_sel_hi:[0,1,1] neg_lo:[1,0,0] neg_hi:[1,0,0]
	ds_read2_b32 v[74:75], v67 offset0:50 offset1:51
	s_waitcnt lgkmcnt(0)
	v_pk_fma_f32 v[22:23], v[14:15], v[74:75], v[22:23] op_sel_hi:[0,1,1] neg_lo:[1,0,0] neg_hi:[1,0,0]
	ds_read2_b32 v[74:75], v67 offset0:52 offset1:53
	;; [unrolled: 3-line block ×6, first 2 shown]
	s_waitcnt lgkmcnt(0)
	v_pk_fma_f32 v[8:9], v[14:15], v[74:75], v[8:9] op_sel_hi:[0,1,1] neg_lo:[1,0,0] neg_hi:[1,0,0]
.LBB122_794:
	s_or_b64 exec, exec, s[0:1]
	v_lshl_add_u32 v70, v73, 2, v67
	s_barrier
	ds_write_b32 v70, v15
	s_waitcnt lgkmcnt(0)
	s_barrier
	ds_read_b32 v72, v67 offset:188
	s_cmp_lt_i32 s22, 49
	v_mov_b32_e32 v70, 47
	s_cbranch_scc1 .LBB122_797
; %bb.795:
	v_add_u32_e32 v74, 0xc0, v67
	v_mov_b32_e32 v70, 47
	s_mov_b32 s0, 48
.LBB122_796:                            ; =>This Inner Loop Header: Depth=1
	ds_read_b32 v75, v74
	v_mov_b32_e32 v76, s0
	s_add_i32 s0, s0, 1
	v_add_u32_e32 v74, 4, v74
	s_cmp_lg_u32 s22, s0
	s_waitcnt lgkmcnt(0)
	v_cmp_lt_f32_e64 vcc, |v72|, |v75|
	s_nop 1
	v_cndmask_b32_e32 v72, v72, v75, vcc
	v_cndmask_b32_e32 v70, v70, v76, vcc
	s_cbranch_scc1 .LBB122_796
.LBB122_797:
	s_waitcnt lgkmcnt(0)
	v_cmp_eq_f32_e32 vcc, 0, v72
	s_and_saveexec_b64 s[0:1], vcc
	s_xor_b64 s[0:1], exec, s[0:1]
; %bb.798:
	v_cmp_ne_u32_e32 vcc, 0, v69
	s_nop 1
	v_cndmask_b32_e32 v69, 48, v69, vcc
; %bb.799:
	s_andn2_saveexec_b64 s[0:1], s[0:1]
	s_cbranch_execz .LBB122_801
; %bb.800:
	v_div_scale_f32 v74, s[2:3], v72, v72, 1.0
	v_rcp_f32_e32 v75, v74
	v_div_scale_f32 v76, vcc, 1.0, v72, 1.0
	v_fma_f32 v77, -v74, v75, 1.0
	v_fmac_f32_e32 v75, v77, v75
	v_mul_f32_e32 v77, v76, v75
	v_fma_f32 v78, -v74, v77, v76
	v_fmac_f32_e32 v77, v78, v75
	v_fma_f32 v74, -v74, v77, v76
	v_div_fmas_f32 v74, v74, v75, v77
	v_div_fixup_f32 v72, v74, v72, 1.0
.LBB122_801:
	s_or_b64 exec, exec, s[0:1]
	v_cmp_ne_u32_e32 vcc, v73, v70
	s_and_saveexec_b64 s[0:1], vcc
	s_xor_b64 s[0:1], exec, s[0:1]
	s_cbranch_execz .LBB122_807
; %bb.802:
	v_cmp_eq_u32_e32 vcc, 47, v73
	s_and_saveexec_b64 s[2:3], vcc
	s_cbranch_execz .LBB122_806
; %bb.803:
	v_cmp_ne_u32_e32 vcc, 47, v70
	s_xor_b64 s[12:13], s[20:21], -1
	s_and_b64 s[14:15], s[12:13], vcc
	s_and_saveexec_b64 s[12:13], s[14:15]
	s_cbranch_execz .LBB122_805
; %bb.804:
	v_ashrrev_i32_e32 v71, 31, v70
	v_lshl_add_u64 v[74:75], v[70:71], 2, v[4:5]
	global_load_dword v71, v[74:75], off
	global_load_dword v73, v[4:5], off offset:188
	s_waitcnt vmcnt(1)
	global_store_dword v[4:5], v71, off offset:188
	s_waitcnt vmcnt(1)
	global_store_dword v[74:75], v73, off
.LBB122_805:
	s_or_b64 exec, exec, s[12:13]
	v_mov_b32_e32 v71, v70
	v_mov_b32_e32 v73, v70
.LBB122_806:
	s_or_b64 exec, exec, s[2:3]
.LBB122_807:
	s_andn2_saveexec_b64 s[0:1], s[0:1]
	s_cbranch_execz .LBB122_809
; %bb.808:
	v_mov_b32_e32 v73, 47
	ds_write2_b32 v67, v30, v31 offset0:48 offset1:49
	ds_write2_b32 v67, v22, v23 offset0:50 offset1:51
	;; [unrolled: 1-line block ×7, first 2 shown]
.LBB122_809:
	s_or_b64 exec, exec, s[0:1]
	v_cmp_lt_i32_e32 vcc, 47, v73
	s_waitcnt lgkmcnt(0)
	s_barrier
	s_and_saveexec_b64 s[0:1], vcc
	s_cbranch_execz .LBB122_811
; %bb.810:
	ds_read2_b32 v[74:75], v67 offset0:48 offset1:49
	v_mul_f32_e32 v70, v72, v15
	v_mov_b32_e32 v15, v70
	s_waitcnt lgkmcnt(0)
	v_pk_fma_f32 v[30:31], v[70:71], v[74:75], v[30:31] op_sel_hi:[0,1,1] neg_lo:[1,0,0] neg_hi:[1,0,0]
	ds_read2_b32 v[74:75], v67 offset0:50 offset1:51
	s_waitcnt lgkmcnt(0)
	v_pk_fma_f32 v[22:23], v[70:71], v[74:75], v[22:23] op_sel_hi:[0,1,1] neg_lo:[1,0,0] neg_hi:[1,0,0]
	ds_read2_b32 v[74:75], v67 offset0:52 offset1:53
	;; [unrolled: 3-line block ×6, first 2 shown]
	s_waitcnt lgkmcnt(0)
	v_pk_fma_f32 v[8:9], v[70:71], v[74:75], v[8:9] op_sel_hi:[0,1,1] neg_lo:[1,0,0] neg_hi:[1,0,0]
.LBB122_811:
	s_or_b64 exec, exec, s[0:1]
	v_lshl_add_u32 v70, v73, 2, v67
	s_barrier
	ds_write_b32 v70, v30
	s_waitcnt lgkmcnt(0)
	s_barrier
	ds_read_b32 v72, v67 offset:192
	s_cmp_lt_i32 s22, 50
	v_mov_b32_e32 v70, 48
	s_cbranch_scc1 .LBB122_814
; %bb.812:
	v_add_u32_e32 v74, 0xc4, v67
	v_mov_b32_e32 v70, 48
	s_mov_b32 s0, 49
.LBB122_813:                            ; =>This Inner Loop Header: Depth=1
	ds_read_b32 v75, v74
	v_mov_b32_e32 v76, s0
	s_add_i32 s0, s0, 1
	v_add_u32_e32 v74, 4, v74
	s_cmp_lg_u32 s22, s0
	s_waitcnt lgkmcnt(0)
	v_cmp_lt_f32_e64 vcc, |v72|, |v75|
	s_nop 1
	v_cndmask_b32_e32 v72, v72, v75, vcc
	v_cndmask_b32_e32 v70, v70, v76, vcc
	s_cbranch_scc1 .LBB122_813
.LBB122_814:
	s_waitcnt lgkmcnt(0)
	v_cmp_eq_f32_e32 vcc, 0, v72
	s_and_saveexec_b64 s[0:1], vcc
	s_xor_b64 s[0:1], exec, s[0:1]
; %bb.815:
	v_cmp_ne_u32_e32 vcc, 0, v69
	s_nop 1
	v_cndmask_b32_e32 v69, 49, v69, vcc
; %bb.816:
	s_andn2_saveexec_b64 s[0:1], s[0:1]
	s_cbranch_execz .LBB122_818
; %bb.817:
	v_div_scale_f32 v74, s[2:3], v72, v72, 1.0
	v_rcp_f32_e32 v75, v74
	v_div_scale_f32 v76, vcc, 1.0, v72, 1.0
	v_fma_f32 v77, -v74, v75, 1.0
	v_fmac_f32_e32 v75, v77, v75
	v_mul_f32_e32 v77, v76, v75
	v_fma_f32 v78, -v74, v77, v76
	v_fmac_f32_e32 v77, v78, v75
	v_fma_f32 v74, -v74, v77, v76
	v_div_fmas_f32 v74, v74, v75, v77
	v_div_fixup_f32 v72, v74, v72, 1.0
.LBB122_818:
	s_or_b64 exec, exec, s[0:1]
	v_cmp_ne_u32_e32 vcc, v73, v70
	s_and_saveexec_b64 s[0:1], vcc
	s_xor_b64 s[0:1], exec, s[0:1]
	s_cbranch_execz .LBB122_824
; %bb.819:
	v_cmp_eq_u32_e32 vcc, 48, v73
	s_and_saveexec_b64 s[2:3], vcc
	s_cbranch_execz .LBB122_823
; %bb.820:
	v_cmp_ne_u32_e32 vcc, 48, v70
	s_xor_b64 s[12:13], s[20:21], -1
	s_and_b64 s[14:15], s[12:13], vcc
	s_and_saveexec_b64 s[12:13], s[14:15]
	s_cbranch_execz .LBB122_822
; %bb.821:
	v_ashrrev_i32_e32 v71, 31, v70
	v_lshl_add_u64 v[74:75], v[70:71], 2, v[4:5]
	global_load_dword v71, v[74:75], off
	global_load_dword v73, v[4:5], off offset:192
	s_waitcnt vmcnt(1)
	global_store_dword v[4:5], v71, off offset:192
	s_waitcnt vmcnt(1)
	global_store_dword v[74:75], v73, off
.LBB122_822:
	s_or_b64 exec, exec, s[12:13]
	v_mov_b32_e32 v71, v70
	v_mov_b32_e32 v73, v70
.LBB122_823:
	s_or_b64 exec, exec, s[2:3]
.LBB122_824:
	s_andn2_saveexec_b64 s[0:1], s[0:1]
	s_cbranch_execz .LBB122_826
; %bb.825:
	v_pk_mov_b32 v[74:75], v[30:31], v[22:23] op_sel:[1,0]
	ds_write2_b32 v67, v74, v75 offset0:49 offset1:50
	v_pk_mov_b32 v[74:75], v[22:23], v[16:17] op_sel:[1,0]
	ds_write2_b32 v67, v74, v75 offset0:51 offset1:52
	;; [unrolled: 2-line block ×5, first 2 shown]
	v_pk_mov_b32 v[74:75], v[12:13], v[8:9] op_sel:[1,0]
	v_mov_b32_e32 v73, 48
	ds_write2_b32 v67, v74, v75 offset0:59 offset1:60
	ds_write_b32 v67, v9 offset:244
.LBB122_826:
	s_or_b64 exec, exec, s[0:1]
	v_cmp_lt_i32_e32 vcc, 48, v73
	s_waitcnt lgkmcnt(0)
	s_barrier
	s_and_saveexec_b64 s[0:1], vcc
	s_cbranch_execz .LBB122_828
; %bb.827:
	ds_read_b32 v70, v67 offset:196
	ds_read2_b32 v[74:75], v67 offset0:50 offset1:51
	v_mul_f32_e32 v30, v72, v30
	s_waitcnt lgkmcnt(1)
	v_fma_f32 v31, -v30, v70, v31
	s_waitcnt lgkmcnt(0)
	v_pk_fma_f32 v[22:23], v[30:31], v[74:75], v[22:23] op_sel_hi:[0,1,1] neg_lo:[1,0,0] neg_hi:[1,0,0]
	ds_read2_b32 v[74:75], v67 offset0:52 offset1:53
	s_waitcnt lgkmcnt(0)
	v_pk_fma_f32 v[16:17], v[30:31], v[74:75], v[16:17] op_sel_hi:[0,1,1] neg_lo:[1,0,0] neg_hi:[1,0,0]
	ds_read2_b32 v[74:75], v67 offset0:54 offset1:55
	;; [unrolled: 3-line block ×5, first 2 shown]
	s_waitcnt lgkmcnt(0)
	v_pk_fma_f32 v[8:9], v[30:31], v[74:75], v[8:9] op_sel_hi:[0,1,1] neg_lo:[1,0,0] neg_hi:[1,0,0]
.LBB122_828:
	s_or_b64 exec, exec, s[0:1]
	v_lshl_add_u32 v70, v73, 2, v67
	s_barrier
	ds_write_b32 v70, v31
	s_waitcnt lgkmcnt(0)
	s_barrier
	ds_read_b32 v72, v67 offset:196
	s_cmp_lt_i32 s22, 51
	v_mov_b32_e32 v70, 49
	s_cbranch_scc1 .LBB122_831
; %bb.829:
	v_add_u32_e32 v74, 0xc8, v67
	v_mov_b32_e32 v70, 49
	s_mov_b32 s0, 50
.LBB122_830:                            ; =>This Inner Loop Header: Depth=1
	ds_read_b32 v75, v74
	v_mov_b32_e32 v76, s0
	s_add_i32 s0, s0, 1
	v_add_u32_e32 v74, 4, v74
	s_cmp_lg_u32 s22, s0
	s_waitcnt lgkmcnt(0)
	v_cmp_lt_f32_e64 vcc, |v72|, |v75|
	s_nop 1
	v_cndmask_b32_e32 v72, v72, v75, vcc
	v_cndmask_b32_e32 v70, v70, v76, vcc
	s_cbranch_scc1 .LBB122_830
.LBB122_831:
	s_waitcnt lgkmcnt(0)
	v_cmp_eq_f32_e32 vcc, 0, v72
	s_and_saveexec_b64 s[0:1], vcc
	s_xor_b64 s[0:1], exec, s[0:1]
; %bb.832:
	v_cmp_ne_u32_e32 vcc, 0, v69
	s_nop 1
	v_cndmask_b32_e32 v69, 50, v69, vcc
; %bb.833:
	s_andn2_saveexec_b64 s[0:1], s[0:1]
	s_cbranch_execz .LBB122_835
; %bb.834:
	v_div_scale_f32 v74, s[2:3], v72, v72, 1.0
	v_rcp_f32_e32 v75, v74
	v_div_scale_f32 v76, vcc, 1.0, v72, 1.0
	v_fma_f32 v77, -v74, v75, 1.0
	v_fmac_f32_e32 v75, v77, v75
	v_mul_f32_e32 v77, v76, v75
	v_fma_f32 v78, -v74, v77, v76
	v_fmac_f32_e32 v77, v78, v75
	v_fma_f32 v74, -v74, v77, v76
	v_div_fmas_f32 v74, v74, v75, v77
	v_div_fixup_f32 v72, v74, v72, 1.0
.LBB122_835:
	s_or_b64 exec, exec, s[0:1]
	v_cmp_ne_u32_e32 vcc, v73, v70
	s_and_saveexec_b64 s[0:1], vcc
	s_xor_b64 s[0:1], exec, s[0:1]
	s_cbranch_execz .LBB122_841
; %bb.836:
	v_cmp_eq_u32_e32 vcc, 49, v73
	s_and_saveexec_b64 s[2:3], vcc
	s_cbranch_execz .LBB122_840
; %bb.837:
	v_cmp_ne_u32_e32 vcc, 49, v70
	s_xor_b64 s[12:13], s[20:21], -1
	s_and_b64 s[14:15], s[12:13], vcc
	s_and_saveexec_b64 s[12:13], s[14:15]
	s_cbranch_execz .LBB122_839
; %bb.838:
	v_ashrrev_i32_e32 v71, 31, v70
	v_lshl_add_u64 v[74:75], v[70:71], 2, v[4:5]
	global_load_dword v71, v[74:75], off
	global_load_dword v73, v[4:5], off offset:196
	s_waitcnt vmcnt(1)
	global_store_dword v[4:5], v71, off offset:196
	s_waitcnt vmcnt(1)
	global_store_dword v[74:75], v73, off
.LBB122_839:
	s_or_b64 exec, exec, s[12:13]
	v_mov_b32_e32 v71, v70
	v_mov_b32_e32 v73, v70
.LBB122_840:
	s_or_b64 exec, exec, s[2:3]
.LBB122_841:
	s_andn2_saveexec_b64 s[0:1], s[0:1]
	s_cbranch_execz .LBB122_843
; %bb.842:
	v_mov_b32_e32 v73, 49
	ds_write2_b32 v67, v22, v23 offset0:50 offset1:51
	ds_write2_b32 v67, v16, v17 offset0:52 offset1:53
	;; [unrolled: 1-line block ×6, first 2 shown]
.LBB122_843:
	s_or_b64 exec, exec, s[0:1]
	v_cmp_lt_i32_e32 vcc, 49, v73
	s_waitcnt lgkmcnt(0)
	s_barrier
	s_and_saveexec_b64 s[0:1], vcc
	s_cbranch_execz .LBB122_845
; %bb.844:
	ds_read2_b32 v[74:75], v67 offset0:50 offset1:51
	v_mul_f32_e32 v70, v72, v31
	v_mov_b32_e32 v31, v70
	s_waitcnt lgkmcnt(0)
	v_pk_fma_f32 v[22:23], v[70:71], v[74:75], v[22:23] op_sel_hi:[0,1,1] neg_lo:[1,0,0] neg_hi:[1,0,0]
	ds_read2_b32 v[74:75], v67 offset0:52 offset1:53
	s_waitcnt lgkmcnt(0)
	v_pk_fma_f32 v[16:17], v[70:71], v[74:75], v[16:17] op_sel_hi:[0,1,1] neg_lo:[1,0,0] neg_hi:[1,0,0]
	ds_read2_b32 v[74:75], v67 offset0:54 offset1:55
	;; [unrolled: 3-line block ×5, first 2 shown]
	s_waitcnt lgkmcnt(0)
	v_pk_fma_f32 v[8:9], v[70:71], v[74:75], v[8:9] op_sel_hi:[0,1,1] neg_lo:[1,0,0] neg_hi:[1,0,0]
.LBB122_845:
	s_or_b64 exec, exec, s[0:1]
	v_lshl_add_u32 v70, v73, 2, v67
	s_barrier
	ds_write_b32 v70, v22
	s_waitcnt lgkmcnt(0)
	s_barrier
	ds_read_b32 v72, v67 offset:200
	s_cmp_lt_i32 s22, 52
	v_mov_b32_e32 v70, 50
	s_cbranch_scc1 .LBB122_848
; %bb.846:
	v_add_u32_e32 v74, 0xcc, v67
	v_mov_b32_e32 v70, 50
	s_mov_b32 s0, 51
.LBB122_847:                            ; =>This Inner Loop Header: Depth=1
	ds_read_b32 v75, v74
	v_mov_b32_e32 v76, s0
	s_add_i32 s0, s0, 1
	v_add_u32_e32 v74, 4, v74
	s_cmp_lg_u32 s22, s0
	s_waitcnt lgkmcnt(0)
	v_cmp_lt_f32_e64 vcc, |v72|, |v75|
	s_nop 1
	v_cndmask_b32_e32 v72, v72, v75, vcc
	v_cndmask_b32_e32 v70, v70, v76, vcc
	s_cbranch_scc1 .LBB122_847
.LBB122_848:
	s_waitcnt lgkmcnt(0)
	v_cmp_eq_f32_e32 vcc, 0, v72
	s_and_saveexec_b64 s[0:1], vcc
	s_xor_b64 s[0:1], exec, s[0:1]
; %bb.849:
	v_cmp_ne_u32_e32 vcc, 0, v69
	s_nop 1
	v_cndmask_b32_e32 v69, 51, v69, vcc
; %bb.850:
	s_andn2_saveexec_b64 s[0:1], s[0:1]
	s_cbranch_execz .LBB122_852
; %bb.851:
	v_div_scale_f32 v74, s[2:3], v72, v72, 1.0
	v_rcp_f32_e32 v75, v74
	v_div_scale_f32 v76, vcc, 1.0, v72, 1.0
	v_fma_f32 v77, -v74, v75, 1.0
	v_fmac_f32_e32 v75, v77, v75
	v_mul_f32_e32 v77, v76, v75
	v_fma_f32 v78, -v74, v77, v76
	v_fmac_f32_e32 v77, v78, v75
	v_fma_f32 v74, -v74, v77, v76
	v_div_fmas_f32 v74, v74, v75, v77
	v_div_fixup_f32 v72, v74, v72, 1.0
.LBB122_852:
	s_or_b64 exec, exec, s[0:1]
	v_cmp_ne_u32_e32 vcc, v73, v70
	s_and_saveexec_b64 s[0:1], vcc
	s_xor_b64 s[0:1], exec, s[0:1]
	s_cbranch_execz .LBB122_858
; %bb.853:
	v_cmp_eq_u32_e32 vcc, 50, v73
	s_and_saveexec_b64 s[2:3], vcc
	s_cbranch_execz .LBB122_857
; %bb.854:
	v_cmp_ne_u32_e32 vcc, 50, v70
	s_xor_b64 s[12:13], s[20:21], -1
	s_and_b64 s[14:15], s[12:13], vcc
	s_and_saveexec_b64 s[12:13], s[14:15]
	s_cbranch_execz .LBB122_856
; %bb.855:
	v_ashrrev_i32_e32 v71, 31, v70
	v_lshl_add_u64 v[74:75], v[70:71], 2, v[4:5]
	global_load_dword v71, v[74:75], off
	global_load_dword v73, v[4:5], off offset:200
	s_waitcnt vmcnt(1)
	global_store_dword v[4:5], v71, off offset:200
	s_waitcnt vmcnt(1)
	global_store_dword v[74:75], v73, off
.LBB122_856:
	s_or_b64 exec, exec, s[12:13]
	v_mov_b32_e32 v71, v70
	v_mov_b32_e32 v73, v70
.LBB122_857:
	s_or_b64 exec, exec, s[2:3]
.LBB122_858:
	s_andn2_saveexec_b64 s[0:1], s[0:1]
	s_cbranch_execz .LBB122_860
; %bb.859:
	v_pk_mov_b32 v[74:75], v[22:23], v[16:17] op_sel:[1,0]
	ds_write2_b32 v67, v74, v75 offset0:51 offset1:52
	v_pk_mov_b32 v[74:75], v[16:17], v[0:1] op_sel:[1,0]
	ds_write2_b32 v67, v74, v75 offset0:53 offset1:54
	;; [unrolled: 2-line block ×4, first 2 shown]
	v_pk_mov_b32 v[74:75], v[12:13], v[8:9] op_sel:[1,0]
	v_mov_b32_e32 v73, 50
	ds_write2_b32 v67, v74, v75 offset0:59 offset1:60
	ds_write_b32 v67, v9 offset:244
.LBB122_860:
	s_or_b64 exec, exec, s[0:1]
	v_cmp_lt_i32_e32 vcc, 50, v73
	s_waitcnt lgkmcnt(0)
	s_barrier
	s_and_saveexec_b64 s[0:1], vcc
	s_cbranch_execz .LBB122_862
; %bb.861:
	ds_read_b32 v70, v67 offset:204
	ds_read2_b32 v[74:75], v67 offset0:52 offset1:53
	v_mul_f32_e32 v22, v72, v22
	s_waitcnt lgkmcnt(1)
	v_fma_f32 v23, -v22, v70, v23
	s_waitcnt lgkmcnt(0)
	v_pk_fma_f32 v[16:17], v[22:23], v[74:75], v[16:17] op_sel_hi:[0,1,1] neg_lo:[1,0,0] neg_hi:[1,0,0]
	ds_read2_b32 v[74:75], v67 offset0:54 offset1:55
	s_waitcnt lgkmcnt(0)
	v_pk_fma_f32 v[0:1], v[22:23], v[74:75], v[0:1] op_sel_hi:[0,1,1] neg_lo:[1,0,0] neg_hi:[1,0,0]
	ds_read2_b32 v[74:75], v67 offset0:56 offset1:57
	;; [unrolled: 3-line block ×4, first 2 shown]
	s_waitcnt lgkmcnt(0)
	v_pk_fma_f32 v[8:9], v[22:23], v[74:75], v[8:9] op_sel_hi:[0,1,1] neg_lo:[1,0,0] neg_hi:[1,0,0]
.LBB122_862:
	s_or_b64 exec, exec, s[0:1]
	v_lshl_add_u32 v70, v73, 2, v67
	s_barrier
	ds_write_b32 v70, v23
	s_waitcnt lgkmcnt(0)
	s_barrier
	ds_read_b32 v72, v67 offset:204
	s_cmp_lt_i32 s22, 53
	v_mov_b32_e32 v70, 51
	s_cbranch_scc1 .LBB122_865
; %bb.863:
	v_add_u32_e32 v74, 0xd0, v67
	v_mov_b32_e32 v70, 51
	s_mov_b32 s0, 52
.LBB122_864:                            ; =>This Inner Loop Header: Depth=1
	ds_read_b32 v75, v74
	v_mov_b32_e32 v76, s0
	s_add_i32 s0, s0, 1
	v_add_u32_e32 v74, 4, v74
	s_cmp_lg_u32 s22, s0
	s_waitcnt lgkmcnt(0)
	v_cmp_lt_f32_e64 vcc, |v72|, |v75|
	s_nop 1
	v_cndmask_b32_e32 v72, v72, v75, vcc
	v_cndmask_b32_e32 v70, v70, v76, vcc
	s_cbranch_scc1 .LBB122_864
.LBB122_865:
	s_waitcnt lgkmcnt(0)
	v_cmp_eq_f32_e32 vcc, 0, v72
	s_and_saveexec_b64 s[0:1], vcc
	s_xor_b64 s[0:1], exec, s[0:1]
; %bb.866:
	v_cmp_ne_u32_e32 vcc, 0, v69
	s_nop 1
	v_cndmask_b32_e32 v69, 52, v69, vcc
; %bb.867:
	s_andn2_saveexec_b64 s[0:1], s[0:1]
	s_cbranch_execz .LBB122_869
; %bb.868:
	v_div_scale_f32 v74, s[2:3], v72, v72, 1.0
	v_rcp_f32_e32 v75, v74
	v_div_scale_f32 v76, vcc, 1.0, v72, 1.0
	v_fma_f32 v77, -v74, v75, 1.0
	v_fmac_f32_e32 v75, v77, v75
	v_mul_f32_e32 v77, v76, v75
	v_fma_f32 v78, -v74, v77, v76
	v_fmac_f32_e32 v77, v78, v75
	v_fma_f32 v74, -v74, v77, v76
	v_div_fmas_f32 v74, v74, v75, v77
	v_div_fixup_f32 v72, v74, v72, 1.0
.LBB122_869:
	s_or_b64 exec, exec, s[0:1]
	v_cmp_ne_u32_e32 vcc, v73, v70
	s_and_saveexec_b64 s[0:1], vcc
	s_xor_b64 s[0:1], exec, s[0:1]
	s_cbranch_execz .LBB122_875
; %bb.870:
	v_cmp_eq_u32_e32 vcc, 51, v73
	s_and_saveexec_b64 s[2:3], vcc
	s_cbranch_execz .LBB122_874
; %bb.871:
	v_cmp_ne_u32_e32 vcc, 51, v70
	s_xor_b64 s[12:13], s[20:21], -1
	s_and_b64 s[14:15], s[12:13], vcc
	s_and_saveexec_b64 s[12:13], s[14:15]
	s_cbranch_execz .LBB122_873
; %bb.872:
	v_ashrrev_i32_e32 v71, 31, v70
	v_lshl_add_u64 v[74:75], v[70:71], 2, v[4:5]
	global_load_dword v71, v[74:75], off
	global_load_dword v73, v[4:5], off offset:204
	s_waitcnt vmcnt(1)
	global_store_dword v[4:5], v71, off offset:204
	s_waitcnt vmcnt(1)
	global_store_dword v[74:75], v73, off
.LBB122_873:
	s_or_b64 exec, exec, s[12:13]
	v_mov_b32_e32 v71, v70
	v_mov_b32_e32 v73, v70
.LBB122_874:
	s_or_b64 exec, exec, s[2:3]
.LBB122_875:
	s_andn2_saveexec_b64 s[0:1], s[0:1]
	s_cbranch_execz .LBB122_877
; %bb.876:
	v_mov_b32_e32 v73, 51
	ds_write2_b32 v67, v16, v17 offset0:52 offset1:53
	ds_write2_b32 v67, v0, v1 offset0:54 offset1:55
	;; [unrolled: 1-line block ×5, first 2 shown]
.LBB122_877:
	s_or_b64 exec, exec, s[0:1]
	v_cmp_lt_i32_e32 vcc, 51, v73
	s_waitcnt lgkmcnt(0)
	s_barrier
	s_and_saveexec_b64 s[0:1], vcc
	s_cbranch_execz .LBB122_879
; %bb.878:
	ds_read2_b32 v[74:75], v67 offset0:52 offset1:53
	v_mul_f32_e32 v70, v72, v23
	v_mov_b32_e32 v23, v70
	s_waitcnt lgkmcnt(0)
	v_pk_fma_f32 v[16:17], v[70:71], v[74:75], v[16:17] op_sel_hi:[0,1,1] neg_lo:[1,0,0] neg_hi:[1,0,0]
	ds_read2_b32 v[74:75], v67 offset0:54 offset1:55
	s_waitcnt lgkmcnt(0)
	v_pk_fma_f32 v[0:1], v[70:71], v[74:75], v[0:1] op_sel_hi:[0,1,1] neg_lo:[1,0,0] neg_hi:[1,0,0]
	ds_read2_b32 v[74:75], v67 offset0:56 offset1:57
	;; [unrolled: 3-line block ×4, first 2 shown]
	s_waitcnt lgkmcnt(0)
	v_pk_fma_f32 v[8:9], v[70:71], v[74:75], v[8:9] op_sel_hi:[0,1,1] neg_lo:[1,0,0] neg_hi:[1,0,0]
.LBB122_879:
	s_or_b64 exec, exec, s[0:1]
	v_lshl_add_u32 v70, v73, 2, v67
	s_barrier
	ds_write_b32 v70, v16
	s_waitcnt lgkmcnt(0)
	s_barrier
	ds_read_b32 v72, v67 offset:208
	s_cmp_lt_i32 s22, 54
	v_mov_b32_e32 v70, 52
	s_cbranch_scc1 .LBB122_882
; %bb.880:
	v_add_u32_e32 v74, 0xd4, v67
	v_mov_b32_e32 v70, 52
	s_mov_b32 s0, 53
.LBB122_881:                            ; =>This Inner Loop Header: Depth=1
	ds_read_b32 v75, v74
	v_mov_b32_e32 v76, s0
	s_add_i32 s0, s0, 1
	v_add_u32_e32 v74, 4, v74
	s_cmp_lg_u32 s22, s0
	s_waitcnt lgkmcnt(0)
	v_cmp_lt_f32_e64 vcc, |v72|, |v75|
	s_nop 1
	v_cndmask_b32_e32 v72, v72, v75, vcc
	v_cndmask_b32_e32 v70, v70, v76, vcc
	s_cbranch_scc1 .LBB122_881
.LBB122_882:
	s_waitcnt lgkmcnt(0)
	v_cmp_eq_f32_e32 vcc, 0, v72
	s_and_saveexec_b64 s[0:1], vcc
	s_xor_b64 s[0:1], exec, s[0:1]
; %bb.883:
	v_cmp_ne_u32_e32 vcc, 0, v69
	s_nop 1
	v_cndmask_b32_e32 v69, 53, v69, vcc
; %bb.884:
	s_andn2_saveexec_b64 s[0:1], s[0:1]
	s_cbranch_execz .LBB122_886
; %bb.885:
	v_div_scale_f32 v74, s[2:3], v72, v72, 1.0
	v_rcp_f32_e32 v75, v74
	v_div_scale_f32 v76, vcc, 1.0, v72, 1.0
	v_fma_f32 v77, -v74, v75, 1.0
	v_fmac_f32_e32 v75, v77, v75
	v_mul_f32_e32 v77, v76, v75
	v_fma_f32 v78, -v74, v77, v76
	v_fmac_f32_e32 v77, v78, v75
	v_fma_f32 v74, -v74, v77, v76
	v_div_fmas_f32 v74, v74, v75, v77
	v_div_fixup_f32 v72, v74, v72, 1.0
.LBB122_886:
	s_or_b64 exec, exec, s[0:1]
	v_cmp_ne_u32_e32 vcc, v73, v70
	s_and_saveexec_b64 s[0:1], vcc
	s_xor_b64 s[0:1], exec, s[0:1]
	s_cbranch_execz .LBB122_892
; %bb.887:
	v_cmp_eq_u32_e32 vcc, 52, v73
	s_and_saveexec_b64 s[2:3], vcc
	s_cbranch_execz .LBB122_891
; %bb.888:
	v_cmp_ne_u32_e32 vcc, 52, v70
	s_xor_b64 s[12:13], s[20:21], -1
	s_and_b64 s[14:15], s[12:13], vcc
	s_and_saveexec_b64 s[12:13], s[14:15]
	s_cbranch_execz .LBB122_890
; %bb.889:
	v_ashrrev_i32_e32 v71, 31, v70
	v_lshl_add_u64 v[74:75], v[70:71], 2, v[4:5]
	global_load_dword v71, v[74:75], off
	global_load_dword v73, v[4:5], off offset:208
	s_waitcnt vmcnt(1)
	global_store_dword v[4:5], v71, off offset:208
	s_waitcnt vmcnt(1)
	global_store_dword v[74:75], v73, off
.LBB122_890:
	s_or_b64 exec, exec, s[12:13]
	v_mov_b32_e32 v71, v70
	v_mov_b32_e32 v73, v70
.LBB122_891:
	s_or_b64 exec, exec, s[2:3]
.LBB122_892:
	s_andn2_saveexec_b64 s[0:1], s[0:1]
	s_cbranch_execz .LBB122_894
; %bb.893:
	v_pk_mov_b32 v[74:75], v[16:17], v[0:1] op_sel:[1,0]
	ds_write2_b32 v67, v74, v75 offset0:53 offset1:54
	v_pk_mov_b32 v[74:75], v[0:1], v[10:11] op_sel:[1,0]
	ds_write2_b32 v67, v74, v75 offset0:55 offset1:56
	;; [unrolled: 2-line block ×3, first 2 shown]
	v_pk_mov_b32 v[74:75], v[12:13], v[8:9] op_sel:[1,0]
	v_mov_b32_e32 v73, 52
	ds_write2_b32 v67, v74, v75 offset0:59 offset1:60
	ds_write_b32 v67, v9 offset:244
.LBB122_894:
	s_or_b64 exec, exec, s[0:1]
	v_cmp_lt_i32_e32 vcc, 52, v73
	s_waitcnt lgkmcnt(0)
	s_barrier
	s_and_saveexec_b64 s[0:1], vcc
	s_cbranch_execz .LBB122_896
; %bb.895:
	ds_read_b32 v70, v67 offset:212
	ds_read2_b32 v[74:75], v67 offset0:54 offset1:55
	v_mul_f32_e32 v16, v72, v16
	s_waitcnt lgkmcnt(1)
	v_fma_f32 v17, -v16, v70, v17
	s_waitcnt lgkmcnt(0)
	v_pk_fma_f32 v[0:1], v[16:17], v[74:75], v[0:1] op_sel_hi:[0,1,1] neg_lo:[1,0,0] neg_hi:[1,0,0]
	ds_read2_b32 v[74:75], v67 offset0:56 offset1:57
	s_waitcnt lgkmcnt(0)
	v_pk_fma_f32 v[10:11], v[16:17], v[74:75], v[10:11] op_sel_hi:[0,1,1] neg_lo:[1,0,0] neg_hi:[1,0,0]
	ds_read2_b32 v[74:75], v67 offset0:58 offset1:59
	s_waitcnt lgkmcnt(0)
	v_pk_fma_f32 v[12:13], v[16:17], v[74:75], v[12:13] op_sel_hi:[0,1,1] neg_lo:[1,0,0] neg_hi:[1,0,0]
	ds_read2_b32 v[74:75], v67 offset0:60 offset1:61
	s_waitcnt lgkmcnt(0)
	v_pk_fma_f32 v[8:9], v[16:17], v[74:75], v[8:9] op_sel_hi:[0,1,1] neg_lo:[1,0,0] neg_hi:[1,0,0]
.LBB122_896:
	s_or_b64 exec, exec, s[0:1]
	v_lshl_add_u32 v70, v73, 2, v67
	s_barrier
	ds_write_b32 v70, v17
	s_waitcnt lgkmcnt(0)
	s_barrier
	ds_read_b32 v72, v67 offset:212
	s_cmp_lt_i32 s22, 55
	v_mov_b32_e32 v70, 53
	s_cbranch_scc1 .LBB122_899
; %bb.897:
	v_add_u32_e32 v74, 0xd8, v67
	v_mov_b32_e32 v70, 53
	s_mov_b32 s0, 54
.LBB122_898:                            ; =>This Inner Loop Header: Depth=1
	ds_read_b32 v75, v74
	v_mov_b32_e32 v76, s0
	s_add_i32 s0, s0, 1
	v_add_u32_e32 v74, 4, v74
	s_cmp_lg_u32 s22, s0
	s_waitcnt lgkmcnt(0)
	v_cmp_lt_f32_e64 vcc, |v72|, |v75|
	s_nop 1
	v_cndmask_b32_e32 v72, v72, v75, vcc
	v_cndmask_b32_e32 v70, v70, v76, vcc
	s_cbranch_scc1 .LBB122_898
.LBB122_899:
	s_waitcnt lgkmcnt(0)
	v_cmp_eq_f32_e32 vcc, 0, v72
	s_and_saveexec_b64 s[0:1], vcc
	s_xor_b64 s[0:1], exec, s[0:1]
; %bb.900:
	v_cmp_ne_u32_e32 vcc, 0, v69
	s_nop 1
	v_cndmask_b32_e32 v69, 54, v69, vcc
; %bb.901:
	s_andn2_saveexec_b64 s[0:1], s[0:1]
	s_cbranch_execz .LBB122_903
; %bb.902:
	v_div_scale_f32 v74, s[2:3], v72, v72, 1.0
	v_rcp_f32_e32 v75, v74
	v_div_scale_f32 v76, vcc, 1.0, v72, 1.0
	v_fma_f32 v77, -v74, v75, 1.0
	v_fmac_f32_e32 v75, v77, v75
	v_mul_f32_e32 v77, v76, v75
	v_fma_f32 v78, -v74, v77, v76
	v_fmac_f32_e32 v77, v78, v75
	v_fma_f32 v74, -v74, v77, v76
	v_div_fmas_f32 v74, v74, v75, v77
	v_div_fixup_f32 v72, v74, v72, 1.0
.LBB122_903:
	s_or_b64 exec, exec, s[0:1]
	v_cmp_ne_u32_e32 vcc, v73, v70
	s_and_saveexec_b64 s[0:1], vcc
	s_xor_b64 s[0:1], exec, s[0:1]
	s_cbranch_execz .LBB122_909
; %bb.904:
	v_cmp_eq_u32_e32 vcc, 53, v73
	s_and_saveexec_b64 s[2:3], vcc
	s_cbranch_execz .LBB122_908
; %bb.905:
	v_cmp_ne_u32_e32 vcc, 53, v70
	s_xor_b64 s[12:13], s[20:21], -1
	s_and_b64 s[14:15], s[12:13], vcc
	s_and_saveexec_b64 s[12:13], s[14:15]
	s_cbranch_execz .LBB122_907
; %bb.906:
	v_ashrrev_i32_e32 v71, 31, v70
	v_lshl_add_u64 v[74:75], v[70:71], 2, v[4:5]
	global_load_dword v71, v[74:75], off
	global_load_dword v73, v[4:5], off offset:212
	s_waitcnt vmcnt(1)
	global_store_dword v[4:5], v71, off offset:212
	s_waitcnt vmcnt(1)
	global_store_dword v[74:75], v73, off
.LBB122_907:
	s_or_b64 exec, exec, s[12:13]
	v_mov_b32_e32 v71, v70
	v_mov_b32_e32 v73, v70
.LBB122_908:
	s_or_b64 exec, exec, s[2:3]
.LBB122_909:
	s_andn2_saveexec_b64 s[0:1], s[0:1]
	s_cbranch_execz .LBB122_911
; %bb.910:
	v_mov_b32_e32 v73, 53
	ds_write2_b32 v67, v0, v1 offset0:54 offset1:55
	ds_write2_b32 v67, v10, v11 offset0:56 offset1:57
	;; [unrolled: 1-line block ×4, first 2 shown]
.LBB122_911:
	s_or_b64 exec, exec, s[0:1]
	v_cmp_lt_i32_e32 vcc, 53, v73
	s_waitcnt lgkmcnt(0)
	s_barrier
	s_and_saveexec_b64 s[0:1], vcc
	s_cbranch_execz .LBB122_913
; %bb.912:
	ds_read2_b32 v[74:75], v67 offset0:54 offset1:55
	v_mul_f32_e32 v70, v72, v17
	v_mov_b32_e32 v17, v70
	s_waitcnt lgkmcnt(0)
	v_pk_fma_f32 v[0:1], v[70:71], v[74:75], v[0:1] op_sel_hi:[0,1,1] neg_lo:[1,0,0] neg_hi:[1,0,0]
	ds_read2_b32 v[74:75], v67 offset0:56 offset1:57
	s_waitcnt lgkmcnt(0)
	v_pk_fma_f32 v[10:11], v[70:71], v[74:75], v[10:11] op_sel_hi:[0,1,1] neg_lo:[1,0,0] neg_hi:[1,0,0]
	ds_read2_b32 v[74:75], v67 offset0:58 offset1:59
	;; [unrolled: 3-line block ×3, first 2 shown]
	s_waitcnt lgkmcnt(0)
	v_pk_fma_f32 v[8:9], v[70:71], v[74:75], v[8:9] op_sel_hi:[0,1,1] neg_lo:[1,0,0] neg_hi:[1,0,0]
.LBB122_913:
	s_or_b64 exec, exec, s[0:1]
	v_lshl_add_u32 v70, v73, 2, v67
	s_barrier
	ds_write_b32 v70, v0
	s_waitcnt lgkmcnt(0)
	s_barrier
	ds_read_b32 v72, v67 offset:216
	s_cmp_lt_i32 s22, 56
	v_mov_b32_e32 v70, 54
	s_cbranch_scc1 .LBB122_916
; %bb.914:
	v_add_u32_e32 v74, 0xdc, v67
	v_mov_b32_e32 v70, 54
	s_mov_b32 s0, 55
.LBB122_915:                            ; =>This Inner Loop Header: Depth=1
	ds_read_b32 v75, v74
	v_mov_b32_e32 v76, s0
	s_add_i32 s0, s0, 1
	v_add_u32_e32 v74, 4, v74
	s_cmp_lg_u32 s22, s0
	s_waitcnt lgkmcnt(0)
	v_cmp_lt_f32_e64 vcc, |v72|, |v75|
	s_nop 1
	v_cndmask_b32_e32 v72, v72, v75, vcc
	v_cndmask_b32_e32 v70, v70, v76, vcc
	s_cbranch_scc1 .LBB122_915
.LBB122_916:
	s_waitcnt lgkmcnt(0)
	v_cmp_eq_f32_e32 vcc, 0, v72
	s_and_saveexec_b64 s[0:1], vcc
	s_xor_b64 s[0:1], exec, s[0:1]
; %bb.917:
	v_cmp_ne_u32_e32 vcc, 0, v69
	s_nop 1
	v_cndmask_b32_e32 v69, 55, v69, vcc
; %bb.918:
	s_andn2_saveexec_b64 s[0:1], s[0:1]
	s_cbranch_execz .LBB122_920
; %bb.919:
	v_div_scale_f32 v74, s[2:3], v72, v72, 1.0
	v_rcp_f32_e32 v75, v74
	v_div_scale_f32 v76, vcc, 1.0, v72, 1.0
	v_fma_f32 v77, -v74, v75, 1.0
	v_fmac_f32_e32 v75, v77, v75
	v_mul_f32_e32 v77, v76, v75
	v_fma_f32 v78, -v74, v77, v76
	v_fmac_f32_e32 v77, v78, v75
	v_fma_f32 v74, -v74, v77, v76
	v_div_fmas_f32 v74, v74, v75, v77
	v_div_fixup_f32 v72, v74, v72, 1.0
.LBB122_920:
	s_or_b64 exec, exec, s[0:1]
	v_cmp_ne_u32_e32 vcc, v73, v70
	s_and_saveexec_b64 s[0:1], vcc
	s_xor_b64 s[0:1], exec, s[0:1]
	s_cbranch_execz .LBB122_926
; %bb.921:
	v_cmp_eq_u32_e32 vcc, 54, v73
	s_and_saveexec_b64 s[2:3], vcc
	s_cbranch_execz .LBB122_925
; %bb.922:
	v_cmp_ne_u32_e32 vcc, 54, v70
	s_xor_b64 s[12:13], s[20:21], -1
	s_and_b64 s[14:15], s[12:13], vcc
	s_and_saveexec_b64 s[12:13], s[14:15]
	s_cbranch_execz .LBB122_924
; %bb.923:
	v_ashrrev_i32_e32 v71, 31, v70
	v_lshl_add_u64 v[74:75], v[70:71], 2, v[4:5]
	global_load_dword v71, v[74:75], off
	global_load_dword v73, v[4:5], off offset:216
	s_waitcnt vmcnt(1)
	global_store_dword v[4:5], v71, off offset:216
	s_waitcnt vmcnt(1)
	global_store_dword v[74:75], v73, off
.LBB122_924:
	s_or_b64 exec, exec, s[12:13]
	v_mov_b32_e32 v71, v70
	v_mov_b32_e32 v73, v70
.LBB122_925:
	s_or_b64 exec, exec, s[2:3]
.LBB122_926:
	s_andn2_saveexec_b64 s[0:1], s[0:1]
	s_cbranch_execz .LBB122_928
; %bb.927:
	v_pk_mov_b32 v[74:75], v[0:1], v[10:11] op_sel:[1,0]
	ds_write2_b32 v67, v74, v75 offset0:55 offset1:56
	v_pk_mov_b32 v[74:75], v[10:11], v[12:13] op_sel:[1,0]
	ds_write2_b32 v67, v74, v75 offset0:57 offset1:58
	v_pk_mov_b32 v[74:75], v[12:13], v[8:9] op_sel:[1,0]
	v_mov_b32_e32 v73, 54
	ds_write2_b32 v67, v74, v75 offset0:59 offset1:60
	ds_write_b32 v67, v9 offset:244
.LBB122_928:
	s_or_b64 exec, exec, s[0:1]
	v_cmp_lt_i32_e32 vcc, 54, v73
	s_waitcnt lgkmcnt(0)
	s_barrier
	s_and_saveexec_b64 s[0:1], vcc
	s_cbranch_execz .LBB122_930
; %bb.929:
	ds_read_b32 v70, v67 offset:220
	ds_read2_b32 v[74:75], v67 offset0:56 offset1:57
	ds_read2_b32 v[76:77], v67 offset0:58 offset1:59
	;; [unrolled: 1-line block ×3, first 2 shown]
	v_mul_f32_e32 v0, v72, v0
	s_waitcnt lgkmcnt(3)
	v_fma_f32 v1, -v0, v70, v1
	s_waitcnt lgkmcnt(2)
	v_pk_fma_f32 v[10:11], v[0:1], v[74:75], v[10:11] op_sel_hi:[0,1,1] neg_lo:[1,0,0] neg_hi:[1,0,0]
	s_waitcnt lgkmcnt(1)
	v_pk_fma_f32 v[12:13], v[0:1], v[76:77], v[12:13] op_sel_hi:[0,1,1] neg_lo:[1,0,0] neg_hi:[1,0,0]
	;; [unrolled: 2-line block ×3, first 2 shown]
.LBB122_930:
	s_or_b64 exec, exec, s[0:1]
	v_lshl_add_u32 v70, v73, 2, v67
	s_barrier
	ds_write_b32 v70, v1
	s_waitcnt lgkmcnt(0)
	s_barrier
	ds_read_b32 v72, v67 offset:220
	s_cmp_lt_i32 s22, 57
	v_mov_b32_e32 v70, 55
	s_cbranch_scc1 .LBB122_933
; %bb.931:
	v_add_u32_e32 v74, 0xe0, v67
	v_mov_b32_e32 v70, 55
	s_mov_b32 s0, 56
.LBB122_932:                            ; =>This Inner Loop Header: Depth=1
	ds_read_b32 v75, v74
	v_mov_b32_e32 v76, s0
	s_add_i32 s0, s0, 1
	v_add_u32_e32 v74, 4, v74
	s_cmp_lg_u32 s22, s0
	s_waitcnt lgkmcnt(0)
	v_cmp_lt_f32_e64 vcc, |v72|, |v75|
	s_nop 1
	v_cndmask_b32_e32 v72, v72, v75, vcc
	v_cndmask_b32_e32 v70, v70, v76, vcc
	s_cbranch_scc1 .LBB122_932
.LBB122_933:
	s_waitcnt lgkmcnt(0)
	v_cmp_eq_f32_e32 vcc, 0, v72
	s_and_saveexec_b64 s[0:1], vcc
	s_xor_b64 s[0:1], exec, s[0:1]
; %bb.934:
	v_cmp_ne_u32_e32 vcc, 0, v69
	s_nop 1
	v_cndmask_b32_e32 v69, 56, v69, vcc
; %bb.935:
	s_andn2_saveexec_b64 s[0:1], s[0:1]
	s_cbranch_execz .LBB122_937
; %bb.936:
	v_div_scale_f32 v74, s[2:3], v72, v72, 1.0
	v_rcp_f32_e32 v75, v74
	v_div_scale_f32 v76, vcc, 1.0, v72, 1.0
	v_fma_f32 v77, -v74, v75, 1.0
	v_fmac_f32_e32 v75, v77, v75
	v_mul_f32_e32 v77, v76, v75
	v_fma_f32 v78, -v74, v77, v76
	v_fmac_f32_e32 v77, v78, v75
	v_fma_f32 v74, -v74, v77, v76
	v_div_fmas_f32 v74, v74, v75, v77
	v_div_fixup_f32 v72, v74, v72, 1.0
.LBB122_937:
	s_or_b64 exec, exec, s[0:1]
	v_cmp_ne_u32_e32 vcc, v73, v70
	s_and_saveexec_b64 s[0:1], vcc
	s_xor_b64 s[0:1], exec, s[0:1]
	s_cbranch_execz .LBB122_943
; %bb.938:
	v_cmp_eq_u32_e32 vcc, 55, v73
	s_and_saveexec_b64 s[2:3], vcc
	s_cbranch_execz .LBB122_942
; %bb.939:
	v_cmp_ne_u32_e32 vcc, 55, v70
	s_xor_b64 s[12:13], s[20:21], -1
	s_and_b64 s[14:15], s[12:13], vcc
	s_and_saveexec_b64 s[12:13], s[14:15]
	s_cbranch_execz .LBB122_941
; %bb.940:
	v_ashrrev_i32_e32 v71, 31, v70
	v_lshl_add_u64 v[74:75], v[70:71], 2, v[4:5]
	global_load_dword v71, v[74:75], off
	global_load_dword v73, v[4:5], off offset:220
	s_waitcnt vmcnt(1)
	global_store_dword v[4:5], v71, off offset:220
	s_waitcnt vmcnt(1)
	global_store_dword v[74:75], v73, off
.LBB122_941:
	s_or_b64 exec, exec, s[12:13]
	v_mov_b32_e32 v71, v70
	v_mov_b32_e32 v73, v70
.LBB122_942:
	s_or_b64 exec, exec, s[2:3]
.LBB122_943:
	s_andn2_saveexec_b64 s[0:1], s[0:1]
	s_cbranch_execz .LBB122_945
; %bb.944:
	v_mov_b32_e32 v73, 55
	ds_write2_b32 v67, v10, v11 offset0:56 offset1:57
	ds_write2_b32 v67, v12, v13 offset0:58 offset1:59
	;; [unrolled: 1-line block ×3, first 2 shown]
.LBB122_945:
	s_or_b64 exec, exec, s[0:1]
	v_cmp_lt_i32_e32 vcc, 55, v73
	s_waitcnt lgkmcnt(0)
	s_barrier
	s_and_saveexec_b64 s[0:1], vcc
	s_cbranch_execz .LBB122_947
; %bb.946:
	ds_read2_b32 v[74:75], v67 offset0:56 offset1:57
	ds_read2_b32 v[76:77], v67 offset0:58 offset1:59
	;; [unrolled: 1-line block ×3, first 2 shown]
	v_mul_f32_e32 v70, v72, v1
	v_mov_b32_e32 v1, v70
	s_waitcnt lgkmcnt(2)
	v_pk_fma_f32 v[10:11], v[70:71], v[74:75], v[10:11] op_sel_hi:[0,1,1] neg_lo:[1,0,0] neg_hi:[1,0,0]
	s_waitcnt lgkmcnt(1)
	v_pk_fma_f32 v[12:13], v[70:71], v[76:77], v[12:13] op_sel_hi:[0,1,1] neg_lo:[1,0,0] neg_hi:[1,0,0]
	;; [unrolled: 2-line block ×3, first 2 shown]
.LBB122_947:
	s_or_b64 exec, exec, s[0:1]
	v_lshl_add_u32 v70, v73, 2, v67
	s_barrier
	ds_write_b32 v70, v10
	s_waitcnt lgkmcnt(0)
	s_barrier
	ds_read_b32 v72, v67 offset:224
	s_cmp_lt_i32 s22, 58
	v_mov_b32_e32 v70, 56
	s_cbranch_scc1 .LBB122_950
; %bb.948:
	v_add_u32_e32 v74, 0xe4, v67
	v_mov_b32_e32 v70, 56
	s_mov_b32 s0, 57
.LBB122_949:                            ; =>This Inner Loop Header: Depth=1
	ds_read_b32 v75, v74
	v_mov_b32_e32 v76, s0
	s_add_i32 s0, s0, 1
	v_add_u32_e32 v74, 4, v74
	s_cmp_lg_u32 s22, s0
	s_waitcnt lgkmcnt(0)
	v_cmp_lt_f32_e64 vcc, |v72|, |v75|
	s_nop 1
	v_cndmask_b32_e32 v72, v72, v75, vcc
	v_cndmask_b32_e32 v70, v70, v76, vcc
	s_cbranch_scc1 .LBB122_949
.LBB122_950:
	s_waitcnt lgkmcnt(0)
	v_cmp_eq_f32_e32 vcc, 0, v72
	s_and_saveexec_b64 s[0:1], vcc
	s_xor_b64 s[0:1], exec, s[0:1]
; %bb.951:
	v_cmp_ne_u32_e32 vcc, 0, v69
	s_nop 1
	v_cndmask_b32_e32 v69, 57, v69, vcc
; %bb.952:
	s_andn2_saveexec_b64 s[0:1], s[0:1]
	s_cbranch_execz .LBB122_954
; %bb.953:
	v_div_scale_f32 v74, s[2:3], v72, v72, 1.0
	v_rcp_f32_e32 v75, v74
	v_div_scale_f32 v76, vcc, 1.0, v72, 1.0
	v_fma_f32 v77, -v74, v75, 1.0
	v_fmac_f32_e32 v75, v77, v75
	v_mul_f32_e32 v77, v76, v75
	v_fma_f32 v78, -v74, v77, v76
	v_fmac_f32_e32 v77, v78, v75
	v_fma_f32 v74, -v74, v77, v76
	v_div_fmas_f32 v74, v74, v75, v77
	v_div_fixup_f32 v72, v74, v72, 1.0
.LBB122_954:
	s_or_b64 exec, exec, s[0:1]
	v_cmp_ne_u32_e32 vcc, v73, v70
	s_and_saveexec_b64 s[0:1], vcc
	s_xor_b64 s[0:1], exec, s[0:1]
	s_cbranch_execz .LBB122_960
; %bb.955:
	v_cmp_eq_u32_e32 vcc, 56, v73
	s_and_saveexec_b64 s[2:3], vcc
	s_cbranch_execz .LBB122_959
; %bb.956:
	v_cmp_ne_u32_e32 vcc, 56, v70
	s_xor_b64 s[12:13], s[20:21], -1
	s_and_b64 s[14:15], s[12:13], vcc
	s_and_saveexec_b64 s[12:13], s[14:15]
	s_cbranch_execz .LBB122_958
; %bb.957:
	v_ashrrev_i32_e32 v71, 31, v70
	v_lshl_add_u64 v[74:75], v[70:71], 2, v[4:5]
	global_load_dword v71, v[74:75], off
	global_load_dword v73, v[4:5], off offset:224
	s_waitcnt vmcnt(1)
	global_store_dword v[4:5], v71, off offset:224
	s_waitcnt vmcnt(1)
	global_store_dword v[74:75], v73, off
.LBB122_958:
	s_or_b64 exec, exec, s[12:13]
	v_mov_b32_e32 v71, v70
	v_mov_b32_e32 v73, v70
.LBB122_959:
	s_or_b64 exec, exec, s[2:3]
.LBB122_960:
	s_andn2_saveexec_b64 s[0:1], s[0:1]
	s_cbranch_execz .LBB122_962
; %bb.961:
	v_pk_mov_b32 v[74:75], v[10:11], v[12:13] op_sel:[1,0]
	ds_write2_b32 v67, v74, v75 offset0:57 offset1:58
	v_pk_mov_b32 v[74:75], v[12:13], v[8:9] op_sel:[1,0]
	v_mov_b32_e32 v73, 56
	ds_write2_b32 v67, v74, v75 offset0:59 offset1:60
	ds_write_b32 v67, v9 offset:244
.LBB122_962:
	s_or_b64 exec, exec, s[0:1]
	v_cmp_lt_i32_e32 vcc, 56, v73
	s_waitcnt lgkmcnt(0)
	s_barrier
	s_and_saveexec_b64 s[0:1], vcc
	s_cbranch_execz .LBB122_964
; %bb.963:
	ds_read_b32 v70, v67 offset:228
	ds_read2_b32 v[74:75], v67 offset0:58 offset1:59
	ds_read2_b32 v[76:77], v67 offset0:60 offset1:61
	v_mul_f32_e32 v10, v72, v10
	s_waitcnt lgkmcnt(2)
	v_fma_f32 v11, -v10, v70, v11
	s_waitcnt lgkmcnt(1)
	v_pk_fma_f32 v[12:13], v[10:11], v[74:75], v[12:13] op_sel_hi:[0,1,1] neg_lo:[1,0,0] neg_hi:[1,0,0]
	s_waitcnt lgkmcnt(0)
	v_pk_fma_f32 v[8:9], v[10:11], v[76:77], v[8:9] op_sel_hi:[0,1,1] neg_lo:[1,0,0] neg_hi:[1,0,0]
.LBB122_964:
	s_or_b64 exec, exec, s[0:1]
	v_lshl_add_u32 v70, v73, 2, v67
	s_barrier
	ds_write_b32 v70, v11
	s_waitcnt lgkmcnt(0)
	s_barrier
	ds_read_b32 v72, v67 offset:228
	s_cmp_lt_i32 s22, 59
	v_mov_b32_e32 v70, 57
	s_cbranch_scc1 .LBB122_967
; %bb.965:
	v_add_u32_e32 v74, 0xe8, v67
	v_mov_b32_e32 v70, 57
	s_mov_b32 s0, 58
.LBB122_966:                            ; =>This Inner Loop Header: Depth=1
	ds_read_b32 v75, v74
	v_mov_b32_e32 v76, s0
	s_add_i32 s0, s0, 1
	v_add_u32_e32 v74, 4, v74
	s_cmp_lg_u32 s22, s0
	s_waitcnt lgkmcnt(0)
	v_cmp_lt_f32_e64 vcc, |v72|, |v75|
	s_nop 1
	v_cndmask_b32_e32 v72, v72, v75, vcc
	v_cndmask_b32_e32 v70, v70, v76, vcc
	s_cbranch_scc1 .LBB122_966
.LBB122_967:
	s_waitcnt lgkmcnt(0)
	v_cmp_eq_f32_e32 vcc, 0, v72
	s_and_saveexec_b64 s[0:1], vcc
	s_xor_b64 s[0:1], exec, s[0:1]
; %bb.968:
	v_cmp_ne_u32_e32 vcc, 0, v69
	s_nop 1
	v_cndmask_b32_e32 v69, 58, v69, vcc
; %bb.969:
	s_andn2_saveexec_b64 s[0:1], s[0:1]
	s_cbranch_execz .LBB122_971
; %bb.970:
	v_div_scale_f32 v74, s[2:3], v72, v72, 1.0
	v_rcp_f32_e32 v75, v74
	v_div_scale_f32 v76, vcc, 1.0, v72, 1.0
	v_fma_f32 v77, -v74, v75, 1.0
	v_fmac_f32_e32 v75, v77, v75
	v_mul_f32_e32 v77, v76, v75
	v_fma_f32 v78, -v74, v77, v76
	v_fmac_f32_e32 v77, v78, v75
	v_fma_f32 v74, -v74, v77, v76
	v_div_fmas_f32 v74, v74, v75, v77
	v_div_fixup_f32 v72, v74, v72, 1.0
.LBB122_971:
	s_or_b64 exec, exec, s[0:1]
	v_cmp_ne_u32_e32 vcc, v73, v70
	s_and_saveexec_b64 s[0:1], vcc
	s_xor_b64 s[0:1], exec, s[0:1]
	s_cbranch_execz .LBB122_977
; %bb.972:
	v_cmp_eq_u32_e32 vcc, 57, v73
	s_and_saveexec_b64 s[2:3], vcc
	s_cbranch_execz .LBB122_976
; %bb.973:
	v_cmp_ne_u32_e32 vcc, 57, v70
	s_xor_b64 s[12:13], s[20:21], -1
	s_and_b64 s[14:15], s[12:13], vcc
	s_and_saveexec_b64 s[12:13], s[14:15]
	s_cbranch_execz .LBB122_975
; %bb.974:
	v_ashrrev_i32_e32 v71, 31, v70
	v_lshl_add_u64 v[74:75], v[70:71], 2, v[4:5]
	global_load_dword v71, v[74:75], off
	global_load_dword v73, v[4:5], off offset:228
	s_waitcnt vmcnt(1)
	global_store_dword v[4:5], v71, off offset:228
	s_waitcnt vmcnt(1)
	global_store_dword v[74:75], v73, off
.LBB122_975:
	s_or_b64 exec, exec, s[12:13]
	v_mov_b32_e32 v71, v70
	v_mov_b32_e32 v73, v70
.LBB122_976:
	s_or_b64 exec, exec, s[2:3]
.LBB122_977:
	s_andn2_saveexec_b64 s[0:1], s[0:1]
	s_cbranch_execz .LBB122_979
; %bb.978:
	v_mov_b32_e32 v73, 57
	ds_write2_b32 v67, v12, v13 offset0:58 offset1:59
	ds_write2_b32 v67, v8, v9 offset0:60 offset1:61
.LBB122_979:
	s_or_b64 exec, exec, s[0:1]
	v_cmp_lt_i32_e32 vcc, 57, v73
	s_waitcnt lgkmcnt(0)
	s_barrier
	s_and_saveexec_b64 s[0:1], vcc
	s_cbranch_execz .LBB122_981
; %bb.980:
	ds_read2_b32 v[74:75], v67 offset0:58 offset1:59
	ds_read2_b32 v[76:77], v67 offset0:60 offset1:61
	v_mul_f32_e32 v70, v72, v11
	v_mov_b32_e32 v11, v70
	s_waitcnt lgkmcnt(1)
	v_pk_fma_f32 v[12:13], v[70:71], v[74:75], v[12:13] op_sel_hi:[0,1,1] neg_lo:[1,0,0] neg_hi:[1,0,0]
	s_waitcnt lgkmcnt(0)
	v_pk_fma_f32 v[8:9], v[70:71], v[76:77], v[8:9] op_sel_hi:[0,1,1] neg_lo:[1,0,0] neg_hi:[1,0,0]
.LBB122_981:
	s_or_b64 exec, exec, s[0:1]
	v_lshl_add_u32 v70, v73, 2, v67
	s_barrier
	ds_write_b32 v70, v12
	s_waitcnt lgkmcnt(0)
	s_barrier
	ds_read_b32 v72, v67 offset:232
	s_cmp_lt_i32 s22, 60
	v_mov_b32_e32 v70, 58
	s_cbranch_scc1 .LBB122_984
; %bb.982:
	v_add_u32_e32 v74, 0xec, v67
	v_mov_b32_e32 v70, 58
	s_mov_b32 s0, 59
.LBB122_983:                            ; =>This Inner Loop Header: Depth=1
	ds_read_b32 v75, v74
	v_mov_b32_e32 v76, s0
	s_add_i32 s0, s0, 1
	v_add_u32_e32 v74, 4, v74
	s_cmp_lg_u32 s22, s0
	s_waitcnt lgkmcnt(0)
	v_cmp_lt_f32_e64 vcc, |v72|, |v75|
	s_nop 1
	v_cndmask_b32_e32 v72, v72, v75, vcc
	v_cndmask_b32_e32 v70, v70, v76, vcc
	s_cbranch_scc1 .LBB122_983
.LBB122_984:
	s_waitcnt lgkmcnt(0)
	v_cmp_eq_f32_e32 vcc, 0, v72
	s_and_saveexec_b64 s[0:1], vcc
	s_xor_b64 s[0:1], exec, s[0:1]
; %bb.985:
	v_cmp_ne_u32_e32 vcc, 0, v69
	s_nop 1
	v_cndmask_b32_e32 v69, 59, v69, vcc
; %bb.986:
	s_andn2_saveexec_b64 s[0:1], s[0:1]
	s_cbranch_execz .LBB122_988
; %bb.987:
	v_div_scale_f32 v74, s[2:3], v72, v72, 1.0
	v_rcp_f32_e32 v75, v74
	v_div_scale_f32 v76, vcc, 1.0, v72, 1.0
	v_fma_f32 v77, -v74, v75, 1.0
	v_fmac_f32_e32 v75, v77, v75
	v_mul_f32_e32 v77, v76, v75
	v_fma_f32 v78, -v74, v77, v76
	v_fmac_f32_e32 v77, v78, v75
	v_fma_f32 v74, -v74, v77, v76
	v_div_fmas_f32 v74, v74, v75, v77
	v_div_fixup_f32 v72, v74, v72, 1.0
.LBB122_988:
	s_or_b64 exec, exec, s[0:1]
	v_cmp_ne_u32_e32 vcc, v73, v70
	s_and_saveexec_b64 s[0:1], vcc
	s_xor_b64 s[0:1], exec, s[0:1]
	s_cbranch_execz .LBB122_994
; %bb.989:
	v_cmp_eq_u32_e32 vcc, 58, v73
	s_and_saveexec_b64 s[2:3], vcc
	s_cbranch_execz .LBB122_993
; %bb.990:
	v_cmp_ne_u32_e32 vcc, 58, v70
	s_xor_b64 s[12:13], s[20:21], -1
	s_and_b64 s[14:15], s[12:13], vcc
	s_and_saveexec_b64 s[12:13], s[14:15]
	s_cbranch_execz .LBB122_992
; %bb.991:
	v_ashrrev_i32_e32 v71, 31, v70
	v_lshl_add_u64 v[74:75], v[70:71], 2, v[4:5]
	global_load_dword v71, v[74:75], off
	global_load_dword v73, v[4:5], off offset:232
	s_waitcnt vmcnt(1)
	global_store_dword v[4:5], v71, off offset:232
	s_waitcnt vmcnt(1)
	global_store_dword v[74:75], v73, off
.LBB122_992:
	s_or_b64 exec, exec, s[12:13]
	v_mov_b32_e32 v71, v70
	v_mov_b32_e32 v73, v70
.LBB122_993:
	s_or_b64 exec, exec, s[2:3]
.LBB122_994:
	s_andn2_saveexec_b64 s[0:1], s[0:1]
	s_cbranch_execz .LBB122_996
; %bb.995:
	v_pk_mov_b32 v[74:75], v[12:13], v[8:9] op_sel:[1,0]
	v_mov_b32_e32 v73, 58
	ds_write2_b32 v67, v74, v75 offset0:59 offset1:60
	ds_write_b32 v67, v9 offset:244
.LBB122_996:
	s_or_b64 exec, exec, s[0:1]
	v_cmp_lt_i32_e32 vcc, 58, v73
	s_waitcnt lgkmcnt(0)
	s_barrier
	s_and_saveexec_b64 s[0:1], vcc
	s_cbranch_execz .LBB122_998
; %bb.997:
	ds_read_b32 v70, v67 offset:236
	ds_read2_b32 v[74:75], v67 offset0:60 offset1:61
	v_mul_f32_e32 v12, v72, v12
	s_waitcnt lgkmcnt(1)
	v_fma_f32 v13, -v12, v70, v13
	s_waitcnt lgkmcnt(0)
	v_pk_fma_f32 v[8:9], v[12:13], v[74:75], v[8:9] op_sel_hi:[0,1,1] neg_lo:[1,0,0] neg_hi:[1,0,0]
.LBB122_998:
	s_or_b64 exec, exec, s[0:1]
	v_lshl_add_u32 v70, v73, 2, v67
	s_barrier
	ds_write_b32 v70, v13
	s_waitcnt lgkmcnt(0)
	s_barrier
	ds_read_b32 v72, v67 offset:236
	s_cmp_lt_i32 s22, 61
	v_mov_b32_e32 v70, 59
	s_cbranch_scc1 .LBB122_1001
; %bb.999:
	v_add_u32_e32 v74, 0xf0, v67
	v_mov_b32_e32 v70, 59
	s_mov_b32 s0, 60
.LBB122_1000:                           ; =>This Inner Loop Header: Depth=1
	ds_read_b32 v75, v74
	v_mov_b32_e32 v76, s0
	s_add_i32 s0, s0, 1
	v_add_u32_e32 v74, 4, v74
	s_cmp_lg_u32 s22, s0
	s_waitcnt lgkmcnt(0)
	v_cmp_lt_f32_e64 vcc, |v72|, |v75|
	s_nop 1
	v_cndmask_b32_e32 v72, v72, v75, vcc
	v_cndmask_b32_e32 v70, v70, v76, vcc
	s_cbranch_scc1 .LBB122_1000
.LBB122_1001:
	s_waitcnt lgkmcnt(0)
	v_cmp_eq_f32_e32 vcc, 0, v72
	s_and_saveexec_b64 s[0:1], vcc
	s_xor_b64 s[0:1], exec, s[0:1]
; %bb.1002:
	v_cmp_ne_u32_e32 vcc, 0, v69
	s_nop 1
	v_cndmask_b32_e32 v69, 60, v69, vcc
; %bb.1003:
	s_andn2_saveexec_b64 s[0:1], s[0:1]
	s_cbranch_execz .LBB122_1005
; %bb.1004:
	v_div_scale_f32 v74, s[2:3], v72, v72, 1.0
	v_rcp_f32_e32 v75, v74
	v_div_scale_f32 v76, vcc, 1.0, v72, 1.0
	v_fma_f32 v77, -v74, v75, 1.0
	v_fmac_f32_e32 v75, v77, v75
	v_mul_f32_e32 v77, v76, v75
	v_fma_f32 v78, -v74, v77, v76
	v_fmac_f32_e32 v77, v78, v75
	v_fma_f32 v74, -v74, v77, v76
	v_div_fmas_f32 v74, v74, v75, v77
	v_div_fixup_f32 v72, v74, v72, 1.0
.LBB122_1005:
	s_or_b64 exec, exec, s[0:1]
	v_cmp_ne_u32_e32 vcc, v73, v70
	s_and_saveexec_b64 s[0:1], vcc
	s_xor_b64 s[0:1], exec, s[0:1]
	s_cbranch_execz .LBB122_1011
; %bb.1006:
	v_cmp_eq_u32_e32 vcc, 59, v73
	s_and_saveexec_b64 s[2:3], vcc
	s_cbranch_execz .LBB122_1010
; %bb.1007:
	v_cmp_ne_u32_e32 vcc, 59, v70
	s_xor_b64 s[12:13], s[20:21], -1
	s_and_b64 s[14:15], s[12:13], vcc
	s_and_saveexec_b64 s[12:13], s[14:15]
	s_cbranch_execz .LBB122_1009
; %bb.1008:
	v_ashrrev_i32_e32 v71, 31, v70
	v_lshl_add_u64 v[74:75], v[70:71], 2, v[4:5]
	global_load_dword v71, v[74:75], off
	global_load_dword v73, v[4:5], off offset:236
	s_waitcnt vmcnt(1)
	global_store_dword v[4:5], v71, off offset:236
	s_waitcnt vmcnt(1)
	global_store_dword v[74:75], v73, off
.LBB122_1009:
	s_or_b64 exec, exec, s[12:13]
	v_mov_b32_e32 v71, v70
	v_mov_b32_e32 v73, v70
.LBB122_1010:
	s_or_b64 exec, exec, s[2:3]
.LBB122_1011:
	s_andn2_saveexec_b64 s[0:1], s[0:1]
; %bb.1012:
	v_mov_b32_e32 v73, 59
	ds_write2_b32 v67, v8, v9 offset0:60 offset1:61
; %bb.1013:
	s_or_b64 exec, exec, s[0:1]
	v_cmp_lt_i32_e32 vcc, 59, v73
	s_waitcnt lgkmcnt(0)
	s_barrier
	s_and_saveexec_b64 s[0:1], vcc
	s_cbranch_execz .LBB122_1015
; %bb.1014:
	ds_read2_b32 v[74:75], v67 offset0:60 offset1:61
	v_mul_f32_e32 v70, v72, v13
	v_mov_b32_e32 v13, v70
	s_waitcnt lgkmcnt(0)
	v_pk_fma_f32 v[8:9], v[70:71], v[74:75], v[8:9] op_sel_hi:[0,1,1] neg_lo:[1,0,0] neg_hi:[1,0,0]
.LBB122_1015:
	s_or_b64 exec, exec, s[0:1]
	v_lshl_add_u32 v70, v73, 2, v67
	s_barrier
	ds_write_b32 v70, v8
	s_waitcnt lgkmcnt(0)
	s_barrier
	ds_read_b32 v72, v67 offset:240
	s_cmp_lt_i32 s22, 62
	v_mov_b32_e32 v70, 60
	s_cbranch_scc1 .LBB122_1018
; %bb.1016:
	v_add_u32_e32 v74, 0xf4, v67
	v_mov_b32_e32 v70, 60
	s_mov_b32 s0, 61
.LBB122_1017:                           ; =>This Inner Loop Header: Depth=1
	ds_read_b32 v75, v74
	v_mov_b32_e32 v76, s0
	s_add_i32 s0, s0, 1
	v_add_u32_e32 v74, 4, v74
	s_cmp_lg_u32 s22, s0
	s_waitcnt lgkmcnt(0)
	v_cmp_lt_f32_e64 vcc, |v72|, |v75|
	s_nop 1
	v_cndmask_b32_e32 v72, v72, v75, vcc
	v_cndmask_b32_e32 v70, v70, v76, vcc
	s_cbranch_scc1 .LBB122_1017
.LBB122_1018:
	s_waitcnt lgkmcnt(0)
	v_cmp_eq_f32_e32 vcc, 0, v72
	s_and_saveexec_b64 s[0:1], vcc
	s_xor_b64 s[0:1], exec, s[0:1]
; %bb.1019:
	v_cmp_ne_u32_e32 vcc, 0, v69
	s_nop 1
	v_cndmask_b32_e32 v69, 61, v69, vcc
; %bb.1020:
	s_andn2_saveexec_b64 s[0:1], s[0:1]
	s_cbranch_execz .LBB122_1022
; %bb.1021:
	v_div_scale_f32 v74, s[2:3], v72, v72, 1.0
	v_rcp_f32_e32 v75, v74
	v_div_scale_f32 v76, vcc, 1.0, v72, 1.0
	v_fma_f32 v77, -v74, v75, 1.0
	v_fmac_f32_e32 v75, v77, v75
	v_mul_f32_e32 v77, v76, v75
	v_fma_f32 v78, -v74, v77, v76
	v_fmac_f32_e32 v77, v78, v75
	v_fma_f32 v74, -v74, v77, v76
	v_div_fmas_f32 v74, v74, v75, v77
	v_div_fixup_f32 v72, v74, v72, 1.0
.LBB122_1022:
	s_or_b64 exec, exec, s[0:1]
	v_cmp_ne_u32_e32 vcc, v73, v70
	s_and_saveexec_b64 s[0:1], vcc
	s_xor_b64 s[0:1], exec, s[0:1]
	s_cbranch_execz .LBB122_1028
; %bb.1023:
	v_cmp_eq_u32_e32 vcc, 60, v73
	s_and_saveexec_b64 s[2:3], vcc
	s_cbranch_execz .LBB122_1027
; %bb.1024:
	v_cmp_ne_u32_e32 vcc, 60, v70
	s_xor_b64 s[12:13], s[20:21], -1
	s_and_b64 s[14:15], s[12:13], vcc
	s_and_saveexec_b64 s[12:13], s[14:15]
	s_cbranch_execz .LBB122_1026
; %bb.1025:
	v_ashrrev_i32_e32 v71, 31, v70
	v_lshl_add_u64 v[74:75], v[70:71], 2, v[4:5]
	global_load_dword v71, v[74:75], off
	global_load_dword v73, v[4:5], off offset:240
	s_waitcnt vmcnt(1)
	global_store_dword v[4:5], v71, off offset:240
	s_waitcnt vmcnt(1)
	global_store_dword v[74:75], v73, off
.LBB122_1026:
	s_or_b64 exec, exec, s[12:13]
	v_mov_b32_e32 v71, v70
	v_mov_b32_e32 v73, v70
.LBB122_1027:
	s_or_b64 exec, exec, s[2:3]
.LBB122_1028:
	s_andn2_saveexec_b64 s[0:1], s[0:1]
; %bb.1029:
	v_mov_b32_e32 v73, 60
	ds_write_b32 v67, v9 offset:244
; %bb.1030:
	s_or_b64 exec, exec, s[0:1]
	v_cmp_lt_i32_e32 vcc, 60, v73
	s_waitcnt lgkmcnt(0)
	s_barrier
	s_and_saveexec_b64 s[0:1], vcc
	s_cbranch_execz .LBB122_1032
; %bb.1031:
	ds_read_b32 v70, v67 offset:244
	v_mul_f32_e32 v8, v72, v8
	s_waitcnt lgkmcnt(0)
	v_fma_f32 v9, -v8, v70, v9
.LBB122_1032:
	s_or_b64 exec, exec, s[0:1]
	v_lshl_add_u32 v70, v73, 2, v67
	s_barrier
	ds_write_b32 v70, v9
	s_waitcnt lgkmcnt(0)
	s_barrier
	ds_read_b32 v74, v67 offset:244
	s_cmp_lt_i32 s22, 63
	v_mov_b32_e32 v70, 61
	s_cbranch_scc1 .LBB122_1035
; %bb.1033:
	v_add_u32_e32 v67, 0xf8, v67
	v_mov_b32_e32 v70, 61
	s_mov_b32 s0, 62
.LBB122_1034:                           ; =>This Inner Loop Header: Depth=1
	ds_read_b32 v72, v67
	v_mov_b32_e32 v75, s0
	s_add_i32 s0, s0, 1
	v_add_u32_e32 v67, 4, v67
	s_cmp_lg_u32 s22, s0
	s_waitcnt lgkmcnt(0)
	v_cmp_lt_f32_e64 vcc, |v74|, |v72|
	s_nop 1
	v_cndmask_b32_e32 v74, v74, v72, vcc
	v_cndmask_b32_e32 v70, v70, v75, vcc
	s_cbranch_scc1 .LBB122_1034
.LBB122_1035:
	s_waitcnt lgkmcnt(0)
	v_cmp_eq_f32_e32 vcc, 0, v74
	s_and_saveexec_b64 s[0:1], vcc
	s_xor_b64 s[0:1], exec, s[0:1]
; %bb.1036:
	v_cmp_ne_u32_e32 vcc, 0, v69
	s_nop 1
	v_cndmask_b32_e32 v69, 62, v69, vcc
; %bb.1037:
	s_andn2_saveexec_b64 s[0:1], s[0:1]
	s_cbranch_execz .LBB122_1039
; %bb.1038:
	v_div_scale_f32 v67, s[2:3], v74, v74, 1.0
	v_rcp_f32_e32 v72, v67
	v_div_scale_f32 v75, vcc, 1.0, v74, 1.0
	v_fma_f32 v76, -v67, v72, 1.0
	v_fmac_f32_e32 v72, v76, v72
	v_mul_f32_e32 v76, v75, v72
	v_fma_f32 v77, -v67, v76, v75
	v_fmac_f32_e32 v76, v77, v72
	v_fma_f32 v67, -v67, v76, v75
	v_div_fmas_f32 v67, v67, v72, v76
	v_div_fixup_f32 v74, v67, v74, 1.0
.LBB122_1039:
	s_or_b64 exec, exec, s[0:1]
	v_cmp_ne_u32_e32 vcc, v73, v70
	v_mov_b32_e32 v72, 61
	s_and_saveexec_b64 s[0:1], vcc
	s_cbranch_execz .LBB122_1045
; %bb.1040:
	v_cmp_eq_u32_e32 vcc, 61, v73
	s_and_saveexec_b64 s[2:3], vcc
	s_cbranch_execz .LBB122_1044
; %bb.1041:
	v_cmp_ne_u32_e32 vcc, 61, v70
	s_xor_b64 s[12:13], s[20:21], -1
	s_and_b64 s[14:15], s[12:13], vcc
	s_and_saveexec_b64 s[12:13], s[14:15]
	s_cbranch_execz .LBB122_1043
; %bb.1042:
	v_ashrrev_i32_e32 v71, 31, v70
	v_lshl_add_u64 v[72:73], v[70:71], 2, v[4:5]
	global_load_dword v67, v[72:73], off
	global_load_dword v71, v[4:5], off offset:244
	s_waitcnt vmcnt(1)
	global_store_dword v[4:5], v67, off offset:244
	s_waitcnt vmcnt(1)
	global_store_dword v[72:73], v71, off
.LBB122_1043:
	s_or_b64 exec, exec, s[12:13]
	v_mov_b32_e32 v71, v70
	v_mov_b32_e32 v73, v70
.LBB122_1044:
	s_or_b64 exec, exec, s[2:3]
	v_mov_b32_e32 v72, v73
.LBB122_1045:
	s_or_b64 exec, exec, s[0:1]
	v_cmp_gt_i32_e32 vcc, 62, v72
	v_ashrrev_i32_e32 v73, 31, v72
	s_barrier
	s_barrier
	s_and_saveexec_b64 s[0:1], vcc
	s_cbranch_execz .LBB122_1047
; %bb.1046:
	v_mul_lo_u32 v67, s11, v2
	v_mul_lo_u32 v70, s10, v3
	v_mad_u64_u32 v[76:77], s[2:3], s10, v2, 0
	v_mov_b32_e32 v4, s6
	v_mov_b32_e32 v5, s7
	v_add3_u32 v77, v77, v70, v67
	v_lshl_add_u64 v[4:5], v[76:77], 2, v[4:5]
	v_lshl_add_u64 v[4:5], s[8:9], 2, v[4:5]
	;; [unrolled: 1-line block ×3, first 2 shown]
	v_add3_u32 v67, v71, s19, 1
	global_store_dword v[4:5], v67, off
.LBB122_1047:
	s_or_b64 exec, exec, s[0:1]
	v_cmp_eq_u32_e32 vcc, 0, v72
	s_and_saveexec_b64 s[2:3], vcc
	s_cbranch_execz .LBB122_1050
; %bb.1048:
	v_mov_b32_e32 v4, s4
	v_mov_b32_e32 v5, s5
	v_lshl_add_u64 v[2:3], v[2:3], 2, v[4:5]
	global_load_dword v4, v[2:3], off
	v_cmp_ne_u32_e64 s[0:1], 0, v69
	s_waitcnt vmcnt(0)
	v_cmp_eq_u32_e32 vcc, 0, v4
	s_and_b64 s[0:1], vcc, s[0:1]
	s_and_b64 exec, exec, s[0:1]
	s_cbranch_execz .LBB122_1050
; %bb.1049:
	v_add_u32_e32 v4, s19, v69
	global_store_dword v[2:3], v4, off
.LBB122_1050:
	s_or_b64 exec, exec, s[2:3]
	v_mul_f32_e32 v2, v74, v9
	v_cmp_lt_i32_e32 vcc, 61, v72
	s_nop 1
	v_cndmask_b32_e32 v9, v9, v2, vcc
	v_lshl_add_u64 v[2:3], v[72:73], 2, v[6:7]
	global_store_dword v[2:3], v66, off
	v_lshl_add_u64 v[2:3], s[16:17], 2, v[2:3]
	global_store_dword v[2:3], v68, off
	v_add_u32_e32 v2, s18, v72
	v_ashrrev_i32_e32 v3, 31, v2
	v_lshl_add_u64 v[4:5], v[2:3], 2, v[6:7]
	v_add_u32_e32 v2, s16, v2
	v_ashrrev_i32_e32 v3, 31, v2
	global_store_dword v[4:5], v64, off
	v_lshl_add_u64 v[4:5], v[2:3], 2, v[6:7]
	v_add_u32_e32 v2, s16, v2
	v_ashrrev_i32_e32 v3, 31, v2
	global_store_dword v[4:5], v65, off
	;; [unrolled: 4-line block ×53, first 2 shown]
	v_lshl_add_u64 v[4:5], v[2:3], 2, v[6:7]
	v_add_u32_e32 v0, s16, v2
	global_store_dword v[4:5], v1, off
	v_ashrrev_i32_e32 v1, 31, v0
	v_lshl_add_u64 v[2:3], v[0:1], 2, v[6:7]
	v_add_u32_e32 v0, s16, v0
	v_ashrrev_i32_e32 v1, 31, v0
	global_store_dword v[2:3], v10, off
	v_lshl_add_u64 v[2:3], v[0:1], 2, v[6:7]
	v_add_u32_e32 v0, s16, v0
	v_ashrrev_i32_e32 v1, 31, v0
	global_store_dword v[2:3], v11, off
	v_lshl_add_u64 v[2:3], v[0:1], 2, v[6:7]
	v_add_u32_e32 v0, s16, v0
	v_ashrrev_i32_e32 v1, 31, v0
	global_store_dword v[2:3], v12, off
	v_lshl_add_u64 v[2:3], v[0:1], 2, v[6:7]
	v_add_u32_e32 v0, s16, v0
	v_ashrrev_i32_e32 v1, 31, v0
	global_store_dword v[2:3], v13, off
	v_lshl_add_u64 v[2:3], v[0:1], 2, v[6:7]
	v_add_u32_e32 v0, s16, v0
	v_ashrrev_i32_e32 v1, 31, v0
	v_lshl_add_u64 v[0:1], v[0:1], 2, v[6:7]
	global_store_dword v[2:3], v8, off
	global_store_dword v[0:1], v9, off
.LBB122_1051:
	s_endpgm
	.section	.rodata,"a",@progbits
	.p2align	6, 0x0
	.amdhsa_kernel _ZN9rocsolver6v33100L18getf2_small_kernelILi62EfiiPfEEvT1_T3_lS3_lPS3_llPT2_S3_S3_S5_l
		.amdhsa_group_segment_fixed_size 0
		.amdhsa_private_segment_fixed_size 0
		.amdhsa_kernarg_size 352
		.amdhsa_user_sgpr_count 2
		.amdhsa_user_sgpr_dispatch_ptr 0
		.amdhsa_user_sgpr_queue_ptr 0
		.amdhsa_user_sgpr_kernarg_segment_ptr 1
		.amdhsa_user_sgpr_dispatch_id 0
		.amdhsa_user_sgpr_kernarg_preload_length 0
		.amdhsa_user_sgpr_kernarg_preload_offset 0
		.amdhsa_user_sgpr_private_segment_size 0
		.amdhsa_uses_dynamic_stack 0
		.amdhsa_enable_private_segment 0
		.amdhsa_system_sgpr_workgroup_id_x 1
		.amdhsa_system_sgpr_workgroup_id_y 1
		.amdhsa_system_sgpr_workgroup_id_z 0
		.amdhsa_system_sgpr_workgroup_info 0
		.amdhsa_system_vgpr_workitem_id 1
		.amdhsa_next_free_vgpr 86
		.amdhsa_next_free_sgpr 26
		.amdhsa_accum_offset 88
		.amdhsa_reserve_vcc 1
		.amdhsa_float_round_mode_32 0
		.amdhsa_float_round_mode_16_64 0
		.amdhsa_float_denorm_mode_32 3
		.amdhsa_float_denorm_mode_16_64 3
		.amdhsa_dx10_clamp 1
		.amdhsa_ieee_mode 1
		.amdhsa_fp16_overflow 0
		.amdhsa_tg_split 0
		.amdhsa_exception_fp_ieee_invalid_op 0
		.amdhsa_exception_fp_denorm_src 0
		.amdhsa_exception_fp_ieee_div_zero 0
		.amdhsa_exception_fp_ieee_overflow 0
		.amdhsa_exception_fp_ieee_underflow 0
		.amdhsa_exception_fp_ieee_inexact 0
		.amdhsa_exception_int_div_zero 0
	.end_amdhsa_kernel
	.section	.text._ZN9rocsolver6v33100L18getf2_small_kernelILi62EfiiPfEEvT1_T3_lS3_lPS3_llPT2_S3_S3_S5_l,"axG",@progbits,_ZN9rocsolver6v33100L18getf2_small_kernelILi62EfiiPfEEvT1_T3_lS3_lPS3_llPT2_S3_S3_S5_l,comdat
.Lfunc_end122:
	.size	_ZN9rocsolver6v33100L18getf2_small_kernelILi62EfiiPfEEvT1_T3_lS3_lPS3_llPT2_S3_S3_S5_l, .Lfunc_end122-_ZN9rocsolver6v33100L18getf2_small_kernelILi62EfiiPfEEvT1_T3_lS3_lPS3_llPT2_S3_S3_S5_l
                                        ; -- End function
	.set _ZN9rocsolver6v33100L18getf2_small_kernelILi62EfiiPfEEvT1_T3_lS3_lPS3_llPT2_S3_S3_S5_l.num_vgpr, 86
	.set _ZN9rocsolver6v33100L18getf2_small_kernelILi62EfiiPfEEvT1_T3_lS3_lPS3_llPT2_S3_S3_S5_l.num_agpr, 0
	.set _ZN9rocsolver6v33100L18getf2_small_kernelILi62EfiiPfEEvT1_T3_lS3_lPS3_llPT2_S3_S3_S5_l.numbered_sgpr, 26
	.set _ZN9rocsolver6v33100L18getf2_small_kernelILi62EfiiPfEEvT1_T3_lS3_lPS3_llPT2_S3_S3_S5_l.num_named_barrier, 0
	.set _ZN9rocsolver6v33100L18getf2_small_kernelILi62EfiiPfEEvT1_T3_lS3_lPS3_llPT2_S3_S3_S5_l.private_seg_size, 0
	.set _ZN9rocsolver6v33100L18getf2_small_kernelILi62EfiiPfEEvT1_T3_lS3_lPS3_llPT2_S3_S3_S5_l.uses_vcc, 1
	.set _ZN9rocsolver6v33100L18getf2_small_kernelILi62EfiiPfEEvT1_T3_lS3_lPS3_llPT2_S3_S3_S5_l.uses_flat_scratch, 0
	.set _ZN9rocsolver6v33100L18getf2_small_kernelILi62EfiiPfEEvT1_T3_lS3_lPS3_llPT2_S3_S3_S5_l.has_dyn_sized_stack, 0
	.set _ZN9rocsolver6v33100L18getf2_small_kernelILi62EfiiPfEEvT1_T3_lS3_lPS3_llPT2_S3_S3_S5_l.has_recursion, 0
	.set _ZN9rocsolver6v33100L18getf2_small_kernelILi62EfiiPfEEvT1_T3_lS3_lPS3_llPT2_S3_S3_S5_l.has_indirect_call, 0
	.section	.AMDGPU.csdata,"",@progbits
; Kernel info:
; codeLenInByte = 57952
; TotalNumSgprs: 32
; NumVgprs: 86
; NumAgprs: 0
; TotalNumVgprs: 86
; ScratchSize: 0
; MemoryBound: 0
; FloatMode: 240
; IeeeMode: 1
; LDSByteSize: 0 bytes/workgroup (compile time only)
; SGPRBlocks: 3
; VGPRBlocks: 10
; NumSGPRsForWavesPerEU: 32
; NumVGPRsForWavesPerEU: 86
; AccumOffset: 88
; Occupancy: 5
; WaveLimiterHint : 0
; COMPUTE_PGM_RSRC2:SCRATCH_EN: 0
; COMPUTE_PGM_RSRC2:USER_SGPR: 2
; COMPUTE_PGM_RSRC2:TRAP_HANDLER: 0
; COMPUTE_PGM_RSRC2:TGID_X_EN: 1
; COMPUTE_PGM_RSRC2:TGID_Y_EN: 1
; COMPUTE_PGM_RSRC2:TGID_Z_EN: 0
; COMPUTE_PGM_RSRC2:TIDIG_COMP_CNT: 1
; COMPUTE_PGM_RSRC3_GFX90A:ACCUM_OFFSET: 21
; COMPUTE_PGM_RSRC3_GFX90A:TG_SPLIT: 0
	.section	.text._ZN9rocsolver6v33100L23getf2_npvt_small_kernelILi62EfiiPfEEvT1_T3_lS3_lPT2_S3_S3_,"axG",@progbits,_ZN9rocsolver6v33100L23getf2_npvt_small_kernelILi62EfiiPfEEvT1_T3_lS3_lPT2_S3_S3_,comdat
	.globl	_ZN9rocsolver6v33100L23getf2_npvt_small_kernelILi62EfiiPfEEvT1_T3_lS3_lPT2_S3_S3_ ; -- Begin function _ZN9rocsolver6v33100L23getf2_npvt_small_kernelILi62EfiiPfEEvT1_T3_lS3_lPT2_S3_S3_
	.p2align	8
	.type	_ZN9rocsolver6v33100L23getf2_npvt_small_kernelILi62EfiiPfEEvT1_T3_lS3_lPT2_S3_S3_,@function
_ZN9rocsolver6v33100L23getf2_npvt_small_kernelILi62EfiiPfEEvT1_T3_lS3_lPT2_S3_S3_: ; @_ZN9rocsolver6v33100L23getf2_npvt_small_kernelILi62EfiiPfEEvT1_T3_lS3_lPT2_S3_S3_
; %bb.0:
	s_load_dword s2, s[0:1], 0x44
	s_load_dwordx2 s[8:9], s[0:1], 0x30
	v_bfe_u32 v189, v0, 10, 10
	s_waitcnt lgkmcnt(0)
	s_lshr_b32 s10, s2, 16
	s_mul_i32 s3, s3, s10
	v_add_u32_e32 v24, s3, v189
	v_cmp_gt_i32_e32 vcc, s8, v24
	s_and_saveexec_b64 s[2:3], vcc
	s_cbranch_execz .LBB123_342
; %bb.1:
	s_load_dwordx4 s[12:15], s[0:1], 0x8
	s_load_dword s2, s[0:1], 0x18
	s_load_dwordx4 s[4:7], s[0:1], 0x20
	v_ashrrev_i32_e32 v25, 31, v24
	v_and_b32_e32 v187, 0x3ff, v0
	s_waitcnt lgkmcnt(0)
	v_mov_b32_e32 v0, s12
	v_mov_b32_e32 v1, s13
	v_mad_u64_u32 v[2:3], s[0:1], s4, v24, 0
	v_mul_lo_u32 v4, s5, v24
	v_mul_lo_u32 v5, s4, v25
	s_add_i32 s0, s2, s2
	v_add3_u32 v3, v3, v5, v4
	v_add_u32_e32 v4, s0, v187
	v_add_u32_e32 v6, s2, v4
	v_add_u32_e32 v8, s2, v6
	v_add_u32_e32 v10, s2, v8
	v_add_u32_e32 v12, s2, v10
	v_add_u32_e32 v14, s2, v12
	v_add_u32_e32 v16, s2, v14
	v_add_u32_e32 v18, s2, v16
	v_add_u32_e32 v20, s2, v18
	v_add_u32_e32 v22, s2, v20
	v_add_u32_e32 v26, s2, v22
	v_add_u32_e32 v28, s2, v26
	v_add_u32_e32 v30, s2, v28
	v_add_u32_e32 v32, s2, v30
	v_add_u32_e32 v34, s2, v32
	v_add_u32_e32 v36, s2, v34
	v_add_u32_e32 v38, s2, v36
	v_add_u32_e32 v40, s2, v38
	v_add_u32_e32 v42, s2, v40
	v_add_u32_e32 v44, s2, v42
	v_add_u32_e32 v46, s2, v44
	v_add_u32_e32 v48, s2, v46
	v_add_u32_e32 v50, s2, v48
	v_add_u32_e32 v52, s2, v50
	v_add_u32_e32 v54, s2, v52
	v_add_u32_e32 v56, s2, v54
	v_add_u32_e32 v58, s2, v56
	v_add_u32_e32 v60, s2, v58
	v_add_u32_e32 v62, s2, v60
	v_add_u32_e32 v64, s2, v62
	v_add_u32_e32 v66, s2, v64
	v_add_u32_e32 v68, s2, v66
	v_add_u32_e32 v70, s2, v68
	v_add_u32_e32 v72, s2, v70
	v_add_u32_e32 v74, s2, v72
	v_add_u32_e32 v76, s2, v74
	v_add_u32_e32 v78, s2, v76
	v_add_u32_e32 v80, s2, v78
	v_add_u32_e32 v82, s2, v80
	v_add_u32_e32 v84, s2, v82
	v_add_u32_e32 v86, s2, v84
	v_add_u32_e32 v88, s2, v86
	v_add_u32_e32 v90, s2, v88
	v_add_u32_e32 v92, s2, v90
	v_add_u32_e32 v94, s2, v92
	v_add_u32_e32 v96, s2, v94
	v_add_u32_e32 v98, s2, v96
	v_add_u32_e32 v100, s2, v98
	v_add_u32_e32 v102, s2, v100
	v_add_u32_e32 v104, s2, v102
	v_add_u32_e32 v106, s2, v104
	v_add_u32_e32 v108, s2, v106
	v_add_u32_e32 v110, s2, v108
	v_add_u32_e32 v112, s2, v110
	v_add_u32_e32 v114, s2, v112
	v_add_u32_e32 v116, s2, v114
	v_add_u32_e32 v118, s2, v116
	v_add_u32_e32 v120, s2, v118
	v_lshl_add_u64 v[0:1], v[2:3], 2, v[0:1]
	v_add_u32_e32 v124, s2, v120
	v_lshl_add_u64 v[122:123], s[14:15], 2, v[0:1]
	v_ashrrev_i32_e32 v5, 31, v4
	v_ashrrev_i32_e32 v7, 31, v6
	v_ashrrev_i32_e32 v9, 31, v8
	v_ashrrev_i32_e32 v11, 31, v10
	v_ashrrev_i32_e32 v13, 31, v12
	v_ashrrev_i32_e32 v15, 31, v14
	v_ashrrev_i32_e32 v17, 31, v16
	v_ashrrev_i32_e32 v19, 31, v18
	v_ashrrev_i32_e32 v21, 31, v20
	v_ashrrev_i32_e32 v23, 31, v22
	v_ashrrev_i32_e32 v27, 31, v26
	v_ashrrev_i32_e32 v29, 31, v28
	v_ashrrev_i32_e32 v31, 31, v30
	v_ashrrev_i32_e32 v33, 31, v32
	v_ashrrev_i32_e32 v35, 31, v34
	v_ashrrev_i32_e32 v37, 31, v36
	v_ashrrev_i32_e32 v39, 31, v38
	v_ashrrev_i32_e32 v41, 31, v40
	v_ashrrev_i32_e32 v43, 31, v42
	v_ashrrev_i32_e32 v45, 31, v44
	v_ashrrev_i32_e32 v47, 31, v46
	v_ashrrev_i32_e32 v49, 31, v48
	v_ashrrev_i32_e32 v51, 31, v50
	v_ashrrev_i32_e32 v53, 31, v52
	v_ashrrev_i32_e32 v55, 31, v54
	v_ashrrev_i32_e32 v57, 31, v56
	v_ashrrev_i32_e32 v59, 31, v58
	v_ashrrev_i32_e32 v61, 31, v60
	v_ashrrev_i32_e32 v63, 31, v62
	v_ashrrev_i32_e32 v65, 31, v64
	v_ashrrev_i32_e32 v67, 31, v66
	v_ashrrev_i32_e32 v69, 31, v68
	v_ashrrev_i32_e32 v71, 31, v70
	v_ashrrev_i32_e32 v73, 31, v72
	v_ashrrev_i32_e32 v75, 31, v74
	v_ashrrev_i32_e32 v77, 31, v76
	v_ashrrev_i32_e32 v79, 31, v78
	v_ashrrev_i32_e32 v81, 31, v80
	v_ashrrev_i32_e32 v83, 31, v82
	v_ashrrev_i32_e32 v85, 31, v84
	v_ashrrev_i32_e32 v87, 31, v86
	v_ashrrev_i32_e32 v89, 31, v88
	v_ashrrev_i32_e32 v91, 31, v90
	v_ashrrev_i32_e32 v93, 31, v92
	v_ashrrev_i32_e32 v95, 31, v94
	v_ashrrev_i32_e32 v97, 31, v96
	v_ashrrev_i32_e32 v99, 31, v98
	v_ashrrev_i32_e32 v101, 31, v100
	v_ashrrev_i32_e32 v103, 31, v102
	v_ashrrev_i32_e32 v105, 31, v104
	v_ashrrev_i32_e32 v107, 31, v106
	v_ashrrev_i32_e32 v109, 31, v108
	v_ashrrev_i32_e32 v111, 31, v110
	v_ashrrev_i32_e32 v113, 31, v112
	v_ashrrev_i32_e32 v115, 31, v114
	v_ashrrev_i32_e32 v117, 31, v116
	v_ashrrev_i32_e32 v119, 31, v118
	v_ashrrev_i32_e32 v121, 31, v120
	v_ashrrev_i32_e32 v125, 31, v124
	v_lshl_add_u64 v[2:3], v[4:5], 2, v[122:123]
	v_lshl_add_u64 v[4:5], v[6:7], 2, v[122:123]
	;; [unrolled: 1-line block ×59, first 2 shown]
	v_add_u32_e32 v124, s2, v124
	v_lshlrev_b32_e32 v0, 2, v187
	v_mov_b32_e32 v1, 0
	v_ashrrev_i32_e32 v125, 31, v124
	v_lshl_add_u64 v[0:1], v[122:123], 0, v[0:1]
	v_lshl_add_u64 v[122:123], v[124:125], 2, v[122:123]
	global_load_dword v174, v[14:15], off
	global_load_dword v175, v[16:17], off
	;; [unrolled: 1-line block ×54, first 2 shown]
	s_ashr_i32 s3, s2, 31
	v_lshl_add_u64 v[184:185], s[2:3], 2, v[0:1]
	global_load_dword v180, v[2:3], off
	global_load_dword v181, v[4:5], off
	;; [unrolled: 1-line block ×8, first 2 shown]
	s_mulk_i32 s10, 0xf8
	s_movk_i32 s0, 0xf8
	s_add_i32 s1, s10, 0
	v_mad_u32_u24 v191, v189, s0, 0
	v_lshl_add_u32 v189, v189, 2, s1
	v_cmp_ne_u32_e64 s[2:3], 0, v187
	v_cmp_eq_u32_e64 s[0:1], 0, v187
	s_and_saveexec_b64 s[4:5], s[0:1]
	s_cbranch_execz .LBB123_4
; %bb.2:
	s_waitcnt vmcnt(1)
	ds_write_b32 v189, v186
	s_waitcnt vmcnt(0)
	ds_write2_b32 v191, v188, v180 offset0:1 offset1:2
	ds_write2_b32 v191, v181, v182 offset0:3 offset1:4
	;; [unrolled: 1-line block ×30, first 2 shown]
	ds_write_b32 v191, v177 offset:244
	ds_read_b32 v190, v189
	s_waitcnt lgkmcnt(0)
	v_cmp_neq_f32_e32 vcc, 0, v190
	s_and_b64 exec, exec, vcc
	s_cbranch_execz .LBB123_4
; %bb.3:
	v_div_scale_f32 v192, s[10:11], v190, v190, 1.0
	v_rcp_f32_e32 v193, v192
	v_div_scale_f32 v194, vcc, 1.0, v190, 1.0
	v_fma_f32 v195, -v192, v193, 1.0
	v_fmac_f32_e32 v193, v195, v193
	v_mul_f32_e32 v195, v194, v193
	v_fma_f32 v196, -v192, v195, v194
	v_fmac_f32_e32 v195, v196, v193
	v_fma_f32 v192, -v192, v195, v194
	v_div_fmas_f32 v192, v192, v193, v195
	v_div_fixup_f32 v190, v192, v190, 1.0
	ds_write_b32 v189, v190
.LBB123_4:
	s_or_b64 exec, exec, s[4:5]
	s_waitcnt lgkmcnt(0)
	s_barrier
	ds_read_b32 v190, v189
	s_waitcnt lgkmcnt(0)
	scratch_store_dword off, v190, off      ; 4-byte Folded Spill
	s_and_saveexec_b64 s[4:5], s[2:3]
	s_cbranch_execz .LBB123_6
; %bb.5:
	ds_read_b32 v200, v191 offset:4
	ds_read2_b64 v[192:195], v191 offset0:1 offset1:2
	scratch_load_dword v190, off, off       ; 4-byte Folded Reload
	ds_read2_b64 v[196:199], v191 offset0:3 offset1:4
	s_waitcnt vmcnt(0)
	v_mul_f32_e32 v186, v190, v186
	s_waitcnt lgkmcnt(2)
	v_fma_f32 v188, -v186, v200, v188
	ds_read2_b64 v[200:203], v191 offset0:5 offset1:6
	s_waitcnt lgkmcnt(2)
	v_pk_fma_f32 v[180:181], v[186:187], v[192:193], v[180:181] op_sel_hi:[0,1,1] neg_lo:[1,0,0] neg_hi:[1,0,0]
	v_pk_fma_f32 v[182:183], v[186:187], v[194:195], v[182:183] op_sel_hi:[0,1,1] neg_lo:[1,0,0] neg_hi:[1,0,0]
	s_waitcnt lgkmcnt(1)
	v_pk_fma_f32 v[178:179], v[186:187], v[196:197], v[178:179] op_sel_hi:[0,1,1] neg_lo:[1,0,0] neg_hi:[1,0,0]
	ds_read2_b64 v[192:195], v191 offset0:7 offset1:8
	v_pk_fma_f32 v[174:175], v[186:187], v[198:199], v[174:175] op_sel_hi:[0,1,1] neg_lo:[1,0,0] neg_hi:[1,0,0]
	s_waitcnt lgkmcnt(1)
	v_pk_fma_f32 v[148:149], v[186:187], v[200:201], v[148:149] op_sel_hi:[0,1,1] neg_lo:[1,0,0] neg_hi:[1,0,0]
	ds_read2_b64 v[196:199], v191 offset0:9 offset1:10
	v_pk_fma_f32 v[172:173], v[186:187], v[202:203], v[172:173] op_sel_hi:[0,1,1] neg_lo:[1,0,0] neg_hi:[1,0,0]
	ds_read2_b64 v[200:203], v191 offset0:11 offset1:12
	s_waitcnt lgkmcnt(2)
	v_pk_fma_f32 v[146:147], v[186:187], v[192:193], v[146:147] op_sel_hi:[0,1,1] neg_lo:[1,0,0] neg_hi:[1,0,0]
	v_pk_fma_f32 v[170:171], v[186:187], v[194:195], v[170:171] op_sel_hi:[0,1,1] neg_lo:[1,0,0] neg_hi:[1,0,0]
	s_waitcnt lgkmcnt(1)
	v_pk_fma_f32 v[144:145], v[186:187], v[196:197], v[144:145] op_sel_hi:[0,1,1] neg_lo:[1,0,0] neg_hi:[1,0,0]
	ds_read2_b64 v[192:195], v191 offset0:13 offset1:14
	v_pk_fma_f32 v[168:169], v[186:187], v[198:199], v[168:169] op_sel_hi:[0,1,1] neg_lo:[1,0,0] neg_hi:[1,0,0]
	s_waitcnt lgkmcnt(1)
	v_pk_fma_f32 v[142:143], v[186:187], v[200:201], v[142:143] op_sel_hi:[0,1,1] neg_lo:[1,0,0] neg_hi:[1,0,0]
	ds_read2_b64 v[196:199], v191 offset0:15 offset1:16
	v_pk_fma_f32 v[166:167], v[186:187], v[202:203], v[166:167] op_sel_hi:[0,1,1] neg_lo:[1,0,0] neg_hi:[1,0,0]
	;; [unrolled: 12-line block ×3, first 2 shown]
	ds_read2_b64 v[200:203], v191 offset0:23 offset1:24
	s_waitcnt lgkmcnt(2)
	v_pk_fma_f32 v[134:135], v[186:187], v[192:193], v[134:135] op_sel_hi:[0,1,1] neg_lo:[1,0,0] neg_hi:[1,0,0]
	v_pk_fma_f32 v[158:159], v[186:187], v[194:195], v[158:159] op_sel_hi:[0,1,1] neg_lo:[1,0,0] neg_hi:[1,0,0]
	s_waitcnt lgkmcnt(1)
	v_pk_fma_f32 v[132:133], v[186:187], v[196:197], v[132:133] op_sel_hi:[0,1,1] neg_lo:[1,0,0] neg_hi:[1,0,0]
	v_pk_fma_f32 v[156:157], v[186:187], v[198:199], v[156:157] op_sel_hi:[0,1,1] neg_lo:[1,0,0] neg_hi:[1,0,0]
	ds_read2_b64 v[192:195], v191 offset0:25 offset1:26
	s_waitcnt lgkmcnt(1)
	v_pk_fma_f32 v[130:131], v[186:187], v[200:201], v[130:131] op_sel_hi:[0,1,1] neg_lo:[1,0,0] neg_hi:[1,0,0]
	ds_read2_b64 v[196:199], v191 offset0:27 offset1:28
	v_pk_fma_f32 v[154:155], v[186:187], v[202:203], v[154:155] op_sel_hi:[0,1,1] neg_lo:[1,0,0] neg_hi:[1,0,0]
	ds_read2_b64 v[200:203], v191 offset0:29 offset1:30
	s_waitcnt lgkmcnt(2)
	v_pk_fma_f32 v[128:129], v[186:187], v[192:193], v[128:129] op_sel_hi:[0,1,1] neg_lo:[1,0,0] neg_hi:[1,0,0]
	v_pk_fma_f32 v[152:153], v[186:187], v[194:195], v[152:153] op_sel_hi:[0,1,1] neg_lo:[1,0,0] neg_hi:[1,0,0]
	s_waitcnt lgkmcnt(1)
	v_pk_fma_f32 v[126:127], v[186:187], v[196:197], v[126:127] op_sel_hi:[0,1,1] neg_lo:[1,0,0] neg_hi:[1,0,0]
	v_pk_fma_f32 v[150:151], v[186:187], v[198:199], v[150:151] op_sel_hi:[0,1,1] neg_lo:[1,0,0] neg_hi:[1,0,0]
	;; [unrolled: 3-line block ×3, first 2 shown]
.LBB123_6:
	s_or_b64 exec, exec, s[4:5]
	v_cmp_eq_u32_e32 vcc, 1, v187
	s_barrier
	s_and_saveexec_b64 s[2:3], vcc
	s_cbranch_execz .LBB123_9
; %bb.7:
	s_waitcnt vmcnt(1)
	ds_write_b32 v189, v188
	ds_write2_b64 v191, v[180:181], v[182:183] offset0:1 offset1:2
	ds_write2_b64 v191, v[178:179], v[174:175] offset0:3 offset1:4
	;; [unrolled: 1-line block ×15, first 2 shown]
	ds_read_b32 v192, v189
	s_waitcnt lgkmcnt(0)
	v_cmp_neq_f32_e32 vcc, 0, v192
	s_and_b64 exec, exec, vcc
	s_cbranch_execz .LBB123_9
; %bb.8:
	v_div_scale_f32 v193, s[4:5], v192, v192, 1.0
	v_rcp_f32_e32 v194, v193
	v_div_scale_f32 v195, vcc, 1.0, v192, 1.0
	v_fma_f32 v196, -v193, v194, 1.0
	v_fmac_f32_e32 v194, v196, v194
	v_mul_f32_e32 v196, v195, v194
	v_fma_f32 v197, -v193, v196, v195
	v_fmac_f32_e32 v196, v197, v194
	v_fma_f32 v193, -v193, v196, v195
	v_div_fmas_f32 v193, v193, v194, v196
	v_div_fixup_f32 v192, v193, v192, 1.0
	ds_write_b32 v189, v192
.LBB123_9:
	s_or_b64 exec, exec, s[2:3]
	s_waitcnt lgkmcnt(0)
	s_barrier
	ds_read_b32 v192, v189
	v_cmp_lt_u32_e32 vcc, 1, v187
	s_and_saveexec_b64 s[2:3], vcc
	s_cbranch_execz .LBB123_11
; %bb.10:
	ds_read2_b64 v[194:197], v191 offset0:1 offset1:2
	ds_read2_b64 v[198:201], v191 offset0:3 offset1:4
	;; [unrolled: 1-line block ×3, first 2 shown]
	s_waitcnt vmcnt(1) lgkmcnt(3)
	v_mul_f32_e32 v188, v192, v188
	s_waitcnt lgkmcnt(2)
	v_pk_fma_f32 v[180:181], v[188:189], v[194:195], v[180:181] op_sel_hi:[0,1,1] neg_lo:[1,0,0] neg_hi:[1,0,0]
	v_pk_fma_f32 v[182:183], v[188:189], v[196:197], v[182:183] op_sel_hi:[0,1,1] neg_lo:[1,0,0] neg_hi:[1,0,0]
	s_waitcnt lgkmcnt(1)
	v_pk_fma_f32 v[178:179], v[188:189], v[198:199], v[178:179] op_sel_hi:[0,1,1] neg_lo:[1,0,0] neg_hi:[1,0,0]
	ds_read2_b64 v[194:197], v191 offset0:7 offset1:8
	v_pk_fma_f32 v[174:175], v[188:189], v[200:201], v[174:175] op_sel_hi:[0,1,1] neg_lo:[1,0,0] neg_hi:[1,0,0]
	s_waitcnt lgkmcnt(1)
	v_pk_fma_f32 v[148:149], v[188:189], v[202:203], v[148:149] op_sel_hi:[0,1,1] neg_lo:[1,0,0] neg_hi:[1,0,0]
	ds_read2_b64 v[198:201], v191 offset0:9 offset1:10
	v_pk_fma_f32 v[172:173], v[188:189], v[204:205], v[172:173] op_sel_hi:[0,1,1] neg_lo:[1,0,0] neg_hi:[1,0,0]
	ds_read2_b64 v[202:205], v191 offset0:11 offset1:12
	s_waitcnt lgkmcnt(2)
	v_pk_fma_f32 v[146:147], v[188:189], v[194:195], v[146:147] op_sel_hi:[0,1,1] neg_lo:[1,0,0] neg_hi:[1,0,0]
	v_pk_fma_f32 v[170:171], v[188:189], v[196:197], v[170:171] op_sel_hi:[0,1,1] neg_lo:[1,0,0] neg_hi:[1,0,0]
	s_waitcnt lgkmcnt(1)
	v_pk_fma_f32 v[144:145], v[188:189], v[198:199], v[144:145] op_sel_hi:[0,1,1] neg_lo:[1,0,0] neg_hi:[1,0,0]
	ds_read2_b64 v[194:197], v191 offset0:13 offset1:14
	v_pk_fma_f32 v[168:169], v[188:189], v[200:201], v[168:169] op_sel_hi:[0,1,1] neg_lo:[1,0,0] neg_hi:[1,0,0]
	s_waitcnt lgkmcnt(1)
	v_pk_fma_f32 v[142:143], v[188:189], v[202:203], v[142:143] op_sel_hi:[0,1,1] neg_lo:[1,0,0] neg_hi:[1,0,0]
	ds_read2_b64 v[198:201], v191 offset0:15 offset1:16
	v_pk_fma_f32 v[166:167], v[188:189], v[204:205], v[166:167] op_sel_hi:[0,1,1] neg_lo:[1,0,0] neg_hi:[1,0,0]
	ds_read2_b64 v[202:205], v191 offset0:17 offset1:18
	s_waitcnt lgkmcnt(2)
	v_pk_fma_f32 v[140:141], v[188:189], v[194:195], v[140:141] op_sel_hi:[0,1,1] neg_lo:[1,0,0] neg_hi:[1,0,0]
	v_pk_fma_f32 v[164:165], v[188:189], v[196:197], v[164:165] op_sel_hi:[0,1,1] neg_lo:[1,0,0] neg_hi:[1,0,0]
	s_waitcnt lgkmcnt(1)
	v_pk_fma_f32 v[138:139], v[188:189], v[198:199], v[138:139] op_sel_hi:[0,1,1] neg_lo:[1,0,0] neg_hi:[1,0,0]
	ds_read2_b64 v[194:197], v191 offset0:19 offset1:20
	v_pk_fma_f32 v[162:163], v[188:189], v[200:201], v[162:163] op_sel_hi:[0,1,1] neg_lo:[1,0,0] neg_hi:[1,0,0]
	s_waitcnt lgkmcnt(1)
	v_pk_fma_f32 v[136:137], v[188:189], v[202:203], v[136:137] op_sel_hi:[0,1,1] neg_lo:[1,0,0] neg_hi:[1,0,0]
	ds_read2_b64 v[198:201], v191 offset0:21 offset1:22
	v_pk_fma_f32 v[160:161], v[188:189], v[204:205], v[160:161] op_sel_hi:[0,1,1] neg_lo:[1,0,0] neg_hi:[1,0,0]
	ds_read2_b64 v[202:205], v191 offset0:23 offset1:24
	s_waitcnt lgkmcnt(2)
	v_pk_fma_f32 v[134:135], v[188:189], v[194:195], v[134:135] op_sel_hi:[0,1,1] neg_lo:[1,0,0] neg_hi:[1,0,0]
	v_pk_fma_f32 v[158:159], v[188:189], v[196:197], v[158:159] op_sel_hi:[0,1,1] neg_lo:[1,0,0] neg_hi:[1,0,0]
	s_waitcnt lgkmcnt(1)
	v_pk_fma_f32 v[132:133], v[188:189], v[198:199], v[132:133] op_sel_hi:[0,1,1] neg_lo:[1,0,0] neg_hi:[1,0,0]
	v_pk_fma_f32 v[156:157], v[188:189], v[200:201], v[156:157] op_sel_hi:[0,1,1] neg_lo:[1,0,0] neg_hi:[1,0,0]
	ds_read2_b64 v[194:197], v191 offset0:25 offset1:26
	ds_read2_b64 v[198:201], v191 offset0:27 offset1:28
	s_waitcnt lgkmcnt(2)
	v_pk_fma_f32 v[130:131], v[188:189], v[202:203], v[130:131] op_sel_hi:[0,1,1] neg_lo:[1,0,0] neg_hi:[1,0,0]
	v_pk_fma_f32 v[154:155], v[188:189], v[204:205], v[154:155] op_sel_hi:[0,1,1] neg_lo:[1,0,0] neg_hi:[1,0,0]
	ds_read2_b64 v[202:205], v191 offset0:29 offset1:30
	s_waitcnt lgkmcnt(2)
	v_pk_fma_f32 v[128:129], v[188:189], v[194:195], v[128:129] op_sel_hi:[0,1,1] neg_lo:[1,0,0] neg_hi:[1,0,0]
	v_pk_fma_f32 v[152:153], v[188:189], v[196:197], v[152:153] op_sel_hi:[0,1,1] neg_lo:[1,0,0] neg_hi:[1,0,0]
	s_waitcnt lgkmcnt(1)
	v_pk_fma_f32 v[126:127], v[188:189], v[198:199], v[126:127] op_sel_hi:[0,1,1] neg_lo:[1,0,0] neg_hi:[1,0,0]
	v_pk_fma_f32 v[150:151], v[188:189], v[200:201], v[150:151] op_sel_hi:[0,1,1] neg_lo:[1,0,0] neg_hi:[1,0,0]
	;; [unrolled: 3-line block ×3, first 2 shown]
.LBB123_11:
	s_or_b64 exec, exec, s[2:3]
	v_cmp_eq_u32_e32 vcc, 2, v187
	s_waitcnt lgkmcnt(0)
	s_barrier
	s_and_saveexec_b64 s[2:3], vcc
	s_cbranch_execz .LBB123_14
; %bb.12:
	s_waitcnt vmcnt(5)
	v_pk_mov_b32 v[194:195], v[180:181], v[182:183] op_sel:[1,0]
	ds_write_b32 v189, v180
	ds_write2_b32 v191, v194, v195 offset0:3 offset1:4
	s_waitcnt vmcnt(3)
	v_pk_mov_b32 v[194:195], v[182:183], v[178:179] op_sel:[1,0]
	ds_write2_b32 v191, v194, v195 offset0:5 offset1:6
	v_pk_mov_b32 v[194:195], v[178:179], v[174:175] op_sel:[1,0]
	ds_write2_b32 v191, v194, v195 offset0:7 offset1:8
	;; [unrolled: 2-line block ×28, first 2 shown]
	ds_write_b32 v191, v177 offset:244
	ds_read_b32 v193, v189
	s_waitcnt lgkmcnt(0)
	v_cmp_neq_f32_e32 vcc, 0, v193
	s_and_b64 exec, exec, vcc
	s_cbranch_execz .LBB123_14
; %bb.13:
	v_div_scale_f32 v194, s[4:5], v193, v193, 1.0
	v_rcp_f32_e32 v195, v194
	v_div_scale_f32 v196, vcc, 1.0, v193, 1.0
	v_fma_f32 v197, -v194, v195, 1.0
	v_fmac_f32_e32 v195, v197, v195
	v_mul_f32_e32 v197, v196, v195
	v_fma_f32 v198, -v194, v197, v196
	v_fmac_f32_e32 v197, v198, v195
	v_fma_f32 v194, -v194, v197, v196
	v_div_fmas_f32 v194, v194, v195, v197
	v_div_fixup_f32 v193, v194, v193, 1.0
	ds_write_b32 v189, v193
.LBB123_14:
	s_or_b64 exec, exec, s[2:3]
	s_waitcnt lgkmcnt(0)
	s_barrier
	ds_read_b32 v193, v189
	v_cmp_lt_u32_e32 vcc, 2, v187
	s_and_saveexec_b64 s[2:3], vcc
	s_cbranch_execz .LBB123_16
; %bb.15:
	ds_read_b32 v206, v191 offset:12
	ds_read2_b64 v[194:197], v191 offset0:2 offset1:3
	ds_read2_b64 v[198:201], v191 offset0:4 offset1:5
	;; [unrolled: 1-line block ×3, first 2 shown]
	s_waitcnt vmcnt(8) lgkmcnt(4)
	v_mul_f32_e32 v180, v193, v180
	s_waitcnt vmcnt(7) lgkmcnt(3)
	v_fma_f32 v181, -v180, v206, v181
	s_waitcnt vmcnt(5) lgkmcnt(2)
	v_pk_fma_f32 v[182:183], v[180:181], v[194:195], v[182:183] op_sel_hi:[0,1,1] neg_lo:[1,0,0] neg_hi:[1,0,0]
	s_waitcnt vmcnt(3)
	v_pk_fma_f32 v[178:179], v[180:181], v[196:197], v[178:179] op_sel_hi:[0,1,1] neg_lo:[1,0,0] neg_hi:[1,0,0]
	s_waitcnt lgkmcnt(1)
	v_pk_fma_f32 v[174:175], v[180:181], v[198:199], v[174:175] op_sel_hi:[0,1,1] neg_lo:[1,0,0] neg_hi:[1,0,0]
	ds_read2_b64 v[194:197], v191 offset0:8 offset1:9
	v_pk_fma_f32 v[148:149], v[180:181], v[200:201], v[148:149] op_sel_hi:[0,1,1] neg_lo:[1,0,0] neg_hi:[1,0,0]
	s_waitcnt lgkmcnt(1)
	v_pk_fma_f32 v[172:173], v[180:181], v[202:203], v[172:173] op_sel_hi:[0,1,1] neg_lo:[1,0,0] neg_hi:[1,0,0]
	ds_read2_b64 v[198:201], v191 offset0:10 offset1:11
	v_pk_fma_f32 v[146:147], v[180:181], v[204:205], v[146:147] op_sel_hi:[0,1,1] neg_lo:[1,0,0] neg_hi:[1,0,0]
	ds_read2_b64 v[202:205], v191 offset0:12 offset1:13
	s_waitcnt lgkmcnt(2)
	v_pk_fma_f32 v[170:171], v[180:181], v[194:195], v[170:171] op_sel_hi:[0,1,1] neg_lo:[1,0,0] neg_hi:[1,0,0]
	v_pk_fma_f32 v[144:145], v[180:181], v[196:197], v[144:145] op_sel_hi:[0,1,1] neg_lo:[1,0,0] neg_hi:[1,0,0]
	s_waitcnt lgkmcnt(1)
	v_pk_fma_f32 v[168:169], v[180:181], v[198:199], v[168:169] op_sel_hi:[0,1,1] neg_lo:[1,0,0] neg_hi:[1,0,0]
	ds_read2_b64 v[194:197], v191 offset0:14 offset1:15
	v_pk_fma_f32 v[142:143], v[180:181], v[200:201], v[142:143] op_sel_hi:[0,1,1] neg_lo:[1,0,0] neg_hi:[1,0,0]
	s_waitcnt lgkmcnt(1)
	v_pk_fma_f32 v[166:167], v[180:181], v[202:203], v[166:167] op_sel_hi:[0,1,1] neg_lo:[1,0,0] neg_hi:[1,0,0]
	ds_read2_b64 v[198:201], v191 offset0:16 offset1:17
	v_pk_fma_f32 v[140:141], v[180:181], v[204:205], v[140:141] op_sel_hi:[0,1,1] neg_lo:[1,0,0] neg_hi:[1,0,0]
	ds_read2_b64 v[202:205], v191 offset0:18 offset1:19
	s_waitcnt lgkmcnt(2)
	v_pk_fma_f32 v[164:165], v[180:181], v[194:195], v[164:165] op_sel_hi:[0,1,1] neg_lo:[1,0,0] neg_hi:[1,0,0]
	;; [unrolled: 12-line block ×3, first 2 shown]
	v_pk_fma_f32 v[132:133], v[180:181], v[196:197], v[132:133] op_sel_hi:[0,1,1] neg_lo:[1,0,0] neg_hi:[1,0,0]
	s_waitcnt lgkmcnt(1)
	v_pk_fma_f32 v[156:157], v[180:181], v[198:199], v[156:157] op_sel_hi:[0,1,1] neg_lo:[1,0,0] neg_hi:[1,0,0]
	v_pk_fma_f32 v[130:131], v[180:181], v[200:201], v[130:131] op_sel_hi:[0,1,1] neg_lo:[1,0,0] neg_hi:[1,0,0]
	ds_read2_b64 v[194:197], v191 offset0:26 offset1:27
	s_waitcnt lgkmcnt(1)
	v_pk_fma_f32 v[154:155], v[180:181], v[202:203], v[154:155] op_sel_hi:[0,1,1] neg_lo:[1,0,0] neg_hi:[1,0,0]
	ds_read2_b64 v[198:201], v191 offset0:28 offset1:29
	ds_read_b64 v[202:203], v191 offset:240
	v_pk_fma_f32 v[128:129], v[180:181], v[204:205], v[128:129] op_sel_hi:[0,1,1] neg_lo:[1,0,0] neg_hi:[1,0,0]
	s_waitcnt lgkmcnt(2)
	v_pk_fma_f32 v[152:153], v[180:181], v[194:195], v[152:153] op_sel_hi:[0,1,1] neg_lo:[1,0,0] neg_hi:[1,0,0]
	v_pk_fma_f32 v[126:127], v[180:181], v[196:197], v[126:127] op_sel_hi:[0,1,1] neg_lo:[1,0,0] neg_hi:[1,0,0]
	s_waitcnt lgkmcnt(1)
	v_pk_fma_f32 v[150:151], v[180:181], v[198:199], v[150:151] op_sel_hi:[0,1,1] neg_lo:[1,0,0] neg_hi:[1,0,0]
	;; [unrolled: 3-line block ×3, first 2 shown]
.LBB123_16:
	s_or_b64 exec, exec, s[2:3]
	v_cmp_eq_u32_e32 vcc, 3, v187
	s_waitcnt lgkmcnt(0)
	s_barrier
	s_and_saveexec_b64 s[2:3], vcc
	s_cbranch_execz .LBB123_19
; %bb.17:
	s_waitcnt vmcnt(6)
	v_mov_b32_e32 v194, v182
	s_waitcnt vmcnt(5)
	v_mov_b32_e32 v195, v183
	s_waitcnt vmcnt(4)
	v_mov_b32_e32 v196, v178
	s_waitcnt vmcnt(3)
	v_mov_b32_e32 v197, v179
	ds_write_b32 v189, v181
	ds_write2_b64 v191, v[194:195], v[196:197] offset0:2 offset1:3
	v_mov_b32_e32 v194, v174
	v_mov_b32_e32 v195, v175
	v_mov_b32_e32 v196, v148
	v_mov_b32_e32 v197, v149
	ds_write2_b64 v191, v[194:195], v[196:197] offset0:4 offset1:5
	v_mov_b32_e32 v194, v172
	v_mov_b32_e32 v195, v173
	v_mov_b32_e32 v196, v146
	v_mov_b32_e32 v197, v147
	ds_write2_b64 v191, v[194:195], v[196:197] offset0:6 offset1:7
	v_mov_b32_e32 v194, v170
	v_mov_b32_e32 v195, v171
	v_mov_b32_e32 v196, v144
	v_mov_b32_e32 v197, v145
	ds_write2_b64 v191, v[194:195], v[196:197] offset0:8 offset1:9
	v_mov_b32_e32 v194, v168
	v_mov_b32_e32 v195, v169
	v_mov_b32_e32 v196, v142
	v_mov_b32_e32 v197, v143
	ds_write2_b64 v191, v[194:195], v[196:197] offset0:10 offset1:11
	v_mov_b32_e32 v194, v166
	v_mov_b32_e32 v195, v167
	v_mov_b32_e32 v196, v140
	v_mov_b32_e32 v197, v141
	ds_write2_b64 v191, v[194:195], v[196:197] offset0:12 offset1:13
	v_mov_b32_e32 v194, v164
	v_mov_b32_e32 v195, v165
	v_mov_b32_e32 v196, v138
	v_mov_b32_e32 v197, v139
	ds_write2_b64 v191, v[194:195], v[196:197] offset0:14 offset1:15
	v_mov_b32_e32 v194, v162
	v_mov_b32_e32 v195, v163
	v_mov_b32_e32 v196, v136
	v_mov_b32_e32 v197, v137
	ds_write2_b64 v191, v[194:195], v[196:197] offset0:16 offset1:17
	v_mov_b32_e32 v194, v160
	v_mov_b32_e32 v195, v161
	v_mov_b32_e32 v196, v134
	v_mov_b32_e32 v197, v135
	ds_write2_b64 v191, v[194:195], v[196:197] offset0:18 offset1:19
	v_mov_b32_e32 v194, v158
	v_mov_b32_e32 v195, v159
	v_mov_b32_e32 v196, v132
	v_mov_b32_e32 v197, v133
	ds_write2_b64 v191, v[194:195], v[196:197] offset0:20 offset1:21
	v_mov_b32_e32 v194, v156
	v_mov_b32_e32 v195, v157
	v_mov_b32_e32 v196, v130
	v_mov_b32_e32 v197, v131
	ds_write2_b64 v191, v[194:195], v[196:197] offset0:22 offset1:23
	v_mov_b32_e32 v194, v154
	v_mov_b32_e32 v195, v155
	v_mov_b32_e32 v196, v128
	v_mov_b32_e32 v197, v129
	ds_write2_b64 v191, v[194:195], v[196:197] offset0:24 offset1:25
	v_mov_b32_e32 v194, v152
	v_mov_b32_e32 v195, v153
	v_mov_b32_e32 v196, v126
	v_mov_b32_e32 v197, v127
	ds_write2_b64 v191, v[194:195], v[196:197] offset0:26 offset1:27
	v_mov_b32_e32 v194, v150
	v_mov_b32_e32 v195, v151
	v_mov_b32_e32 v196, v124
	v_mov_b32_e32 v197, v125
	ds_write2_b64 v191, v[194:195], v[196:197] offset0:28 offset1:29
	ds_write_b64 v191, v[176:177] offset:240
	ds_read_b32 v194, v189
	s_waitcnt lgkmcnt(0)
	v_cmp_neq_f32_e32 vcc, 0, v194
	s_and_b64 exec, exec, vcc
	s_cbranch_execz .LBB123_19
; %bb.18:
	v_div_scale_f32 v195, s[4:5], v194, v194, 1.0
	v_rcp_f32_e32 v196, v195
	v_div_scale_f32 v197, vcc, 1.0, v194, 1.0
	v_fma_f32 v198, -v195, v196, 1.0
	v_fmac_f32_e32 v196, v198, v196
	v_mul_f32_e32 v198, v197, v196
	v_fma_f32 v199, -v195, v198, v197
	v_fmac_f32_e32 v198, v199, v196
	v_fma_f32 v195, -v195, v198, v197
	v_div_fmas_f32 v195, v195, v196, v198
	v_div_fixup_f32 v194, v195, v194, 1.0
	ds_write_b32 v189, v194
.LBB123_19:
	s_or_b64 exec, exec, s[2:3]
	s_waitcnt lgkmcnt(0)
	s_barrier
	ds_read_b32 v194, v189
	v_cmp_lt_u32_e32 vcc, 3, v187
	s_and_saveexec_b64 s[2:3], vcc
	s_cbranch_execz .LBB123_21
; %bb.20:
	ds_read2_b64 v[196:199], v191 offset0:2 offset1:3
	ds_read2_b64 v[200:203], v191 offset0:4 offset1:5
	;; [unrolled: 1-line block ×3, first 2 shown]
	s_waitcnt vmcnt(7) lgkmcnt(3)
	v_mul_f32_e32 v208, v194, v181
	v_mov_b32_e32 v181, v208
	s_waitcnt vmcnt(5) lgkmcnt(2)
	v_pk_fma_f32 v[182:183], v[208:209], v[196:197], v[182:183] op_sel_hi:[0,1,1] neg_lo:[1,0,0] neg_hi:[1,0,0]
	s_waitcnt vmcnt(3)
	v_pk_fma_f32 v[178:179], v[208:209], v[198:199], v[178:179] op_sel_hi:[0,1,1] neg_lo:[1,0,0] neg_hi:[1,0,0]
	s_waitcnt lgkmcnt(1)
	v_pk_fma_f32 v[174:175], v[208:209], v[200:201], v[174:175] op_sel_hi:[0,1,1] neg_lo:[1,0,0] neg_hi:[1,0,0]
	ds_read2_b64 v[196:199], v191 offset0:8 offset1:9
	v_pk_fma_f32 v[148:149], v[208:209], v[202:203], v[148:149] op_sel_hi:[0,1,1] neg_lo:[1,0,0] neg_hi:[1,0,0]
	s_waitcnt lgkmcnt(1)
	v_pk_fma_f32 v[172:173], v[208:209], v[204:205], v[172:173] op_sel_hi:[0,1,1] neg_lo:[1,0,0] neg_hi:[1,0,0]
	ds_read2_b64 v[200:203], v191 offset0:10 offset1:11
	v_pk_fma_f32 v[146:147], v[208:209], v[206:207], v[146:147] op_sel_hi:[0,1,1] neg_lo:[1,0,0] neg_hi:[1,0,0]
	ds_read2_b64 v[204:207], v191 offset0:12 offset1:13
	s_waitcnt lgkmcnt(2)
	v_pk_fma_f32 v[170:171], v[208:209], v[196:197], v[170:171] op_sel_hi:[0,1,1] neg_lo:[1,0,0] neg_hi:[1,0,0]
	v_pk_fma_f32 v[144:145], v[208:209], v[198:199], v[144:145] op_sel_hi:[0,1,1] neg_lo:[1,0,0] neg_hi:[1,0,0]
	s_waitcnt lgkmcnt(1)
	v_pk_fma_f32 v[168:169], v[208:209], v[200:201], v[168:169] op_sel_hi:[0,1,1] neg_lo:[1,0,0] neg_hi:[1,0,0]
	ds_read2_b64 v[196:199], v191 offset0:14 offset1:15
	v_pk_fma_f32 v[142:143], v[208:209], v[202:203], v[142:143] op_sel_hi:[0,1,1] neg_lo:[1,0,0] neg_hi:[1,0,0]
	s_waitcnt lgkmcnt(1)
	v_pk_fma_f32 v[166:167], v[208:209], v[204:205], v[166:167] op_sel_hi:[0,1,1] neg_lo:[1,0,0] neg_hi:[1,0,0]
	ds_read2_b64 v[200:203], v191 offset0:16 offset1:17
	v_pk_fma_f32 v[140:141], v[208:209], v[206:207], v[140:141] op_sel_hi:[0,1,1] neg_lo:[1,0,0] neg_hi:[1,0,0]
	ds_read2_b64 v[204:207], v191 offset0:18 offset1:19
	s_waitcnt lgkmcnt(2)
	v_pk_fma_f32 v[164:165], v[208:209], v[196:197], v[164:165] op_sel_hi:[0,1,1] neg_lo:[1,0,0] neg_hi:[1,0,0]
	;; [unrolled: 12-line block ×3, first 2 shown]
	v_pk_fma_f32 v[132:133], v[208:209], v[198:199], v[132:133] op_sel_hi:[0,1,1] neg_lo:[1,0,0] neg_hi:[1,0,0]
	s_waitcnt lgkmcnt(1)
	v_pk_fma_f32 v[156:157], v[208:209], v[200:201], v[156:157] op_sel_hi:[0,1,1] neg_lo:[1,0,0] neg_hi:[1,0,0]
	v_pk_fma_f32 v[130:131], v[208:209], v[202:203], v[130:131] op_sel_hi:[0,1,1] neg_lo:[1,0,0] neg_hi:[1,0,0]
	ds_read2_b64 v[196:199], v191 offset0:26 offset1:27
	ds_read2_b64 v[200:203], v191 offset0:28 offset1:29
	s_waitcnt lgkmcnt(2)
	v_pk_fma_f32 v[154:155], v[208:209], v[204:205], v[154:155] op_sel_hi:[0,1,1] neg_lo:[1,0,0] neg_hi:[1,0,0]
	ds_read_b64 v[204:205], v191 offset:240
	v_pk_fma_f32 v[128:129], v[208:209], v[206:207], v[128:129] op_sel_hi:[0,1,1] neg_lo:[1,0,0] neg_hi:[1,0,0]
	s_waitcnt lgkmcnt(2)
	v_pk_fma_f32 v[152:153], v[208:209], v[196:197], v[152:153] op_sel_hi:[0,1,1] neg_lo:[1,0,0] neg_hi:[1,0,0]
	v_pk_fma_f32 v[126:127], v[208:209], v[198:199], v[126:127] op_sel_hi:[0,1,1] neg_lo:[1,0,0] neg_hi:[1,0,0]
	s_waitcnt lgkmcnt(1)
	v_pk_fma_f32 v[150:151], v[208:209], v[200:201], v[150:151] op_sel_hi:[0,1,1] neg_lo:[1,0,0] neg_hi:[1,0,0]
	v_pk_fma_f32 v[124:125], v[208:209], v[202:203], v[124:125] op_sel_hi:[0,1,1] neg_lo:[1,0,0] neg_hi:[1,0,0]
	s_waitcnt lgkmcnt(0)
	v_pk_fma_f32 v[176:177], v[208:209], v[204:205], v[176:177] op_sel_hi:[0,1,1] neg_lo:[1,0,0] neg_hi:[1,0,0]
.LBB123_21:
	s_or_b64 exec, exec, s[2:3]
	v_cmp_eq_u32_e32 vcc, 4, v187
	s_waitcnt lgkmcnt(0)
	s_barrier
	s_and_saveexec_b64 s[2:3], vcc
	s_cbranch_execz .LBB123_24
; %bb.22:
	s_waitcnt vmcnt(3)
	v_pk_mov_b32 v[196:197], v[182:183], v[178:179] op_sel:[1,0]
	ds_write_b32 v189, v182
	ds_write2_b32 v191, v196, v197 offset0:5 offset1:6
	v_pk_mov_b32 v[196:197], v[178:179], v[174:175] op_sel:[1,0]
	ds_write2_b32 v191, v196, v197 offset0:7 offset1:8
	v_pk_mov_b32 v[196:197], v[174:175], v[148:149] op_sel:[1,0]
	ds_write2_b32 v191, v196, v197 offset0:9 offset1:10
	v_pk_mov_b32 v[196:197], v[148:149], v[172:173] op_sel:[1,0]
	ds_write2_b32 v191, v196, v197 offset0:11 offset1:12
	v_pk_mov_b32 v[196:197], v[172:173], v[146:147] op_sel:[1,0]
	ds_write2_b32 v191, v196, v197 offset0:13 offset1:14
	v_pk_mov_b32 v[196:197], v[146:147], v[170:171] op_sel:[1,0]
	ds_write2_b32 v191, v196, v197 offset0:15 offset1:16
	v_pk_mov_b32 v[196:197], v[170:171], v[144:145] op_sel:[1,0]
	ds_write2_b32 v191, v196, v197 offset0:17 offset1:18
	v_pk_mov_b32 v[196:197], v[144:145], v[168:169] op_sel:[1,0]
	ds_write2_b32 v191, v196, v197 offset0:19 offset1:20
	v_pk_mov_b32 v[196:197], v[168:169], v[142:143] op_sel:[1,0]
	ds_write2_b32 v191, v196, v197 offset0:21 offset1:22
	v_pk_mov_b32 v[196:197], v[142:143], v[166:167] op_sel:[1,0]
	ds_write2_b32 v191, v196, v197 offset0:23 offset1:24
	v_pk_mov_b32 v[196:197], v[166:167], v[140:141] op_sel:[1,0]
	ds_write2_b32 v191, v196, v197 offset0:25 offset1:26
	v_pk_mov_b32 v[196:197], v[140:141], v[164:165] op_sel:[1,0]
	ds_write2_b32 v191, v196, v197 offset0:27 offset1:28
	v_pk_mov_b32 v[196:197], v[164:165], v[138:139] op_sel:[1,0]
	ds_write2_b32 v191, v196, v197 offset0:29 offset1:30
	v_pk_mov_b32 v[196:197], v[138:139], v[162:163] op_sel:[1,0]
	ds_write2_b32 v191, v196, v197 offset0:31 offset1:32
	v_pk_mov_b32 v[196:197], v[162:163], v[136:137] op_sel:[1,0]
	ds_write2_b32 v191, v196, v197 offset0:33 offset1:34
	v_pk_mov_b32 v[196:197], v[136:137], v[160:161] op_sel:[1,0]
	ds_write2_b32 v191, v196, v197 offset0:35 offset1:36
	v_pk_mov_b32 v[196:197], v[160:161], v[134:135] op_sel:[1,0]
	ds_write2_b32 v191, v196, v197 offset0:37 offset1:38
	v_pk_mov_b32 v[196:197], v[134:135], v[158:159] op_sel:[1,0]
	ds_write2_b32 v191, v196, v197 offset0:39 offset1:40
	v_pk_mov_b32 v[196:197], v[158:159], v[132:133] op_sel:[1,0]
	ds_write2_b32 v191, v196, v197 offset0:41 offset1:42
	v_pk_mov_b32 v[196:197], v[132:133], v[156:157] op_sel:[1,0]
	ds_write2_b32 v191, v196, v197 offset0:43 offset1:44
	v_pk_mov_b32 v[196:197], v[156:157], v[130:131] op_sel:[1,0]
	ds_write2_b32 v191, v196, v197 offset0:45 offset1:46
	v_pk_mov_b32 v[196:197], v[130:131], v[154:155] op_sel:[1,0]
	ds_write2_b32 v191, v196, v197 offset0:47 offset1:48
	v_pk_mov_b32 v[196:197], v[154:155], v[128:129] op_sel:[1,0]
	ds_write2_b32 v191, v196, v197 offset0:49 offset1:50
	v_pk_mov_b32 v[196:197], v[128:129], v[152:153] op_sel:[1,0]
	ds_write2_b32 v191, v196, v197 offset0:51 offset1:52
	v_pk_mov_b32 v[196:197], v[152:153], v[126:127] op_sel:[1,0]
	ds_write2_b32 v191, v196, v197 offset0:53 offset1:54
	v_pk_mov_b32 v[196:197], v[126:127], v[150:151] op_sel:[1,0]
	ds_write2_b32 v191, v196, v197 offset0:55 offset1:56
	v_pk_mov_b32 v[196:197], v[150:151], v[124:125] op_sel:[1,0]
	ds_write2_b32 v191, v196, v197 offset0:57 offset1:58
	v_pk_mov_b32 v[196:197], v[124:125], v[176:177] op_sel:[1,0]
	ds_write2_b32 v191, v196, v197 offset0:59 offset1:60
	ds_write_b32 v191, v177 offset:244
	ds_read_b32 v195, v189
	s_waitcnt lgkmcnt(0)
	v_cmp_neq_f32_e32 vcc, 0, v195
	s_and_b64 exec, exec, vcc
	s_cbranch_execz .LBB123_24
; %bb.23:
	v_div_scale_f32 v196, s[4:5], v195, v195, 1.0
	v_rcp_f32_e32 v197, v196
	v_div_scale_f32 v198, vcc, 1.0, v195, 1.0
	v_fma_f32 v199, -v196, v197, 1.0
	v_fmac_f32_e32 v197, v199, v197
	v_mul_f32_e32 v199, v198, v197
	v_fma_f32 v200, -v196, v199, v198
	v_fmac_f32_e32 v199, v200, v197
	v_fma_f32 v196, -v196, v199, v198
	v_div_fmas_f32 v196, v196, v197, v199
	v_div_fixup_f32 v195, v196, v195, 1.0
	ds_write_b32 v189, v195
.LBB123_24:
	s_or_b64 exec, exec, s[2:3]
	s_waitcnt lgkmcnt(0)
	s_barrier
	ds_read_b32 v195, v189
	v_cmp_lt_u32_e32 vcc, 4, v187
	s_and_saveexec_b64 s[2:3], vcc
	s_cbranch_execz .LBB123_26
; %bb.25:
	ds_read_b32 v208, v191 offset:20
	ds_read2_b64 v[196:199], v191 offset0:3 offset1:4
	ds_read2_b64 v[200:203], v191 offset0:5 offset1:6
	;; [unrolled: 1-line block ×3, first 2 shown]
	s_waitcnt vmcnt(6) lgkmcnt(4)
	v_mul_f32_e32 v182, v195, v182
	s_waitcnt vmcnt(5) lgkmcnt(3)
	v_fma_f32 v183, -v182, v208, v183
	s_waitcnt vmcnt(3) lgkmcnt(2)
	v_pk_fma_f32 v[178:179], v[182:183], v[196:197], v[178:179] op_sel_hi:[0,1,1] neg_lo:[1,0,0] neg_hi:[1,0,0]
	v_pk_fma_f32 v[174:175], v[182:183], v[198:199], v[174:175] op_sel_hi:[0,1,1] neg_lo:[1,0,0] neg_hi:[1,0,0]
	s_waitcnt lgkmcnt(1)
	v_pk_fma_f32 v[148:149], v[182:183], v[200:201], v[148:149] op_sel_hi:[0,1,1] neg_lo:[1,0,0] neg_hi:[1,0,0]
	ds_read2_b64 v[196:199], v191 offset0:9 offset1:10
	v_pk_fma_f32 v[172:173], v[182:183], v[202:203], v[172:173] op_sel_hi:[0,1,1] neg_lo:[1,0,0] neg_hi:[1,0,0]
	ds_read2_b64 v[200:203], v191 offset0:11 offset1:12
	s_waitcnt lgkmcnt(2)
	v_pk_fma_f32 v[146:147], v[182:183], v[204:205], v[146:147] op_sel_hi:[0,1,1] neg_lo:[1,0,0] neg_hi:[1,0,0]
	v_pk_fma_f32 v[170:171], v[182:183], v[206:207], v[170:171] op_sel_hi:[0,1,1] neg_lo:[1,0,0] neg_hi:[1,0,0]
	s_waitcnt lgkmcnt(1)
	v_pk_fma_f32 v[144:145], v[182:183], v[196:197], v[144:145] op_sel_hi:[0,1,1] neg_lo:[1,0,0] neg_hi:[1,0,0]
	ds_read2_b64 v[204:207], v191 offset0:13 offset1:14
	v_pk_fma_f32 v[168:169], v[182:183], v[198:199], v[168:169] op_sel_hi:[0,1,1] neg_lo:[1,0,0] neg_hi:[1,0,0]
	s_waitcnt lgkmcnt(1)
	v_pk_fma_f32 v[142:143], v[182:183], v[200:201], v[142:143] op_sel_hi:[0,1,1] neg_lo:[1,0,0] neg_hi:[1,0,0]
	ds_read2_b64 v[196:199], v191 offset0:15 offset1:16
	v_pk_fma_f32 v[166:167], v[182:183], v[202:203], v[166:167] op_sel_hi:[0,1,1] neg_lo:[1,0,0] neg_hi:[1,0,0]
	ds_read2_b64 v[200:203], v191 offset0:17 offset1:18
	s_waitcnt lgkmcnt(2)
	v_pk_fma_f32 v[140:141], v[182:183], v[204:205], v[140:141] op_sel_hi:[0,1,1] neg_lo:[1,0,0] neg_hi:[1,0,0]
	v_pk_fma_f32 v[164:165], v[182:183], v[206:207], v[164:165] op_sel_hi:[0,1,1] neg_lo:[1,0,0] neg_hi:[1,0,0]
	s_waitcnt lgkmcnt(1)
	v_pk_fma_f32 v[138:139], v[182:183], v[196:197], v[138:139] op_sel_hi:[0,1,1] neg_lo:[1,0,0] neg_hi:[1,0,0]
	ds_read2_b64 v[204:207], v191 offset0:19 offset1:20
	v_pk_fma_f32 v[162:163], v[182:183], v[198:199], v[162:163] op_sel_hi:[0,1,1] neg_lo:[1,0,0] neg_hi:[1,0,0]
	s_waitcnt lgkmcnt(1)
	v_pk_fma_f32 v[136:137], v[182:183], v[200:201], v[136:137] op_sel_hi:[0,1,1] neg_lo:[1,0,0] neg_hi:[1,0,0]
	ds_read2_b64 v[196:199], v191 offset0:21 offset1:22
	v_pk_fma_f32 v[160:161], v[182:183], v[202:203], v[160:161] op_sel_hi:[0,1,1] neg_lo:[1,0,0] neg_hi:[1,0,0]
	ds_read2_b64 v[200:203], v191 offset0:23 offset1:24
	s_waitcnt lgkmcnt(2)
	v_pk_fma_f32 v[134:135], v[182:183], v[204:205], v[134:135] op_sel_hi:[0,1,1] neg_lo:[1,0,0] neg_hi:[1,0,0]
	v_pk_fma_f32 v[158:159], v[182:183], v[206:207], v[158:159] op_sel_hi:[0,1,1] neg_lo:[1,0,0] neg_hi:[1,0,0]
	s_waitcnt lgkmcnt(1)
	v_pk_fma_f32 v[132:133], v[182:183], v[196:197], v[132:133] op_sel_hi:[0,1,1] neg_lo:[1,0,0] neg_hi:[1,0,0]
	v_pk_fma_f32 v[156:157], v[182:183], v[198:199], v[156:157] op_sel_hi:[0,1,1] neg_lo:[1,0,0] neg_hi:[1,0,0]
	ds_read2_b64 v[196:199], v191 offset0:25 offset1:26
	ds_read2_b64 v[204:207], v191 offset0:27 offset1:28
	s_waitcnt lgkmcnt(2)
	v_pk_fma_f32 v[130:131], v[182:183], v[200:201], v[130:131] op_sel_hi:[0,1,1] neg_lo:[1,0,0] neg_hi:[1,0,0]
	v_pk_fma_f32 v[154:155], v[182:183], v[202:203], v[154:155] op_sel_hi:[0,1,1] neg_lo:[1,0,0] neg_hi:[1,0,0]
	ds_read2_b64 v[200:203], v191 offset0:29 offset1:30
	s_waitcnt lgkmcnt(2)
	v_pk_fma_f32 v[128:129], v[182:183], v[196:197], v[128:129] op_sel_hi:[0,1,1] neg_lo:[1,0,0] neg_hi:[1,0,0]
	v_pk_fma_f32 v[152:153], v[182:183], v[198:199], v[152:153] op_sel_hi:[0,1,1] neg_lo:[1,0,0] neg_hi:[1,0,0]
	s_waitcnt lgkmcnt(1)
	v_pk_fma_f32 v[126:127], v[182:183], v[204:205], v[126:127] op_sel_hi:[0,1,1] neg_lo:[1,0,0] neg_hi:[1,0,0]
	v_pk_fma_f32 v[150:151], v[182:183], v[206:207], v[150:151] op_sel_hi:[0,1,1] neg_lo:[1,0,0] neg_hi:[1,0,0]
	;; [unrolled: 3-line block ×3, first 2 shown]
.LBB123_26:
	s_or_b64 exec, exec, s[2:3]
	v_cmp_ne_u32_e32 vcc, 5, v187
	s_waitcnt lgkmcnt(0)
	s_barrier
	s_and_saveexec_b64 s[2:3], vcc
	s_xor_b64 s[2:3], exec, s[2:3]
	s_andn2_saveexec_b64 s[2:3], s[2:3]
	s_cbranch_execz .LBB123_30
; %bb.27:
	s_waitcnt vmcnt(5)
	ds_write_b32 v189, v183
	s_waitcnt vmcnt(3)
	ds_write2_b64 v191, v[178:179], v[174:175] offset0:3 offset1:4
	ds_write2_b64 v191, v[148:149], v[172:173] offset0:5 offset1:6
	;; [unrolled: 1-line block ×14, first 2 shown]
	ds_read_b32 v196, v189
	s_waitcnt lgkmcnt(0)
	v_cmp_neq_f32_e32 vcc, 0, v196
	s_and_saveexec_b64 s[4:5], vcc
	s_cbranch_execz .LBB123_29
; %bb.28:
	v_div_scale_f32 v197, s[10:11], v196, v196, 1.0
	v_rcp_f32_e32 v198, v197
	v_div_scale_f32 v199, vcc, 1.0, v196, 1.0
	v_fma_f32 v200, -v197, v198, 1.0
	v_fmac_f32_e32 v198, v200, v198
	v_mul_f32_e32 v200, v199, v198
	v_fma_f32 v201, -v197, v200, v199
	v_fmac_f32_e32 v200, v201, v198
	v_fma_f32 v197, -v197, v200, v199
	v_div_fmas_f32 v197, v197, v198, v200
	v_div_fixup_f32 v196, v197, v196, 1.0
	ds_write_b32 v189, v196
.LBB123_29:
	s_or_b64 exec, exec, s[4:5]
.LBB123_30:
	s_or_b64 exec, exec, s[2:3]
	s_waitcnt lgkmcnt(0)
	s_barrier
	ds_read_b32 v196, v189
	v_cmp_lt_u32_e32 vcc, 5, v187
	s_and_saveexec_b64 s[2:3], vcc
	s_cbranch_execz .LBB123_32
; %bb.31:
	ds_read2_b64 v[198:201], v191 offset0:3 offset1:4
	ds_read2_b64 v[202:205], v191 offset0:5 offset1:6
	s_waitcnt vmcnt(5) lgkmcnt(2)
	v_mul_f32_e32 v210, v196, v183
	ds_read2_b64 v[206:209], v191 offset0:7 offset1:8
	v_mov_b32_e32 v183, v210
	s_waitcnt vmcnt(3) lgkmcnt(2)
	v_pk_fma_f32 v[178:179], v[210:211], v[198:199], v[178:179] op_sel_hi:[0,1,1] neg_lo:[1,0,0] neg_hi:[1,0,0]
	v_pk_fma_f32 v[174:175], v[210:211], v[200:201], v[174:175] op_sel_hi:[0,1,1] neg_lo:[1,0,0] neg_hi:[1,0,0]
	s_waitcnt lgkmcnt(1)
	v_pk_fma_f32 v[148:149], v[210:211], v[202:203], v[148:149] op_sel_hi:[0,1,1] neg_lo:[1,0,0] neg_hi:[1,0,0]
	ds_read2_b64 v[198:201], v191 offset0:9 offset1:10
	v_pk_fma_f32 v[172:173], v[210:211], v[204:205], v[172:173] op_sel_hi:[0,1,1] neg_lo:[1,0,0] neg_hi:[1,0,0]
	ds_read2_b64 v[202:205], v191 offset0:11 offset1:12
	s_waitcnt lgkmcnt(2)
	v_pk_fma_f32 v[146:147], v[210:211], v[206:207], v[146:147] op_sel_hi:[0,1,1] neg_lo:[1,0,0] neg_hi:[1,0,0]
	v_pk_fma_f32 v[170:171], v[210:211], v[208:209], v[170:171] op_sel_hi:[0,1,1] neg_lo:[1,0,0] neg_hi:[1,0,0]
	s_waitcnt lgkmcnt(1)
	v_pk_fma_f32 v[144:145], v[210:211], v[198:199], v[144:145] op_sel_hi:[0,1,1] neg_lo:[1,0,0] neg_hi:[1,0,0]
	ds_read2_b64 v[206:209], v191 offset0:13 offset1:14
	v_pk_fma_f32 v[168:169], v[210:211], v[200:201], v[168:169] op_sel_hi:[0,1,1] neg_lo:[1,0,0] neg_hi:[1,0,0]
	s_waitcnt lgkmcnt(1)
	v_pk_fma_f32 v[142:143], v[210:211], v[202:203], v[142:143] op_sel_hi:[0,1,1] neg_lo:[1,0,0] neg_hi:[1,0,0]
	ds_read2_b64 v[198:201], v191 offset0:15 offset1:16
	v_pk_fma_f32 v[166:167], v[210:211], v[204:205], v[166:167] op_sel_hi:[0,1,1] neg_lo:[1,0,0] neg_hi:[1,0,0]
	ds_read2_b64 v[202:205], v191 offset0:17 offset1:18
	s_waitcnt lgkmcnt(2)
	v_pk_fma_f32 v[140:141], v[210:211], v[206:207], v[140:141] op_sel_hi:[0,1,1] neg_lo:[1,0,0] neg_hi:[1,0,0]
	v_pk_fma_f32 v[164:165], v[210:211], v[208:209], v[164:165] op_sel_hi:[0,1,1] neg_lo:[1,0,0] neg_hi:[1,0,0]
	s_waitcnt lgkmcnt(1)
	v_pk_fma_f32 v[138:139], v[210:211], v[198:199], v[138:139] op_sel_hi:[0,1,1] neg_lo:[1,0,0] neg_hi:[1,0,0]
	ds_read2_b64 v[206:209], v191 offset0:19 offset1:20
	v_pk_fma_f32 v[162:163], v[210:211], v[200:201], v[162:163] op_sel_hi:[0,1,1] neg_lo:[1,0,0] neg_hi:[1,0,0]
	s_waitcnt lgkmcnt(1)
	v_pk_fma_f32 v[136:137], v[210:211], v[202:203], v[136:137] op_sel_hi:[0,1,1] neg_lo:[1,0,0] neg_hi:[1,0,0]
	ds_read2_b64 v[198:201], v191 offset0:21 offset1:22
	v_pk_fma_f32 v[160:161], v[210:211], v[204:205], v[160:161] op_sel_hi:[0,1,1] neg_lo:[1,0,0] neg_hi:[1,0,0]
	ds_read2_b64 v[202:205], v191 offset0:23 offset1:24
	s_waitcnt lgkmcnt(2)
	v_pk_fma_f32 v[134:135], v[210:211], v[206:207], v[134:135] op_sel_hi:[0,1,1] neg_lo:[1,0,0] neg_hi:[1,0,0]
	v_pk_fma_f32 v[158:159], v[210:211], v[208:209], v[158:159] op_sel_hi:[0,1,1] neg_lo:[1,0,0] neg_hi:[1,0,0]
	s_waitcnt lgkmcnt(1)
	v_pk_fma_f32 v[132:133], v[210:211], v[198:199], v[132:133] op_sel_hi:[0,1,1] neg_lo:[1,0,0] neg_hi:[1,0,0]
	v_pk_fma_f32 v[156:157], v[210:211], v[200:201], v[156:157] op_sel_hi:[0,1,1] neg_lo:[1,0,0] neg_hi:[1,0,0]
	ds_read2_b64 v[198:201], v191 offset0:25 offset1:26
	s_waitcnt lgkmcnt(1)
	v_pk_fma_f32 v[130:131], v[210:211], v[202:203], v[130:131] op_sel_hi:[0,1,1] neg_lo:[1,0,0] neg_hi:[1,0,0]
	ds_read2_b64 v[206:209], v191 offset0:27 offset1:28
	v_pk_fma_f32 v[154:155], v[210:211], v[204:205], v[154:155] op_sel_hi:[0,1,1] neg_lo:[1,0,0] neg_hi:[1,0,0]
	ds_read2_b64 v[202:205], v191 offset0:29 offset1:30
	s_waitcnt lgkmcnt(2)
	v_pk_fma_f32 v[128:129], v[210:211], v[198:199], v[128:129] op_sel_hi:[0,1,1] neg_lo:[1,0,0] neg_hi:[1,0,0]
	v_pk_fma_f32 v[152:153], v[210:211], v[200:201], v[152:153] op_sel_hi:[0,1,1] neg_lo:[1,0,0] neg_hi:[1,0,0]
	s_waitcnt lgkmcnt(1)
	v_pk_fma_f32 v[126:127], v[210:211], v[206:207], v[126:127] op_sel_hi:[0,1,1] neg_lo:[1,0,0] neg_hi:[1,0,0]
	v_pk_fma_f32 v[150:151], v[210:211], v[208:209], v[150:151] op_sel_hi:[0,1,1] neg_lo:[1,0,0] neg_hi:[1,0,0]
	;; [unrolled: 3-line block ×3, first 2 shown]
.LBB123_32:
	s_or_b64 exec, exec, s[2:3]
	v_cmp_eq_u32_e32 vcc, 6, v187
	s_waitcnt lgkmcnt(0)
	s_barrier
	s_and_saveexec_b64 s[2:3], vcc
	s_cbranch_execz .LBB123_35
; %bb.33:
	s_waitcnt vmcnt(3)
	v_pk_mov_b32 v[198:199], v[178:179], v[174:175] op_sel:[1,0]
	ds_write_b32 v189, v178
	ds_write2_b32 v191, v198, v199 offset0:7 offset1:8
	v_pk_mov_b32 v[198:199], v[174:175], v[148:149] op_sel:[1,0]
	ds_write2_b32 v191, v198, v199 offset0:9 offset1:10
	v_pk_mov_b32 v[198:199], v[148:149], v[172:173] op_sel:[1,0]
	;; [unrolled: 2-line block ×26, first 2 shown]
	ds_write2_b32 v191, v198, v199 offset0:59 offset1:60
	ds_write_b32 v191, v177 offset:244
	ds_read_b32 v197, v189
	s_waitcnt lgkmcnt(0)
	v_cmp_neq_f32_e32 vcc, 0, v197
	s_and_b64 exec, exec, vcc
	s_cbranch_execz .LBB123_35
; %bb.34:
	v_div_scale_f32 v198, s[4:5], v197, v197, 1.0
	v_rcp_f32_e32 v199, v198
	v_div_scale_f32 v200, vcc, 1.0, v197, 1.0
	v_fma_f32 v201, -v198, v199, 1.0
	v_fmac_f32_e32 v199, v201, v199
	v_mul_f32_e32 v201, v200, v199
	v_fma_f32 v202, -v198, v201, v200
	v_fmac_f32_e32 v201, v202, v199
	v_fma_f32 v198, -v198, v201, v200
	v_div_fmas_f32 v198, v198, v199, v201
	v_div_fixup_f32 v197, v198, v197, 1.0
	ds_write_b32 v189, v197
.LBB123_35:
	s_or_b64 exec, exec, s[2:3]
	s_waitcnt lgkmcnt(0)
	s_barrier
	ds_read_b32 v197, v189
	v_cmp_lt_u32_e32 vcc, 6, v187
	s_and_saveexec_b64 s[2:3], vcc
	s_cbranch_execz .LBB123_37
; %bb.36:
	ds_read_b32 v210, v191 offset:28
	ds_read2_b64 v[198:201], v191 offset0:4 offset1:5
	ds_read2_b64 v[202:205], v191 offset0:6 offset1:7
	;; [unrolled: 1-line block ×3, first 2 shown]
	s_waitcnt vmcnt(4) lgkmcnt(4)
	v_mul_f32_e32 v178, v197, v178
	s_waitcnt vmcnt(3) lgkmcnt(3)
	v_fma_f32 v179, -v178, v210, v179
	s_waitcnt lgkmcnt(2)
	v_pk_fma_f32 v[174:175], v[178:179], v[198:199], v[174:175] op_sel_hi:[0,1,1] neg_lo:[1,0,0] neg_hi:[1,0,0]
	v_pk_fma_f32 v[148:149], v[178:179], v[200:201], v[148:149] op_sel_hi:[0,1,1] neg_lo:[1,0,0] neg_hi:[1,0,0]
	s_waitcnt lgkmcnt(1)
	v_pk_fma_f32 v[172:173], v[178:179], v[202:203], v[172:173] op_sel_hi:[0,1,1] neg_lo:[1,0,0] neg_hi:[1,0,0]
	ds_read2_b64 v[198:201], v191 offset0:10 offset1:11
	v_pk_fma_f32 v[146:147], v[178:179], v[204:205], v[146:147] op_sel_hi:[0,1,1] neg_lo:[1,0,0] neg_hi:[1,0,0]
	ds_read2_b64 v[202:205], v191 offset0:12 offset1:13
	s_waitcnt lgkmcnt(2)
	v_pk_fma_f32 v[170:171], v[178:179], v[206:207], v[170:171] op_sel_hi:[0,1,1] neg_lo:[1,0,0] neg_hi:[1,0,0]
	v_pk_fma_f32 v[144:145], v[178:179], v[208:209], v[144:145] op_sel_hi:[0,1,1] neg_lo:[1,0,0] neg_hi:[1,0,0]
	s_waitcnt lgkmcnt(1)
	v_pk_fma_f32 v[168:169], v[178:179], v[198:199], v[168:169] op_sel_hi:[0,1,1] neg_lo:[1,0,0] neg_hi:[1,0,0]
	ds_read2_b64 v[206:209], v191 offset0:14 offset1:15
	v_pk_fma_f32 v[142:143], v[178:179], v[200:201], v[142:143] op_sel_hi:[0,1,1] neg_lo:[1,0,0] neg_hi:[1,0,0]
	s_waitcnt lgkmcnt(1)
	v_pk_fma_f32 v[166:167], v[178:179], v[202:203], v[166:167] op_sel_hi:[0,1,1] neg_lo:[1,0,0] neg_hi:[1,0,0]
	ds_read2_b64 v[198:201], v191 offset0:16 offset1:17
	v_pk_fma_f32 v[140:141], v[178:179], v[204:205], v[140:141] op_sel_hi:[0,1,1] neg_lo:[1,0,0] neg_hi:[1,0,0]
	ds_read2_b64 v[202:205], v191 offset0:18 offset1:19
	s_waitcnt lgkmcnt(2)
	v_pk_fma_f32 v[164:165], v[178:179], v[206:207], v[164:165] op_sel_hi:[0,1,1] neg_lo:[1,0,0] neg_hi:[1,0,0]
	v_pk_fma_f32 v[138:139], v[178:179], v[208:209], v[138:139] op_sel_hi:[0,1,1] neg_lo:[1,0,0] neg_hi:[1,0,0]
	s_waitcnt lgkmcnt(1)
	v_pk_fma_f32 v[162:163], v[178:179], v[198:199], v[162:163] op_sel_hi:[0,1,1] neg_lo:[1,0,0] neg_hi:[1,0,0]
	ds_read2_b64 v[206:209], v191 offset0:20 offset1:21
	v_pk_fma_f32 v[136:137], v[178:179], v[200:201], v[136:137] op_sel_hi:[0,1,1] neg_lo:[1,0,0] neg_hi:[1,0,0]
	s_waitcnt lgkmcnt(1)
	v_pk_fma_f32 v[160:161], v[178:179], v[202:203], v[160:161] op_sel_hi:[0,1,1] neg_lo:[1,0,0] neg_hi:[1,0,0]
	ds_read2_b64 v[198:201], v191 offset0:22 offset1:23
	v_pk_fma_f32 v[134:135], v[178:179], v[204:205], v[134:135] op_sel_hi:[0,1,1] neg_lo:[1,0,0] neg_hi:[1,0,0]
	ds_read2_b64 v[202:205], v191 offset0:24 offset1:25
	s_waitcnt lgkmcnt(2)
	v_pk_fma_f32 v[158:159], v[178:179], v[206:207], v[158:159] op_sel_hi:[0,1,1] neg_lo:[1,0,0] neg_hi:[1,0,0]
	v_pk_fma_f32 v[132:133], v[178:179], v[208:209], v[132:133] op_sel_hi:[0,1,1] neg_lo:[1,0,0] neg_hi:[1,0,0]
	s_waitcnt lgkmcnt(1)
	v_pk_fma_f32 v[156:157], v[178:179], v[198:199], v[156:157] op_sel_hi:[0,1,1] neg_lo:[1,0,0] neg_hi:[1,0,0]
	v_pk_fma_f32 v[130:131], v[178:179], v[200:201], v[130:131] op_sel_hi:[0,1,1] neg_lo:[1,0,0] neg_hi:[1,0,0]
	ds_read2_b64 v[198:201], v191 offset0:26 offset1:27
	ds_read2_b64 v[206:209], v191 offset0:28 offset1:29
	s_waitcnt lgkmcnt(2)
	v_pk_fma_f32 v[154:155], v[178:179], v[202:203], v[154:155] op_sel_hi:[0,1,1] neg_lo:[1,0,0] neg_hi:[1,0,0]
	ds_read_b64 v[202:203], v191 offset:240
	v_pk_fma_f32 v[128:129], v[178:179], v[204:205], v[128:129] op_sel_hi:[0,1,1] neg_lo:[1,0,0] neg_hi:[1,0,0]
	s_waitcnt lgkmcnt(2)
	v_pk_fma_f32 v[152:153], v[178:179], v[198:199], v[152:153] op_sel_hi:[0,1,1] neg_lo:[1,0,0] neg_hi:[1,0,0]
	v_pk_fma_f32 v[126:127], v[178:179], v[200:201], v[126:127] op_sel_hi:[0,1,1] neg_lo:[1,0,0] neg_hi:[1,0,0]
	s_waitcnt lgkmcnt(1)
	v_pk_fma_f32 v[150:151], v[178:179], v[206:207], v[150:151] op_sel_hi:[0,1,1] neg_lo:[1,0,0] neg_hi:[1,0,0]
	;; [unrolled: 3-line block ×3, first 2 shown]
.LBB123_37:
	s_or_b64 exec, exec, s[2:3]
	v_cmp_ne_u32_e32 vcc, 7, v187
	s_waitcnt lgkmcnt(0)
	s_barrier
	s_and_saveexec_b64 s[2:3], vcc
	s_xor_b64 s[2:3], exec, s[2:3]
	s_andn2_saveexec_b64 s[2:3], s[2:3]
	s_cbranch_execz .LBB123_41
; %bb.38:
	s_waitcnt vmcnt(62)
	v_mov_b32_e32 v198, v174
	s_waitcnt vmcnt(61)
	v_mov_b32_e32 v199, v175
	s_waitcnt vmcnt(60)
	v_mov_b32_e32 v200, v148
	s_waitcnt vmcnt(59)
	v_mov_b32_e32 v201, v149
	s_waitcnt vmcnt(3)
	ds_write_b32 v189, v179
	ds_write2_b64 v191, v[198:199], v[200:201] offset0:4 offset1:5
	v_mov_b32_e32 v198, v172
	v_mov_b32_e32 v199, v173
	v_mov_b32_e32 v200, v146
	v_mov_b32_e32 v201, v147
	ds_write2_b64 v191, v[198:199], v[200:201] offset0:6 offset1:7
	v_mov_b32_e32 v198, v170
	v_mov_b32_e32 v199, v171
	v_mov_b32_e32 v200, v144
	v_mov_b32_e32 v201, v145
	ds_write2_b64 v191, v[198:199], v[200:201] offset0:8 offset1:9
	v_mov_b32_e32 v198, v168
	v_mov_b32_e32 v199, v169
	v_mov_b32_e32 v200, v142
	v_mov_b32_e32 v201, v143
	ds_write2_b64 v191, v[198:199], v[200:201] offset0:10 offset1:11
	v_mov_b32_e32 v198, v166
	v_mov_b32_e32 v199, v167
	v_mov_b32_e32 v200, v140
	v_mov_b32_e32 v201, v141
	ds_write2_b64 v191, v[198:199], v[200:201] offset0:12 offset1:13
	v_mov_b32_e32 v198, v164
	v_mov_b32_e32 v199, v165
	v_mov_b32_e32 v200, v138
	v_mov_b32_e32 v201, v139
	ds_write2_b64 v191, v[198:199], v[200:201] offset0:14 offset1:15
	v_mov_b32_e32 v198, v162
	v_mov_b32_e32 v199, v163
	v_mov_b32_e32 v200, v136
	v_mov_b32_e32 v201, v137
	ds_write2_b64 v191, v[198:199], v[200:201] offset0:16 offset1:17
	v_mov_b32_e32 v198, v160
	v_mov_b32_e32 v199, v161
	v_mov_b32_e32 v200, v134
	v_mov_b32_e32 v201, v135
	ds_write2_b64 v191, v[198:199], v[200:201] offset0:18 offset1:19
	v_mov_b32_e32 v198, v158
	v_mov_b32_e32 v199, v159
	v_mov_b32_e32 v200, v132
	v_mov_b32_e32 v201, v133
	ds_write2_b64 v191, v[198:199], v[200:201] offset0:20 offset1:21
	v_mov_b32_e32 v198, v156
	v_mov_b32_e32 v199, v157
	v_mov_b32_e32 v200, v130
	v_mov_b32_e32 v201, v131
	ds_write2_b64 v191, v[198:199], v[200:201] offset0:22 offset1:23
	v_mov_b32_e32 v198, v154
	v_mov_b32_e32 v199, v155
	v_mov_b32_e32 v200, v128
	v_mov_b32_e32 v201, v129
	ds_write2_b64 v191, v[198:199], v[200:201] offset0:24 offset1:25
	v_mov_b32_e32 v198, v152
	v_mov_b32_e32 v199, v153
	v_mov_b32_e32 v200, v126
	v_mov_b32_e32 v201, v127
	ds_write2_b64 v191, v[198:199], v[200:201] offset0:26 offset1:27
	v_mov_b32_e32 v198, v150
	v_mov_b32_e32 v199, v151
	v_mov_b32_e32 v200, v124
	v_mov_b32_e32 v201, v125
	ds_write2_b64 v191, v[198:199], v[200:201] offset0:28 offset1:29
	ds_write_b64 v191, v[176:177] offset:240
	ds_read_b32 v198, v189
	s_waitcnt lgkmcnt(0)
	v_cmp_neq_f32_e32 vcc, 0, v198
	s_and_saveexec_b64 s[4:5], vcc
	s_cbranch_execz .LBB123_40
; %bb.39:
	v_div_scale_f32 v199, s[10:11], v198, v198, 1.0
	v_rcp_f32_e32 v200, v199
	v_div_scale_f32 v201, vcc, 1.0, v198, 1.0
	v_fma_f32 v202, -v199, v200, 1.0
	v_fmac_f32_e32 v200, v202, v200
	v_mul_f32_e32 v202, v201, v200
	v_fma_f32 v203, -v199, v202, v201
	v_fmac_f32_e32 v202, v203, v200
	v_fma_f32 v199, -v199, v202, v201
	v_div_fmas_f32 v199, v199, v200, v202
	v_div_fixup_f32 v198, v199, v198, 1.0
	ds_write_b32 v189, v198
.LBB123_40:
	s_or_b64 exec, exec, s[4:5]
.LBB123_41:
	s_or_b64 exec, exec, s[2:3]
	s_waitcnt lgkmcnt(0)
	s_barrier
	ds_read_b32 v198, v189
	v_cmp_lt_u32_e32 vcc, 7, v187
	s_and_saveexec_b64 s[2:3], vcc
	s_cbranch_execz .LBB123_43
; %bb.42:
	ds_read2_b64 v[200:203], v191 offset0:4 offset1:5
	ds_read2_b64 v[204:207], v191 offset0:6 offset1:7
	s_waitcnt vmcnt(3) lgkmcnt(2)
	v_mul_f32_e32 v212, v198, v179
	ds_read2_b64 v[208:211], v191 offset0:8 offset1:9
	v_mov_b32_e32 v179, v212
	s_waitcnt lgkmcnt(2)
	v_pk_fma_f32 v[174:175], v[212:213], v[200:201], v[174:175] op_sel_hi:[0,1,1] neg_lo:[1,0,0] neg_hi:[1,0,0]
	v_pk_fma_f32 v[148:149], v[212:213], v[202:203], v[148:149] op_sel_hi:[0,1,1] neg_lo:[1,0,0] neg_hi:[1,0,0]
	s_waitcnt lgkmcnt(1)
	v_pk_fma_f32 v[172:173], v[212:213], v[204:205], v[172:173] op_sel_hi:[0,1,1] neg_lo:[1,0,0] neg_hi:[1,0,0]
	ds_read2_b64 v[200:203], v191 offset0:10 offset1:11
	v_pk_fma_f32 v[146:147], v[212:213], v[206:207], v[146:147] op_sel_hi:[0,1,1] neg_lo:[1,0,0] neg_hi:[1,0,0]
	ds_read2_b64 v[204:207], v191 offset0:12 offset1:13
	s_waitcnt lgkmcnt(2)
	v_pk_fma_f32 v[170:171], v[212:213], v[208:209], v[170:171] op_sel_hi:[0,1,1] neg_lo:[1,0,0] neg_hi:[1,0,0]
	v_pk_fma_f32 v[144:145], v[212:213], v[210:211], v[144:145] op_sel_hi:[0,1,1] neg_lo:[1,0,0] neg_hi:[1,0,0]
	s_waitcnt lgkmcnt(1)
	v_pk_fma_f32 v[168:169], v[212:213], v[200:201], v[168:169] op_sel_hi:[0,1,1] neg_lo:[1,0,0] neg_hi:[1,0,0]
	ds_read2_b64 v[208:211], v191 offset0:14 offset1:15
	v_pk_fma_f32 v[142:143], v[212:213], v[202:203], v[142:143] op_sel_hi:[0,1,1] neg_lo:[1,0,0] neg_hi:[1,0,0]
	s_waitcnt lgkmcnt(1)
	v_pk_fma_f32 v[166:167], v[212:213], v[204:205], v[166:167] op_sel_hi:[0,1,1] neg_lo:[1,0,0] neg_hi:[1,0,0]
	ds_read2_b64 v[200:203], v191 offset0:16 offset1:17
	v_pk_fma_f32 v[140:141], v[212:213], v[206:207], v[140:141] op_sel_hi:[0,1,1] neg_lo:[1,0,0] neg_hi:[1,0,0]
	ds_read2_b64 v[204:207], v191 offset0:18 offset1:19
	s_waitcnt lgkmcnt(2)
	v_pk_fma_f32 v[164:165], v[212:213], v[208:209], v[164:165] op_sel_hi:[0,1,1] neg_lo:[1,0,0] neg_hi:[1,0,0]
	v_pk_fma_f32 v[138:139], v[212:213], v[210:211], v[138:139] op_sel_hi:[0,1,1] neg_lo:[1,0,0] neg_hi:[1,0,0]
	s_waitcnt lgkmcnt(1)
	v_pk_fma_f32 v[162:163], v[212:213], v[200:201], v[162:163] op_sel_hi:[0,1,1] neg_lo:[1,0,0] neg_hi:[1,0,0]
	ds_read2_b64 v[208:211], v191 offset0:20 offset1:21
	v_pk_fma_f32 v[136:137], v[212:213], v[202:203], v[136:137] op_sel_hi:[0,1,1] neg_lo:[1,0,0] neg_hi:[1,0,0]
	s_waitcnt lgkmcnt(1)
	v_pk_fma_f32 v[160:161], v[212:213], v[204:205], v[160:161] op_sel_hi:[0,1,1] neg_lo:[1,0,0] neg_hi:[1,0,0]
	ds_read2_b64 v[200:203], v191 offset0:22 offset1:23
	v_pk_fma_f32 v[134:135], v[212:213], v[206:207], v[134:135] op_sel_hi:[0,1,1] neg_lo:[1,0,0] neg_hi:[1,0,0]
	ds_read2_b64 v[204:207], v191 offset0:24 offset1:25
	s_waitcnt lgkmcnt(2)
	v_pk_fma_f32 v[158:159], v[212:213], v[208:209], v[158:159] op_sel_hi:[0,1,1] neg_lo:[1,0,0] neg_hi:[1,0,0]
	v_pk_fma_f32 v[132:133], v[212:213], v[210:211], v[132:133] op_sel_hi:[0,1,1] neg_lo:[1,0,0] neg_hi:[1,0,0]
	s_waitcnt lgkmcnt(1)
	v_pk_fma_f32 v[156:157], v[212:213], v[200:201], v[156:157] op_sel_hi:[0,1,1] neg_lo:[1,0,0] neg_hi:[1,0,0]
	v_pk_fma_f32 v[130:131], v[212:213], v[202:203], v[130:131] op_sel_hi:[0,1,1] neg_lo:[1,0,0] neg_hi:[1,0,0]
	ds_read2_b64 v[200:203], v191 offset0:26 offset1:27
	s_waitcnt lgkmcnt(1)
	v_pk_fma_f32 v[154:155], v[212:213], v[204:205], v[154:155] op_sel_hi:[0,1,1] neg_lo:[1,0,0] neg_hi:[1,0,0]
	ds_read2_b64 v[208:211], v191 offset0:28 offset1:29
	ds_read_b64 v[204:205], v191 offset:240
	v_pk_fma_f32 v[128:129], v[212:213], v[206:207], v[128:129] op_sel_hi:[0,1,1] neg_lo:[1,0,0] neg_hi:[1,0,0]
	s_waitcnt lgkmcnt(2)
	v_pk_fma_f32 v[152:153], v[212:213], v[200:201], v[152:153] op_sel_hi:[0,1,1] neg_lo:[1,0,0] neg_hi:[1,0,0]
	v_pk_fma_f32 v[126:127], v[212:213], v[202:203], v[126:127] op_sel_hi:[0,1,1] neg_lo:[1,0,0] neg_hi:[1,0,0]
	s_waitcnt lgkmcnt(1)
	v_pk_fma_f32 v[150:151], v[212:213], v[208:209], v[150:151] op_sel_hi:[0,1,1] neg_lo:[1,0,0] neg_hi:[1,0,0]
	;; [unrolled: 3-line block ×3, first 2 shown]
.LBB123_43:
	s_or_b64 exec, exec, s[2:3]
	v_cmp_eq_u32_e32 vcc, 8, v187
	s_waitcnt lgkmcnt(0)
	s_barrier
	s_and_saveexec_b64 s[2:3], vcc
	s_cbranch_execz .LBB123_46
; %bb.44:
	s_waitcnt vmcnt(59)
	v_pk_mov_b32 v[200:201], v[174:175], v[148:149] op_sel:[1,0]
	ds_write_b32 v189, v174
	ds_write2_b32 v191, v200, v201 offset0:9 offset1:10
	s_waitcnt vmcnt(57)
	v_pk_mov_b32 v[200:201], v[148:149], v[172:173] op_sel:[1,0]
	ds_write2_b32 v191, v200, v201 offset0:11 offset1:12
	s_waitcnt vmcnt(55)
	v_pk_mov_b32 v[200:201], v[172:173], v[146:147] op_sel:[1,0]
	;; [unrolled: 3-line block ×25, first 2 shown]
	ds_write2_b32 v191, v200, v201 offset0:59 offset1:60
	ds_write_b32 v191, v177 offset:244
	ds_read_b32 v199, v189
	s_waitcnt lgkmcnt(0)
	v_cmp_neq_f32_e32 vcc, 0, v199
	s_and_b64 exec, exec, vcc
	s_cbranch_execz .LBB123_46
; %bb.45:
	v_div_scale_f32 v200, s[4:5], v199, v199, 1.0
	v_rcp_f32_e32 v201, v200
	v_div_scale_f32 v202, vcc, 1.0, v199, 1.0
	v_fma_f32 v203, -v200, v201, 1.0
	v_fmac_f32_e32 v201, v203, v201
	v_mul_f32_e32 v203, v202, v201
	v_fma_f32 v204, -v200, v203, v202
	v_fmac_f32_e32 v203, v204, v201
	v_fma_f32 v200, -v200, v203, v202
	v_div_fmas_f32 v200, v200, v201, v203
	v_div_fixup_f32 v199, v200, v199, 1.0
	ds_write_b32 v189, v199
.LBB123_46:
	s_or_b64 exec, exec, s[2:3]
	s_waitcnt lgkmcnt(0)
	s_barrier
	ds_read_b32 v199, v189
	v_cmp_lt_u32_e32 vcc, 8, v187
	s_and_saveexec_b64 s[2:3], vcc
	s_cbranch_execz .LBB123_48
; %bb.47:
	ds_read_b32 v212, v191 offset:36
	ds_read2_b64 v[200:203], v191 offset0:5 offset1:6
	s_waitcnt vmcnt(62) lgkmcnt(2)
	v_mul_f32_e32 v174, v199, v174
	ds_read2_b64 v[204:207], v191 offset0:7 offset1:8
	ds_read2_b64 v[208:211], v191 offset0:9 offset1:10
	s_waitcnt vmcnt(61) lgkmcnt(3)
	v_fma_f32 v175, -v174, v212, v175
	s_waitcnt vmcnt(59) lgkmcnt(2)
	v_pk_fma_f32 v[148:149], v[174:175], v[200:201], v[148:149] op_sel_hi:[0,1,1] neg_lo:[1,0,0] neg_hi:[1,0,0]
	s_waitcnt vmcnt(57)
	v_pk_fma_f32 v[172:173], v[174:175], v[202:203], v[172:173] op_sel_hi:[0,1,1] neg_lo:[1,0,0] neg_hi:[1,0,0]
	ds_read2_b64 v[200:203], v191 offset0:11 offset1:12
	s_waitcnt vmcnt(55) lgkmcnt(2)
	v_pk_fma_f32 v[146:147], v[174:175], v[204:205], v[146:147] op_sel_hi:[0,1,1] neg_lo:[1,0,0] neg_hi:[1,0,0]
	s_waitcnt vmcnt(53)
	v_pk_fma_f32 v[170:171], v[174:175], v[206:207], v[170:171] op_sel_hi:[0,1,1] neg_lo:[1,0,0] neg_hi:[1,0,0]
	s_waitcnt vmcnt(51) lgkmcnt(1)
	v_pk_fma_f32 v[144:145], v[174:175], v[208:209], v[144:145] op_sel_hi:[0,1,1] neg_lo:[1,0,0] neg_hi:[1,0,0]
	ds_read2_b64 v[204:207], v191 offset0:13 offset1:14
	s_waitcnt vmcnt(49)
	v_pk_fma_f32 v[168:169], v[174:175], v[210:211], v[168:169] op_sel_hi:[0,1,1] neg_lo:[1,0,0] neg_hi:[1,0,0]
	s_waitcnt vmcnt(47) lgkmcnt(1)
	v_pk_fma_f32 v[142:143], v[174:175], v[200:201], v[142:143] op_sel_hi:[0,1,1] neg_lo:[1,0,0] neg_hi:[1,0,0]
	ds_read2_b64 v[208:211], v191 offset0:15 offset1:16
	s_waitcnt vmcnt(45)
	v_pk_fma_f32 v[166:167], v[174:175], v[202:203], v[166:167] op_sel_hi:[0,1,1] neg_lo:[1,0,0] neg_hi:[1,0,0]
	ds_read2_b64 v[200:203], v191 offset0:17 offset1:18
	s_waitcnt vmcnt(43) lgkmcnt(2)
	v_pk_fma_f32 v[140:141], v[174:175], v[204:205], v[140:141] op_sel_hi:[0,1,1] neg_lo:[1,0,0] neg_hi:[1,0,0]
	s_waitcnt vmcnt(41)
	v_pk_fma_f32 v[164:165], v[174:175], v[206:207], v[164:165] op_sel_hi:[0,1,1] neg_lo:[1,0,0] neg_hi:[1,0,0]
	s_waitcnt vmcnt(39) lgkmcnt(1)
	v_pk_fma_f32 v[138:139], v[174:175], v[208:209], v[138:139] op_sel_hi:[0,1,1] neg_lo:[1,0,0] neg_hi:[1,0,0]
	ds_read2_b64 v[204:207], v191 offset0:19 offset1:20
	s_waitcnt vmcnt(37)
	v_pk_fma_f32 v[162:163], v[174:175], v[210:211], v[162:163] op_sel_hi:[0,1,1] neg_lo:[1,0,0] neg_hi:[1,0,0]
	s_waitcnt vmcnt(35) lgkmcnt(1)
	v_pk_fma_f32 v[136:137], v[174:175], v[200:201], v[136:137] op_sel_hi:[0,1,1] neg_lo:[1,0,0] neg_hi:[1,0,0]
	ds_read2_b64 v[208:211], v191 offset0:21 offset1:22
	s_waitcnt vmcnt(33)
	v_pk_fma_f32 v[160:161], v[174:175], v[202:203], v[160:161] op_sel_hi:[0,1,1] neg_lo:[1,0,0] neg_hi:[1,0,0]
	ds_read2_b64 v[200:203], v191 offset0:23 offset1:24
	s_waitcnt vmcnt(31) lgkmcnt(2)
	v_pk_fma_f32 v[134:135], v[174:175], v[204:205], v[134:135] op_sel_hi:[0,1,1] neg_lo:[1,0,0] neg_hi:[1,0,0]
	s_waitcnt vmcnt(29)
	v_pk_fma_f32 v[158:159], v[174:175], v[206:207], v[158:159] op_sel_hi:[0,1,1] neg_lo:[1,0,0] neg_hi:[1,0,0]
	s_waitcnt vmcnt(27) lgkmcnt(1)
	v_pk_fma_f32 v[132:133], v[174:175], v[208:209], v[132:133] op_sel_hi:[0,1,1] neg_lo:[1,0,0] neg_hi:[1,0,0]
	s_waitcnt vmcnt(25)
	v_pk_fma_f32 v[156:157], v[174:175], v[210:211], v[156:157] op_sel_hi:[0,1,1] neg_lo:[1,0,0] neg_hi:[1,0,0]
	ds_read2_b64 v[204:207], v191 offset0:25 offset1:26
	s_waitcnt vmcnt(23) lgkmcnt(1)
	v_pk_fma_f32 v[130:131], v[174:175], v[200:201], v[130:131] op_sel_hi:[0,1,1] neg_lo:[1,0,0] neg_hi:[1,0,0]
	ds_read2_b64 v[208:211], v191 offset0:27 offset1:28
	s_waitcnt vmcnt(21)
	v_pk_fma_f32 v[154:155], v[174:175], v[202:203], v[154:155] op_sel_hi:[0,1,1] neg_lo:[1,0,0] neg_hi:[1,0,0]
	ds_read2_b64 v[200:203], v191 offset0:29 offset1:30
	s_waitcnt vmcnt(19) lgkmcnt(2)
	v_pk_fma_f32 v[128:129], v[174:175], v[204:205], v[128:129] op_sel_hi:[0,1,1] neg_lo:[1,0,0] neg_hi:[1,0,0]
	s_waitcnt vmcnt(17)
	v_pk_fma_f32 v[152:153], v[174:175], v[206:207], v[152:153] op_sel_hi:[0,1,1] neg_lo:[1,0,0] neg_hi:[1,0,0]
	s_waitcnt vmcnt(15) lgkmcnt(1)
	v_pk_fma_f32 v[126:127], v[174:175], v[208:209], v[126:127] op_sel_hi:[0,1,1] neg_lo:[1,0,0] neg_hi:[1,0,0]
	s_waitcnt vmcnt(13)
	v_pk_fma_f32 v[150:151], v[174:175], v[210:211], v[150:151] op_sel_hi:[0,1,1] neg_lo:[1,0,0] neg_hi:[1,0,0]
	;; [unrolled: 4-line block ×3, first 2 shown]
.LBB123_48:
	s_or_b64 exec, exec, s[2:3]
	v_cmp_ne_u32_e32 vcc, 9, v187
	s_waitcnt lgkmcnt(0)
	s_barrier
	s_and_saveexec_b64 s[2:3], vcc
	s_xor_b64 s[2:3], exec, s[2:3]
	s_andn2_saveexec_b64 s[2:3], s[2:3]
	s_cbranch_execz .LBB123_52
; %bb.49:
	s_waitcnt vmcnt(61)
	ds_write_b32 v189, v175
	s_waitcnt vmcnt(57)
	ds_write2_b64 v191, v[148:149], v[172:173] offset0:5 offset1:6
	s_waitcnt vmcnt(53)
	ds_write2_b64 v191, v[146:147], v[170:171] offset0:7 offset1:8
	;; [unrolled: 2-line block ×13, first 2 shown]
	ds_read_b32 v200, v189
	s_waitcnt lgkmcnt(0)
	v_cmp_neq_f32_e32 vcc, 0, v200
	s_and_saveexec_b64 s[4:5], vcc
	s_cbranch_execz .LBB123_51
; %bb.50:
	v_div_scale_f32 v201, s[10:11], v200, v200, 1.0
	v_rcp_f32_e32 v202, v201
	v_div_scale_f32 v203, vcc, 1.0, v200, 1.0
	v_fma_f32 v204, -v201, v202, 1.0
	v_fmac_f32_e32 v202, v204, v202
	v_mul_f32_e32 v204, v203, v202
	v_fma_f32 v205, -v201, v204, v203
	v_fmac_f32_e32 v204, v205, v202
	v_fma_f32 v201, -v201, v204, v203
	v_div_fmas_f32 v201, v201, v202, v204
	v_div_fixup_f32 v200, v201, v200, 1.0
	ds_write_b32 v189, v200
.LBB123_51:
	s_or_b64 exec, exec, s[4:5]
.LBB123_52:
	s_or_b64 exec, exec, s[2:3]
	s_waitcnt lgkmcnt(0)
	s_barrier
	ds_read_b32 v200, v189
	v_cmp_lt_u32_e32 vcc, 9, v187
	s_and_saveexec_b64 s[2:3], vcc
	s_cbranch_execz .LBB123_54
; %bb.53:
	ds_read2_b64 v[202:205], v191 offset0:5 offset1:6
	ds_read2_b64 v[206:209], v191 offset0:7 offset1:8
	s_waitcnt vmcnt(61) lgkmcnt(2)
	v_mul_f32_e32 v214, v200, v175
	ds_read2_b64 v[210:213], v191 offset0:9 offset1:10
	v_mov_b32_e32 v175, v214
	s_waitcnt vmcnt(59) lgkmcnt(2)
	v_pk_fma_f32 v[148:149], v[214:215], v[202:203], v[148:149] op_sel_hi:[0,1,1] neg_lo:[1,0,0] neg_hi:[1,0,0]
	s_waitcnt vmcnt(57)
	v_pk_fma_f32 v[172:173], v[214:215], v[204:205], v[172:173] op_sel_hi:[0,1,1] neg_lo:[1,0,0] neg_hi:[1,0,0]
	ds_read2_b64 v[202:205], v191 offset0:11 offset1:12
	s_waitcnt vmcnt(55) lgkmcnt(2)
	v_pk_fma_f32 v[146:147], v[214:215], v[206:207], v[146:147] op_sel_hi:[0,1,1] neg_lo:[1,0,0] neg_hi:[1,0,0]
	s_waitcnt vmcnt(53)
	v_pk_fma_f32 v[170:171], v[214:215], v[208:209], v[170:171] op_sel_hi:[0,1,1] neg_lo:[1,0,0] neg_hi:[1,0,0]
	s_waitcnt vmcnt(51) lgkmcnt(1)
	v_pk_fma_f32 v[144:145], v[214:215], v[210:211], v[144:145] op_sel_hi:[0,1,1] neg_lo:[1,0,0] neg_hi:[1,0,0]
	ds_read2_b64 v[206:209], v191 offset0:13 offset1:14
	s_waitcnt vmcnt(49)
	v_pk_fma_f32 v[168:169], v[214:215], v[212:213], v[168:169] op_sel_hi:[0,1,1] neg_lo:[1,0,0] neg_hi:[1,0,0]
	s_waitcnt vmcnt(47) lgkmcnt(1)
	v_pk_fma_f32 v[142:143], v[214:215], v[202:203], v[142:143] op_sel_hi:[0,1,1] neg_lo:[1,0,0] neg_hi:[1,0,0]
	ds_read2_b64 v[210:213], v191 offset0:15 offset1:16
	s_waitcnt vmcnt(45)
	v_pk_fma_f32 v[166:167], v[214:215], v[204:205], v[166:167] op_sel_hi:[0,1,1] neg_lo:[1,0,0] neg_hi:[1,0,0]
	ds_read2_b64 v[202:205], v191 offset0:17 offset1:18
	s_waitcnt vmcnt(43) lgkmcnt(2)
	v_pk_fma_f32 v[140:141], v[214:215], v[206:207], v[140:141] op_sel_hi:[0,1,1] neg_lo:[1,0,0] neg_hi:[1,0,0]
	s_waitcnt vmcnt(41)
	v_pk_fma_f32 v[164:165], v[214:215], v[208:209], v[164:165] op_sel_hi:[0,1,1] neg_lo:[1,0,0] neg_hi:[1,0,0]
	s_waitcnt vmcnt(39) lgkmcnt(1)
	v_pk_fma_f32 v[138:139], v[214:215], v[210:211], v[138:139] op_sel_hi:[0,1,1] neg_lo:[1,0,0] neg_hi:[1,0,0]
	ds_read2_b64 v[206:209], v191 offset0:19 offset1:20
	s_waitcnt vmcnt(37)
	v_pk_fma_f32 v[162:163], v[214:215], v[212:213], v[162:163] op_sel_hi:[0,1,1] neg_lo:[1,0,0] neg_hi:[1,0,0]
	s_waitcnt vmcnt(35) lgkmcnt(1)
	v_pk_fma_f32 v[136:137], v[214:215], v[202:203], v[136:137] op_sel_hi:[0,1,1] neg_lo:[1,0,0] neg_hi:[1,0,0]
	ds_read2_b64 v[210:213], v191 offset0:21 offset1:22
	s_waitcnt vmcnt(33)
	v_pk_fma_f32 v[160:161], v[214:215], v[204:205], v[160:161] op_sel_hi:[0,1,1] neg_lo:[1,0,0] neg_hi:[1,0,0]
	ds_read2_b64 v[202:205], v191 offset0:23 offset1:24
	s_waitcnt vmcnt(31) lgkmcnt(2)
	v_pk_fma_f32 v[134:135], v[214:215], v[206:207], v[134:135] op_sel_hi:[0,1,1] neg_lo:[1,0,0] neg_hi:[1,0,0]
	s_waitcnt vmcnt(29)
	v_pk_fma_f32 v[158:159], v[214:215], v[208:209], v[158:159] op_sel_hi:[0,1,1] neg_lo:[1,0,0] neg_hi:[1,0,0]
	s_waitcnt vmcnt(27) lgkmcnt(1)
	v_pk_fma_f32 v[132:133], v[214:215], v[210:211], v[132:133] op_sel_hi:[0,1,1] neg_lo:[1,0,0] neg_hi:[1,0,0]
	s_waitcnt vmcnt(25)
	v_pk_fma_f32 v[156:157], v[214:215], v[212:213], v[156:157] op_sel_hi:[0,1,1] neg_lo:[1,0,0] neg_hi:[1,0,0]
	ds_read2_b64 v[206:209], v191 offset0:25 offset1:26
	ds_read2_b64 v[210:213], v191 offset0:27 offset1:28
	s_waitcnt vmcnt(23) lgkmcnt(2)
	v_pk_fma_f32 v[130:131], v[214:215], v[202:203], v[130:131] op_sel_hi:[0,1,1] neg_lo:[1,0,0] neg_hi:[1,0,0]
	s_waitcnt vmcnt(21)
	v_pk_fma_f32 v[154:155], v[214:215], v[204:205], v[154:155] op_sel_hi:[0,1,1] neg_lo:[1,0,0] neg_hi:[1,0,0]
	ds_read2_b64 v[202:205], v191 offset0:29 offset1:30
	s_waitcnt vmcnt(19) lgkmcnt(2)
	v_pk_fma_f32 v[128:129], v[214:215], v[206:207], v[128:129] op_sel_hi:[0,1,1] neg_lo:[1,0,0] neg_hi:[1,0,0]
	s_waitcnt vmcnt(17)
	v_pk_fma_f32 v[152:153], v[214:215], v[208:209], v[152:153] op_sel_hi:[0,1,1] neg_lo:[1,0,0] neg_hi:[1,0,0]
	s_waitcnt vmcnt(15) lgkmcnt(1)
	v_pk_fma_f32 v[126:127], v[214:215], v[210:211], v[126:127] op_sel_hi:[0,1,1] neg_lo:[1,0,0] neg_hi:[1,0,0]
	s_waitcnt vmcnt(13)
	v_pk_fma_f32 v[150:151], v[214:215], v[212:213], v[150:151] op_sel_hi:[0,1,1] neg_lo:[1,0,0] neg_hi:[1,0,0]
	;; [unrolled: 4-line block ×3, first 2 shown]
.LBB123_54:
	s_or_b64 exec, exec, s[2:3]
	v_cmp_eq_u32_e32 vcc, 10, v187
	s_waitcnt lgkmcnt(0)
	s_barrier
	s_and_saveexec_b64 s[2:3], vcc
	s_cbranch_execz .LBB123_57
; %bb.55:
	s_waitcnt vmcnt(57)
	v_pk_mov_b32 v[202:203], v[148:149], v[172:173] op_sel:[1,0]
	ds_write_b32 v189, v148
	ds_write2_b32 v191, v202, v203 offset0:11 offset1:12
	s_waitcnt vmcnt(55)
	v_pk_mov_b32 v[202:203], v[172:173], v[146:147] op_sel:[1,0]
	ds_write2_b32 v191, v202, v203 offset0:13 offset1:14
	s_waitcnt vmcnt(53)
	v_pk_mov_b32 v[202:203], v[146:147], v[170:171] op_sel:[1,0]
	;; [unrolled: 3-line block ×24, first 2 shown]
	ds_write2_b32 v191, v202, v203 offset0:59 offset1:60
	ds_write_b32 v191, v177 offset:244
	ds_read_b32 v201, v189
	s_waitcnt lgkmcnt(0)
	v_cmp_neq_f32_e32 vcc, 0, v201
	s_and_b64 exec, exec, vcc
	s_cbranch_execz .LBB123_57
; %bb.56:
	v_div_scale_f32 v202, s[4:5], v201, v201, 1.0
	v_rcp_f32_e32 v203, v202
	v_div_scale_f32 v204, vcc, 1.0, v201, 1.0
	v_fma_f32 v205, -v202, v203, 1.0
	v_fmac_f32_e32 v203, v205, v203
	v_mul_f32_e32 v205, v204, v203
	v_fma_f32 v206, -v202, v205, v204
	v_fmac_f32_e32 v205, v206, v203
	v_fma_f32 v202, -v202, v205, v204
	v_div_fmas_f32 v202, v202, v203, v205
	v_div_fixup_f32 v201, v202, v201, 1.0
	ds_write_b32 v189, v201
.LBB123_57:
	s_or_b64 exec, exec, s[2:3]
	s_waitcnt lgkmcnt(0)
	s_barrier
	ds_read_b32 v201, v189
	v_cmp_lt_u32_e32 vcc, 10, v187
	s_and_saveexec_b64 s[2:3], vcc
	s_cbranch_execz .LBB123_59
; %bb.58:
	ds_read_b32 v214, v191 offset:44
	ds_read2_b64 v[202:205], v191 offset0:6 offset1:7
	s_waitcnt vmcnt(60) lgkmcnt(2)
	v_mul_f32_e32 v148, v201, v148
	ds_read2_b64 v[206:209], v191 offset0:8 offset1:9
	ds_read2_b64 v[210:213], v191 offset0:10 offset1:11
	s_waitcnt vmcnt(59) lgkmcnt(3)
	v_fma_f32 v149, -v148, v214, v149
	s_waitcnt vmcnt(57) lgkmcnt(2)
	v_pk_fma_f32 v[172:173], v[148:149], v[202:203], v[172:173] op_sel_hi:[0,1,1] neg_lo:[1,0,0] neg_hi:[1,0,0]
	s_waitcnt vmcnt(55)
	v_pk_fma_f32 v[146:147], v[148:149], v[204:205], v[146:147] op_sel_hi:[0,1,1] neg_lo:[1,0,0] neg_hi:[1,0,0]
	ds_read2_b64 v[202:205], v191 offset0:12 offset1:13
	s_waitcnt vmcnt(53) lgkmcnt(2)
	v_pk_fma_f32 v[170:171], v[148:149], v[206:207], v[170:171] op_sel_hi:[0,1,1] neg_lo:[1,0,0] neg_hi:[1,0,0]
	s_waitcnt vmcnt(51)
	v_pk_fma_f32 v[144:145], v[148:149], v[208:209], v[144:145] op_sel_hi:[0,1,1] neg_lo:[1,0,0] neg_hi:[1,0,0]
	s_waitcnt vmcnt(49) lgkmcnt(1)
	v_pk_fma_f32 v[168:169], v[148:149], v[210:211], v[168:169] op_sel_hi:[0,1,1] neg_lo:[1,0,0] neg_hi:[1,0,0]
	ds_read2_b64 v[206:209], v191 offset0:14 offset1:15
	s_waitcnt vmcnt(47)
	v_pk_fma_f32 v[142:143], v[148:149], v[212:213], v[142:143] op_sel_hi:[0,1,1] neg_lo:[1,0,0] neg_hi:[1,0,0]
	s_waitcnt vmcnt(45) lgkmcnt(1)
	v_pk_fma_f32 v[166:167], v[148:149], v[202:203], v[166:167] op_sel_hi:[0,1,1] neg_lo:[1,0,0] neg_hi:[1,0,0]
	ds_read2_b64 v[210:213], v191 offset0:16 offset1:17
	s_waitcnt vmcnt(43)
	v_pk_fma_f32 v[140:141], v[148:149], v[204:205], v[140:141] op_sel_hi:[0,1,1] neg_lo:[1,0,0] neg_hi:[1,0,0]
	ds_read2_b64 v[202:205], v191 offset0:18 offset1:19
	s_waitcnt vmcnt(41) lgkmcnt(2)
	v_pk_fma_f32 v[164:165], v[148:149], v[206:207], v[164:165] op_sel_hi:[0,1,1] neg_lo:[1,0,0] neg_hi:[1,0,0]
	s_waitcnt vmcnt(39)
	v_pk_fma_f32 v[138:139], v[148:149], v[208:209], v[138:139] op_sel_hi:[0,1,1] neg_lo:[1,0,0] neg_hi:[1,0,0]
	s_waitcnt vmcnt(37) lgkmcnt(1)
	v_pk_fma_f32 v[162:163], v[148:149], v[210:211], v[162:163] op_sel_hi:[0,1,1] neg_lo:[1,0,0] neg_hi:[1,0,0]
	ds_read2_b64 v[206:209], v191 offset0:20 offset1:21
	s_waitcnt vmcnt(35)
	v_pk_fma_f32 v[136:137], v[148:149], v[212:213], v[136:137] op_sel_hi:[0,1,1] neg_lo:[1,0,0] neg_hi:[1,0,0]
	s_waitcnt vmcnt(33) lgkmcnt(1)
	v_pk_fma_f32 v[160:161], v[148:149], v[202:203], v[160:161] op_sel_hi:[0,1,1] neg_lo:[1,0,0] neg_hi:[1,0,0]
	ds_read2_b64 v[210:213], v191 offset0:22 offset1:23
	s_waitcnt vmcnt(31)
	v_pk_fma_f32 v[134:135], v[148:149], v[204:205], v[134:135] op_sel_hi:[0,1,1] neg_lo:[1,0,0] neg_hi:[1,0,0]
	ds_read2_b64 v[202:205], v191 offset0:24 offset1:25
	s_waitcnt vmcnt(29) lgkmcnt(2)
	v_pk_fma_f32 v[158:159], v[148:149], v[206:207], v[158:159] op_sel_hi:[0,1,1] neg_lo:[1,0,0] neg_hi:[1,0,0]
	s_waitcnt vmcnt(27)
	v_pk_fma_f32 v[132:133], v[148:149], v[208:209], v[132:133] op_sel_hi:[0,1,1] neg_lo:[1,0,0] neg_hi:[1,0,0]
	s_waitcnt vmcnt(25) lgkmcnt(1)
	v_pk_fma_f32 v[156:157], v[148:149], v[210:211], v[156:157] op_sel_hi:[0,1,1] neg_lo:[1,0,0] neg_hi:[1,0,0]
	s_waitcnt vmcnt(23)
	v_pk_fma_f32 v[130:131], v[148:149], v[212:213], v[130:131] op_sel_hi:[0,1,1] neg_lo:[1,0,0] neg_hi:[1,0,0]
	ds_read2_b64 v[206:209], v191 offset0:26 offset1:27
	s_waitcnt vmcnt(21) lgkmcnt(1)
	v_pk_fma_f32 v[154:155], v[148:149], v[202:203], v[154:155] op_sel_hi:[0,1,1] neg_lo:[1,0,0] neg_hi:[1,0,0]
	ds_read2_b64 v[210:213], v191 offset0:28 offset1:29
	ds_read_b64 v[202:203], v191 offset:240
	s_waitcnt vmcnt(19)
	v_pk_fma_f32 v[128:129], v[148:149], v[204:205], v[128:129] op_sel_hi:[0,1,1] neg_lo:[1,0,0] neg_hi:[1,0,0]
	s_waitcnt vmcnt(17) lgkmcnt(2)
	v_pk_fma_f32 v[152:153], v[148:149], v[206:207], v[152:153] op_sel_hi:[0,1,1] neg_lo:[1,0,0] neg_hi:[1,0,0]
	s_waitcnt vmcnt(15)
	v_pk_fma_f32 v[126:127], v[148:149], v[208:209], v[126:127] op_sel_hi:[0,1,1] neg_lo:[1,0,0] neg_hi:[1,0,0]
	s_waitcnt vmcnt(13) lgkmcnt(1)
	v_pk_fma_f32 v[150:151], v[148:149], v[210:211], v[150:151] op_sel_hi:[0,1,1] neg_lo:[1,0,0] neg_hi:[1,0,0]
	;; [unrolled: 4-line block ×3, first 2 shown]
.LBB123_59:
	s_or_b64 exec, exec, s[2:3]
	v_cmp_ne_u32_e32 vcc, 11, v187
	s_waitcnt lgkmcnt(0)
	s_barrier
	s_and_saveexec_b64 s[2:3], vcc
	s_xor_b64 s[2:3], exec, s[2:3]
	s_andn2_saveexec_b64 s[2:3], s[2:3]
	s_cbranch_execz .LBB123_63
; %bb.60:
	s_waitcnt vmcnt(58)
	v_mov_b32_e32 v202, v172
	s_waitcnt vmcnt(57)
	v_mov_b32_e32 v203, v173
	;; [unrolled: 2-line block ×4, first 2 shown]
	ds_write_b32 v189, v149
	ds_write2_b64 v191, v[202:203], v[204:205] offset0:6 offset1:7
	s_waitcnt vmcnt(54)
	v_mov_b32_e32 v202, v170
	s_waitcnt vmcnt(53)
	v_mov_b32_e32 v203, v171
	s_waitcnt vmcnt(52)
	v_mov_b32_e32 v204, v144
	s_waitcnt vmcnt(51)
	v_mov_b32_e32 v205, v145
	ds_write2_b64 v191, v[202:203], v[204:205] offset0:8 offset1:9
	s_waitcnt vmcnt(50)
	v_mov_b32_e32 v202, v168
	s_waitcnt vmcnt(49)
	v_mov_b32_e32 v203, v169
	s_waitcnt vmcnt(48)
	v_mov_b32_e32 v204, v142
	s_waitcnt vmcnt(47)
	v_mov_b32_e32 v205, v143
	;; [unrolled: 9-line block ×11, first 2 shown]
	ds_write2_b64 v191, v[202:203], v[204:205] offset0:28 offset1:29
	s_waitcnt vmcnt(9)
	ds_write_b64 v191, v[176:177] offset:240
	ds_read_b32 v202, v189
	s_waitcnt lgkmcnt(0)
	v_cmp_neq_f32_e32 vcc, 0, v202
	s_and_saveexec_b64 s[4:5], vcc
	s_cbranch_execz .LBB123_62
; %bb.61:
	v_div_scale_f32 v203, s[10:11], v202, v202, 1.0
	v_rcp_f32_e32 v204, v203
	v_div_scale_f32 v205, vcc, 1.0, v202, 1.0
	v_fma_f32 v206, -v203, v204, 1.0
	v_fmac_f32_e32 v204, v206, v204
	v_mul_f32_e32 v206, v205, v204
	v_fma_f32 v207, -v203, v206, v205
	v_fmac_f32_e32 v206, v207, v204
	v_fma_f32 v203, -v203, v206, v205
	v_div_fmas_f32 v203, v203, v204, v206
	v_div_fixup_f32 v202, v203, v202, 1.0
	ds_write_b32 v189, v202
.LBB123_62:
	s_or_b64 exec, exec, s[4:5]
.LBB123_63:
	s_or_b64 exec, exec, s[2:3]
	s_waitcnt lgkmcnt(0)
	s_barrier
	ds_read_b32 v202, v189
	v_cmp_lt_u32_e32 vcc, 11, v187
	s_and_saveexec_b64 s[2:3], vcc
	s_cbranch_execz .LBB123_65
; %bb.64:
	ds_read2_b64 v[204:207], v191 offset0:6 offset1:7
	ds_read2_b64 v[208:211], v191 offset0:8 offset1:9
	s_waitcnt vmcnt(59) lgkmcnt(2)
	v_mul_f32_e32 v216, v202, v149
	ds_read2_b64 v[212:215], v191 offset0:10 offset1:11
	v_mov_b32_e32 v149, v216
	s_waitcnt vmcnt(57) lgkmcnt(2)
	v_pk_fma_f32 v[172:173], v[216:217], v[204:205], v[172:173] op_sel_hi:[0,1,1] neg_lo:[1,0,0] neg_hi:[1,0,0]
	s_waitcnt vmcnt(55)
	v_pk_fma_f32 v[146:147], v[216:217], v[206:207], v[146:147] op_sel_hi:[0,1,1] neg_lo:[1,0,0] neg_hi:[1,0,0]
	ds_read2_b64 v[204:207], v191 offset0:12 offset1:13
	s_waitcnt vmcnt(53) lgkmcnt(2)
	v_pk_fma_f32 v[170:171], v[216:217], v[208:209], v[170:171] op_sel_hi:[0,1,1] neg_lo:[1,0,0] neg_hi:[1,0,0]
	s_waitcnt vmcnt(51)
	v_pk_fma_f32 v[144:145], v[216:217], v[210:211], v[144:145] op_sel_hi:[0,1,1] neg_lo:[1,0,0] neg_hi:[1,0,0]
	s_waitcnt vmcnt(49) lgkmcnt(1)
	v_pk_fma_f32 v[168:169], v[216:217], v[212:213], v[168:169] op_sel_hi:[0,1,1] neg_lo:[1,0,0] neg_hi:[1,0,0]
	ds_read2_b64 v[208:211], v191 offset0:14 offset1:15
	s_waitcnt vmcnt(47)
	v_pk_fma_f32 v[142:143], v[216:217], v[214:215], v[142:143] op_sel_hi:[0,1,1] neg_lo:[1,0,0] neg_hi:[1,0,0]
	s_waitcnt vmcnt(45) lgkmcnt(1)
	v_pk_fma_f32 v[166:167], v[216:217], v[204:205], v[166:167] op_sel_hi:[0,1,1] neg_lo:[1,0,0] neg_hi:[1,0,0]
	ds_read2_b64 v[212:215], v191 offset0:16 offset1:17
	s_waitcnt vmcnt(43)
	v_pk_fma_f32 v[140:141], v[216:217], v[206:207], v[140:141] op_sel_hi:[0,1,1] neg_lo:[1,0,0] neg_hi:[1,0,0]
	ds_read2_b64 v[204:207], v191 offset0:18 offset1:19
	s_waitcnt vmcnt(41) lgkmcnt(2)
	v_pk_fma_f32 v[164:165], v[216:217], v[208:209], v[164:165] op_sel_hi:[0,1,1] neg_lo:[1,0,0] neg_hi:[1,0,0]
	s_waitcnt vmcnt(39)
	v_pk_fma_f32 v[138:139], v[216:217], v[210:211], v[138:139] op_sel_hi:[0,1,1] neg_lo:[1,0,0] neg_hi:[1,0,0]
	s_waitcnt vmcnt(37) lgkmcnt(1)
	v_pk_fma_f32 v[162:163], v[216:217], v[212:213], v[162:163] op_sel_hi:[0,1,1] neg_lo:[1,0,0] neg_hi:[1,0,0]
	ds_read2_b64 v[208:211], v191 offset0:20 offset1:21
	s_waitcnt vmcnt(35)
	v_pk_fma_f32 v[136:137], v[216:217], v[214:215], v[136:137] op_sel_hi:[0,1,1] neg_lo:[1,0,0] neg_hi:[1,0,0]
	s_waitcnt vmcnt(33) lgkmcnt(1)
	v_pk_fma_f32 v[160:161], v[216:217], v[204:205], v[160:161] op_sel_hi:[0,1,1] neg_lo:[1,0,0] neg_hi:[1,0,0]
	ds_read2_b64 v[212:215], v191 offset0:22 offset1:23
	s_waitcnt vmcnt(31)
	v_pk_fma_f32 v[134:135], v[216:217], v[206:207], v[134:135] op_sel_hi:[0,1,1] neg_lo:[1,0,0] neg_hi:[1,0,0]
	ds_read2_b64 v[204:207], v191 offset0:24 offset1:25
	s_waitcnt vmcnt(29) lgkmcnt(2)
	v_pk_fma_f32 v[158:159], v[216:217], v[208:209], v[158:159] op_sel_hi:[0,1,1] neg_lo:[1,0,0] neg_hi:[1,0,0]
	s_waitcnt vmcnt(27)
	v_pk_fma_f32 v[132:133], v[216:217], v[210:211], v[132:133] op_sel_hi:[0,1,1] neg_lo:[1,0,0] neg_hi:[1,0,0]
	s_waitcnt vmcnt(25) lgkmcnt(1)
	v_pk_fma_f32 v[156:157], v[216:217], v[212:213], v[156:157] op_sel_hi:[0,1,1] neg_lo:[1,0,0] neg_hi:[1,0,0]
	s_waitcnt vmcnt(23)
	v_pk_fma_f32 v[130:131], v[216:217], v[214:215], v[130:131] op_sel_hi:[0,1,1] neg_lo:[1,0,0] neg_hi:[1,0,0]
	ds_read2_b64 v[208:211], v191 offset0:26 offset1:27
	ds_read2_b64 v[212:215], v191 offset0:28 offset1:29
	s_waitcnt vmcnt(21) lgkmcnt(2)
	v_pk_fma_f32 v[154:155], v[216:217], v[204:205], v[154:155] op_sel_hi:[0,1,1] neg_lo:[1,0,0] neg_hi:[1,0,0]
	ds_read_b64 v[204:205], v191 offset:240
	s_waitcnt vmcnt(19)
	v_pk_fma_f32 v[128:129], v[216:217], v[206:207], v[128:129] op_sel_hi:[0,1,1] neg_lo:[1,0,0] neg_hi:[1,0,0]
	s_waitcnt vmcnt(17) lgkmcnt(2)
	v_pk_fma_f32 v[152:153], v[216:217], v[208:209], v[152:153] op_sel_hi:[0,1,1] neg_lo:[1,0,0] neg_hi:[1,0,0]
	s_waitcnt vmcnt(15)
	v_pk_fma_f32 v[126:127], v[216:217], v[210:211], v[126:127] op_sel_hi:[0,1,1] neg_lo:[1,0,0] neg_hi:[1,0,0]
	s_waitcnt vmcnt(13) lgkmcnt(1)
	v_pk_fma_f32 v[150:151], v[216:217], v[212:213], v[150:151] op_sel_hi:[0,1,1] neg_lo:[1,0,0] neg_hi:[1,0,0]
	s_waitcnt vmcnt(11)
	v_pk_fma_f32 v[124:125], v[216:217], v[214:215], v[124:125] op_sel_hi:[0,1,1] neg_lo:[1,0,0] neg_hi:[1,0,0]
	s_waitcnt vmcnt(9) lgkmcnt(0)
	v_pk_fma_f32 v[176:177], v[216:217], v[204:205], v[176:177] op_sel_hi:[0,1,1] neg_lo:[1,0,0] neg_hi:[1,0,0]
.LBB123_65:
	s_or_b64 exec, exec, s[2:3]
	v_cmp_eq_u32_e32 vcc, 12, v187
	s_waitcnt lgkmcnt(0)
	s_barrier
	s_and_saveexec_b64 s[2:3], vcc
	s_cbranch_execz .LBB123_68
; %bb.66:
	s_waitcnt vmcnt(55)
	v_pk_mov_b32 v[204:205], v[172:173], v[146:147] op_sel:[1,0]
	ds_write_b32 v189, v172
	ds_write2_b32 v191, v204, v205 offset0:13 offset1:14
	s_waitcnt vmcnt(53)
	v_pk_mov_b32 v[204:205], v[146:147], v[170:171] op_sel:[1,0]
	ds_write2_b32 v191, v204, v205 offset0:15 offset1:16
	s_waitcnt vmcnt(51)
	v_pk_mov_b32 v[204:205], v[170:171], v[144:145] op_sel:[1,0]
	;; [unrolled: 3-line block ×23, first 2 shown]
	ds_write2_b32 v191, v204, v205 offset0:59 offset1:60
	ds_write_b32 v191, v177 offset:244
	ds_read_b32 v203, v189
	s_waitcnt lgkmcnt(0)
	v_cmp_neq_f32_e32 vcc, 0, v203
	s_and_b64 exec, exec, vcc
	s_cbranch_execz .LBB123_68
; %bb.67:
	v_div_scale_f32 v204, s[4:5], v203, v203, 1.0
	v_rcp_f32_e32 v205, v204
	v_div_scale_f32 v206, vcc, 1.0, v203, 1.0
	v_fma_f32 v207, -v204, v205, 1.0
	v_fmac_f32_e32 v205, v207, v205
	v_mul_f32_e32 v207, v206, v205
	v_fma_f32 v208, -v204, v207, v206
	v_fmac_f32_e32 v207, v208, v205
	v_fma_f32 v204, -v204, v207, v206
	v_div_fmas_f32 v204, v204, v205, v207
	v_div_fixup_f32 v203, v204, v203, 1.0
	ds_write_b32 v189, v203
.LBB123_68:
	s_or_b64 exec, exec, s[2:3]
	s_waitcnt lgkmcnt(0)
	s_barrier
	ds_read_b32 v203, v189
	v_cmp_lt_u32_e32 vcc, 12, v187
	s_and_saveexec_b64 s[2:3], vcc
	s_cbranch_execz .LBB123_70
; %bb.69:
	ds_read_b32 v216, v191 offset:52
	ds_read2_b64 v[204:207], v191 offset0:7 offset1:8
	ds_read2_b64 v[208:211], v191 offset0:9 offset1:10
	;; [unrolled: 1-line block ×3, first 2 shown]
	s_waitcnt vmcnt(58) lgkmcnt(4)
	v_mul_f32_e32 v172, v203, v172
	s_waitcnt vmcnt(57) lgkmcnt(3)
	v_fma_f32 v173, -v172, v216, v173
	s_waitcnt vmcnt(55) lgkmcnt(2)
	v_pk_fma_f32 v[146:147], v[172:173], v[204:205], v[146:147] op_sel_hi:[0,1,1] neg_lo:[1,0,0] neg_hi:[1,0,0]
	s_waitcnt vmcnt(53)
	v_pk_fma_f32 v[170:171], v[172:173], v[206:207], v[170:171] op_sel_hi:[0,1,1] neg_lo:[1,0,0] neg_hi:[1,0,0]
	s_waitcnt vmcnt(51) lgkmcnt(1)
	v_pk_fma_f32 v[144:145], v[172:173], v[208:209], v[144:145] op_sel_hi:[0,1,1] neg_lo:[1,0,0] neg_hi:[1,0,0]
	ds_read2_b64 v[204:207], v191 offset0:13 offset1:14
	s_waitcnt vmcnt(49)
	v_pk_fma_f32 v[168:169], v[172:173], v[210:211], v[168:169] op_sel_hi:[0,1,1] neg_lo:[1,0,0] neg_hi:[1,0,0]
	s_waitcnt vmcnt(47) lgkmcnt(1)
	v_pk_fma_f32 v[142:143], v[172:173], v[212:213], v[142:143] op_sel_hi:[0,1,1] neg_lo:[1,0,0] neg_hi:[1,0,0]
	ds_read2_b64 v[208:211], v191 offset0:15 offset1:16
	s_waitcnt vmcnt(45)
	v_pk_fma_f32 v[166:167], v[172:173], v[214:215], v[166:167] op_sel_hi:[0,1,1] neg_lo:[1,0,0] neg_hi:[1,0,0]
	ds_read2_b64 v[212:215], v191 offset0:17 offset1:18
	s_waitcnt vmcnt(43) lgkmcnt(2)
	v_pk_fma_f32 v[140:141], v[172:173], v[204:205], v[140:141] op_sel_hi:[0,1,1] neg_lo:[1,0,0] neg_hi:[1,0,0]
	s_waitcnt vmcnt(41)
	v_pk_fma_f32 v[164:165], v[172:173], v[206:207], v[164:165] op_sel_hi:[0,1,1] neg_lo:[1,0,0] neg_hi:[1,0,0]
	s_waitcnt vmcnt(39) lgkmcnt(1)
	v_pk_fma_f32 v[138:139], v[172:173], v[208:209], v[138:139] op_sel_hi:[0,1,1] neg_lo:[1,0,0] neg_hi:[1,0,0]
	ds_read2_b64 v[204:207], v191 offset0:19 offset1:20
	s_waitcnt vmcnt(37)
	v_pk_fma_f32 v[162:163], v[172:173], v[210:211], v[162:163] op_sel_hi:[0,1,1] neg_lo:[1,0,0] neg_hi:[1,0,0]
	s_waitcnt vmcnt(35) lgkmcnt(1)
	v_pk_fma_f32 v[136:137], v[172:173], v[212:213], v[136:137] op_sel_hi:[0,1,1] neg_lo:[1,0,0] neg_hi:[1,0,0]
	ds_read2_b64 v[208:211], v191 offset0:21 offset1:22
	s_waitcnt vmcnt(33)
	v_pk_fma_f32 v[160:161], v[172:173], v[214:215], v[160:161] op_sel_hi:[0,1,1] neg_lo:[1,0,0] neg_hi:[1,0,0]
	ds_read2_b64 v[212:215], v191 offset0:23 offset1:24
	s_waitcnt vmcnt(31) lgkmcnt(2)
	v_pk_fma_f32 v[134:135], v[172:173], v[204:205], v[134:135] op_sel_hi:[0,1,1] neg_lo:[1,0,0] neg_hi:[1,0,0]
	s_waitcnt vmcnt(29)
	v_pk_fma_f32 v[158:159], v[172:173], v[206:207], v[158:159] op_sel_hi:[0,1,1] neg_lo:[1,0,0] neg_hi:[1,0,0]
	s_waitcnt vmcnt(27) lgkmcnt(1)
	v_pk_fma_f32 v[132:133], v[172:173], v[208:209], v[132:133] op_sel_hi:[0,1,1] neg_lo:[1,0,0] neg_hi:[1,0,0]
	s_waitcnt vmcnt(25)
	v_pk_fma_f32 v[156:157], v[172:173], v[210:211], v[156:157] op_sel_hi:[0,1,1] neg_lo:[1,0,0] neg_hi:[1,0,0]
	ds_read2_b64 v[204:207], v191 offset0:25 offset1:26
	ds_read2_b64 v[208:211], v191 offset0:27 offset1:28
	s_waitcnt vmcnt(23) lgkmcnt(2)
	v_pk_fma_f32 v[130:131], v[172:173], v[212:213], v[130:131] op_sel_hi:[0,1,1] neg_lo:[1,0,0] neg_hi:[1,0,0]
	s_waitcnt vmcnt(21)
	v_pk_fma_f32 v[154:155], v[172:173], v[214:215], v[154:155] op_sel_hi:[0,1,1] neg_lo:[1,0,0] neg_hi:[1,0,0]
	ds_read2_b64 v[212:215], v191 offset0:29 offset1:30
	s_waitcnt vmcnt(19) lgkmcnt(2)
	v_pk_fma_f32 v[128:129], v[172:173], v[204:205], v[128:129] op_sel_hi:[0,1,1] neg_lo:[1,0,0] neg_hi:[1,0,0]
	s_waitcnt vmcnt(17)
	v_pk_fma_f32 v[152:153], v[172:173], v[206:207], v[152:153] op_sel_hi:[0,1,1] neg_lo:[1,0,0] neg_hi:[1,0,0]
	s_waitcnt vmcnt(15) lgkmcnt(1)
	v_pk_fma_f32 v[126:127], v[172:173], v[208:209], v[126:127] op_sel_hi:[0,1,1] neg_lo:[1,0,0] neg_hi:[1,0,0]
	s_waitcnt vmcnt(13)
	v_pk_fma_f32 v[150:151], v[172:173], v[210:211], v[150:151] op_sel_hi:[0,1,1] neg_lo:[1,0,0] neg_hi:[1,0,0]
	;; [unrolled: 4-line block ×3, first 2 shown]
.LBB123_70:
	s_or_b64 exec, exec, s[2:3]
	v_cmp_ne_u32_e32 vcc, 13, v187
	s_waitcnt lgkmcnt(0)
	s_barrier
	s_and_saveexec_b64 s[2:3], vcc
	s_xor_b64 s[2:3], exec, s[2:3]
	s_andn2_saveexec_b64 s[2:3], s[2:3]
	s_cbranch_execz .LBB123_74
; %bb.71:
	s_waitcnt vmcnt(57)
	ds_write_b32 v189, v173
	s_waitcnt vmcnt(53)
	ds_write2_b64 v191, v[146:147], v[170:171] offset0:7 offset1:8
	s_waitcnt vmcnt(49)
	ds_write2_b64 v191, v[144:145], v[168:169] offset0:9 offset1:10
	;; [unrolled: 2-line block ×12, first 2 shown]
	ds_read_b32 v204, v189
	s_waitcnt lgkmcnt(0)
	v_cmp_neq_f32_e32 vcc, 0, v204
	s_and_saveexec_b64 s[4:5], vcc
	s_cbranch_execz .LBB123_73
; %bb.72:
	v_div_scale_f32 v205, s[10:11], v204, v204, 1.0
	v_rcp_f32_e32 v206, v205
	v_div_scale_f32 v207, vcc, 1.0, v204, 1.0
	v_fma_f32 v208, -v205, v206, 1.0
	v_fmac_f32_e32 v206, v208, v206
	v_mul_f32_e32 v208, v207, v206
	v_fma_f32 v209, -v205, v208, v207
	v_fmac_f32_e32 v208, v209, v206
	v_fma_f32 v205, -v205, v208, v207
	v_div_fmas_f32 v205, v205, v206, v208
	v_div_fixup_f32 v204, v205, v204, 1.0
	ds_write_b32 v189, v204
.LBB123_73:
	s_or_b64 exec, exec, s[4:5]
.LBB123_74:
	s_or_b64 exec, exec, s[2:3]
	s_waitcnt lgkmcnt(0)
	s_barrier
	ds_read_b32 v204, v189
	v_cmp_lt_u32_e32 vcc, 13, v187
	s_and_saveexec_b64 s[2:3], vcc
	s_cbranch_execz .LBB123_76
; %bb.75:
	ds_read2_b64 v[206:209], v191 offset0:7 offset1:8
	ds_read2_b64 v[210:213], v191 offset0:9 offset1:10
	;; [unrolled: 1-line block ×3, first 2 shown]
	s_waitcnt vmcnt(57) lgkmcnt(3)
	v_mul_f32_e32 v218, v204, v173
	v_mov_b32_e32 v173, v218
	s_waitcnt vmcnt(55) lgkmcnt(2)
	v_pk_fma_f32 v[146:147], v[218:219], v[206:207], v[146:147] op_sel_hi:[0,1,1] neg_lo:[1,0,0] neg_hi:[1,0,0]
	s_waitcnt vmcnt(53)
	v_pk_fma_f32 v[170:171], v[218:219], v[208:209], v[170:171] op_sel_hi:[0,1,1] neg_lo:[1,0,0] neg_hi:[1,0,0]
	s_waitcnt vmcnt(51) lgkmcnt(1)
	v_pk_fma_f32 v[144:145], v[218:219], v[210:211], v[144:145] op_sel_hi:[0,1,1] neg_lo:[1,0,0] neg_hi:[1,0,0]
	ds_read2_b64 v[206:209], v191 offset0:13 offset1:14
	s_waitcnt vmcnt(49)
	v_pk_fma_f32 v[168:169], v[218:219], v[212:213], v[168:169] op_sel_hi:[0,1,1] neg_lo:[1,0,0] neg_hi:[1,0,0]
	s_waitcnt vmcnt(47) lgkmcnt(1)
	v_pk_fma_f32 v[142:143], v[218:219], v[214:215], v[142:143] op_sel_hi:[0,1,1] neg_lo:[1,0,0] neg_hi:[1,0,0]
	ds_read2_b64 v[210:213], v191 offset0:15 offset1:16
	s_waitcnt vmcnt(45)
	v_pk_fma_f32 v[166:167], v[218:219], v[216:217], v[166:167] op_sel_hi:[0,1,1] neg_lo:[1,0,0] neg_hi:[1,0,0]
	ds_read2_b64 v[214:217], v191 offset0:17 offset1:18
	s_waitcnt vmcnt(43) lgkmcnt(2)
	v_pk_fma_f32 v[140:141], v[218:219], v[206:207], v[140:141] op_sel_hi:[0,1,1] neg_lo:[1,0,0] neg_hi:[1,0,0]
	s_waitcnt vmcnt(41)
	v_pk_fma_f32 v[164:165], v[218:219], v[208:209], v[164:165] op_sel_hi:[0,1,1] neg_lo:[1,0,0] neg_hi:[1,0,0]
	s_waitcnt vmcnt(39) lgkmcnt(1)
	v_pk_fma_f32 v[138:139], v[218:219], v[210:211], v[138:139] op_sel_hi:[0,1,1] neg_lo:[1,0,0] neg_hi:[1,0,0]
	ds_read2_b64 v[206:209], v191 offset0:19 offset1:20
	s_waitcnt vmcnt(37)
	v_pk_fma_f32 v[162:163], v[218:219], v[212:213], v[162:163] op_sel_hi:[0,1,1] neg_lo:[1,0,0] neg_hi:[1,0,0]
	s_waitcnt vmcnt(35) lgkmcnt(1)
	v_pk_fma_f32 v[136:137], v[218:219], v[214:215], v[136:137] op_sel_hi:[0,1,1] neg_lo:[1,0,0] neg_hi:[1,0,0]
	ds_read2_b64 v[210:213], v191 offset0:21 offset1:22
	s_waitcnt vmcnt(33)
	v_pk_fma_f32 v[160:161], v[218:219], v[216:217], v[160:161] op_sel_hi:[0,1,1] neg_lo:[1,0,0] neg_hi:[1,0,0]
	ds_read2_b64 v[214:217], v191 offset0:23 offset1:24
	s_waitcnt vmcnt(31) lgkmcnt(2)
	v_pk_fma_f32 v[134:135], v[218:219], v[206:207], v[134:135] op_sel_hi:[0,1,1] neg_lo:[1,0,0] neg_hi:[1,0,0]
	s_waitcnt vmcnt(29)
	v_pk_fma_f32 v[158:159], v[218:219], v[208:209], v[158:159] op_sel_hi:[0,1,1] neg_lo:[1,0,0] neg_hi:[1,0,0]
	s_waitcnt vmcnt(27) lgkmcnt(1)
	v_pk_fma_f32 v[132:133], v[218:219], v[210:211], v[132:133] op_sel_hi:[0,1,1] neg_lo:[1,0,0] neg_hi:[1,0,0]
	s_waitcnt vmcnt(25)
	v_pk_fma_f32 v[156:157], v[218:219], v[212:213], v[156:157] op_sel_hi:[0,1,1] neg_lo:[1,0,0] neg_hi:[1,0,0]
	ds_read2_b64 v[206:209], v191 offset0:25 offset1:26
	s_waitcnt vmcnt(23) lgkmcnt(1)
	v_pk_fma_f32 v[130:131], v[218:219], v[214:215], v[130:131] op_sel_hi:[0,1,1] neg_lo:[1,0,0] neg_hi:[1,0,0]
	ds_read2_b64 v[210:213], v191 offset0:27 offset1:28
	s_waitcnt vmcnt(21)
	v_pk_fma_f32 v[154:155], v[218:219], v[216:217], v[154:155] op_sel_hi:[0,1,1] neg_lo:[1,0,0] neg_hi:[1,0,0]
	ds_read2_b64 v[214:217], v191 offset0:29 offset1:30
	s_waitcnt vmcnt(19) lgkmcnt(2)
	v_pk_fma_f32 v[128:129], v[218:219], v[206:207], v[128:129] op_sel_hi:[0,1,1] neg_lo:[1,0,0] neg_hi:[1,0,0]
	s_waitcnt vmcnt(17)
	v_pk_fma_f32 v[152:153], v[218:219], v[208:209], v[152:153] op_sel_hi:[0,1,1] neg_lo:[1,0,0] neg_hi:[1,0,0]
	s_waitcnt vmcnt(15) lgkmcnt(1)
	v_pk_fma_f32 v[126:127], v[218:219], v[210:211], v[126:127] op_sel_hi:[0,1,1] neg_lo:[1,0,0] neg_hi:[1,0,0]
	s_waitcnt vmcnt(13)
	v_pk_fma_f32 v[150:151], v[218:219], v[212:213], v[150:151] op_sel_hi:[0,1,1] neg_lo:[1,0,0] neg_hi:[1,0,0]
	;; [unrolled: 4-line block ×3, first 2 shown]
.LBB123_76:
	s_or_b64 exec, exec, s[2:3]
	v_cmp_eq_u32_e32 vcc, 14, v187
	s_waitcnt lgkmcnt(0)
	s_barrier
	s_and_saveexec_b64 s[2:3], vcc
	s_cbranch_execz .LBB123_79
; %bb.77:
	s_waitcnt vmcnt(53)
	v_pk_mov_b32 v[206:207], v[146:147], v[170:171] op_sel:[1,0]
	ds_write_b32 v189, v146
	ds_write2_b32 v191, v206, v207 offset0:15 offset1:16
	s_waitcnt vmcnt(51)
	v_pk_mov_b32 v[206:207], v[170:171], v[144:145] op_sel:[1,0]
	ds_write2_b32 v191, v206, v207 offset0:17 offset1:18
	s_waitcnt vmcnt(49)
	v_pk_mov_b32 v[206:207], v[144:145], v[168:169] op_sel:[1,0]
	;; [unrolled: 3-line block ×22, first 2 shown]
	ds_write2_b32 v191, v206, v207 offset0:59 offset1:60
	ds_write_b32 v191, v177 offset:244
	ds_read_b32 v205, v189
	s_waitcnt lgkmcnt(0)
	v_cmp_neq_f32_e32 vcc, 0, v205
	s_and_b64 exec, exec, vcc
	s_cbranch_execz .LBB123_79
; %bb.78:
	v_div_scale_f32 v206, s[4:5], v205, v205, 1.0
	v_rcp_f32_e32 v207, v206
	v_div_scale_f32 v208, vcc, 1.0, v205, 1.0
	v_fma_f32 v209, -v206, v207, 1.0
	v_fmac_f32_e32 v207, v209, v207
	v_mul_f32_e32 v209, v208, v207
	v_fma_f32 v210, -v206, v209, v208
	v_fmac_f32_e32 v209, v210, v207
	v_fma_f32 v206, -v206, v209, v208
	v_div_fmas_f32 v206, v206, v207, v209
	v_div_fixup_f32 v205, v206, v205, 1.0
	ds_write_b32 v189, v205
.LBB123_79:
	s_or_b64 exec, exec, s[2:3]
	s_waitcnt lgkmcnt(0)
	s_barrier
	ds_read_b32 v205, v189
	v_cmp_lt_u32_e32 vcc, 14, v187
	s_and_saveexec_b64 s[2:3], vcc
	s_cbranch_execz .LBB123_81
; %bb.80:
	ds_read_b32 v218, v191 offset:60
	ds_read2_b64 v[206:209], v191 offset0:8 offset1:9
	ds_read2_b64 v[210:213], v191 offset0:10 offset1:11
	;; [unrolled: 1-line block ×3, first 2 shown]
	s_waitcnt vmcnt(56) lgkmcnt(4)
	v_mul_f32_e32 v146, v205, v146
	s_waitcnt vmcnt(55) lgkmcnt(3)
	v_fma_f32 v147, -v146, v218, v147
	s_waitcnt vmcnt(53) lgkmcnt(2)
	v_pk_fma_f32 v[170:171], v[146:147], v[206:207], v[170:171] op_sel_hi:[0,1,1] neg_lo:[1,0,0] neg_hi:[1,0,0]
	s_waitcnt vmcnt(51)
	v_pk_fma_f32 v[144:145], v[146:147], v[208:209], v[144:145] op_sel_hi:[0,1,1] neg_lo:[1,0,0] neg_hi:[1,0,0]
	s_waitcnt vmcnt(49) lgkmcnt(1)
	v_pk_fma_f32 v[168:169], v[146:147], v[210:211], v[168:169] op_sel_hi:[0,1,1] neg_lo:[1,0,0] neg_hi:[1,0,0]
	ds_read2_b64 v[206:209], v191 offset0:14 offset1:15
	s_waitcnt vmcnt(47)
	v_pk_fma_f32 v[142:143], v[146:147], v[212:213], v[142:143] op_sel_hi:[0,1,1] neg_lo:[1,0,0] neg_hi:[1,0,0]
	s_waitcnt vmcnt(45) lgkmcnt(1)
	v_pk_fma_f32 v[166:167], v[146:147], v[214:215], v[166:167] op_sel_hi:[0,1,1] neg_lo:[1,0,0] neg_hi:[1,0,0]
	ds_read2_b64 v[210:213], v191 offset0:16 offset1:17
	s_waitcnt vmcnt(43)
	v_pk_fma_f32 v[140:141], v[146:147], v[216:217], v[140:141] op_sel_hi:[0,1,1] neg_lo:[1,0,0] neg_hi:[1,0,0]
	ds_read2_b64 v[214:217], v191 offset0:18 offset1:19
	s_waitcnt vmcnt(41) lgkmcnt(2)
	v_pk_fma_f32 v[164:165], v[146:147], v[206:207], v[164:165] op_sel_hi:[0,1,1] neg_lo:[1,0,0] neg_hi:[1,0,0]
	s_waitcnt vmcnt(39)
	v_pk_fma_f32 v[138:139], v[146:147], v[208:209], v[138:139] op_sel_hi:[0,1,1] neg_lo:[1,0,0] neg_hi:[1,0,0]
	s_waitcnt vmcnt(37) lgkmcnt(1)
	v_pk_fma_f32 v[162:163], v[146:147], v[210:211], v[162:163] op_sel_hi:[0,1,1] neg_lo:[1,0,0] neg_hi:[1,0,0]
	ds_read2_b64 v[206:209], v191 offset0:20 offset1:21
	s_waitcnt vmcnt(35)
	v_pk_fma_f32 v[136:137], v[146:147], v[212:213], v[136:137] op_sel_hi:[0,1,1] neg_lo:[1,0,0] neg_hi:[1,0,0]
	s_waitcnt vmcnt(33) lgkmcnt(1)
	v_pk_fma_f32 v[160:161], v[146:147], v[214:215], v[160:161] op_sel_hi:[0,1,1] neg_lo:[1,0,0] neg_hi:[1,0,0]
	ds_read2_b64 v[210:213], v191 offset0:22 offset1:23
	s_waitcnt vmcnt(31)
	v_pk_fma_f32 v[134:135], v[146:147], v[216:217], v[134:135] op_sel_hi:[0,1,1] neg_lo:[1,0,0] neg_hi:[1,0,0]
	ds_read2_b64 v[214:217], v191 offset0:24 offset1:25
	s_waitcnt vmcnt(29) lgkmcnt(2)
	v_pk_fma_f32 v[158:159], v[146:147], v[206:207], v[158:159] op_sel_hi:[0,1,1] neg_lo:[1,0,0] neg_hi:[1,0,0]
	s_waitcnt vmcnt(27)
	v_pk_fma_f32 v[132:133], v[146:147], v[208:209], v[132:133] op_sel_hi:[0,1,1] neg_lo:[1,0,0] neg_hi:[1,0,0]
	s_waitcnt vmcnt(25) lgkmcnt(1)
	v_pk_fma_f32 v[156:157], v[146:147], v[210:211], v[156:157] op_sel_hi:[0,1,1] neg_lo:[1,0,0] neg_hi:[1,0,0]
	s_waitcnt vmcnt(23)
	v_pk_fma_f32 v[130:131], v[146:147], v[212:213], v[130:131] op_sel_hi:[0,1,1] neg_lo:[1,0,0] neg_hi:[1,0,0]
	ds_read2_b64 v[206:209], v191 offset0:26 offset1:27
	ds_read2_b64 v[210:213], v191 offset0:28 offset1:29
	s_waitcnt vmcnt(21) lgkmcnt(2)
	v_pk_fma_f32 v[154:155], v[146:147], v[214:215], v[154:155] op_sel_hi:[0,1,1] neg_lo:[1,0,0] neg_hi:[1,0,0]
	ds_read_b64 v[214:215], v191 offset:240
	s_waitcnt vmcnt(19)
	v_pk_fma_f32 v[128:129], v[146:147], v[216:217], v[128:129] op_sel_hi:[0,1,1] neg_lo:[1,0,0] neg_hi:[1,0,0]
	s_waitcnt vmcnt(17) lgkmcnt(2)
	v_pk_fma_f32 v[152:153], v[146:147], v[206:207], v[152:153] op_sel_hi:[0,1,1] neg_lo:[1,0,0] neg_hi:[1,0,0]
	s_waitcnt vmcnt(15)
	v_pk_fma_f32 v[126:127], v[146:147], v[208:209], v[126:127] op_sel_hi:[0,1,1] neg_lo:[1,0,0] neg_hi:[1,0,0]
	s_waitcnt vmcnt(13) lgkmcnt(1)
	v_pk_fma_f32 v[150:151], v[146:147], v[210:211], v[150:151] op_sel_hi:[0,1,1] neg_lo:[1,0,0] neg_hi:[1,0,0]
	;; [unrolled: 4-line block ×3, first 2 shown]
.LBB123_81:
	s_or_b64 exec, exec, s[2:3]
	v_cmp_ne_u32_e32 vcc, 15, v187
	s_waitcnt lgkmcnt(0)
	s_barrier
	s_and_saveexec_b64 s[2:3], vcc
	s_xor_b64 s[2:3], exec, s[2:3]
	s_andn2_saveexec_b64 s[2:3], s[2:3]
	s_cbranch_execz .LBB123_85
; %bb.82:
	s_waitcnt vmcnt(54)
	v_mov_b32_e32 v206, v170
	s_waitcnt vmcnt(53)
	v_mov_b32_e32 v207, v171
	;; [unrolled: 2-line block ×4, first 2 shown]
	ds_write_b32 v189, v147
	ds_write2_b64 v191, v[206:207], v[208:209] offset0:8 offset1:9
	s_waitcnt vmcnt(50)
	v_mov_b32_e32 v206, v168
	s_waitcnt vmcnt(49)
	v_mov_b32_e32 v207, v169
	s_waitcnt vmcnt(48)
	v_mov_b32_e32 v208, v142
	s_waitcnt vmcnt(47)
	v_mov_b32_e32 v209, v143
	ds_write2_b64 v191, v[206:207], v[208:209] offset0:10 offset1:11
	s_waitcnt vmcnt(46)
	v_mov_b32_e32 v206, v166
	s_waitcnt vmcnt(45)
	v_mov_b32_e32 v207, v167
	s_waitcnt vmcnt(44)
	v_mov_b32_e32 v208, v140
	s_waitcnt vmcnt(43)
	v_mov_b32_e32 v209, v141
	;; [unrolled: 9-line block ×10, first 2 shown]
	ds_write2_b64 v191, v[206:207], v[208:209] offset0:28 offset1:29
	s_waitcnt vmcnt(9)
	ds_write_b64 v191, v[176:177] offset:240
	ds_read_b32 v206, v189
	s_waitcnt lgkmcnt(0)
	v_cmp_neq_f32_e32 vcc, 0, v206
	s_and_saveexec_b64 s[4:5], vcc
	s_cbranch_execz .LBB123_84
; %bb.83:
	v_div_scale_f32 v207, s[10:11], v206, v206, 1.0
	v_rcp_f32_e32 v208, v207
	v_div_scale_f32 v209, vcc, 1.0, v206, 1.0
	v_fma_f32 v210, -v207, v208, 1.0
	v_fmac_f32_e32 v208, v210, v208
	v_mul_f32_e32 v210, v209, v208
	v_fma_f32 v211, -v207, v210, v209
	v_fmac_f32_e32 v210, v211, v208
	v_fma_f32 v207, -v207, v210, v209
	v_div_fmas_f32 v207, v207, v208, v210
	v_div_fixup_f32 v206, v207, v206, 1.0
	ds_write_b32 v189, v206
.LBB123_84:
	s_or_b64 exec, exec, s[4:5]
.LBB123_85:
	s_or_b64 exec, exec, s[2:3]
	s_waitcnt lgkmcnt(0)
	s_barrier
	ds_read_b32 v206, v189
	v_cmp_lt_u32_e32 vcc, 15, v187
	s_and_saveexec_b64 s[2:3], vcc
	s_cbranch_execz .LBB123_87
; %bb.86:
	ds_read2_b64 v[208:211], v191 offset0:8 offset1:9
	ds_read2_b64 v[212:215], v191 offset0:10 offset1:11
	;; [unrolled: 1-line block ×3, first 2 shown]
	s_waitcnt vmcnt(55) lgkmcnt(3)
	v_mul_f32_e32 v220, v206, v147
	v_mov_b32_e32 v147, v220
	s_waitcnt vmcnt(53) lgkmcnt(2)
	v_pk_fma_f32 v[170:171], v[220:221], v[208:209], v[170:171] op_sel_hi:[0,1,1] neg_lo:[1,0,0] neg_hi:[1,0,0]
	s_waitcnt vmcnt(51)
	v_pk_fma_f32 v[144:145], v[220:221], v[210:211], v[144:145] op_sel_hi:[0,1,1] neg_lo:[1,0,0] neg_hi:[1,0,0]
	s_waitcnt vmcnt(49) lgkmcnt(1)
	v_pk_fma_f32 v[168:169], v[220:221], v[212:213], v[168:169] op_sel_hi:[0,1,1] neg_lo:[1,0,0] neg_hi:[1,0,0]
	ds_read2_b64 v[208:211], v191 offset0:14 offset1:15
	s_waitcnt vmcnt(47)
	v_pk_fma_f32 v[142:143], v[220:221], v[214:215], v[142:143] op_sel_hi:[0,1,1] neg_lo:[1,0,0] neg_hi:[1,0,0]
	s_waitcnt vmcnt(45) lgkmcnt(1)
	v_pk_fma_f32 v[166:167], v[220:221], v[216:217], v[166:167] op_sel_hi:[0,1,1] neg_lo:[1,0,0] neg_hi:[1,0,0]
	ds_read2_b64 v[212:215], v191 offset0:16 offset1:17
	s_waitcnt vmcnt(43)
	v_pk_fma_f32 v[140:141], v[220:221], v[218:219], v[140:141] op_sel_hi:[0,1,1] neg_lo:[1,0,0] neg_hi:[1,0,0]
	ds_read2_b64 v[216:219], v191 offset0:18 offset1:19
	s_waitcnt vmcnt(41) lgkmcnt(2)
	v_pk_fma_f32 v[164:165], v[220:221], v[208:209], v[164:165] op_sel_hi:[0,1,1] neg_lo:[1,0,0] neg_hi:[1,0,0]
	s_waitcnt vmcnt(39)
	v_pk_fma_f32 v[138:139], v[220:221], v[210:211], v[138:139] op_sel_hi:[0,1,1] neg_lo:[1,0,0] neg_hi:[1,0,0]
	s_waitcnt vmcnt(37) lgkmcnt(1)
	v_pk_fma_f32 v[162:163], v[220:221], v[212:213], v[162:163] op_sel_hi:[0,1,1] neg_lo:[1,0,0] neg_hi:[1,0,0]
	ds_read2_b64 v[208:211], v191 offset0:20 offset1:21
	s_waitcnt vmcnt(35)
	v_pk_fma_f32 v[136:137], v[220:221], v[214:215], v[136:137] op_sel_hi:[0,1,1] neg_lo:[1,0,0] neg_hi:[1,0,0]
	s_waitcnt vmcnt(33) lgkmcnt(1)
	v_pk_fma_f32 v[160:161], v[220:221], v[216:217], v[160:161] op_sel_hi:[0,1,1] neg_lo:[1,0,0] neg_hi:[1,0,0]
	ds_read2_b64 v[212:215], v191 offset0:22 offset1:23
	s_waitcnt vmcnt(31)
	v_pk_fma_f32 v[134:135], v[220:221], v[218:219], v[134:135] op_sel_hi:[0,1,1] neg_lo:[1,0,0] neg_hi:[1,0,0]
	ds_read2_b64 v[216:219], v191 offset0:24 offset1:25
	s_waitcnt vmcnt(29) lgkmcnt(2)
	v_pk_fma_f32 v[158:159], v[220:221], v[208:209], v[158:159] op_sel_hi:[0,1,1] neg_lo:[1,0,0] neg_hi:[1,0,0]
	s_waitcnt vmcnt(27)
	v_pk_fma_f32 v[132:133], v[220:221], v[210:211], v[132:133] op_sel_hi:[0,1,1] neg_lo:[1,0,0] neg_hi:[1,0,0]
	s_waitcnt vmcnt(25) lgkmcnt(1)
	v_pk_fma_f32 v[156:157], v[220:221], v[212:213], v[156:157] op_sel_hi:[0,1,1] neg_lo:[1,0,0] neg_hi:[1,0,0]
	s_waitcnt vmcnt(23)
	v_pk_fma_f32 v[130:131], v[220:221], v[214:215], v[130:131] op_sel_hi:[0,1,1] neg_lo:[1,0,0] neg_hi:[1,0,0]
	ds_read2_b64 v[208:211], v191 offset0:26 offset1:27
	s_waitcnt vmcnt(21) lgkmcnt(1)
	v_pk_fma_f32 v[154:155], v[220:221], v[216:217], v[154:155] op_sel_hi:[0,1,1] neg_lo:[1,0,0] neg_hi:[1,0,0]
	ds_read2_b64 v[212:215], v191 offset0:28 offset1:29
	ds_read_b64 v[216:217], v191 offset:240
	s_waitcnt vmcnt(19)
	v_pk_fma_f32 v[128:129], v[220:221], v[218:219], v[128:129] op_sel_hi:[0,1,1] neg_lo:[1,0,0] neg_hi:[1,0,0]
	s_waitcnt vmcnt(17) lgkmcnt(2)
	v_pk_fma_f32 v[152:153], v[220:221], v[208:209], v[152:153] op_sel_hi:[0,1,1] neg_lo:[1,0,0] neg_hi:[1,0,0]
	s_waitcnt vmcnt(15)
	v_pk_fma_f32 v[126:127], v[220:221], v[210:211], v[126:127] op_sel_hi:[0,1,1] neg_lo:[1,0,0] neg_hi:[1,0,0]
	s_waitcnt vmcnt(13) lgkmcnt(1)
	v_pk_fma_f32 v[150:151], v[220:221], v[212:213], v[150:151] op_sel_hi:[0,1,1] neg_lo:[1,0,0] neg_hi:[1,0,0]
	;; [unrolled: 4-line block ×3, first 2 shown]
.LBB123_87:
	s_or_b64 exec, exec, s[2:3]
	v_cmp_eq_u32_e32 vcc, 16, v187
	s_waitcnt lgkmcnt(0)
	s_barrier
	s_and_saveexec_b64 s[2:3], vcc
	s_cbranch_execz .LBB123_90
; %bb.88:
	s_waitcnt vmcnt(51)
	v_pk_mov_b32 v[208:209], v[170:171], v[144:145] op_sel:[1,0]
	ds_write_b32 v189, v170
	ds_write2_b32 v191, v208, v209 offset0:17 offset1:18
	s_waitcnt vmcnt(49)
	v_pk_mov_b32 v[208:209], v[144:145], v[168:169] op_sel:[1,0]
	ds_write2_b32 v191, v208, v209 offset0:19 offset1:20
	s_waitcnt vmcnt(47)
	v_pk_mov_b32 v[208:209], v[168:169], v[142:143] op_sel:[1,0]
	;; [unrolled: 3-line block ×21, first 2 shown]
	ds_write2_b32 v191, v208, v209 offset0:59 offset1:60
	ds_write_b32 v191, v177 offset:244
	ds_read_b32 v207, v189
	s_waitcnt lgkmcnt(0)
	v_cmp_neq_f32_e32 vcc, 0, v207
	s_and_b64 exec, exec, vcc
	s_cbranch_execz .LBB123_90
; %bb.89:
	v_div_scale_f32 v208, s[4:5], v207, v207, 1.0
	v_rcp_f32_e32 v209, v208
	v_div_scale_f32 v210, vcc, 1.0, v207, 1.0
	v_fma_f32 v211, -v208, v209, 1.0
	v_fmac_f32_e32 v209, v211, v209
	v_mul_f32_e32 v211, v210, v209
	v_fma_f32 v212, -v208, v211, v210
	v_fmac_f32_e32 v211, v212, v209
	v_fma_f32 v208, -v208, v211, v210
	v_div_fmas_f32 v208, v208, v209, v211
	v_div_fixup_f32 v207, v208, v207, 1.0
	ds_write_b32 v189, v207
.LBB123_90:
	s_or_b64 exec, exec, s[2:3]
	s_waitcnt lgkmcnt(0)
	s_barrier
	ds_read_b32 v207, v189
	v_cmp_lt_u32_e32 vcc, 16, v187
	s_and_saveexec_b64 s[2:3], vcc
	s_cbranch_execz .LBB123_92
; %bb.91:
	ds_read_b32 v220, v191 offset:68
	ds_read2_b64 v[208:211], v191 offset0:9 offset1:10
	ds_read2_b64 v[212:215], v191 offset0:11 offset1:12
	ds_read2_b64 v[216:219], v191 offset0:13 offset1:14
	s_waitcnt vmcnt(54) lgkmcnt(4)
	v_mul_f32_e32 v170, v207, v170
	s_waitcnt vmcnt(53) lgkmcnt(3)
	v_fma_f32 v171, -v170, v220, v171
	s_waitcnt vmcnt(51) lgkmcnt(2)
	v_pk_fma_f32 v[144:145], v[170:171], v[208:209], v[144:145] op_sel_hi:[0,1,1] neg_lo:[1,0,0] neg_hi:[1,0,0]
	s_waitcnt vmcnt(49)
	v_pk_fma_f32 v[168:169], v[170:171], v[210:211], v[168:169] op_sel_hi:[0,1,1] neg_lo:[1,0,0] neg_hi:[1,0,0]
	s_waitcnt vmcnt(47) lgkmcnt(1)
	v_pk_fma_f32 v[142:143], v[170:171], v[212:213], v[142:143] op_sel_hi:[0,1,1] neg_lo:[1,0,0] neg_hi:[1,0,0]
	ds_read2_b64 v[208:211], v191 offset0:15 offset1:16
	s_waitcnt vmcnt(45)
	v_pk_fma_f32 v[166:167], v[170:171], v[214:215], v[166:167] op_sel_hi:[0,1,1] neg_lo:[1,0,0] neg_hi:[1,0,0]
	ds_read2_b64 v[212:215], v191 offset0:17 offset1:18
	s_waitcnt vmcnt(43) lgkmcnt(2)
	v_pk_fma_f32 v[140:141], v[170:171], v[216:217], v[140:141] op_sel_hi:[0,1,1] neg_lo:[1,0,0] neg_hi:[1,0,0]
	s_waitcnt vmcnt(41)
	v_pk_fma_f32 v[164:165], v[170:171], v[218:219], v[164:165] op_sel_hi:[0,1,1] neg_lo:[1,0,0] neg_hi:[1,0,0]
	s_waitcnt vmcnt(39) lgkmcnt(1)
	v_pk_fma_f32 v[138:139], v[170:171], v[208:209], v[138:139] op_sel_hi:[0,1,1] neg_lo:[1,0,0] neg_hi:[1,0,0]
	ds_read2_b64 v[216:219], v191 offset0:19 offset1:20
	s_waitcnt vmcnt(37)
	v_pk_fma_f32 v[162:163], v[170:171], v[210:211], v[162:163] op_sel_hi:[0,1,1] neg_lo:[1,0,0] neg_hi:[1,0,0]
	s_waitcnt vmcnt(35) lgkmcnt(1)
	v_pk_fma_f32 v[136:137], v[170:171], v[212:213], v[136:137] op_sel_hi:[0,1,1] neg_lo:[1,0,0] neg_hi:[1,0,0]
	ds_read2_b64 v[208:211], v191 offset0:21 offset1:22
	s_waitcnt vmcnt(33)
	v_pk_fma_f32 v[160:161], v[170:171], v[214:215], v[160:161] op_sel_hi:[0,1,1] neg_lo:[1,0,0] neg_hi:[1,0,0]
	ds_read2_b64 v[212:215], v191 offset0:23 offset1:24
	s_waitcnt vmcnt(31) lgkmcnt(2)
	v_pk_fma_f32 v[134:135], v[170:171], v[216:217], v[134:135] op_sel_hi:[0,1,1] neg_lo:[1,0,0] neg_hi:[1,0,0]
	s_waitcnt vmcnt(29)
	v_pk_fma_f32 v[158:159], v[170:171], v[218:219], v[158:159] op_sel_hi:[0,1,1] neg_lo:[1,0,0] neg_hi:[1,0,0]
	s_waitcnt vmcnt(27) lgkmcnt(1)
	v_pk_fma_f32 v[132:133], v[170:171], v[208:209], v[132:133] op_sel_hi:[0,1,1] neg_lo:[1,0,0] neg_hi:[1,0,0]
	s_waitcnt vmcnt(25)
	v_pk_fma_f32 v[156:157], v[170:171], v[210:211], v[156:157] op_sel_hi:[0,1,1] neg_lo:[1,0,0] neg_hi:[1,0,0]
	ds_read2_b64 v[208:211], v191 offset0:25 offset1:26
	s_waitcnt vmcnt(23) lgkmcnt(1)
	v_pk_fma_f32 v[130:131], v[170:171], v[212:213], v[130:131] op_sel_hi:[0,1,1] neg_lo:[1,0,0] neg_hi:[1,0,0]
	ds_read2_b64 v[216:219], v191 offset0:27 offset1:28
	s_waitcnt vmcnt(21)
	v_pk_fma_f32 v[154:155], v[170:171], v[214:215], v[154:155] op_sel_hi:[0,1,1] neg_lo:[1,0,0] neg_hi:[1,0,0]
	ds_read2_b64 v[212:215], v191 offset0:29 offset1:30
	s_waitcnt vmcnt(19) lgkmcnt(2)
	v_pk_fma_f32 v[128:129], v[170:171], v[208:209], v[128:129] op_sel_hi:[0,1,1] neg_lo:[1,0,0] neg_hi:[1,0,0]
	s_waitcnt vmcnt(17)
	v_pk_fma_f32 v[152:153], v[170:171], v[210:211], v[152:153] op_sel_hi:[0,1,1] neg_lo:[1,0,0] neg_hi:[1,0,0]
	s_waitcnt vmcnt(15) lgkmcnt(1)
	v_pk_fma_f32 v[126:127], v[170:171], v[216:217], v[126:127] op_sel_hi:[0,1,1] neg_lo:[1,0,0] neg_hi:[1,0,0]
	s_waitcnt vmcnt(13)
	v_pk_fma_f32 v[150:151], v[170:171], v[218:219], v[150:151] op_sel_hi:[0,1,1] neg_lo:[1,0,0] neg_hi:[1,0,0]
	;; [unrolled: 4-line block ×3, first 2 shown]
.LBB123_92:
	s_or_b64 exec, exec, s[2:3]
	v_cmp_ne_u32_e32 vcc, 17, v187
	s_waitcnt lgkmcnt(0)
	s_barrier
	s_and_saveexec_b64 s[2:3], vcc
	s_xor_b64 s[2:3], exec, s[2:3]
	s_andn2_saveexec_b64 s[2:3], s[2:3]
	s_cbranch_execz .LBB123_96
; %bb.93:
	s_waitcnt vmcnt(53)
	ds_write_b32 v189, v171
	s_waitcnt vmcnt(49)
	ds_write2_b64 v191, v[144:145], v[168:169] offset0:9 offset1:10
	s_waitcnt vmcnt(45)
	ds_write2_b64 v191, v[142:143], v[166:167] offset0:11 offset1:12
	;; [unrolled: 2-line block ×11, first 2 shown]
	ds_read_b32 v208, v189
	s_waitcnt lgkmcnt(0)
	v_cmp_neq_f32_e32 vcc, 0, v208
	s_and_saveexec_b64 s[4:5], vcc
	s_cbranch_execz .LBB123_95
; %bb.94:
	v_div_scale_f32 v209, s[10:11], v208, v208, 1.0
	v_rcp_f32_e32 v210, v209
	v_div_scale_f32 v211, vcc, 1.0, v208, 1.0
	v_fma_f32 v212, -v209, v210, 1.0
	v_fmac_f32_e32 v210, v212, v210
	v_mul_f32_e32 v212, v211, v210
	v_fma_f32 v213, -v209, v212, v211
	v_fmac_f32_e32 v212, v213, v210
	v_fma_f32 v209, -v209, v212, v211
	v_div_fmas_f32 v209, v209, v210, v212
	v_div_fixup_f32 v208, v209, v208, 1.0
	ds_write_b32 v189, v208
.LBB123_95:
	s_or_b64 exec, exec, s[4:5]
.LBB123_96:
	s_or_b64 exec, exec, s[2:3]
	s_waitcnt lgkmcnt(0)
	s_barrier
	ds_read_b32 v208, v189
	v_cmp_lt_u32_e32 vcc, 17, v187
	s_and_saveexec_b64 s[2:3], vcc
	s_cbranch_execz .LBB123_98
; %bb.97:
	ds_read2_b64 v[210:213], v191 offset0:9 offset1:10
	ds_read2_b64 v[214:217], v191 offset0:11 offset1:12
	s_waitcnt vmcnt(53) lgkmcnt(2)
	v_mul_f32_e32 v222, v208, v171
	ds_read2_b64 v[218:221], v191 offset0:13 offset1:14
	v_mov_b32_e32 v171, v222
	s_waitcnt vmcnt(51) lgkmcnt(2)
	v_pk_fma_f32 v[144:145], v[222:223], v[210:211], v[144:145] op_sel_hi:[0,1,1] neg_lo:[1,0,0] neg_hi:[1,0,0]
	s_waitcnt vmcnt(49)
	v_pk_fma_f32 v[168:169], v[222:223], v[212:213], v[168:169] op_sel_hi:[0,1,1] neg_lo:[1,0,0] neg_hi:[1,0,0]
	s_waitcnt vmcnt(47) lgkmcnt(1)
	v_pk_fma_f32 v[142:143], v[222:223], v[214:215], v[142:143] op_sel_hi:[0,1,1] neg_lo:[1,0,0] neg_hi:[1,0,0]
	ds_read2_b64 v[210:213], v191 offset0:15 offset1:16
	s_waitcnt vmcnt(45)
	v_pk_fma_f32 v[166:167], v[222:223], v[216:217], v[166:167] op_sel_hi:[0,1,1] neg_lo:[1,0,0] neg_hi:[1,0,0]
	ds_read2_b64 v[214:217], v191 offset0:17 offset1:18
	s_waitcnt vmcnt(43) lgkmcnt(2)
	v_pk_fma_f32 v[140:141], v[222:223], v[218:219], v[140:141] op_sel_hi:[0,1,1] neg_lo:[1,0,0] neg_hi:[1,0,0]
	s_waitcnt vmcnt(41)
	v_pk_fma_f32 v[164:165], v[222:223], v[220:221], v[164:165] op_sel_hi:[0,1,1] neg_lo:[1,0,0] neg_hi:[1,0,0]
	s_waitcnt vmcnt(39) lgkmcnt(1)
	v_pk_fma_f32 v[138:139], v[222:223], v[210:211], v[138:139] op_sel_hi:[0,1,1] neg_lo:[1,0,0] neg_hi:[1,0,0]
	ds_read2_b64 v[218:221], v191 offset0:19 offset1:20
	s_waitcnt vmcnt(37)
	v_pk_fma_f32 v[162:163], v[222:223], v[212:213], v[162:163] op_sel_hi:[0,1,1] neg_lo:[1,0,0] neg_hi:[1,0,0]
	s_waitcnt vmcnt(35) lgkmcnt(1)
	v_pk_fma_f32 v[136:137], v[222:223], v[214:215], v[136:137] op_sel_hi:[0,1,1] neg_lo:[1,0,0] neg_hi:[1,0,0]
	ds_read2_b64 v[210:213], v191 offset0:21 offset1:22
	s_waitcnt vmcnt(33)
	v_pk_fma_f32 v[160:161], v[222:223], v[216:217], v[160:161] op_sel_hi:[0,1,1] neg_lo:[1,0,0] neg_hi:[1,0,0]
	ds_read2_b64 v[214:217], v191 offset0:23 offset1:24
	s_waitcnt vmcnt(31) lgkmcnt(2)
	v_pk_fma_f32 v[134:135], v[222:223], v[218:219], v[134:135] op_sel_hi:[0,1,1] neg_lo:[1,0,0] neg_hi:[1,0,0]
	s_waitcnt vmcnt(29)
	v_pk_fma_f32 v[158:159], v[222:223], v[220:221], v[158:159] op_sel_hi:[0,1,1] neg_lo:[1,0,0] neg_hi:[1,0,0]
	s_waitcnt vmcnt(27) lgkmcnt(1)
	v_pk_fma_f32 v[132:133], v[222:223], v[210:211], v[132:133] op_sel_hi:[0,1,1] neg_lo:[1,0,0] neg_hi:[1,0,0]
	s_waitcnt vmcnt(25)
	v_pk_fma_f32 v[156:157], v[222:223], v[212:213], v[156:157] op_sel_hi:[0,1,1] neg_lo:[1,0,0] neg_hi:[1,0,0]
	ds_read2_b64 v[210:213], v191 offset0:25 offset1:26
	ds_read2_b64 v[218:221], v191 offset0:27 offset1:28
	s_waitcnt vmcnt(23) lgkmcnt(2)
	v_pk_fma_f32 v[130:131], v[222:223], v[214:215], v[130:131] op_sel_hi:[0,1,1] neg_lo:[1,0,0] neg_hi:[1,0,0]
	s_waitcnt vmcnt(21)
	v_pk_fma_f32 v[154:155], v[222:223], v[216:217], v[154:155] op_sel_hi:[0,1,1] neg_lo:[1,0,0] neg_hi:[1,0,0]
	ds_read2_b64 v[214:217], v191 offset0:29 offset1:30
	s_waitcnt vmcnt(19) lgkmcnt(2)
	v_pk_fma_f32 v[128:129], v[222:223], v[210:211], v[128:129] op_sel_hi:[0,1,1] neg_lo:[1,0,0] neg_hi:[1,0,0]
	s_waitcnt vmcnt(17)
	v_pk_fma_f32 v[152:153], v[222:223], v[212:213], v[152:153] op_sel_hi:[0,1,1] neg_lo:[1,0,0] neg_hi:[1,0,0]
	s_waitcnt vmcnt(15) lgkmcnt(1)
	v_pk_fma_f32 v[126:127], v[222:223], v[218:219], v[126:127] op_sel_hi:[0,1,1] neg_lo:[1,0,0] neg_hi:[1,0,0]
	s_waitcnt vmcnt(13)
	v_pk_fma_f32 v[150:151], v[222:223], v[220:221], v[150:151] op_sel_hi:[0,1,1] neg_lo:[1,0,0] neg_hi:[1,0,0]
	;; [unrolled: 4-line block ×3, first 2 shown]
.LBB123_98:
	s_or_b64 exec, exec, s[2:3]
	v_cmp_eq_u32_e32 vcc, 18, v187
	s_waitcnt lgkmcnt(0)
	s_barrier
	s_and_saveexec_b64 s[2:3], vcc
	s_cbranch_execz .LBB123_101
; %bb.99:
	s_waitcnt vmcnt(49)
	v_pk_mov_b32 v[210:211], v[144:145], v[168:169] op_sel:[1,0]
	ds_write_b32 v189, v144
	ds_write2_b32 v191, v210, v211 offset0:19 offset1:20
	s_waitcnt vmcnt(47)
	v_pk_mov_b32 v[210:211], v[168:169], v[142:143] op_sel:[1,0]
	ds_write2_b32 v191, v210, v211 offset0:21 offset1:22
	s_waitcnt vmcnt(45)
	v_pk_mov_b32 v[210:211], v[142:143], v[166:167] op_sel:[1,0]
	ds_write2_b32 v191, v210, v211 offset0:23 offset1:24
	s_waitcnt vmcnt(43)
	v_pk_mov_b32 v[210:211], v[166:167], v[140:141] op_sel:[1,0]
	ds_write2_b32 v191, v210, v211 offset0:25 offset1:26
	s_waitcnt vmcnt(41)
	v_pk_mov_b32 v[210:211], v[140:141], v[164:165] op_sel:[1,0]
	ds_write2_b32 v191, v210, v211 offset0:27 offset1:28
	s_waitcnt vmcnt(39)
	v_pk_mov_b32 v[210:211], v[164:165], v[138:139] op_sel:[1,0]
	ds_write2_b32 v191, v210, v211 offset0:29 offset1:30
	s_waitcnt vmcnt(37)
	v_pk_mov_b32 v[210:211], v[138:139], v[162:163] op_sel:[1,0]
	ds_write2_b32 v191, v210, v211 offset0:31 offset1:32
	s_waitcnt vmcnt(35)
	v_pk_mov_b32 v[210:211], v[162:163], v[136:137] op_sel:[1,0]
	ds_write2_b32 v191, v210, v211 offset0:33 offset1:34
	s_waitcnt vmcnt(33)
	v_pk_mov_b32 v[210:211], v[136:137], v[160:161] op_sel:[1,0]
	ds_write2_b32 v191, v210, v211 offset0:35 offset1:36
	s_waitcnt vmcnt(31)
	v_pk_mov_b32 v[210:211], v[160:161], v[134:135] op_sel:[1,0]
	ds_write2_b32 v191, v210, v211 offset0:37 offset1:38
	s_waitcnt vmcnt(29)
	v_pk_mov_b32 v[210:211], v[134:135], v[158:159] op_sel:[1,0]
	ds_write2_b32 v191, v210, v211 offset0:39 offset1:40
	s_waitcnt vmcnt(27)
	v_pk_mov_b32 v[210:211], v[158:159], v[132:133] op_sel:[1,0]
	ds_write2_b32 v191, v210, v211 offset0:41 offset1:42
	s_waitcnt vmcnt(25)
	v_pk_mov_b32 v[210:211], v[132:133], v[156:157] op_sel:[1,0]
	ds_write2_b32 v191, v210, v211 offset0:43 offset1:44
	s_waitcnt vmcnt(23)
	v_pk_mov_b32 v[210:211], v[156:157], v[130:131] op_sel:[1,0]
	ds_write2_b32 v191, v210, v211 offset0:45 offset1:46
	s_waitcnt vmcnt(21)
	v_pk_mov_b32 v[210:211], v[130:131], v[154:155] op_sel:[1,0]
	ds_write2_b32 v191, v210, v211 offset0:47 offset1:48
	s_waitcnt vmcnt(19)
	v_pk_mov_b32 v[210:211], v[154:155], v[128:129] op_sel:[1,0]
	ds_write2_b32 v191, v210, v211 offset0:49 offset1:50
	s_waitcnt vmcnt(17)
	v_pk_mov_b32 v[210:211], v[128:129], v[152:153] op_sel:[1,0]
	ds_write2_b32 v191, v210, v211 offset0:51 offset1:52
	s_waitcnt vmcnt(15)
	v_pk_mov_b32 v[210:211], v[152:153], v[126:127] op_sel:[1,0]
	ds_write2_b32 v191, v210, v211 offset0:53 offset1:54
	s_waitcnt vmcnt(13)
	v_pk_mov_b32 v[210:211], v[126:127], v[150:151] op_sel:[1,0]
	ds_write2_b32 v191, v210, v211 offset0:55 offset1:56
	s_waitcnt vmcnt(11)
	v_pk_mov_b32 v[210:211], v[150:151], v[124:125] op_sel:[1,0]
	ds_write2_b32 v191, v210, v211 offset0:57 offset1:58
	s_waitcnt vmcnt(9)
	v_pk_mov_b32 v[210:211], v[124:125], v[176:177] op_sel:[1,0]
	ds_write2_b32 v191, v210, v211 offset0:59 offset1:60
	ds_write_b32 v191, v177 offset:244
	ds_read_b32 v209, v189
	s_waitcnt lgkmcnt(0)
	v_cmp_neq_f32_e32 vcc, 0, v209
	s_and_b64 exec, exec, vcc
	s_cbranch_execz .LBB123_101
; %bb.100:
	v_div_scale_f32 v210, s[4:5], v209, v209, 1.0
	v_rcp_f32_e32 v211, v210
	v_div_scale_f32 v212, vcc, 1.0, v209, 1.0
	v_fma_f32 v213, -v210, v211, 1.0
	v_fmac_f32_e32 v211, v213, v211
	v_mul_f32_e32 v213, v212, v211
	v_fma_f32 v214, -v210, v213, v212
	v_fmac_f32_e32 v213, v214, v211
	v_fma_f32 v210, -v210, v213, v212
	v_div_fmas_f32 v210, v210, v211, v213
	v_div_fixup_f32 v209, v210, v209, 1.0
	ds_write_b32 v189, v209
.LBB123_101:
	s_or_b64 exec, exec, s[2:3]
	s_waitcnt lgkmcnt(0)
	s_barrier
	ds_read_b32 v209, v189
	v_cmp_lt_u32_e32 vcc, 18, v187
	s_and_saveexec_b64 s[2:3], vcc
	s_cbranch_execz .LBB123_103
; %bb.102:
	ds_read_b32 v222, v191 offset:76
	ds_read2_b64 v[210:213], v191 offset0:10 offset1:11
	ds_read2_b64 v[214:217], v191 offset0:12 offset1:13
	;; [unrolled: 1-line block ×3, first 2 shown]
	s_waitcnt vmcnt(52) lgkmcnt(4)
	v_mul_f32_e32 v144, v209, v144
	s_waitcnt vmcnt(51) lgkmcnt(3)
	v_fma_f32 v145, -v144, v222, v145
	s_waitcnt vmcnt(49) lgkmcnt(2)
	v_pk_fma_f32 v[168:169], v[144:145], v[210:211], v[168:169] op_sel_hi:[0,1,1] neg_lo:[1,0,0] neg_hi:[1,0,0]
	s_waitcnt vmcnt(47)
	v_pk_fma_f32 v[142:143], v[144:145], v[212:213], v[142:143] op_sel_hi:[0,1,1] neg_lo:[1,0,0] neg_hi:[1,0,0]
	s_waitcnt vmcnt(45) lgkmcnt(1)
	v_pk_fma_f32 v[166:167], v[144:145], v[214:215], v[166:167] op_sel_hi:[0,1,1] neg_lo:[1,0,0] neg_hi:[1,0,0]
	ds_read2_b64 v[210:213], v191 offset0:16 offset1:17
	s_waitcnt vmcnt(43)
	v_pk_fma_f32 v[140:141], v[144:145], v[216:217], v[140:141] op_sel_hi:[0,1,1] neg_lo:[1,0,0] neg_hi:[1,0,0]
	ds_read2_b64 v[214:217], v191 offset0:18 offset1:19
	s_waitcnt vmcnt(41) lgkmcnt(2)
	v_pk_fma_f32 v[164:165], v[144:145], v[218:219], v[164:165] op_sel_hi:[0,1,1] neg_lo:[1,0,0] neg_hi:[1,0,0]
	s_waitcnt vmcnt(39)
	v_pk_fma_f32 v[138:139], v[144:145], v[220:221], v[138:139] op_sel_hi:[0,1,1] neg_lo:[1,0,0] neg_hi:[1,0,0]
	s_waitcnt vmcnt(37) lgkmcnt(1)
	v_pk_fma_f32 v[162:163], v[144:145], v[210:211], v[162:163] op_sel_hi:[0,1,1] neg_lo:[1,0,0] neg_hi:[1,0,0]
	ds_read2_b64 v[218:221], v191 offset0:20 offset1:21
	s_waitcnt vmcnt(35)
	v_pk_fma_f32 v[136:137], v[144:145], v[212:213], v[136:137] op_sel_hi:[0,1,1] neg_lo:[1,0,0] neg_hi:[1,0,0]
	s_waitcnt vmcnt(33) lgkmcnt(1)
	v_pk_fma_f32 v[160:161], v[144:145], v[214:215], v[160:161] op_sel_hi:[0,1,1] neg_lo:[1,0,0] neg_hi:[1,0,0]
	ds_read2_b64 v[210:213], v191 offset0:22 offset1:23
	s_waitcnt vmcnt(31)
	v_pk_fma_f32 v[134:135], v[144:145], v[216:217], v[134:135] op_sel_hi:[0,1,1] neg_lo:[1,0,0] neg_hi:[1,0,0]
	ds_read2_b64 v[214:217], v191 offset0:24 offset1:25
	s_waitcnt vmcnt(29) lgkmcnt(2)
	v_pk_fma_f32 v[158:159], v[144:145], v[218:219], v[158:159] op_sel_hi:[0,1,1] neg_lo:[1,0,0] neg_hi:[1,0,0]
	s_waitcnt vmcnt(27)
	v_pk_fma_f32 v[132:133], v[144:145], v[220:221], v[132:133] op_sel_hi:[0,1,1] neg_lo:[1,0,0] neg_hi:[1,0,0]
	s_waitcnt vmcnt(25) lgkmcnt(1)
	v_pk_fma_f32 v[156:157], v[144:145], v[210:211], v[156:157] op_sel_hi:[0,1,1] neg_lo:[1,0,0] neg_hi:[1,0,0]
	s_waitcnt vmcnt(23)
	v_pk_fma_f32 v[130:131], v[144:145], v[212:213], v[130:131] op_sel_hi:[0,1,1] neg_lo:[1,0,0] neg_hi:[1,0,0]
	ds_read2_b64 v[210:213], v191 offset0:26 offset1:27
	s_waitcnt vmcnt(21) lgkmcnt(1)
	v_pk_fma_f32 v[154:155], v[144:145], v[214:215], v[154:155] op_sel_hi:[0,1,1] neg_lo:[1,0,0] neg_hi:[1,0,0]
	ds_read2_b64 v[218:221], v191 offset0:28 offset1:29
	ds_read_b64 v[214:215], v191 offset:240
	s_waitcnt vmcnt(19)
	v_pk_fma_f32 v[128:129], v[144:145], v[216:217], v[128:129] op_sel_hi:[0,1,1] neg_lo:[1,0,0] neg_hi:[1,0,0]
	s_waitcnt vmcnt(17) lgkmcnt(2)
	v_pk_fma_f32 v[152:153], v[144:145], v[210:211], v[152:153] op_sel_hi:[0,1,1] neg_lo:[1,0,0] neg_hi:[1,0,0]
	s_waitcnt vmcnt(15)
	v_pk_fma_f32 v[126:127], v[144:145], v[212:213], v[126:127] op_sel_hi:[0,1,1] neg_lo:[1,0,0] neg_hi:[1,0,0]
	s_waitcnt vmcnt(13) lgkmcnt(1)
	v_pk_fma_f32 v[150:151], v[144:145], v[218:219], v[150:151] op_sel_hi:[0,1,1] neg_lo:[1,0,0] neg_hi:[1,0,0]
	;; [unrolled: 4-line block ×3, first 2 shown]
.LBB123_103:
	s_or_b64 exec, exec, s[2:3]
	v_cmp_ne_u32_e32 vcc, 19, v187
	s_waitcnt lgkmcnt(0)
	s_barrier
	s_and_saveexec_b64 s[2:3], vcc
	s_xor_b64 s[2:3], exec, s[2:3]
	s_andn2_saveexec_b64 s[2:3], s[2:3]
	s_cbranch_execz .LBB123_107
; %bb.104:
	s_waitcnt vmcnt(50)
	v_mov_b32_e32 v210, v168
	s_waitcnt vmcnt(49)
	v_mov_b32_e32 v211, v169
	;; [unrolled: 2-line block ×4, first 2 shown]
	ds_write_b32 v189, v145
	ds_write2_b64 v191, v[210:211], v[212:213] offset0:10 offset1:11
	s_waitcnt vmcnt(46)
	v_mov_b32_e32 v210, v166
	s_waitcnt vmcnt(45)
	v_mov_b32_e32 v211, v167
	s_waitcnt vmcnt(44)
	v_mov_b32_e32 v212, v140
	s_waitcnt vmcnt(43)
	v_mov_b32_e32 v213, v141
	ds_write2_b64 v191, v[210:211], v[212:213] offset0:12 offset1:13
	s_waitcnt vmcnt(42)
	v_mov_b32_e32 v210, v164
	s_waitcnt vmcnt(41)
	v_mov_b32_e32 v211, v165
	s_waitcnt vmcnt(40)
	v_mov_b32_e32 v212, v138
	s_waitcnt vmcnt(39)
	v_mov_b32_e32 v213, v139
	;; [unrolled: 9-line block ×9, first 2 shown]
	ds_write2_b64 v191, v[210:211], v[212:213] offset0:28 offset1:29
	s_waitcnt vmcnt(9)
	ds_write_b64 v191, v[176:177] offset:240
	ds_read_b32 v210, v189
	s_waitcnt lgkmcnt(0)
	v_cmp_neq_f32_e32 vcc, 0, v210
	s_and_saveexec_b64 s[4:5], vcc
	s_cbranch_execz .LBB123_106
; %bb.105:
	v_div_scale_f32 v211, s[10:11], v210, v210, 1.0
	v_rcp_f32_e32 v212, v211
	v_div_scale_f32 v213, vcc, 1.0, v210, 1.0
	v_fma_f32 v214, -v211, v212, 1.0
	v_fmac_f32_e32 v212, v214, v212
	v_mul_f32_e32 v214, v213, v212
	v_fma_f32 v215, -v211, v214, v213
	v_fmac_f32_e32 v214, v215, v212
	v_fma_f32 v211, -v211, v214, v213
	v_div_fmas_f32 v211, v211, v212, v214
	v_div_fixup_f32 v210, v211, v210, 1.0
	ds_write_b32 v189, v210
.LBB123_106:
	s_or_b64 exec, exec, s[4:5]
.LBB123_107:
	s_or_b64 exec, exec, s[2:3]
	s_waitcnt lgkmcnt(0)
	s_barrier
	ds_read_b32 v210, v189
	v_cmp_lt_u32_e32 vcc, 19, v187
	s_and_saveexec_b64 s[2:3], vcc
	s_cbranch_execz .LBB123_109
; %bb.108:
	ds_read2_b64 v[212:215], v191 offset0:10 offset1:11
	ds_read2_b64 v[216:219], v191 offset0:12 offset1:13
	s_waitcnt vmcnt(51) lgkmcnt(2)
	v_mul_f32_e32 v224, v210, v145
	ds_read2_b64 v[220:223], v191 offset0:14 offset1:15
	v_mov_b32_e32 v145, v224
	s_waitcnt vmcnt(49) lgkmcnt(2)
	v_pk_fma_f32 v[168:169], v[224:225], v[212:213], v[168:169] op_sel_hi:[0,1,1] neg_lo:[1,0,0] neg_hi:[1,0,0]
	s_waitcnt vmcnt(47)
	v_pk_fma_f32 v[142:143], v[224:225], v[214:215], v[142:143] op_sel_hi:[0,1,1] neg_lo:[1,0,0] neg_hi:[1,0,0]
	s_waitcnt vmcnt(45) lgkmcnt(1)
	v_pk_fma_f32 v[166:167], v[224:225], v[216:217], v[166:167] op_sel_hi:[0,1,1] neg_lo:[1,0,0] neg_hi:[1,0,0]
	ds_read2_b64 v[212:215], v191 offset0:16 offset1:17
	s_waitcnt vmcnt(43)
	v_pk_fma_f32 v[140:141], v[224:225], v[218:219], v[140:141] op_sel_hi:[0,1,1] neg_lo:[1,0,0] neg_hi:[1,0,0]
	ds_read2_b64 v[216:219], v191 offset0:18 offset1:19
	s_waitcnt vmcnt(41) lgkmcnt(2)
	v_pk_fma_f32 v[164:165], v[224:225], v[220:221], v[164:165] op_sel_hi:[0,1,1] neg_lo:[1,0,0] neg_hi:[1,0,0]
	s_waitcnt vmcnt(39)
	v_pk_fma_f32 v[138:139], v[224:225], v[222:223], v[138:139] op_sel_hi:[0,1,1] neg_lo:[1,0,0] neg_hi:[1,0,0]
	s_waitcnt vmcnt(37) lgkmcnt(1)
	v_pk_fma_f32 v[162:163], v[224:225], v[212:213], v[162:163] op_sel_hi:[0,1,1] neg_lo:[1,0,0] neg_hi:[1,0,0]
	ds_read2_b64 v[220:223], v191 offset0:20 offset1:21
	s_waitcnt vmcnt(35)
	v_pk_fma_f32 v[136:137], v[224:225], v[214:215], v[136:137] op_sel_hi:[0,1,1] neg_lo:[1,0,0] neg_hi:[1,0,0]
	s_waitcnt vmcnt(33) lgkmcnt(1)
	v_pk_fma_f32 v[160:161], v[224:225], v[216:217], v[160:161] op_sel_hi:[0,1,1] neg_lo:[1,0,0] neg_hi:[1,0,0]
	ds_read2_b64 v[212:215], v191 offset0:22 offset1:23
	s_waitcnt vmcnt(31)
	v_pk_fma_f32 v[134:135], v[224:225], v[218:219], v[134:135] op_sel_hi:[0,1,1] neg_lo:[1,0,0] neg_hi:[1,0,0]
	ds_read2_b64 v[216:219], v191 offset0:24 offset1:25
	s_waitcnt vmcnt(29) lgkmcnt(2)
	v_pk_fma_f32 v[158:159], v[224:225], v[220:221], v[158:159] op_sel_hi:[0,1,1] neg_lo:[1,0,0] neg_hi:[1,0,0]
	s_waitcnt vmcnt(27)
	v_pk_fma_f32 v[132:133], v[224:225], v[222:223], v[132:133] op_sel_hi:[0,1,1] neg_lo:[1,0,0] neg_hi:[1,0,0]
	s_waitcnt vmcnt(25) lgkmcnt(1)
	v_pk_fma_f32 v[156:157], v[224:225], v[212:213], v[156:157] op_sel_hi:[0,1,1] neg_lo:[1,0,0] neg_hi:[1,0,0]
	s_waitcnt vmcnt(23)
	v_pk_fma_f32 v[130:131], v[224:225], v[214:215], v[130:131] op_sel_hi:[0,1,1] neg_lo:[1,0,0] neg_hi:[1,0,0]
	ds_read2_b64 v[212:215], v191 offset0:26 offset1:27
	ds_read2_b64 v[220:223], v191 offset0:28 offset1:29
	s_waitcnt vmcnt(21) lgkmcnt(2)
	v_pk_fma_f32 v[154:155], v[224:225], v[216:217], v[154:155] op_sel_hi:[0,1,1] neg_lo:[1,0,0] neg_hi:[1,0,0]
	ds_read_b64 v[216:217], v191 offset:240
	s_waitcnt vmcnt(19)
	v_pk_fma_f32 v[128:129], v[224:225], v[218:219], v[128:129] op_sel_hi:[0,1,1] neg_lo:[1,0,0] neg_hi:[1,0,0]
	s_waitcnt vmcnt(17) lgkmcnt(2)
	v_pk_fma_f32 v[152:153], v[224:225], v[212:213], v[152:153] op_sel_hi:[0,1,1] neg_lo:[1,0,0] neg_hi:[1,0,0]
	s_waitcnt vmcnt(15)
	v_pk_fma_f32 v[126:127], v[224:225], v[214:215], v[126:127] op_sel_hi:[0,1,1] neg_lo:[1,0,0] neg_hi:[1,0,0]
	s_waitcnt vmcnt(13) lgkmcnt(1)
	v_pk_fma_f32 v[150:151], v[224:225], v[220:221], v[150:151] op_sel_hi:[0,1,1] neg_lo:[1,0,0] neg_hi:[1,0,0]
	;; [unrolled: 4-line block ×3, first 2 shown]
.LBB123_109:
	s_or_b64 exec, exec, s[2:3]
	v_cmp_eq_u32_e32 vcc, 20, v187
	s_waitcnt lgkmcnt(0)
	s_barrier
	s_and_saveexec_b64 s[2:3], vcc
	s_cbranch_execz .LBB123_112
; %bb.110:
	s_waitcnt vmcnt(47)
	v_pk_mov_b32 v[212:213], v[168:169], v[142:143] op_sel:[1,0]
	ds_write_b32 v189, v168
	ds_write2_b32 v191, v212, v213 offset0:21 offset1:22
	s_waitcnt vmcnt(45)
	v_pk_mov_b32 v[212:213], v[142:143], v[166:167] op_sel:[1,0]
	ds_write2_b32 v191, v212, v213 offset0:23 offset1:24
	s_waitcnt vmcnt(43)
	v_pk_mov_b32 v[212:213], v[166:167], v[140:141] op_sel:[1,0]
	;; [unrolled: 3-line block ×19, first 2 shown]
	ds_write2_b32 v191, v212, v213 offset0:59 offset1:60
	ds_write_b32 v191, v177 offset:244
	ds_read_b32 v211, v189
	s_waitcnt lgkmcnt(0)
	v_cmp_neq_f32_e32 vcc, 0, v211
	s_and_b64 exec, exec, vcc
	s_cbranch_execz .LBB123_112
; %bb.111:
	v_div_scale_f32 v212, s[4:5], v211, v211, 1.0
	v_rcp_f32_e32 v213, v212
	v_div_scale_f32 v214, vcc, 1.0, v211, 1.0
	v_fma_f32 v215, -v212, v213, 1.0
	v_fmac_f32_e32 v213, v215, v213
	v_mul_f32_e32 v215, v214, v213
	v_fma_f32 v216, -v212, v215, v214
	v_fmac_f32_e32 v215, v216, v213
	v_fma_f32 v212, -v212, v215, v214
	v_div_fmas_f32 v212, v212, v213, v215
	v_div_fixup_f32 v211, v212, v211, 1.0
	ds_write_b32 v189, v211
.LBB123_112:
	s_or_b64 exec, exec, s[2:3]
	s_waitcnt lgkmcnt(0)
	s_barrier
	ds_read_b32 v211, v189
	v_cmp_lt_u32_e32 vcc, 20, v187
	s_and_saveexec_b64 s[2:3], vcc
	s_cbranch_execz .LBB123_114
; %bb.113:
	ds_read_b32 v224, v191 offset:84
	ds_read2_b64 v[212:215], v191 offset0:11 offset1:12
	s_waitcnt vmcnt(50) lgkmcnt(2)
	v_mul_f32_e32 v168, v211, v168
	ds_read2_b64 v[216:219], v191 offset0:13 offset1:14
	ds_read2_b64 v[220:223], v191 offset0:15 offset1:16
	s_waitcnt vmcnt(49) lgkmcnt(3)
	v_fma_f32 v169, -v168, v224, v169
	s_waitcnt vmcnt(47) lgkmcnt(2)
	v_pk_fma_f32 v[142:143], v[168:169], v[212:213], v[142:143] op_sel_hi:[0,1,1] neg_lo:[1,0,0] neg_hi:[1,0,0]
	s_waitcnt vmcnt(45)
	v_pk_fma_f32 v[166:167], v[168:169], v[214:215], v[166:167] op_sel_hi:[0,1,1] neg_lo:[1,0,0] neg_hi:[1,0,0]
	ds_read2_b64 v[212:215], v191 offset0:17 offset1:18
	s_waitcnt vmcnt(43) lgkmcnt(2)
	v_pk_fma_f32 v[140:141], v[168:169], v[216:217], v[140:141] op_sel_hi:[0,1,1] neg_lo:[1,0,0] neg_hi:[1,0,0]
	s_waitcnt vmcnt(41)
	v_pk_fma_f32 v[164:165], v[168:169], v[218:219], v[164:165] op_sel_hi:[0,1,1] neg_lo:[1,0,0] neg_hi:[1,0,0]
	s_waitcnt vmcnt(39) lgkmcnt(1)
	v_pk_fma_f32 v[138:139], v[168:169], v[220:221], v[138:139] op_sel_hi:[0,1,1] neg_lo:[1,0,0] neg_hi:[1,0,0]
	ds_read2_b64 v[216:219], v191 offset0:19 offset1:20
	s_waitcnt vmcnt(37)
	v_pk_fma_f32 v[162:163], v[168:169], v[222:223], v[162:163] op_sel_hi:[0,1,1] neg_lo:[1,0,0] neg_hi:[1,0,0]
	s_waitcnt vmcnt(35) lgkmcnt(1)
	v_pk_fma_f32 v[136:137], v[168:169], v[212:213], v[136:137] op_sel_hi:[0,1,1] neg_lo:[1,0,0] neg_hi:[1,0,0]
	ds_read2_b64 v[220:223], v191 offset0:21 offset1:22
	s_waitcnt vmcnt(33)
	v_pk_fma_f32 v[160:161], v[168:169], v[214:215], v[160:161] op_sel_hi:[0,1,1] neg_lo:[1,0,0] neg_hi:[1,0,0]
	ds_read2_b64 v[212:215], v191 offset0:23 offset1:24
	s_waitcnt vmcnt(31) lgkmcnt(2)
	v_pk_fma_f32 v[134:135], v[168:169], v[216:217], v[134:135] op_sel_hi:[0,1,1] neg_lo:[1,0,0] neg_hi:[1,0,0]
	s_waitcnt vmcnt(29)
	v_pk_fma_f32 v[158:159], v[168:169], v[218:219], v[158:159] op_sel_hi:[0,1,1] neg_lo:[1,0,0] neg_hi:[1,0,0]
	s_waitcnt vmcnt(27) lgkmcnt(1)
	v_pk_fma_f32 v[132:133], v[168:169], v[220:221], v[132:133] op_sel_hi:[0,1,1] neg_lo:[1,0,0] neg_hi:[1,0,0]
	s_waitcnt vmcnt(25)
	v_pk_fma_f32 v[156:157], v[168:169], v[222:223], v[156:157] op_sel_hi:[0,1,1] neg_lo:[1,0,0] neg_hi:[1,0,0]
	ds_read2_b64 v[216:219], v191 offset0:25 offset1:26
	ds_read2_b64 v[220:223], v191 offset0:27 offset1:28
	s_waitcnt vmcnt(23) lgkmcnt(2)
	v_pk_fma_f32 v[130:131], v[168:169], v[212:213], v[130:131] op_sel_hi:[0,1,1] neg_lo:[1,0,0] neg_hi:[1,0,0]
	s_waitcnt vmcnt(21)
	v_pk_fma_f32 v[154:155], v[168:169], v[214:215], v[154:155] op_sel_hi:[0,1,1] neg_lo:[1,0,0] neg_hi:[1,0,0]
	ds_read2_b64 v[212:215], v191 offset0:29 offset1:30
	s_waitcnt vmcnt(19) lgkmcnt(2)
	v_pk_fma_f32 v[128:129], v[168:169], v[216:217], v[128:129] op_sel_hi:[0,1,1] neg_lo:[1,0,0] neg_hi:[1,0,0]
	s_waitcnt vmcnt(17)
	v_pk_fma_f32 v[152:153], v[168:169], v[218:219], v[152:153] op_sel_hi:[0,1,1] neg_lo:[1,0,0] neg_hi:[1,0,0]
	s_waitcnt vmcnt(15) lgkmcnt(1)
	v_pk_fma_f32 v[126:127], v[168:169], v[220:221], v[126:127] op_sel_hi:[0,1,1] neg_lo:[1,0,0] neg_hi:[1,0,0]
	s_waitcnt vmcnt(13)
	v_pk_fma_f32 v[150:151], v[168:169], v[222:223], v[150:151] op_sel_hi:[0,1,1] neg_lo:[1,0,0] neg_hi:[1,0,0]
	;; [unrolled: 4-line block ×3, first 2 shown]
.LBB123_114:
	s_or_b64 exec, exec, s[2:3]
	v_cmp_ne_u32_e32 vcc, 21, v187
	s_waitcnt lgkmcnt(0)
	s_barrier
	s_and_saveexec_b64 s[2:3], vcc
	s_xor_b64 s[2:3], exec, s[2:3]
	s_andn2_saveexec_b64 s[2:3], s[2:3]
	s_cbranch_execz .LBB123_118
; %bb.115:
	s_waitcnt vmcnt(49)
	ds_write_b32 v189, v169
	s_waitcnt vmcnt(45)
	ds_write2_b64 v191, v[142:143], v[166:167] offset0:11 offset1:12
	s_waitcnt vmcnt(41)
	ds_write2_b64 v191, v[140:141], v[164:165] offset0:13 offset1:14
	;; [unrolled: 2-line block ×10, first 2 shown]
	ds_read_b32 v212, v189
	s_waitcnt lgkmcnt(0)
	v_cmp_neq_f32_e32 vcc, 0, v212
	s_and_saveexec_b64 s[4:5], vcc
	s_cbranch_execz .LBB123_117
; %bb.116:
	v_div_scale_f32 v213, s[10:11], v212, v212, 1.0
	v_rcp_f32_e32 v214, v213
	v_div_scale_f32 v215, vcc, 1.0, v212, 1.0
	v_fma_f32 v216, -v213, v214, 1.0
	v_fmac_f32_e32 v214, v216, v214
	v_mul_f32_e32 v216, v215, v214
	v_fma_f32 v217, -v213, v216, v215
	v_fmac_f32_e32 v216, v217, v214
	v_fma_f32 v213, -v213, v216, v215
	v_div_fmas_f32 v213, v213, v214, v216
	v_div_fixup_f32 v212, v213, v212, 1.0
	ds_write_b32 v189, v212
.LBB123_117:
	s_or_b64 exec, exec, s[4:5]
.LBB123_118:
	s_or_b64 exec, exec, s[2:3]
	s_waitcnt lgkmcnt(0)
	s_barrier
	ds_read_b32 v212, v189
	v_cmp_lt_u32_e32 vcc, 21, v187
	s_and_saveexec_b64 s[2:3], vcc
	s_cbranch_execz .LBB123_120
; %bb.119:
	ds_read2_b64 v[214:217], v191 offset0:11 offset1:12
	ds_read2_b64 v[218:221], v191 offset0:13 offset1:14
	s_waitcnt vmcnt(49) lgkmcnt(2)
	v_mul_f32_e32 v226, v212, v169
	ds_read2_b64 v[222:225], v191 offset0:15 offset1:16
	v_mov_b32_e32 v169, v226
	s_waitcnt vmcnt(47) lgkmcnt(2)
	v_pk_fma_f32 v[142:143], v[226:227], v[214:215], v[142:143] op_sel_hi:[0,1,1] neg_lo:[1,0,0] neg_hi:[1,0,0]
	s_waitcnt vmcnt(45)
	v_pk_fma_f32 v[166:167], v[226:227], v[216:217], v[166:167] op_sel_hi:[0,1,1] neg_lo:[1,0,0] neg_hi:[1,0,0]
	ds_read2_b64 v[214:217], v191 offset0:17 offset1:18
	s_waitcnt vmcnt(43) lgkmcnt(2)
	v_pk_fma_f32 v[140:141], v[226:227], v[218:219], v[140:141] op_sel_hi:[0,1,1] neg_lo:[1,0,0] neg_hi:[1,0,0]
	s_waitcnt vmcnt(41)
	v_pk_fma_f32 v[164:165], v[226:227], v[220:221], v[164:165] op_sel_hi:[0,1,1] neg_lo:[1,0,0] neg_hi:[1,0,0]
	s_waitcnt vmcnt(39) lgkmcnt(1)
	v_pk_fma_f32 v[138:139], v[226:227], v[222:223], v[138:139] op_sel_hi:[0,1,1] neg_lo:[1,0,0] neg_hi:[1,0,0]
	ds_read2_b64 v[218:221], v191 offset0:19 offset1:20
	s_waitcnt vmcnt(37)
	v_pk_fma_f32 v[162:163], v[226:227], v[224:225], v[162:163] op_sel_hi:[0,1,1] neg_lo:[1,0,0] neg_hi:[1,0,0]
	s_waitcnt vmcnt(35) lgkmcnt(1)
	v_pk_fma_f32 v[136:137], v[226:227], v[214:215], v[136:137] op_sel_hi:[0,1,1] neg_lo:[1,0,0] neg_hi:[1,0,0]
	ds_read2_b64 v[222:225], v191 offset0:21 offset1:22
	s_waitcnt vmcnt(33)
	v_pk_fma_f32 v[160:161], v[226:227], v[216:217], v[160:161] op_sel_hi:[0,1,1] neg_lo:[1,0,0] neg_hi:[1,0,0]
	ds_read2_b64 v[214:217], v191 offset0:23 offset1:24
	s_waitcnt vmcnt(31) lgkmcnt(2)
	v_pk_fma_f32 v[134:135], v[226:227], v[218:219], v[134:135] op_sel_hi:[0,1,1] neg_lo:[1,0,0] neg_hi:[1,0,0]
	s_waitcnt vmcnt(29)
	v_pk_fma_f32 v[158:159], v[226:227], v[220:221], v[158:159] op_sel_hi:[0,1,1] neg_lo:[1,0,0] neg_hi:[1,0,0]
	s_waitcnt vmcnt(27) lgkmcnt(1)
	v_pk_fma_f32 v[132:133], v[226:227], v[222:223], v[132:133] op_sel_hi:[0,1,1] neg_lo:[1,0,0] neg_hi:[1,0,0]
	s_waitcnt vmcnt(25)
	v_pk_fma_f32 v[156:157], v[226:227], v[224:225], v[156:157] op_sel_hi:[0,1,1] neg_lo:[1,0,0] neg_hi:[1,0,0]
	ds_read2_b64 v[218:221], v191 offset0:25 offset1:26
	s_waitcnt vmcnt(23) lgkmcnt(1)
	v_pk_fma_f32 v[130:131], v[226:227], v[214:215], v[130:131] op_sel_hi:[0,1,1] neg_lo:[1,0,0] neg_hi:[1,0,0]
	ds_read2_b64 v[222:225], v191 offset0:27 offset1:28
	s_waitcnt vmcnt(21)
	v_pk_fma_f32 v[154:155], v[226:227], v[216:217], v[154:155] op_sel_hi:[0,1,1] neg_lo:[1,0,0] neg_hi:[1,0,0]
	ds_read2_b64 v[214:217], v191 offset0:29 offset1:30
	s_waitcnt vmcnt(19) lgkmcnt(2)
	v_pk_fma_f32 v[128:129], v[226:227], v[218:219], v[128:129] op_sel_hi:[0,1,1] neg_lo:[1,0,0] neg_hi:[1,0,0]
	s_waitcnt vmcnt(17)
	v_pk_fma_f32 v[152:153], v[226:227], v[220:221], v[152:153] op_sel_hi:[0,1,1] neg_lo:[1,0,0] neg_hi:[1,0,0]
	s_waitcnt vmcnt(15) lgkmcnt(1)
	v_pk_fma_f32 v[126:127], v[226:227], v[222:223], v[126:127] op_sel_hi:[0,1,1] neg_lo:[1,0,0] neg_hi:[1,0,0]
	s_waitcnt vmcnt(13)
	v_pk_fma_f32 v[150:151], v[226:227], v[224:225], v[150:151] op_sel_hi:[0,1,1] neg_lo:[1,0,0] neg_hi:[1,0,0]
	;; [unrolled: 4-line block ×3, first 2 shown]
.LBB123_120:
	s_or_b64 exec, exec, s[2:3]
	v_cmp_eq_u32_e32 vcc, 22, v187
	s_waitcnt lgkmcnt(0)
	s_barrier
	s_and_saveexec_b64 s[2:3], vcc
	s_cbranch_execz .LBB123_123
; %bb.121:
	s_waitcnt vmcnt(45)
	v_pk_mov_b32 v[214:215], v[142:143], v[166:167] op_sel:[1,0]
	ds_write_b32 v189, v142
	ds_write2_b32 v191, v214, v215 offset0:23 offset1:24
	s_waitcnt vmcnt(43)
	v_pk_mov_b32 v[214:215], v[166:167], v[140:141] op_sel:[1,0]
	ds_write2_b32 v191, v214, v215 offset0:25 offset1:26
	s_waitcnt vmcnt(41)
	v_pk_mov_b32 v[214:215], v[140:141], v[164:165] op_sel:[1,0]
	;; [unrolled: 3-line block ×18, first 2 shown]
	ds_write2_b32 v191, v214, v215 offset0:59 offset1:60
	ds_write_b32 v191, v177 offset:244
	ds_read_b32 v213, v189
	s_waitcnt lgkmcnt(0)
	v_cmp_neq_f32_e32 vcc, 0, v213
	s_and_b64 exec, exec, vcc
	s_cbranch_execz .LBB123_123
; %bb.122:
	v_div_scale_f32 v214, s[4:5], v213, v213, 1.0
	v_rcp_f32_e32 v215, v214
	v_div_scale_f32 v216, vcc, 1.0, v213, 1.0
	v_fma_f32 v217, -v214, v215, 1.0
	v_fmac_f32_e32 v215, v217, v215
	v_mul_f32_e32 v217, v216, v215
	v_fma_f32 v218, -v214, v217, v216
	v_fmac_f32_e32 v217, v218, v215
	v_fma_f32 v214, -v214, v217, v216
	v_div_fmas_f32 v214, v214, v215, v217
	v_div_fixup_f32 v213, v214, v213, 1.0
	ds_write_b32 v189, v213
.LBB123_123:
	s_or_b64 exec, exec, s[2:3]
	s_waitcnt lgkmcnt(0)
	s_barrier
	ds_read_b32 v213, v189
	v_cmp_lt_u32_e32 vcc, 22, v187
	s_and_saveexec_b64 s[2:3], vcc
	s_cbranch_execz .LBB123_125
; %bb.124:
	ds_read_b32 v226, v191 offset:92
	ds_read2_b64 v[214:217], v191 offset0:12 offset1:13
	s_waitcnt vmcnt(48) lgkmcnt(2)
	v_mul_f32_e32 v142, v213, v142
	ds_read2_b64 v[218:221], v191 offset0:14 offset1:15
	ds_read2_b64 v[222:225], v191 offset0:16 offset1:17
	s_waitcnt vmcnt(47) lgkmcnt(3)
	v_fma_f32 v143, -v142, v226, v143
	s_waitcnt vmcnt(45) lgkmcnt(2)
	v_pk_fma_f32 v[166:167], v[142:143], v[214:215], v[166:167] op_sel_hi:[0,1,1] neg_lo:[1,0,0] neg_hi:[1,0,0]
	s_waitcnt vmcnt(43)
	v_pk_fma_f32 v[140:141], v[142:143], v[216:217], v[140:141] op_sel_hi:[0,1,1] neg_lo:[1,0,0] neg_hi:[1,0,0]
	ds_read2_b64 v[214:217], v191 offset0:18 offset1:19
	s_waitcnt vmcnt(41) lgkmcnt(2)
	v_pk_fma_f32 v[164:165], v[142:143], v[218:219], v[164:165] op_sel_hi:[0,1,1] neg_lo:[1,0,0] neg_hi:[1,0,0]
	s_waitcnt vmcnt(39)
	v_pk_fma_f32 v[138:139], v[142:143], v[220:221], v[138:139] op_sel_hi:[0,1,1] neg_lo:[1,0,0] neg_hi:[1,0,0]
	s_waitcnt vmcnt(37) lgkmcnt(1)
	v_pk_fma_f32 v[162:163], v[142:143], v[222:223], v[162:163] op_sel_hi:[0,1,1] neg_lo:[1,0,0] neg_hi:[1,0,0]
	ds_read2_b64 v[218:221], v191 offset0:20 offset1:21
	s_waitcnt vmcnt(35)
	v_pk_fma_f32 v[136:137], v[142:143], v[224:225], v[136:137] op_sel_hi:[0,1,1] neg_lo:[1,0,0] neg_hi:[1,0,0]
	s_waitcnt vmcnt(33) lgkmcnt(1)
	v_pk_fma_f32 v[160:161], v[142:143], v[214:215], v[160:161] op_sel_hi:[0,1,1] neg_lo:[1,0,0] neg_hi:[1,0,0]
	ds_read2_b64 v[222:225], v191 offset0:22 offset1:23
	s_waitcnt vmcnt(31)
	v_pk_fma_f32 v[134:135], v[142:143], v[216:217], v[134:135] op_sel_hi:[0,1,1] neg_lo:[1,0,0] neg_hi:[1,0,0]
	ds_read2_b64 v[214:217], v191 offset0:24 offset1:25
	s_waitcnt vmcnt(29) lgkmcnt(2)
	v_pk_fma_f32 v[158:159], v[142:143], v[218:219], v[158:159] op_sel_hi:[0,1,1] neg_lo:[1,0,0] neg_hi:[1,0,0]
	s_waitcnt vmcnt(27)
	v_pk_fma_f32 v[132:133], v[142:143], v[220:221], v[132:133] op_sel_hi:[0,1,1] neg_lo:[1,0,0] neg_hi:[1,0,0]
	s_waitcnt vmcnt(25) lgkmcnt(1)
	v_pk_fma_f32 v[156:157], v[142:143], v[222:223], v[156:157] op_sel_hi:[0,1,1] neg_lo:[1,0,0] neg_hi:[1,0,0]
	s_waitcnt vmcnt(23)
	v_pk_fma_f32 v[130:131], v[142:143], v[224:225], v[130:131] op_sel_hi:[0,1,1] neg_lo:[1,0,0] neg_hi:[1,0,0]
	ds_read2_b64 v[218:221], v191 offset0:26 offset1:27
	ds_read2_b64 v[222:225], v191 offset0:28 offset1:29
	s_waitcnt vmcnt(21) lgkmcnt(2)
	v_pk_fma_f32 v[154:155], v[142:143], v[214:215], v[154:155] op_sel_hi:[0,1,1] neg_lo:[1,0,0] neg_hi:[1,0,0]
	ds_read_b64 v[214:215], v191 offset:240
	s_waitcnt vmcnt(19)
	v_pk_fma_f32 v[128:129], v[142:143], v[216:217], v[128:129] op_sel_hi:[0,1,1] neg_lo:[1,0,0] neg_hi:[1,0,0]
	s_waitcnt vmcnt(17) lgkmcnt(2)
	v_pk_fma_f32 v[152:153], v[142:143], v[218:219], v[152:153] op_sel_hi:[0,1,1] neg_lo:[1,0,0] neg_hi:[1,0,0]
	s_waitcnt vmcnt(15)
	v_pk_fma_f32 v[126:127], v[142:143], v[220:221], v[126:127] op_sel_hi:[0,1,1] neg_lo:[1,0,0] neg_hi:[1,0,0]
	s_waitcnt vmcnt(13) lgkmcnt(1)
	v_pk_fma_f32 v[150:151], v[142:143], v[222:223], v[150:151] op_sel_hi:[0,1,1] neg_lo:[1,0,0] neg_hi:[1,0,0]
	;; [unrolled: 4-line block ×3, first 2 shown]
.LBB123_125:
	s_or_b64 exec, exec, s[2:3]
	v_cmp_ne_u32_e32 vcc, 23, v187
	s_waitcnt lgkmcnt(0)
	s_barrier
	s_and_saveexec_b64 s[2:3], vcc
	s_xor_b64 s[2:3], exec, s[2:3]
	s_andn2_saveexec_b64 s[2:3], s[2:3]
	s_cbranch_execz .LBB123_129
; %bb.126:
	s_waitcnt vmcnt(46)
	v_mov_b32_e32 v214, v166
	s_waitcnt vmcnt(45)
	v_mov_b32_e32 v215, v167
	;; [unrolled: 2-line block ×4, first 2 shown]
	ds_write_b32 v189, v143
	ds_write2_b64 v191, v[214:215], v[216:217] offset0:12 offset1:13
	s_waitcnt vmcnt(42)
	v_mov_b32_e32 v214, v164
	s_waitcnt vmcnt(41)
	v_mov_b32_e32 v215, v165
	s_waitcnt vmcnt(40)
	v_mov_b32_e32 v216, v138
	s_waitcnt vmcnt(39)
	v_mov_b32_e32 v217, v139
	ds_write2_b64 v191, v[214:215], v[216:217] offset0:14 offset1:15
	s_waitcnt vmcnt(38)
	v_mov_b32_e32 v214, v162
	s_waitcnt vmcnt(37)
	v_mov_b32_e32 v215, v163
	s_waitcnt vmcnt(36)
	v_mov_b32_e32 v216, v136
	s_waitcnt vmcnt(35)
	v_mov_b32_e32 v217, v137
	;; [unrolled: 9-line block ×8, first 2 shown]
	ds_write2_b64 v191, v[214:215], v[216:217] offset0:28 offset1:29
	s_waitcnt vmcnt(9)
	ds_write_b64 v191, v[176:177] offset:240
	ds_read_b32 v214, v189
	s_waitcnt lgkmcnt(0)
	v_cmp_neq_f32_e32 vcc, 0, v214
	s_and_saveexec_b64 s[4:5], vcc
	s_cbranch_execz .LBB123_128
; %bb.127:
	v_div_scale_f32 v215, s[10:11], v214, v214, 1.0
	v_rcp_f32_e32 v216, v215
	v_div_scale_f32 v217, vcc, 1.0, v214, 1.0
	v_fma_f32 v218, -v215, v216, 1.0
	v_fmac_f32_e32 v216, v218, v216
	v_mul_f32_e32 v218, v217, v216
	v_fma_f32 v219, -v215, v218, v217
	v_fmac_f32_e32 v218, v219, v216
	v_fma_f32 v215, -v215, v218, v217
	v_div_fmas_f32 v215, v215, v216, v218
	v_div_fixup_f32 v214, v215, v214, 1.0
	ds_write_b32 v189, v214
.LBB123_128:
	s_or_b64 exec, exec, s[4:5]
.LBB123_129:
	s_or_b64 exec, exec, s[2:3]
	s_waitcnt lgkmcnt(0)
	s_barrier
	ds_read_b32 v214, v189
	v_cmp_lt_u32_e32 vcc, 23, v187
	s_and_saveexec_b64 s[2:3], vcc
	s_cbranch_execz .LBB123_131
; %bb.130:
	ds_read2_b64 v[216:219], v191 offset0:12 offset1:13
	ds_read2_b64 v[220:223], v191 offset0:14 offset1:15
	s_waitcnt vmcnt(47) lgkmcnt(2)
	v_mul_f32_e32 v228, v214, v143
	ds_read2_b64 v[224:227], v191 offset0:16 offset1:17
	v_mov_b32_e32 v143, v228
	s_waitcnt vmcnt(45) lgkmcnt(2)
	v_pk_fma_f32 v[166:167], v[228:229], v[216:217], v[166:167] op_sel_hi:[0,1,1] neg_lo:[1,0,0] neg_hi:[1,0,0]
	s_waitcnt vmcnt(43)
	v_pk_fma_f32 v[140:141], v[228:229], v[218:219], v[140:141] op_sel_hi:[0,1,1] neg_lo:[1,0,0] neg_hi:[1,0,0]
	ds_read2_b64 v[216:219], v191 offset0:18 offset1:19
	s_waitcnt vmcnt(41) lgkmcnt(2)
	v_pk_fma_f32 v[164:165], v[228:229], v[220:221], v[164:165] op_sel_hi:[0,1,1] neg_lo:[1,0,0] neg_hi:[1,0,0]
	s_waitcnt vmcnt(39)
	v_pk_fma_f32 v[138:139], v[228:229], v[222:223], v[138:139] op_sel_hi:[0,1,1] neg_lo:[1,0,0] neg_hi:[1,0,0]
	s_waitcnt vmcnt(37) lgkmcnt(1)
	v_pk_fma_f32 v[162:163], v[228:229], v[224:225], v[162:163] op_sel_hi:[0,1,1] neg_lo:[1,0,0] neg_hi:[1,0,0]
	ds_read2_b64 v[220:223], v191 offset0:20 offset1:21
	s_waitcnt vmcnt(35)
	v_pk_fma_f32 v[136:137], v[228:229], v[226:227], v[136:137] op_sel_hi:[0,1,1] neg_lo:[1,0,0] neg_hi:[1,0,0]
	s_waitcnt vmcnt(33) lgkmcnt(1)
	v_pk_fma_f32 v[160:161], v[228:229], v[216:217], v[160:161] op_sel_hi:[0,1,1] neg_lo:[1,0,0] neg_hi:[1,0,0]
	ds_read2_b64 v[224:227], v191 offset0:22 offset1:23
	s_waitcnt vmcnt(31)
	v_pk_fma_f32 v[134:135], v[228:229], v[218:219], v[134:135] op_sel_hi:[0,1,1] neg_lo:[1,0,0] neg_hi:[1,0,0]
	ds_read2_b64 v[216:219], v191 offset0:24 offset1:25
	s_waitcnt vmcnt(29) lgkmcnt(2)
	v_pk_fma_f32 v[158:159], v[228:229], v[220:221], v[158:159] op_sel_hi:[0,1,1] neg_lo:[1,0,0] neg_hi:[1,0,0]
	s_waitcnt vmcnt(27)
	v_pk_fma_f32 v[132:133], v[228:229], v[222:223], v[132:133] op_sel_hi:[0,1,1] neg_lo:[1,0,0] neg_hi:[1,0,0]
	s_waitcnt vmcnt(25) lgkmcnt(1)
	v_pk_fma_f32 v[156:157], v[228:229], v[224:225], v[156:157] op_sel_hi:[0,1,1] neg_lo:[1,0,0] neg_hi:[1,0,0]
	s_waitcnt vmcnt(23)
	v_pk_fma_f32 v[130:131], v[228:229], v[226:227], v[130:131] op_sel_hi:[0,1,1] neg_lo:[1,0,0] neg_hi:[1,0,0]
	ds_read2_b64 v[220:223], v191 offset0:26 offset1:27
	s_waitcnt vmcnt(21) lgkmcnt(1)
	v_pk_fma_f32 v[154:155], v[228:229], v[216:217], v[154:155] op_sel_hi:[0,1,1] neg_lo:[1,0,0] neg_hi:[1,0,0]
	ds_read2_b64 v[224:227], v191 offset0:28 offset1:29
	ds_read_b64 v[216:217], v191 offset:240
	s_waitcnt vmcnt(19)
	v_pk_fma_f32 v[128:129], v[228:229], v[218:219], v[128:129] op_sel_hi:[0,1,1] neg_lo:[1,0,0] neg_hi:[1,0,0]
	s_waitcnt vmcnt(17) lgkmcnt(2)
	v_pk_fma_f32 v[152:153], v[228:229], v[220:221], v[152:153] op_sel_hi:[0,1,1] neg_lo:[1,0,0] neg_hi:[1,0,0]
	s_waitcnt vmcnt(15)
	v_pk_fma_f32 v[126:127], v[228:229], v[222:223], v[126:127] op_sel_hi:[0,1,1] neg_lo:[1,0,0] neg_hi:[1,0,0]
	s_waitcnt vmcnt(13) lgkmcnt(1)
	v_pk_fma_f32 v[150:151], v[228:229], v[224:225], v[150:151] op_sel_hi:[0,1,1] neg_lo:[1,0,0] neg_hi:[1,0,0]
	;; [unrolled: 4-line block ×3, first 2 shown]
.LBB123_131:
	s_or_b64 exec, exec, s[2:3]
	v_cmp_eq_u32_e32 vcc, 24, v187
	s_waitcnt lgkmcnt(0)
	s_barrier
	s_and_saveexec_b64 s[2:3], vcc
	s_cbranch_execz .LBB123_134
; %bb.132:
	s_waitcnt vmcnt(43)
	v_pk_mov_b32 v[216:217], v[166:167], v[140:141] op_sel:[1,0]
	ds_write_b32 v189, v166
	ds_write2_b32 v191, v216, v217 offset0:25 offset1:26
	s_waitcnt vmcnt(41)
	v_pk_mov_b32 v[216:217], v[140:141], v[164:165] op_sel:[1,0]
	ds_write2_b32 v191, v216, v217 offset0:27 offset1:28
	s_waitcnt vmcnt(39)
	v_pk_mov_b32 v[216:217], v[164:165], v[138:139] op_sel:[1,0]
	;; [unrolled: 3-line block ×17, first 2 shown]
	ds_write2_b32 v191, v216, v217 offset0:59 offset1:60
	ds_write_b32 v191, v177 offset:244
	ds_read_b32 v215, v189
	s_waitcnt lgkmcnt(0)
	v_cmp_neq_f32_e32 vcc, 0, v215
	s_and_b64 exec, exec, vcc
	s_cbranch_execz .LBB123_134
; %bb.133:
	v_div_scale_f32 v216, s[4:5], v215, v215, 1.0
	v_rcp_f32_e32 v217, v216
	v_div_scale_f32 v218, vcc, 1.0, v215, 1.0
	v_fma_f32 v219, -v216, v217, 1.0
	v_fmac_f32_e32 v217, v219, v217
	v_mul_f32_e32 v219, v218, v217
	v_fma_f32 v220, -v216, v219, v218
	v_fmac_f32_e32 v219, v220, v217
	v_fma_f32 v216, -v216, v219, v218
	v_div_fmas_f32 v216, v216, v217, v219
	v_div_fixup_f32 v215, v216, v215, 1.0
	ds_write_b32 v189, v215
.LBB123_134:
	s_or_b64 exec, exec, s[2:3]
	s_waitcnt lgkmcnt(0)
	s_barrier
	ds_read_b32 v215, v189
	v_cmp_lt_u32_e32 vcc, 24, v187
	s_and_saveexec_b64 s[2:3], vcc
	s_cbranch_execz .LBB123_136
; %bb.135:
	ds_read_b32 v228, v191 offset:100
	ds_read2_b64 v[216:219], v191 offset0:13 offset1:14
	ds_read2_b64 v[220:223], v191 offset0:15 offset1:16
	;; [unrolled: 1-line block ×3, first 2 shown]
	s_waitcnt vmcnt(46) lgkmcnt(4)
	v_mul_f32_e32 v166, v215, v166
	s_waitcnt vmcnt(45) lgkmcnt(3)
	v_fma_f32 v167, -v166, v228, v167
	s_waitcnt vmcnt(43) lgkmcnt(2)
	v_pk_fma_f32 v[140:141], v[166:167], v[216:217], v[140:141] op_sel_hi:[0,1,1] neg_lo:[1,0,0] neg_hi:[1,0,0]
	s_waitcnt vmcnt(41)
	v_pk_fma_f32 v[164:165], v[166:167], v[218:219], v[164:165] op_sel_hi:[0,1,1] neg_lo:[1,0,0] neg_hi:[1,0,0]
	s_waitcnt vmcnt(39) lgkmcnt(1)
	v_pk_fma_f32 v[138:139], v[166:167], v[220:221], v[138:139] op_sel_hi:[0,1,1] neg_lo:[1,0,0] neg_hi:[1,0,0]
	ds_read2_b64 v[216:219], v191 offset0:19 offset1:20
	s_waitcnt vmcnt(37)
	v_pk_fma_f32 v[162:163], v[166:167], v[222:223], v[162:163] op_sel_hi:[0,1,1] neg_lo:[1,0,0] neg_hi:[1,0,0]
	s_waitcnt vmcnt(35) lgkmcnt(1)
	v_pk_fma_f32 v[136:137], v[166:167], v[224:225], v[136:137] op_sel_hi:[0,1,1] neg_lo:[1,0,0] neg_hi:[1,0,0]
	ds_read2_b64 v[220:223], v191 offset0:21 offset1:22
	s_waitcnt vmcnt(33)
	v_pk_fma_f32 v[160:161], v[166:167], v[226:227], v[160:161] op_sel_hi:[0,1,1] neg_lo:[1,0,0] neg_hi:[1,0,0]
	ds_read2_b64 v[224:227], v191 offset0:23 offset1:24
	s_waitcnt vmcnt(31) lgkmcnt(2)
	v_pk_fma_f32 v[134:135], v[166:167], v[216:217], v[134:135] op_sel_hi:[0,1,1] neg_lo:[1,0,0] neg_hi:[1,0,0]
	s_waitcnt vmcnt(29)
	v_pk_fma_f32 v[158:159], v[166:167], v[218:219], v[158:159] op_sel_hi:[0,1,1] neg_lo:[1,0,0] neg_hi:[1,0,0]
	s_waitcnt vmcnt(27) lgkmcnt(1)
	v_pk_fma_f32 v[132:133], v[166:167], v[220:221], v[132:133] op_sel_hi:[0,1,1] neg_lo:[1,0,0] neg_hi:[1,0,0]
	s_waitcnt vmcnt(25)
	v_pk_fma_f32 v[156:157], v[166:167], v[222:223], v[156:157] op_sel_hi:[0,1,1] neg_lo:[1,0,0] neg_hi:[1,0,0]
	ds_read2_b64 v[216:219], v191 offset0:25 offset1:26
	s_waitcnt vmcnt(23) lgkmcnt(1)
	v_pk_fma_f32 v[130:131], v[166:167], v[224:225], v[130:131] op_sel_hi:[0,1,1] neg_lo:[1,0,0] neg_hi:[1,0,0]
	ds_read2_b64 v[220:223], v191 offset0:27 offset1:28
	s_waitcnt vmcnt(21)
	v_pk_fma_f32 v[154:155], v[166:167], v[226:227], v[154:155] op_sel_hi:[0,1,1] neg_lo:[1,0,0] neg_hi:[1,0,0]
	ds_read2_b64 v[224:227], v191 offset0:29 offset1:30
	s_waitcnt vmcnt(19) lgkmcnt(2)
	v_pk_fma_f32 v[128:129], v[166:167], v[216:217], v[128:129] op_sel_hi:[0,1,1] neg_lo:[1,0,0] neg_hi:[1,0,0]
	s_waitcnt vmcnt(17)
	v_pk_fma_f32 v[152:153], v[166:167], v[218:219], v[152:153] op_sel_hi:[0,1,1] neg_lo:[1,0,0] neg_hi:[1,0,0]
	s_waitcnt vmcnt(15) lgkmcnt(1)
	v_pk_fma_f32 v[126:127], v[166:167], v[220:221], v[126:127] op_sel_hi:[0,1,1] neg_lo:[1,0,0] neg_hi:[1,0,0]
	s_waitcnt vmcnt(13)
	v_pk_fma_f32 v[150:151], v[166:167], v[222:223], v[150:151] op_sel_hi:[0,1,1] neg_lo:[1,0,0] neg_hi:[1,0,0]
	;; [unrolled: 4-line block ×3, first 2 shown]
.LBB123_136:
	s_or_b64 exec, exec, s[2:3]
	v_cmp_ne_u32_e32 vcc, 25, v187
	s_waitcnt lgkmcnt(0)
	s_barrier
	s_and_saveexec_b64 s[2:3], vcc
	s_xor_b64 s[2:3], exec, s[2:3]
	s_andn2_saveexec_b64 s[2:3], s[2:3]
	s_cbranch_execz .LBB123_140
; %bb.137:
	s_waitcnt vmcnt(45)
	ds_write_b32 v189, v167
	s_waitcnt vmcnt(41)
	ds_write2_b64 v191, v[140:141], v[164:165] offset0:13 offset1:14
	s_waitcnt vmcnt(37)
	ds_write2_b64 v191, v[138:139], v[162:163] offset0:15 offset1:16
	;; [unrolled: 2-line block ×9, first 2 shown]
	ds_read_b32 v216, v189
	s_waitcnt lgkmcnt(0)
	v_cmp_neq_f32_e32 vcc, 0, v216
	s_and_saveexec_b64 s[4:5], vcc
	s_cbranch_execz .LBB123_139
; %bb.138:
	v_div_scale_f32 v217, s[10:11], v216, v216, 1.0
	v_rcp_f32_e32 v218, v217
	v_div_scale_f32 v219, vcc, 1.0, v216, 1.0
	v_fma_f32 v220, -v217, v218, 1.0
	v_fmac_f32_e32 v218, v220, v218
	v_mul_f32_e32 v220, v219, v218
	v_fma_f32 v221, -v217, v220, v219
	v_fmac_f32_e32 v220, v221, v218
	v_fma_f32 v217, -v217, v220, v219
	v_div_fmas_f32 v217, v217, v218, v220
	v_div_fixup_f32 v216, v217, v216, 1.0
	ds_write_b32 v189, v216
.LBB123_139:
	s_or_b64 exec, exec, s[4:5]
.LBB123_140:
	s_or_b64 exec, exec, s[2:3]
	s_waitcnt lgkmcnt(0)
	s_barrier
	ds_read_b32 v216, v189
	v_cmp_lt_u32_e32 vcc, 25, v187
	s_and_saveexec_b64 s[2:3], vcc
	s_cbranch_execz .LBB123_142
; %bb.141:
	ds_read2_b64 v[218:221], v191 offset0:13 offset1:14
	ds_read2_b64 v[222:225], v191 offset0:15 offset1:16
	;; [unrolled: 1-line block ×3, first 2 shown]
	s_waitcnt vmcnt(45) lgkmcnt(3)
	v_mul_f32_e32 v230, v216, v167
	v_mov_b32_e32 v167, v230
	s_waitcnt vmcnt(43) lgkmcnt(2)
	v_pk_fma_f32 v[140:141], v[230:231], v[218:219], v[140:141] op_sel_hi:[0,1,1] neg_lo:[1,0,0] neg_hi:[1,0,0]
	s_waitcnt vmcnt(41)
	v_pk_fma_f32 v[164:165], v[230:231], v[220:221], v[164:165] op_sel_hi:[0,1,1] neg_lo:[1,0,0] neg_hi:[1,0,0]
	s_waitcnt vmcnt(39) lgkmcnt(1)
	v_pk_fma_f32 v[138:139], v[230:231], v[222:223], v[138:139] op_sel_hi:[0,1,1] neg_lo:[1,0,0] neg_hi:[1,0,0]
	ds_read2_b64 v[218:221], v191 offset0:19 offset1:20
	s_waitcnt vmcnt(37)
	v_pk_fma_f32 v[162:163], v[230:231], v[224:225], v[162:163] op_sel_hi:[0,1,1] neg_lo:[1,0,0] neg_hi:[1,0,0]
	s_waitcnt vmcnt(35) lgkmcnt(1)
	v_pk_fma_f32 v[136:137], v[230:231], v[226:227], v[136:137] op_sel_hi:[0,1,1] neg_lo:[1,0,0] neg_hi:[1,0,0]
	ds_read2_b64 v[222:225], v191 offset0:21 offset1:22
	s_waitcnt vmcnt(33)
	v_pk_fma_f32 v[160:161], v[230:231], v[228:229], v[160:161] op_sel_hi:[0,1,1] neg_lo:[1,0,0] neg_hi:[1,0,0]
	ds_read2_b64 v[226:229], v191 offset0:23 offset1:24
	s_waitcnt vmcnt(31) lgkmcnt(2)
	v_pk_fma_f32 v[134:135], v[230:231], v[218:219], v[134:135] op_sel_hi:[0,1,1] neg_lo:[1,0,0] neg_hi:[1,0,0]
	s_waitcnt vmcnt(29)
	v_pk_fma_f32 v[158:159], v[230:231], v[220:221], v[158:159] op_sel_hi:[0,1,1] neg_lo:[1,0,0] neg_hi:[1,0,0]
	s_waitcnt vmcnt(27) lgkmcnt(1)
	v_pk_fma_f32 v[132:133], v[230:231], v[222:223], v[132:133] op_sel_hi:[0,1,1] neg_lo:[1,0,0] neg_hi:[1,0,0]
	s_waitcnt vmcnt(25)
	v_pk_fma_f32 v[156:157], v[230:231], v[224:225], v[156:157] op_sel_hi:[0,1,1] neg_lo:[1,0,0] neg_hi:[1,0,0]
	ds_read2_b64 v[218:221], v191 offset0:25 offset1:26
	ds_read2_b64 v[222:225], v191 offset0:27 offset1:28
	s_waitcnt vmcnt(23) lgkmcnt(2)
	v_pk_fma_f32 v[130:131], v[230:231], v[226:227], v[130:131] op_sel_hi:[0,1,1] neg_lo:[1,0,0] neg_hi:[1,0,0]
	s_waitcnt vmcnt(21)
	v_pk_fma_f32 v[154:155], v[230:231], v[228:229], v[154:155] op_sel_hi:[0,1,1] neg_lo:[1,0,0] neg_hi:[1,0,0]
	ds_read2_b64 v[226:229], v191 offset0:29 offset1:30
	s_waitcnt vmcnt(19) lgkmcnt(2)
	v_pk_fma_f32 v[128:129], v[230:231], v[218:219], v[128:129] op_sel_hi:[0,1,1] neg_lo:[1,0,0] neg_hi:[1,0,0]
	s_waitcnt vmcnt(17)
	v_pk_fma_f32 v[152:153], v[230:231], v[220:221], v[152:153] op_sel_hi:[0,1,1] neg_lo:[1,0,0] neg_hi:[1,0,0]
	s_waitcnt vmcnt(15) lgkmcnt(1)
	v_pk_fma_f32 v[126:127], v[230:231], v[222:223], v[126:127] op_sel_hi:[0,1,1] neg_lo:[1,0,0] neg_hi:[1,0,0]
	s_waitcnt vmcnt(13)
	v_pk_fma_f32 v[150:151], v[230:231], v[224:225], v[150:151] op_sel_hi:[0,1,1] neg_lo:[1,0,0] neg_hi:[1,0,0]
	;; [unrolled: 4-line block ×3, first 2 shown]
.LBB123_142:
	s_or_b64 exec, exec, s[2:3]
	v_cmp_eq_u32_e32 vcc, 26, v187
	s_waitcnt lgkmcnt(0)
	s_barrier
	s_and_saveexec_b64 s[2:3], vcc
	s_cbranch_execz .LBB123_145
; %bb.143:
	s_waitcnt vmcnt(41)
	v_pk_mov_b32 v[218:219], v[140:141], v[164:165] op_sel:[1,0]
	ds_write_b32 v189, v140
	ds_write2_b32 v191, v218, v219 offset0:27 offset1:28
	s_waitcnt vmcnt(39)
	v_pk_mov_b32 v[218:219], v[164:165], v[138:139] op_sel:[1,0]
	ds_write2_b32 v191, v218, v219 offset0:29 offset1:30
	s_waitcnt vmcnt(37)
	v_pk_mov_b32 v[218:219], v[138:139], v[162:163] op_sel:[1,0]
	;; [unrolled: 3-line block ×16, first 2 shown]
	ds_write2_b32 v191, v218, v219 offset0:59 offset1:60
	ds_write_b32 v191, v177 offset:244
	ds_read_b32 v217, v189
	s_waitcnt lgkmcnt(0)
	v_cmp_neq_f32_e32 vcc, 0, v217
	s_and_b64 exec, exec, vcc
	s_cbranch_execz .LBB123_145
; %bb.144:
	v_div_scale_f32 v218, s[4:5], v217, v217, 1.0
	v_rcp_f32_e32 v219, v218
	v_div_scale_f32 v220, vcc, 1.0, v217, 1.0
	v_fma_f32 v221, -v218, v219, 1.0
	v_fmac_f32_e32 v219, v221, v219
	v_mul_f32_e32 v221, v220, v219
	v_fma_f32 v222, -v218, v221, v220
	v_fmac_f32_e32 v221, v222, v219
	v_fma_f32 v218, -v218, v221, v220
	v_div_fmas_f32 v218, v218, v219, v221
	v_div_fixup_f32 v217, v218, v217, 1.0
	ds_write_b32 v189, v217
.LBB123_145:
	s_or_b64 exec, exec, s[2:3]
	s_waitcnt lgkmcnt(0)
	s_barrier
	ds_read_b32 v217, v189
	v_cmp_lt_u32_e32 vcc, 26, v187
	s_and_saveexec_b64 s[2:3], vcc
	s_cbranch_execz .LBB123_147
; %bb.146:
	ds_read_b32 v230, v191 offset:108
	ds_read2_b64 v[218:221], v191 offset0:14 offset1:15
	ds_read2_b64 v[222:225], v191 offset0:16 offset1:17
	;; [unrolled: 1-line block ×3, first 2 shown]
	s_waitcnt vmcnt(44) lgkmcnt(4)
	v_mul_f32_e32 v140, v217, v140
	s_waitcnt vmcnt(43) lgkmcnt(3)
	v_fma_f32 v141, -v140, v230, v141
	s_waitcnt vmcnt(41) lgkmcnt(2)
	v_pk_fma_f32 v[164:165], v[140:141], v[218:219], v[164:165] op_sel_hi:[0,1,1] neg_lo:[1,0,0] neg_hi:[1,0,0]
	s_waitcnt vmcnt(39)
	v_pk_fma_f32 v[138:139], v[140:141], v[220:221], v[138:139] op_sel_hi:[0,1,1] neg_lo:[1,0,0] neg_hi:[1,0,0]
	s_waitcnt vmcnt(37) lgkmcnt(1)
	v_pk_fma_f32 v[162:163], v[140:141], v[222:223], v[162:163] op_sel_hi:[0,1,1] neg_lo:[1,0,0] neg_hi:[1,0,0]
	ds_read2_b64 v[218:221], v191 offset0:20 offset1:21
	s_waitcnt vmcnt(35)
	v_pk_fma_f32 v[136:137], v[140:141], v[224:225], v[136:137] op_sel_hi:[0,1,1] neg_lo:[1,0,0] neg_hi:[1,0,0]
	s_waitcnt vmcnt(33) lgkmcnt(1)
	v_pk_fma_f32 v[160:161], v[140:141], v[226:227], v[160:161] op_sel_hi:[0,1,1] neg_lo:[1,0,0] neg_hi:[1,0,0]
	ds_read2_b64 v[222:225], v191 offset0:22 offset1:23
	s_waitcnt vmcnt(31)
	v_pk_fma_f32 v[134:135], v[140:141], v[228:229], v[134:135] op_sel_hi:[0,1,1] neg_lo:[1,0,0] neg_hi:[1,0,0]
	ds_read2_b64 v[226:229], v191 offset0:24 offset1:25
	s_waitcnt vmcnt(29) lgkmcnt(2)
	v_pk_fma_f32 v[158:159], v[140:141], v[218:219], v[158:159] op_sel_hi:[0,1,1] neg_lo:[1,0,0] neg_hi:[1,0,0]
	s_waitcnt vmcnt(27)
	v_pk_fma_f32 v[132:133], v[140:141], v[220:221], v[132:133] op_sel_hi:[0,1,1] neg_lo:[1,0,0] neg_hi:[1,0,0]
	s_waitcnt vmcnt(25) lgkmcnt(1)
	v_pk_fma_f32 v[156:157], v[140:141], v[222:223], v[156:157] op_sel_hi:[0,1,1] neg_lo:[1,0,0] neg_hi:[1,0,0]
	s_waitcnt vmcnt(23)
	v_pk_fma_f32 v[130:131], v[140:141], v[224:225], v[130:131] op_sel_hi:[0,1,1] neg_lo:[1,0,0] neg_hi:[1,0,0]
	ds_read2_b64 v[218:221], v191 offset0:26 offset1:27
	s_waitcnt vmcnt(21) lgkmcnt(1)
	v_pk_fma_f32 v[154:155], v[140:141], v[226:227], v[154:155] op_sel_hi:[0,1,1] neg_lo:[1,0,0] neg_hi:[1,0,0]
	ds_read2_b64 v[222:225], v191 offset0:28 offset1:29
	ds_read_b64 v[226:227], v191 offset:240
	s_waitcnt vmcnt(19)
	v_pk_fma_f32 v[128:129], v[140:141], v[228:229], v[128:129] op_sel_hi:[0,1,1] neg_lo:[1,0,0] neg_hi:[1,0,0]
	s_waitcnt vmcnt(17) lgkmcnt(2)
	v_pk_fma_f32 v[152:153], v[140:141], v[218:219], v[152:153] op_sel_hi:[0,1,1] neg_lo:[1,0,0] neg_hi:[1,0,0]
	s_waitcnt vmcnt(15)
	v_pk_fma_f32 v[126:127], v[140:141], v[220:221], v[126:127] op_sel_hi:[0,1,1] neg_lo:[1,0,0] neg_hi:[1,0,0]
	s_waitcnt vmcnt(13) lgkmcnt(1)
	v_pk_fma_f32 v[150:151], v[140:141], v[222:223], v[150:151] op_sel_hi:[0,1,1] neg_lo:[1,0,0] neg_hi:[1,0,0]
	;; [unrolled: 4-line block ×3, first 2 shown]
.LBB123_147:
	s_or_b64 exec, exec, s[2:3]
	v_cmp_ne_u32_e32 vcc, 27, v187
	s_waitcnt lgkmcnt(0)
	s_barrier
	s_and_saveexec_b64 s[2:3], vcc
	s_xor_b64 s[2:3], exec, s[2:3]
	s_andn2_saveexec_b64 s[2:3], s[2:3]
	s_cbranch_execz .LBB123_151
; %bb.148:
	s_waitcnt vmcnt(42)
	v_mov_b32_e32 v218, v164
	s_waitcnt vmcnt(41)
	v_mov_b32_e32 v219, v165
	;; [unrolled: 2-line block ×4, first 2 shown]
	ds_write_b32 v189, v141
	ds_write2_b64 v191, v[218:219], v[220:221] offset0:14 offset1:15
	s_waitcnt vmcnt(38)
	v_mov_b32_e32 v218, v162
	s_waitcnt vmcnt(37)
	v_mov_b32_e32 v219, v163
	s_waitcnt vmcnt(36)
	v_mov_b32_e32 v220, v136
	s_waitcnt vmcnt(35)
	v_mov_b32_e32 v221, v137
	ds_write2_b64 v191, v[218:219], v[220:221] offset0:16 offset1:17
	s_waitcnt vmcnt(34)
	v_mov_b32_e32 v218, v160
	s_waitcnt vmcnt(33)
	v_mov_b32_e32 v219, v161
	s_waitcnt vmcnt(32)
	v_mov_b32_e32 v220, v134
	s_waitcnt vmcnt(31)
	v_mov_b32_e32 v221, v135
	;; [unrolled: 9-line block ×7, first 2 shown]
	ds_write2_b64 v191, v[218:219], v[220:221] offset0:28 offset1:29
	s_waitcnt vmcnt(9)
	ds_write_b64 v191, v[176:177] offset:240
	ds_read_b32 v218, v189
	s_waitcnt lgkmcnt(0)
	v_cmp_neq_f32_e32 vcc, 0, v218
	s_and_saveexec_b64 s[4:5], vcc
	s_cbranch_execz .LBB123_150
; %bb.149:
	v_div_scale_f32 v219, s[10:11], v218, v218, 1.0
	v_rcp_f32_e32 v220, v219
	v_div_scale_f32 v221, vcc, 1.0, v218, 1.0
	v_fma_f32 v222, -v219, v220, 1.0
	v_fmac_f32_e32 v220, v222, v220
	v_mul_f32_e32 v222, v221, v220
	v_fma_f32 v223, -v219, v222, v221
	v_fmac_f32_e32 v222, v223, v220
	v_fma_f32 v219, -v219, v222, v221
	v_div_fmas_f32 v219, v219, v220, v222
	v_div_fixup_f32 v218, v219, v218, 1.0
	ds_write_b32 v189, v218
.LBB123_150:
	s_or_b64 exec, exec, s[4:5]
.LBB123_151:
	s_or_b64 exec, exec, s[2:3]
	s_waitcnt lgkmcnt(0)
	s_barrier
	ds_read_b32 v218, v189
	v_cmp_lt_u32_e32 vcc, 27, v187
	s_and_saveexec_b64 s[2:3], vcc
	s_cbranch_execz .LBB123_153
; %bb.152:
	ds_read2_b64 v[220:223], v191 offset0:14 offset1:15
	ds_read2_b64 v[224:227], v191 offset0:16 offset1:17
	;; [unrolled: 1-line block ×3, first 2 shown]
	s_waitcnt vmcnt(43) lgkmcnt(3)
	v_mul_f32_e32 v232, v218, v141
	v_mov_b32_e32 v141, v232
	s_waitcnt vmcnt(41) lgkmcnt(2)
	v_pk_fma_f32 v[164:165], v[232:233], v[220:221], v[164:165] op_sel_hi:[0,1,1] neg_lo:[1,0,0] neg_hi:[1,0,0]
	s_waitcnt vmcnt(39)
	v_pk_fma_f32 v[138:139], v[232:233], v[222:223], v[138:139] op_sel_hi:[0,1,1] neg_lo:[1,0,0] neg_hi:[1,0,0]
	s_waitcnt vmcnt(37) lgkmcnt(1)
	v_pk_fma_f32 v[162:163], v[232:233], v[224:225], v[162:163] op_sel_hi:[0,1,1] neg_lo:[1,0,0] neg_hi:[1,0,0]
	ds_read2_b64 v[220:223], v191 offset0:20 offset1:21
	s_waitcnt vmcnt(35)
	v_pk_fma_f32 v[136:137], v[232:233], v[226:227], v[136:137] op_sel_hi:[0,1,1] neg_lo:[1,0,0] neg_hi:[1,0,0]
	s_waitcnt vmcnt(33) lgkmcnt(1)
	v_pk_fma_f32 v[160:161], v[232:233], v[228:229], v[160:161] op_sel_hi:[0,1,1] neg_lo:[1,0,0] neg_hi:[1,0,0]
	ds_read2_b64 v[224:227], v191 offset0:22 offset1:23
	s_waitcnt vmcnt(31)
	v_pk_fma_f32 v[134:135], v[232:233], v[230:231], v[134:135] op_sel_hi:[0,1,1] neg_lo:[1,0,0] neg_hi:[1,0,0]
	ds_read2_b64 v[228:231], v191 offset0:24 offset1:25
	s_waitcnt vmcnt(29) lgkmcnt(2)
	v_pk_fma_f32 v[158:159], v[232:233], v[220:221], v[158:159] op_sel_hi:[0,1,1] neg_lo:[1,0,0] neg_hi:[1,0,0]
	s_waitcnt vmcnt(27)
	v_pk_fma_f32 v[132:133], v[232:233], v[222:223], v[132:133] op_sel_hi:[0,1,1] neg_lo:[1,0,0] neg_hi:[1,0,0]
	s_waitcnt vmcnt(25) lgkmcnt(1)
	v_pk_fma_f32 v[156:157], v[232:233], v[224:225], v[156:157] op_sel_hi:[0,1,1] neg_lo:[1,0,0] neg_hi:[1,0,0]
	s_waitcnt vmcnt(23)
	v_pk_fma_f32 v[130:131], v[232:233], v[226:227], v[130:131] op_sel_hi:[0,1,1] neg_lo:[1,0,0] neg_hi:[1,0,0]
	ds_read2_b64 v[220:223], v191 offset0:26 offset1:27
	ds_read2_b64 v[224:227], v191 offset0:28 offset1:29
	s_waitcnt vmcnt(21) lgkmcnt(2)
	v_pk_fma_f32 v[154:155], v[232:233], v[228:229], v[154:155] op_sel_hi:[0,1,1] neg_lo:[1,0,0] neg_hi:[1,0,0]
	ds_read_b64 v[228:229], v191 offset:240
	s_waitcnt vmcnt(19)
	v_pk_fma_f32 v[128:129], v[232:233], v[230:231], v[128:129] op_sel_hi:[0,1,1] neg_lo:[1,0,0] neg_hi:[1,0,0]
	s_waitcnt vmcnt(17) lgkmcnt(2)
	v_pk_fma_f32 v[152:153], v[232:233], v[220:221], v[152:153] op_sel_hi:[0,1,1] neg_lo:[1,0,0] neg_hi:[1,0,0]
	s_waitcnt vmcnt(15)
	v_pk_fma_f32 v[126:127], v[232:233], v[222:223], v[126:127] op_sel_hi:[0,1,1] neg_lo:[1,0,0] neg_hi:[1,0,0]
	s_waitcnt vmcnt(13) lgkmcnt(1)
	v_pk_fma_f32 v[150:151], v[232:233], v[224:225], v[150:151] op_sel_hi:[0,1,1] neg_lo:[1,0,0] neg_hi:[1,0,0]
	;; [unrolled: 4-line block ×3, first 2 shown]
.LBB123_153:
	s_or_b64 exec, exec, s[2:3]
	v_cmp_eq_u32_e32 vcc, 28, v187
	s_waitcnt lgkmcnt(0)
	s_barrier
	s_and_saveexec_b64 s[2:3], vcc
	s_cbranch_execz .LBB123_156
; %bb.154:
	s_waitcnt vmcnt(39)
	v_pk_mov_b32 v[220:221], v[164:165], v[138:139] op_sel:[1,0]
	ds_write_b32 v189, v164
	ds_write2_b32 v191, v220, v221 offset0:29 offset1:30
	s_waitcnt vmcnt(37)
	v_pk_mov_b32 v[220:221], v[138:139], v[162:163] op_sel:[1,0]
	ds_write2_b32 v191, v220, v221 offset0:31 offset1:32
	s_waitcnt vmcnt(35)
	v_pk_mov_b32 v[220:221], v[162:163], v[136:137] op_sel:[1,0]
	;; [unrolled: 3-line block ×15, first 2 shown]
	ds_write2_b32 v191, v220, v221 offset0:59 offset1:60
	ds_write_b32 v191, v177 offset:244
	ds_read_b32 v219, v189
	s_waitcnt lgkmcnt(0)
	v_cmp_neq_f32_e32 vcc, 0, v219
	s_and_b64 exec, exec, vcc
	s_cbranch_execz .LBB123_156
; %bb.155:
	v_div_scale_f32 v220, s[4:5], v219, v219, 1.0
	v_rcp_f32_e32 v221, v220
	v_div_scale_f32 v222, vcc, 1.0, v219, 1.0
	v_fma_f32 v223, -v220, v221, 1.0
	v_fmac_f32_e32 v221, v223, v221
	v_mul_f32_e32 v223, v222, v221
	v_fma_f32 v224, -v220, v223, v222
	v_fmac_f32_e32 v223, v224, v221
	v_fma_f32 v220, -v220, v223, v222
	v_div_fmas_f32 v220, v220, v221, v223
	v_div_fixup_f32 v219, v220, v219, 1.0
	ds_write_b32 v189, v219
.LBB123_156:
	s_or_b64 exec, exec, s[2:3]
	s_waitcnt lgkmcnt(0)
	s_barrier
	ds_read_b32 v219, v189
	v_cmp_lt_u32_e32 vcc, 28, v187
	s_and_saveexec_b64 s[2:3], vcc
	s_cbranch_execz .LBB123_158
; %bb.157:
	ds_read_b32 v232, v191 offset:116
	ds_read2_b64 v[220:223], v191 offset0:15 offset1:16
	ds_read2_b64 v[224:227], v191 offset0:17 offset1:18
	;; [unrolled: 1-line block ×3, first 2 shown]
	s_waitcnt vmcnt(42) lgkmcnt(4)
	v_mul_f32_e32 v164, v219, v164
	s_waitcnt vmcnt(41) lgkmcnt(3)
	v_fma_f32 v165, -v164, v232, v165
	s_waitcnt vmcnt(39) lgkmcnt(2)
	v_pk_fma_f32 v[138:139], v[164:165], v[220:221], v[138:139] op_sel_hi:[0,1,1] neg_lo:[1,0,0] neg_hi:[1,0,0]
	s_waitcnt vmcnt(37)
	v_pk_fma_f32 v[162:163], v[164:165], v[222:223], v[162:163] op_sel_hi:[0,1,1] neg_lo:[1,0,0] neg_hi:[1,0,0]
	s_waitcnt vmcnt(35) lgkmcnt(1)
	v_pk_fma_f32 v[136:137], v[164:165], v[224:225], v[136:137] op_sel_hi:[0,1,1] neg_lo:[1,0,0] neg_hi:[1,0,0]
	ds_read2_b64 v[220:223], v191 offset0:21 offset1:22
	s_waitcnt vmcnt(33)
	v_pk_fma_f32 v[160:161], v[164:165], v[226:227], v[160:161] op_sel_hi:[0,1,1] neg_lo:[1,0,0] neg_hi:[1,0,0]
	ds_read2_b64 v[224:227], v191 offset0:23 offset1:24
	s_waitcnt vmcnt(31) lgkmcnt(2)
	v_pk_fma_f32 v[134:135], v[164:165], v[228:229], v[134:135] op_sel_hi:[0,1,1] neg_lo:[1,0,0] neg_hi:[1,0,0]
	s_waitcnt vmcnt(29)
	v_pk_fma_f32 v[158:159], v[164:165], v[230:231], v[158:159] op_sel_hi:[0,1,1] neg_lo:[1,0,0] neg_hi:[1,0,0]
	s_waitcnt vmcnt(27) lgkmcnt(1)
	v_pk_fma_f32 v[132:133], v[164:165], v[220:221], v[132:133] op_sel_hi:[0,1,1] neg_lo:[1,0,0] neg_hi:[1,0,0]
	s_waitcnt vmcnt(25)
	v_pk_fma_f32 v[156:157], v[164:165], v[222:223], v[156:157] op_sel_hi:[0,1,1] neg_lo:[1,0,0] neg_hi:[1,0,0]
	ds_read2_b64 v[220:223], v191 offset0:25 offset1:26
	ds_read2_b64 v[228:231], v191 offset0:27 offset1:28
	s_waitcnt vmcnt(23) lgkmcnt(2)
	v_pk_fma_f32 v[130:131], v[164:165], v[224:225], v[130:131] op_sel_hi:[0,1,1] neg_lo:[1,0,0] neg_hi:[1,0,0]
	s_waitcnt vmcnt(21)
	v_pk_fma_f32 v[154:155], v[164:165], v[226:227], v[154:155] op_sel_hi:[0,1,1] neg_lo:[1,0,0] neg_hi:[1,0,0]
	ds_read2_b64 v[224:227], v191 offset0:29 offset1:30
	s_waitcnt vmcnt(19) lgkmcnt(2)
	v_pk_fma_f32 v[128:129], v[164:165], v[220:221], v[128:129] op_sel_hi:[0,1,1] neg_lo:[1,0,0] neg_hi:[1,0,0]
	s_waitcnt vmcnt(17)
	v_pk_fma_f32 v[152:153], v[164:165], v[222:223], v[152:153] op_sel_hi:[0,1,1] neg_lo:[1,0,0] neg_hi:[1,0,0]
	s_waitcnt vmcnt(15) lgkmcnt(1)
	v_pk_fma_f32 v[126:127], v[164:165], v[228:229], v[126:127] op_sel_hi:[0,1,1] neg_lo:[1,0,0] neg_hi:[1,0,0]
	s_waitcnt vmcnt(13)
	v_pk_fma_f32 v[150:151], v[164:165], v[230:231], v[150:151] op_sel_hi:[0,1,1] neg_lo:[1,0,0] neg_hi:[1,0,0]
	;; [unrolled: 4-line block ×3, first 2 shown]
.LBB123_158:
	s_or_b64 exec, exec, s[2:3]
	v_cmp_ne_u32_e32 vcc, 29, v187
	s_waitcnt lgkmcnt(0)
	s_barrier
	s_and_saveexec_b64 s[2:3], vcc
	s_xor_b64 s[2:3], exec, s[2:3]
	s_andn2_saveexec_b64 s[2:3], s[2:3]
	s_cbranch_execz .LBB123_162
; %bb.159:
	s_waitcnt vmcnt(41)
	ds_write_b32 v189, v165
	s_waitcnt vmcnt(37)
	ds_write2_b64 v191, v[138:139], v[162:163] offset0:15 offset1:16
	s_waitcnt vmcnt(33)
	ds_write2_b64 v191, v[136:137], v[160:161] offset0:17 offset1:18
	;; [unrolled: 2-line block ×8, first 2 shown]
	ds_read_b32 v220, v189
	s_waitcnt lgkmcnt(0)
	v_cmp_neq_f32_e32 vcc, 0, v220
	s_and_saveexec_b64 s[4:5], vcc
	s_cbranch_execz .LBB123_161
; %bb.160:
	v_div_scale_f32 v221, s[10:11], v220, v220, 1.0
	v_rcp_f32_e32 v222, v221
	v_div_scale_f32 v223, vcc, 1.0, v220, 1.0
	v_fma_f32 v224, -v221, v222, 1.0
	v_fmac_f32_e32 v222, v224, v222
	v_mul_f32_e32 v224, v223, v222
	v_fma_f32 v225, -v221, v224, v223
	v_fmac_f32_e32 v224, v225, v222
	v_fma_f32 v221, -v221, v224, v223
	v_div_fmas_f32 v221, v221, v222, v224
	v_div_fixup_f32 v220, v221, v220, 1.0
	ds_write_b32 v189, v220
.LBB123_161:
	s_or_b64 exec, exec, s[4:5]
.LBB123_162:
	s_or_b64 exec, exec, s[2:3]
	s_waitcnt lgkmcnt(0)
	s_barrier
	ds_read_b32 v220, v189
	v_cmp_lt_u32_e32 vcc, 29, v187
	s_and_saveexec_b64 s[2:3], vcc
	s_cbranch_execz .LBB123_164
; %bb.163:
	ds_read2_b64 v[222:225], v191 offset0:15 offset1:16
	ds_read2_b64 v[226:229], v191 offset0:17 offset1:18
	s_waitcnt vmcnt(41) lgkmcnt(2)
	v_mul_f32_e32 v234, v220, v165
	ds_read2_b64 v[230:233], v191 offset0:19 offset1:20
	v_mov_b32_e32 v165, v234
	s_waitcnt vmcnt(39) lgkmcnt(2)
	v_pk_fma_f32 v[138:139], v[234:235], v[222:223], v[138:139] op_sel_hi:[0,1,1] neg_lo:[1,0,0] neg_hi:[1,0,0]
	s_waitcnt vmcnt(37)
	v_pk_fma_f32 v[162:163], v[234:235], v[224:225], v[162:163] op_sel_hi:[0,1,1] neg_lo:[1,0,0] neg_hi:[1,0,0]
	s_waitcnt vmcnt(35) lgkmcnt(1)
	v_pk_fma_f32 v[136:137], v[234:235], v[226:227], v[136:137] op_sel_hi:[0,1,1] neg_lo:[1,0,0] neg_hi:[1,0,0]
	ds_read2_b64 v[222:225], v191 offset0:21 offset1:22
	s_waitcnt vmcnt(33)
	v_pk_fma_f32 v[160:161], v[234:235], v[228:229], v[160:161] op_sel_hi:[0,1,1] neg_lo:[1,0,0] neg_hi:[1,0,0]
	ds_read2_b64 v[226:229], v191 offset0:23 offset1:24
	s_waitcnt vmcnt(31) lgkmcnt(2)
	v_pk_fma_f32 v[134:135], v[234:235], v[230:231], v[134:135] op_sel_hi:[0,1,1] neg_lo:[1,0,0] neg_hi:[1,0,0]
	s_waitcnt vmcnt(29)
	v_pk_fma_f32 v[158:159], v[234:235], v[232:233], v[158:159] op_sel_hi:[0,1,1] neg_lo:[1,0,0] neg_hi:[1,0,0]
	s_waitcnt vmcnt(27) lgkmcnt(1)
	v_pk_fma_f32 v[132:133], v[234:235], v[222:223], v[132:133] op_sel_hi:[0,1,1] neg_lo:[1,0,0] neg_hi:[1,0,0]
	s_waitcnt vmcnt(25)
	v_pk_fma_f32 v[156:157], v[234:235], v[224:225], v[156:157] op_sel_hi:[0,1,1] neg_lo:[1,0,0] neg_hi:[1,0,0]
	ds_read2_b64 v[222:225], v191 offset0:25 offset1:26
	s_waitcnt vmcnt(23) lgkmcnt(1)
	v_pk_fma_f32 v[130:131], v[234:235], v[226:227], v[130:131] op_sel_hi:[0,1,1] neg_lo:[1,0,0] neg_hi:[1,0,0]
	ds_read2_b64 v[230:233], v191 offset0:27 offset1:28
	s_waitcnt vmcnt(21)
	v_pk_fma_f32 v[154:155], v[234:235], v[228:229], v[154:155] op_sel_hi:[0,1,1] neg_lo:[1,0,0] neg_hi:[1,0,0]
	ds_read2_b64 v[226:229], v191 offset0:29 offset1:30
	s_waitcnt vmcnt(19) lgkmcnt(2)
	v_pk_fma_f32 v[128:129], v[234:235], v[222:223], v[128:129] op_sel_hi:[0,1,1] neg_lo:[1,0,0] neg_hi:[1,0,0]
	s_waitcnt vmcnt(17)
	v_pk_fma_f32 v[152:153], v[234:235], v[224:225], v[152:153] op_sel_hi:[0,1,1] neg_lo:[1,0,0] neg_hi:[1,0,0]
	s_waitcnt vmcnt(15) lgkmcnt(1)
	v_pk_fma_f32 v[126:127], v[234:235], v[230:231], v[126:127] op_sel_hi:[0,1,1] neg_lo:[1,0,0] neg_hi:[1,0,0]
	s_waitcnt vmcnt(13)
	v_pk_fma_f32 v[150:151], v[234:235], v[232:233], v[150:151] op_sel_hi:[0,1,1] neg_lo:[1,0,0] neg_hi:[1,0,0]
	;; [unrolled: 4-line block ×3, first 2 shown]
.LBB123_164:
	s_or_b64 exec, exec, s[2:3]
	v_cmp_eq_u32_e32 vcc, 30, v187
	s_waitcnt lgkmcnt(0)
	s_barrier
	s_and_saveexec_b64 s[2:3], vcc
	s_cbranch_execz .LBB123_167
; %bb.165:
	s_waitcnt vmcnt(37)
	v_pk_mov_b32 v[222:223], v[138:139], v[162:163] op_sel:[1,0]
	ds_write_b32 v189, v138
	ds_write2_b32 v191, v222, v223 offset0:31 offset1:32
	s_waitcnt vmcnt(35)
	v_pk_mov_b32 v[222:223], v[162:163], v[136:137] op_sel:[1,0]
	ds_write2_b32 v191, v222, v223 offset0:33 offset1:34
	s_waitcnt vmcnt(33)
	v_pk_mov_b32 v[222:223], v[136:137], v[160:161] op_sel:[1,0]
	;; [unrolled: 3-line block ×14, first 2 shown]
	ds_write2_b32 v191, v222, v223 offset0:59 offset1:60
	ds_write_b32 v191, v177 offset:244
	ds_read_b32 v221, v189
	s_waitcnt lgkmcnt(0)
	v_cmp_neq_f32_e32 vcc, 0, v221
	s_and_b64 exec, exec, vcc
	s_cbranch_execz .LBB123_167
; %bb.166:
	v_div_scale_f32 v222, s[4:5], v221, v221, 1.0
	v_rcp_f32_e32 v223, v222
	v_div_scale_f32 v224, vcc, 1.0, v221, 1.0
	v_fma_f32 v225, -v222, v223, 1.0
	v_fmac_f32_e32 v223, v225, v223
	v_mul_f32_e32 v225, v224, v223
	v_fma_f32 v226, -v222, v225, v224
	v_fmac_f32_e32 v225, v226, v223
	v_fma_f32 v222, -v222, v225, v224
	v_div_fmas_f32 v222, v222, v223, v225
	v_div_fixup_f32 v221, v222, v221, 1.0
	ds_write_b32 v189, v221
.LBB123_167:
	s_or_b64 exec, exec, s[2:3]
	s_waitcnt lgkmcnt(0)
	s_barrier
	ds_read_b32 v221, v189
	v_cmp_lt_u32_e32 vcc, 30, v187
	s_and_saveexec_b64 s[2:3], vcc
	s_cbranch_execz .LBB123_169
; %bb.168:
	ds_read_b32 v234, v191 offset:124
	ds_read2_b64 v[222:225], v191 offset0:16 offset1:17
	ds_read2_b64 v[226:229], v191 offset0:18 offset1:19
	ds_read2_b64 v[230:233], v191 offset0:20 offset1:21
	s_waitcnt vmcnt(40) lgkmcnt(4)
	v_mul_f32_e32 v138, v221, v138
	s_waitcnt vmcnt(39) lgkmcnt(3)
	v_fma_f32 v139, -v138, v234, v139
	s_waitcnt vmcnt(37) lgkmcnt(2)
	v_pk_fma_f32 v[162:163], v[138:139], v[222:223], v[162:163] op_sel_hi:[0,1,1] neg_lo:[1,0,0] neg_hi:[1,0,0]
	s_waitcnt vmcnt(35)
	v_pk_fma_f32 v[136:137], v[138:139], v[224:225], v[136:137] op_sel_hi:[0,1,1] neg_lo:[1,0,0] neg_hi:[1,0,0]
	s_waitcnt vmcnt(33) lgkmcnt(1)
	v_pk_fma_f32 v[160:161], v[138:139], v[226:227], v[160:161] op_sel_hi:[0,1,1] neg_lo:[1,0,0] neg_hi:[1,0,0]
	ds_read2_b64 v[222:225], v191 offset0:22 offset1:23
	s_waitcnt vmcnt(31)
	v_pk_fma_f32 v[134:135], v[138:139], v[228:229], v[134:135] op_sel_hi:[0,1,1] neg_lo:[1,0,0] neg_hi:[1,0,0]
	ds_read2_b64 v[226:229], v191 offset0:24 offset1:25
	s_waitcnt vmcnt(29) lgkmcnt(2)
	v_pk_fma_f32 v[158:159], v[138:139], v[230:231], v[158:159] op_sel_hi:[0,1,1] neg_lo:[1,0,0] neg_hi:[1,0,0]
	s_waitcnt vmcnt(27)
	v_pk_fma_f32 v[132:133], v[138:139], v[232:233], v[132:133] op_sel_hi:[0,1,1] neg_lo:[1,0,0] neg_hi:[1,0,0]
	s_waitcnt vmcnt(25) lgkmcnt(1)
	v_pk_fma_f32 v[156:157], v[138:139], v[222:223], v[156:157] op_sel_hi:[0,1,1] neg_lo:[1,0,0] neg_hi:[1,0,0]
	s_waitcnt vmcnt(23)
	v_pk_fma_f32 v[130:131], v[138:139], v[224:225], v[130:131] op_sel_hi:[0,1,1] neg_lo:[1,0,0] neg_hi:[1,0,0]
	ds_read2_b64 v[222:225], v191 offset0:26 offset1:27
	ds_read2_b64 v[230:233], v191 offset0:28 offset1:29
	s_waitcnt vmcnt(21) lgkmcnt(2)
	v_pk_fma_f32 v[154:155], v[138:139], v[226:227], v[154:155] op_sel_hi:[0,1,1] neg_lo:[1,0,0] neg_hi:[1,0,0]
	ds_read_b64 v[226:227], v191 offset:240
	s_waitcnt vmcnt(19)
	v_pk_fma_f32 v[128:129], v[138:139], v[228:229], v[128:129] op_sel_hi:[0,1,1] neg_lo:[1,0,0] neg_hi:[1,0,0]
	s_waitcnt vmcnt(17) lgkmcnt(2)
	v_pk_fma_f32 v[152:153], v[138:139], v[222:223], v[152:153] op_sel_hi:[0,1,1] neg_lo:[1,0,0] neg_hi:[1,0,0]
	s_waitcnt vmcnt(15)
	v_pk_fma_f32 v[126:127], v[138:139], v[224:225], v[126:127] op_sel_hi:[0,1,1] neg_lo:[1,0,0] neg_hi:[1,0,0]
	s_waitcnt vmcnt(13) lgkmcnt(1)
	v_pk_fma_f32 v[150:151], v[138:139], v[230:231], v[150:151] op_sel_hi:[0,1,1] neg_lo:[1,0,0] neg_hi:[1,0,0]
	;; [unrolled: 4-line block ×3, first 2 shown]
.LBB123_169:
	s_or_b64 exec, exec, s[2:3]
	v_cmp_ne_u32_e32 vcc, 31, v187
	s_waitcnt lgkmcnt(0)
	s_barrier
	s_and_saveexec_b64 s[2:3], vcc
	s_xor_b64 s[2:3], exec, s[2:3]
	s_andn2_saveexec_b64 s[2:3], s[2:3]
	s_cbranch_execz .LBB123_173
; %bb.170:
	s_waitcnt vmcnt(38)
	v_mov_b32_e32 v222, v162
	s_waitcnt vmcnt(37)
	v_mov_b32_e32 v223, v163
	;; [unrolled: 2-line block ×4, first 2 shown]
	ds_write_b32 v189, v139
	ds_write2_b64 v191, v[222:223], v[224:225] offset0:16 offset1:17
	s_waitcnt vmcnt(34)
	v_mov_b32_e32 v222, v160
	s_waitcnt vmcnt(33)
	v_mov_b32_e32 v223, v161
	s_waitcnt vmcnt(32)
	v_mov_b32_e32 v224, v134
	s_waitcnt vmcnt(31)
	v_mov_b32_e32 v225, v135
	ds_write2_b64 v191, v[222:223], v[224:225] offset0:18 offset1:19
	s_waitcnt vmcnt(30)
	v_mov_b32_e32 v222, v158
	s_waitcnt vmcnt(29)
	v_mov_b32_e32 v223, v159
	s_waitcnt vmcnt(28)
	v_mov_b32_e32 v224, v132
	s_waitcnt vmcnt(27)
	v_mov_b32_e32 v225, v133
	;; [unrolled: 9-line block ×6, first 2 shown]
	ds_write2_b64 v191, v[222:223], v[224:225] offset0:28 offset1:29
	s_waitcnt vmcnt(9)
	ds_write_b64 v191, v[176:177] offset:240
	ds_read_b32 v222, v189
	s_waitcnt lgkmcnt(0)
	v_cmp_neq_f32_e32 vcc, 0, v222
	s_and_saveexec_b64 s[4:5], vcc
	s_cbranch_execz .LBB123_172
; %bb.171:
	v_div_scale_f32 v223, s[10:11], v222, v222, 1.0
	v_rcp_f32_e32 v224, v223
	v_div_scale_f32 v225, vcc, 1.0, v222, 1.0
	v_fma_f32 v226, -v223, v224, 1.0
	v_fmac_f32_e32 v224, v226, v224
	v_mul_f32_e32 v226, v225, v224
	v_fma_f32 v227, -v223, v226, v225
	v_fmac_f32_e32 v226, v227, v224
	v_fma_f32 v223, -v223, v226, v225
	v_div_fmas_f32 v223, v223, v224, v226
	v_div_fixup_f32 v222, v223, v222, 1.0
	ds_write_b32 v189, v222
.LBB123_172:
	s_or_b64 exec, exec, s[4:5]
.LBB123_173:
	s_or_b64 exec, exec, s[2:3]
	s_waitcnt lgkmcnt(0)
	s_barrier
	ds_read_b32 v222, v189
	v_cmp_lt_u32_e32 vcc, 31, v187
	s_and_saveexec_b64 s[2:3], vcc
	s_cbranch_execz .LBB123_175
; %bb.174:
	ds_read2_b64 v[224:227], v191 offset0:16 offset1:17
	ds_read2_b64 v[228:231], v191 offset0:18 offset1:19
	s_waitcnt vmcnt(39) lgkmcnt(2)
	v_mul_f32_e32 v236, v222, v139
	ds_read2_b64 v[232:235], v191 offset0:20 offset1:21
	v_mov_b32_e32 v139, v236
	s_waitcnt vmcnt(37) lgkmcnt(2)
	v_pk_fma_f32 v[162:163], v[236:237], v[224:225], v[162:163] op_sel_hi:[0,1,1] neg_lo:[1,0,0] neg_hi:[1,0,0]
	s_waitcnt vmcnt(35)
	v_pk_fma_f32 v[136:137], v[236:237], v[226:227], v[136:137] op_sel_hi:[0,1,1] neg_lo:[1,0,0] neg_hi:[1,0,0]
	s_waitcnt vmcnt(33) lgkmcnt(1)
	v_pk_fma_f32 v[160:161], v[236:237], v[228:229], v[160:161] op_sel_hi:[0,1,1] neg_lo:[1,0,0] neg_hi:[1,0,0]
	ds_read2_b64 v[224:227], v191 offset0:22 offset1:23
	s_waitcnt vmcnt(31)
	v_pk_fma_f32 v[134:135], v[236:237], v[230:231], v[134:135] op_sel_hi:[0,1,1] neg_lo:[1,0,0] neg_hi:[1,0,0]
	ds_read2_b64 v[228:231], v191 offset0:24 offset1:25
	s_waitcnt vmcnt(29) lgkmcnt(2)
	v_pk_fma_f32 v[158:159], v[236:237], v[232:233], v[158:159] op_sel_hi:[0,1,1] neg_lo:[1,0,0] neg_hi:[1,0,0]
	s_waitcnt vmcnt(27)
	v_pk_fma_f32 v[132:133], v[236:237], v[234:235], v[132:133] op_sel_hi:[0,1,1] neg_lo:[1,0,0] neg_hi:[1,0,0]
	s_waitcnt vmcnt(25) lgkmcnt(1)
	v_pk_fma_f32 v[156:157], v[236:237], v[224:225], v[156:157] op_sel_hi:[0,1,1] neg_lo:[1,0,0] neg_hi:[1,0,0]
	s_waitcnt vmcnt(23)
	v_pk_fma_f32 v[130:131], v[236:237], v[226:227], v[130:131] op_sel_hi:[0,1,1] neg_lo:[1,0,0] neg_hi:[1,0,0]
	ds_read2_b64 v[224:227], v191 offset0:26 offset1:27
	s_waitcnt vmcnt(21) lgkmcnt(1)
	v_pk_fma_f32 v[154:155], v[236:237], v[228:229], v[154:155] op_sel_hi:[0,1,1] neg_lo:[1,0,0] neg_hi:[1,0,0]
	ds_read2_b64 v[232:235], v191 offset0:28 offset1:29
	ds_read_b64 v[228:229], v191 offset:240
	s_waitcnt vmcnt(19)
	v_pk_fma_f32 v[128:129], v[236:237], v[230:231], v[128:129] op_sel_hi:[0,1,1] neg_lo:[1,0,0] neg_hi:[1,0,0]
	s_waitcnt vmcnt(17) lgkmcnt(2)
	v_pk_fma_f32 v[152:153], v[236:237], v[224:225], v[152:153] op_sel_hi:[0,1,1] neg_lo:[1,0,0] neg_hi:[1,0,0]
	s_waitcnt vmcnt(15)
	v_pk_fma_f32 v[126:127], v[236:237], v[226:227], v[126:127] op_sel_hi:[0,1,1] neg_lo:[1,0,0] neg_hi:[1,0,0]
	s_waitcnt vmcnt(13) lgkmcnt(1)
	v_pk_fma_f32 v[150:151], v[236:237], v[232:233], v[150:151] op_sel_hi:[0,1,1] neg_lo:[1,0,0] neg_hi:[1,0,0]
	;; [unrolled: 4-line block ×3, first 2 shown]
.LBB123_175:
	s_or_b64 exec, exec, s[2:3]
	v_cmp_eq_u32_e32 vcc, 32, v187
	s_waitcnt lgkmcnt(0)
	s_barrier
	s_and_saveexec_b64 s[2:3], vcc
	s_cbranch_execz .LBB123_178
; %bb.176:
	s_waitcnt vmcnt(35)
	v_pk_mov_b32 v[224:225], v[162:163], v[136:137] op_sel:[1,0]
	ds_write_b32 v189, v162
	ds_write2_b32 v191, v224, v225 offset0:33 offset1:34
	s_waitcnt vmcnt(33)
	v_pk_mov_b32 v[224:225], v[136:137], v[160:161] op_sel:[1,0]
	ds_write2_b32 v191, v224, v225 offset0:35 offset1:36
	s_waitcnt vmcnt(31)
	v_pk_mov_b32 v[224:225], v[160:161], v[134:135] op_sel:[1,0]
	ds_write2_b32 v191, v224, v225 offset0:37 offset1:38
	s_waitcnt vmcnt(29)
	v_pk_mov_b32 v[224:225], v[134:135], v[158:159] op_sel:[1,0]
	ds_write2_b32 v191, v224, v225 offset0:39 offset1:40
	s_waitcnt vmcnt(27)
	v_pk_mov_b32 v[224:225], v[158:159], v[132:133] op_sel:[1,0]
	ds_write2_b32 v191, v224, v225 offset0:41 offset1:42
	s_waitcnt vmcnt(25)
	v_pk_mov_b32 v[224:225], v[132:133], v[156:157] op_sel:[1,0]
	ds_write2_b32 v191, v224, v225 offset0:43 offset1:44
	s_waitcnt vmcnt(23)
	v_pk_mov_b32 v[224:225], v[156:157], v[130:131] op_sel:[1,0]
	ds_write2_b32 v191, v224, v225 offset0:45 offset1:46
	s_waitcnt vmcnt(21)
	v_pk_mov_b32 v[224:225], v[130:131], v[154:155] op_sel:[1,0]
	ds_write2_b32 v191, v224, v225 offset0:47 offset1:48
	s_waitcnt vmcnt(19)
	v_pk_mov_b32 v[224:225], v[154:155], v[128:129] op_sel:[1,0]
	ds_write2_b32 v191, v224, v225 offset0:49 offset1:50
	s_waitcnt vmcnt(17)
	v_pk_mov_b32 v[224:225], v[128:129], v[152:153] op_sel:[1,0]
	ds_write2_b32 v191, v224, v225 offset0:51 offset1:52
	s_waitcnt vmcnt(15)
	v_pk_mov_b32 v[224:225], v[152:153], v[126:127] op_sel:[1,0]
	ds_write2_b32 v191, v224, v225 offset0:53 offset1:54
	s_waitcnt vmcnt(13)
	v_pk_mov_b32 v[224:225], v[126:127], v[150:151] op_sel:[1,0]
	ds_write2_b32 v191, v224, v225 offset0:55 offset1:56
	s_waitcnt vmcnt(11)
	v_pk_mov_b32 v[224:225], v[150:151], v[124:125] op_sel:[1,0]
	ds_write2_b32 v191, v224, v225 offset0:57 offset1:58
	s_waitcnt vmcnt(9)
	v_pk_mov_b32 v[224:225], v[124:125], v[176:177] op_sel:[1,0]
	ds_write2_b32 v191, v224, v225 offset0:59 offset1:60
	ds_write_b32 v191, v177 offset:244
	ds_read_b32 v223, v189
	s_waitcnt lgkmcnt(0)
	v_cmp_neq_f32_e32 vcc, 0, v223
	s_and_b64 exec, exec, vcc
	s_cbranch_execz .LBB123_178
; %bb.177:
	v_div_scale_f32 v224, s[4:5], v223, v223, 1.0
	v_rcp_f32_e32 v225, v224
	v_div_scale_f32 v226, vcc, 1.0, v223, 1.0
	v_fma_f32 v227, -v224, v225, 1.0
	v_fmac_f32_e32 v225, v227, v225
	v_mul_f32_e32 v227, v226, v225
	v_fma_f32 v228, -v224, v227, v226
	v_fmac_f32_e32 v227, v228, v225
	v_fma_f32 v224, -v224, v227, v226
	v_div_fmas_f32 v224, v224, v225, v227
	v_div_fixup_f32 v223, v224, v223, 1.0
	ds_write_b32 v189, v223
.LBB123_178:
	s_or_b64 exec, exec, s[2:3]
	s_waitcnt lgkmcnt(0)
	s_barrier
	ds_read_b32 v223, v189
	v_cmp_lt_u32_e32 vcc, 32, v187
	s_and_saveexec_b64 s[2:3], vcc
	s_cbranch_execz .LBB123_180
; %bb.179:
	ds_read_b32 v236, v191 offset:132
	ds_read2_b64 v[224:227], v191 offset0:17 offset1:18
	s_waitcnt vmcnt(38) lgkmcnt(2)
	v_mul_f32_e32 v162, v223, v162
	ds_read2_b64 v[228:231], v191 offset0:19 offset1:20
	ds_read2_b64 v[232:235], v191 offset0:21 offset1:22
	s_waitcnt vmcnt(37) lgkmcnt(3)
	v_fma_f32 v163, -v162, v236, v163
	s_waitcnt vmcnt(35) lgkmcnt(2)
	v_pk_fma_f32 v[136:137], v[162:163], v[224:225], v[136:137] op_sel_hi:[0,1,1] neg_lo:[1,0,0] neg_hi:[1,0,0]
	s_waitcnt vmcnt(33)
	v_pk_fma_f32 v[160:161], v[162:163], v[226:227], v[160:161] op_sel_hi:[0,1,1] neg_lo:[1,0,0] neg_hi:[1,0,0]
	ds_read2_b64 v[224:227], v191 offset0:23 offset1:24
	s_waitcnt vmcnt(31) lgkmcnt(2)
	v_pk_fma_f32 v[134:135], v[162:163], v[228:229], v[134:135] op_sel_hi:[0,1,1] neg_lo:[1,0,0] neg_hi:[1,0,0]
	s_waitcnt vmcnt(29)
	v_pk_fma_f32 v[158:159], v[162:163], v[230:231], v[158:159] op_sel_hi:[0,1,1] neg_lo:[1,0,0] neg_hi:[1,0,0]
	s_waitcnt vmcnt(27) lgkmcnt(1)
	v_pk_fma_f32 v[132:133], v[162:163], v[232:233], v[132:133] op_sel_hi:[0,1,1] neg_lo:[1,0,0] neg_hi:[1,0,0]
	s_waitcnt vmcnt(25)
	v_pk_fma_f32 v[156:157], v[162:163], v[234:235], v[156:157] op_sel_hi:[0,1,1] neg_lo:[1,0,0] neg_hi:[1,0,0]
	ds_read2_b64 v[228:231], v191 offset0:25 offset1:26
	s_waitcnt vmcnt(23) lgkmcnt(1)
	v_pk_fma_f32 v[130:131], v[162:163], v[224:225], v[130:131] op_sel_hi:[0,1,1] neg_lo:[1,0,0] neg_hi:[1,0,0]
	ds_read2_b64 v[232:235], v191 offset0:27 offset1:28
	s_waitcnt vmcnt(21)
	v_pk_fma_f32 v[154:155], v[162:163], v[226:227], v[154:155] op_sel_hi:[0,1,1] neg_lo:[1,0,0] neg_hi:[1,0,0]
	ds_read2_b64 v[224:227], v191 offset0:29 offset1:30
	s_waitcnt vmcnt(19) lgkmcnt(2)
	v_pk_fma_f32 v[128:129], v[162:163], v[228:229], v[128:129] op_sel_hi:[0,1,1] neg_lo:[1,0,0] neg_hi:[1,0,0]
	s_waitcnt vmcnt(17)
	v_pk_fma_f32 v[152:153], v[162:163], v[230:231], v[152:153] op_sel_hi:[0,1,1] neg_lo:[1,0,0] neg_hi:[1,0,0]
	s_waitcnt vmcnt(15) lgkmcnt(1)
	v_pk_fma_f32 v[126:127], v[162:163], v[232:233], v[126:127] op_sel_hi:[0,1,1] neg_lo:[1,0,0] neg_hi:[1,0,0]
	s_waitcnt vmcnt(13)
	v_pk_fma_f32 v[150:151], v[162:163], v[234:235], v[150:151] op_sel_hi:[0,1,1] neg_lo:[1,0,0] neg_hi:[1,0,0]
	;; [unrolled: 4-line block ×3, first 2 shown]
.LBB123_180:
	s_or_b64 exec, exec, s[2:3]
	v_cmp_ne_u32_e32 vcc, 33, v187
	s_waitcnt lgkmcnt(0)
	s_barrier
	s_and_saveexec_b64 s[2:3], vcc
	s_xor_b64 s[2:3], exec, s[2:3]
	s_andn2_saveexec_b64 s[2:3], s[2:3]
	s_cbranch_execz .LBB123_184
; %bb.181:
	s_waitcnt vmcnt(37)
	ds_write_b32 v189, v163
	s_waitcnt vmcnt(33)
	ds_write2_b64 v191, v[136:137], v[160:161] offset0:17 offset1:18
	s_waitcnt vmcnt(29)
	ds_write2_b64 v191, v[134:135], v[158:159] offset0:19 offset1:20
	;; [unrolled: 2-line block ×7, first 2 shown]
	ds_read_b32 v224, v189
	s_waitcnt lgkmcnt(0)
	v_cmp_neq_f32_e32 vcc, 0, v224
	s_and_saveexec_b64 s[4:5], vcc
	s_cbranch_execz .LBB123_183
; %bb.182:
	v_div_scale_f32 v225, s[10:11], v224, v224, 1.0
	v_rcp_f32_e32 v226, v225
	v_div_scale_f32 v227, vcc, 1.0, v224, 1.0
	v_fma_f32 v228, -v225, v226, 1.0
	v_fmac_f32_e32 v226, v228, v226
	v_mul_f32_e32 v228, v227, v226
	v_fma_f32 v229, -v225, v228, v227
	v_fmac_f32_e32 v228, v229, v226
	v_fma_f32 v225, -v225, v228, v227
	v_div_fmas_f32 v225, v225, v226, v228
	v_div_fixup_f32 v224, v225, v224, 1.0
	ds_write_b32 v189, v224
.LBB123_183:
	s_or_b64 exec, exec, s[4:5]
.LBB123_184:
	s_or_b64 exec, exec, s[2:3]
	s_waitcnt lgkmcnt(0)
	s_barrier
	ds_read_b32 v224, v189
	v_cmp_lt_u32_e32 vcc, 33, v187
	s_and_saveexec_b64 s[2:3], vcc
	s_cbranch_execz .LBB123_186
; %bb.185:
	ds_read2_b64 v[226:229], v191 offset0:17 offset1:18
	ds_read2_b64 v[230:233], v191 offset0:19 offset1:20
	s_waitcnt vmcnt(37) lgkmcnt(2)
	v_mul_f32_e32 v238, v224, v163
	ds_read2_b64 v[234:237], v191 offset0:21 offset1:22
	v_mov_b32_e32 v163, v238
	s_waitcnt vmcnt(35) lgkmcnt(2)
	v_pk_fma_f32 v[136:137], v[238:239], v[226:227], v[136:137] op_sel_hi:[0,1,1] neg_lo:[1,0,0] neg_hi:[1,0,0]
	s_waitcnt vmcnt(33)
	v_pk_fma_f32 v[160:161], v[238:239], v[228:229], v[160:161] op_sel_hi:[0,1,1] neg_lo:[1,0,0] neg_hi:[1,0,0]
	ds_read2_b64 v[226:229], v191 offset0:23 offset1:24
	s_waitcnt vmcnt(31) lgkmcnt(2)
	v_pk_fma_f32 v[134:135], v[238:239], v[230:231], v[134:135] op_sel_hi:[0,1,1] neg_lo:[1,0,0] neg_hi:[1,0,0]
	s_waitcnt vmcnt(29)
	v_pk_fma_f32 v[158:159], v[238:239], v[232:233], v[158:159] op_sel_hi:[0,1,1] neg_lo:[1,0,0] neg_hi:[1,0,0]
	s_waitcnt vmcnt(27) lgkmcnt(1)
	v_pk_fma_f32 v[132:133], v[238:239], v[234:235], v[132:133] op_sel_hi:[0,1,1] neg_lo:[1,0,0] neg_hi:[1,0,0]
	s_waitcnt vmcnt(25)
	v_pk_fma_f32 v[156:157], v[238:239], v[236:237], v[156:157] op_sel_hi:[0,1,1] neg_lo:[1,0,0] neg_hi:[1,0,0]
	ds_read2_b64 v[230:233], v191 offset0:25 offset1:26
	ds_read2_b64 v[234:237], v191 offset0:27 offset1:28
	s_waitcnt vmcnt(23) lgkmcnt(2)
	v_pk_fma_f32 v[130:131], v[238:239], v[226:227], v[130:131] op_sel_hi:[0,1,1] neg_lo:[1,0,0] neg_hi:[1,0,0]
	s_waitcnt vmcnt(21)
	v_pk_fma_f32 v[154:155], v[238:239], v[228:229], v[154:155] op_sel_hi:[0,1,1] neg_lo:[1,0,0] neg_hi:[1,0,0]
	ds_read2_b64 v[226:229], v191 offset0:29 offset1:30
	s_waitcnt vmcnt(19) lgkmcnt(2)
	v_pk_fma_f32 v[128:129], v[238:239], v[230:231], v[128:129] op_sel_hi:[0,1,1] neg_lo:[1,0,0] neg_hi:[1,0,0]
	s_waitcnt vmcnt(17)
	v_pk_fma_f32 v[152:153], v[238:239], v[232:233], v[152:153] op_sel_hi:[0,1,1] neg_lo:[1,0,0] neg_hi:[1,0,0]
	s_waitcnt vmcnt(15) lgkmcnt(1)
	v_pk_fma_f32 v[126:127], v[238:239], v[234:235], v[126:127] op_sel_hi:[0,1,1] neg_lo:[1,0,0] neg_hi:[1,0,0]
	s_waitcnt vmcnt(13)
	v_pk_fma_f32 v[150:151], v[238:239], v[236:237], v[150:151] op_sel_hi:[0,1,1] neg_lo:[1,0,0] neg_hi:[1,0,0]
	;; [unrolled: 4-line block ×3, first 2 shown]
.LBB123_186:
	s_or_b64 exec, exec, s[2:3]
	v_cmp_eq_u32_e32 vcc, 34, v187
	s_waitcnt lgkmcnt(0)
	s_barrier
	s_and_saveexec_b64 s[2:3], vcc
	s_cbranch_execz .LBB123_189
; %bb.187:
	s_waitcnt vmcnt(33)
	v_pk_mov_b32 v[226:227], v[136:137], v[160:161] op_sel:[1,0]
	ds_write_b32 v189, v136
	ds_write2_b32 v191, v226, v227 offset0:35 offset1:36
	s_waitcnt vmcnt(31)
	v_pk_mov_b32 v[226:227], v[160:161], v[134:135] op_sel:[1,0]
	ds_write2_b32 v191, v226, v227 offset0:37 offset1:38
	s_waitcnt vmcnt(29)
	v_pk_mov_b32 v[226:227], v[134:135], v[158:159] op_sel:[1,0]
	;; [unrolled: 3-line block ×12, first 2 shown]
	ds_write2_b32 v191, v226, v227 offset0:59 offset1:60
	ds_write_b32 v191, v177 offset:244
	ds_read_b32 v225, v189
	s_waitcnt lgkmcnt(0)
	v_cmp_neq_f32_e32 vcc, 0, v225
	s_and_b64 exec, exec, vcc
	s_cbranch_execz .LBB123_189
; %bb.188:
	v_div_scale_f32 v226, s[4:5], v225, v225, 1.0
	v_rcp_f32_e32 v227, v226
	v_div_scale_f32 v228, vcc, 1.0, v225, 1.0
	v_fma_f32 v229, -v226, v227, 1.0
	v_fmac_f32_e32 v227, v229, v227
	v_mul_f32_e32 v229, v228, v227
	v_fma_f32 v230, -v226, v229, v228
	v_fmac_f32_e32 v229, v230, v227
	v_fma_f32 v226, -v226, v229, v228
	v_div_fmas_f32 v226, v226, v227, v229
	v_div_fixup_f32 v225, v226, v225, 1.0
	ds_write_b32 v189, v225
.LBB123_189:
	s_or_b64 exec, exec, s[2:3]
	s_waitcnt lgkmcnt(0)
	s_barrier
	ds_read_b32 v225, v189
	v_cmp_lt_u32_e32 vcc, 34, v187
	s_and_saveexec_b64 s[2:3], vcc
	s_cbranch_execz .LBB123_191
; %bb.190:
	ds_read_b32 v238, v191 offset:140
	ds_read2_b64 v[226:229], v191 offset0:18 offset1:19
	s_waitcnt vmcnt(36) lgkmcnt(2)
	v_mul_f32_e32 v136, v225, v136
	ds_read2_b64 v[230:233], v191 offset0:20 offset1:21
	ds_read2_b64 v[234:237], v191 offset0:22 offset1:23
	s_waitcnt vmcnt(35) lgkmcnt(3)
	v_fma_f32 v137, -v136, v238, v137
	s_waitcnt vmcnt(33) lgkmcnt(2)
	v_pk_fma_f32 v[160:161], v[136:137], v[226:227], v[160:161] op_sel_hi:[0,1,1] neg_lo:[1,0,0] neg_hi:[1,0,0]
	s_waitcnt vmcnt(31)
	v_pk_fma_f32 v[134:135], v[136:137], v[228:229], v[134:135] op_sel_hi:[0,1,1] neg_lo:[1,0,0] neg_hi:[1,0,0]
	ds_read2_b64 v[226:229], v191 offset0:24 offset1:25
	s_waitcnt vmcnt(29) lgkmcnt(2)
	v_pk_fma_f32 v[158:159], v[136:137], v[230:231], v[158:159] op_sel_hi:[0,1,1] neg_lo:[1,0,0] neg_hi:[1,0,0]
	s_waitcnt vmcnt(27)
	v_pk_fma_f32 v[132:133], v[136:137], v[232:233], v[132:133] op_sel_hi:[0,1,1] neg_lo:[1,0,0] neg_hi:[1,0,0]
	s_waitcnt vmcnt(25) lgkmcnt(1)
	v_pk_fma_f32 v[156:157], v[136:137], v[234:235], v[156:157] op_sel_hi:[0,1,1] neg_lo:[1,0,0] neg_hi:[1,0,0]
	s_waitcnt vmcnt(23)
	v_pk_fma_f32 v[130:131], v[136:137], v[236:237], v[130:131] op_sel_hi:[0,1,1] neg_lo:[1,0,0] neg_hi:[1,0,0]
	ds_read2_b64 v[230:233], v191 offset0:26 offset1:27
	s_waitcnt vmcnt(21) lgkmcnt(1)
	v_pk_fma_f32 v[154:155], v[136:137], v[226:227], v[154:155] op_sel_hi:[0,1,1] neg_lo:[1,0,0] neg_hi:[1,0,0]
	ds_read2_b64 v[234:237], v191 offset0:28 offset1:29
	ds_read_b64 v[226:227], v191 offset:240
	s_waitcnt vmcnt(19)
	v_pk_fma_f32 v[128:129], v[136:137], v[228:229], v[128:129] op_sel_hi:[0,1,1] neg_lo:[1,0,0] neg_hi:[1,0,0]
	s_waitcnt vmcnt(17) lgkmcnt(2)
	v_pk_fma_f32 v[152:153], v[136:137], v[230:231], v[152:153] op_sel_hi:[0,1,1] neg_lo:[1,0,0] neg_hi:[1,0,0]
	s_waitcnt vmcnt(15)
	v_pk_fma_f32 v[126:127], v[136:137], v[232:233], v[126:127] op_sel_hi:[0,1,1] neg_lo:[1,0,0] neg_hi:[1,0,0]
	s_waitcnt vmcnt(13) lgkmcnt(1)
	v_pk_fma_f32 v[150:151], v[136:137], v[234:235], v[150:151] op_sel_hi:[0,1,1] neg_lo:[1,0,0] neg_hi:[1,0,0]
	;; [unrolled: 4-line block ×3, first 2 shown]
.LBB123_191:
	s_or_b64 exec, exec, s[2:3]
	v_cmp_ne_u32_e32 vcc, 35, v187
	s_waitcnt lgkmcnt(0)
	s_barrier
	s_and_saveexec_b64 s[2:3], vcc
	s_xor_b64 s[2:3], exec, s[2:3]
	s_andn2_saveexec_b64 s[2:3], s[2:3]
	s_cbranch_execz .LBB123_195
; %bb.192:
	s_waitcnt vmcnt(34)
	v_mov_b32_e32 v226, v160
	s_waitcnt vmcnt(33)
	v_mov_b32_e32 v227, v161
	;; [unrolled: 2-line block ×4, first 2 shown]
	ds_write_b32 v189, v137
	ds_write2_b64 v191, v[226:227], v[228:229] offset0:18 offset1:19
	s_waitcnt vmcnt(30)
	v_mov_b32_e32 v226, v158
	s_waitcnt vmcnt(29)
	v_mov_b32_e32 v227, v159
	s_waitcnt vmcnt(28)
	v_mov_b32_e32 v228, v132
	s_waitcnt vmcnt(27)
	v_mov_b32_e32 v229, v133
	ds_write2_b64 v191, v[226:227], v[228:229] offset0:20 offset1:21
	s_waitcnt vmcnt(26)
	v_mov_b32_e32 v226, v156
	s_waitcnt vmcnt(25)
	v_mov_b32_e32 v227, v157
	s_waitcnt vmcnt(24)
	v_mov_b32_e32 v228, v130
	s_waitcnt vmcnt(23)
	v_mov_b32_e32 v229, v131
	;; [unrolled: 9-line block ×5, first 2 shown]
	ds_write2_b64 v191, v[226:227], v[228:229] offset0:28 offset1:29
	s_waitcnt vmcnt(9)
	ds_write_b64 v191, v[176:177] offset:240
	ds_read_b32 v226, v189
	s_waitcnt lgkmcnt(0)
	v_cmp_neq_f32_e32 vcc, 0, v226
	s_and_saveexec_b64 s[4:5], vcc
	s_cbranch_execz .LBB123_194
; %bb.193:
	v_div_scale_f32 v227, s[10:11], v226, v226, 1.0
	v_rcp_f32_e32 v228, v227
	v_div_scale_f32 v229, vcc, 1.0, v226, 1.0
	v_fma_f32 v230, -v227, v228, 1.0
	v_fmac_f32_e32 v228, v230, v228
	v_mul_f32_e32 v230, v229, v228
	v_fma_f32 v231, -v227, v230, v229
	v_fmac_f32_e32 v230, v231, v228
	v_fma_f32 v227, -v227, v230, v229
	v_div_fmas_f32 v227, v227, v228, v230
	v_div_fixup_f32 v226, v227, v226, 1.0
	ds_write_b32 v189, v226
.LBB123_194:
	s_or_b64 exec, exec, s[4:5]
.LBB123_195:
	s_or_b64 exec, exec, s[2:3]
	s_waitcnt lgkmcnt(0)
	s_barrier
	ds_read_b32 v226, v189
	v_cmp_lt_u32_e32 vcc, 35, v187
	s_and_saveexec_b64 s[2:3], vcc
	s_cbranch_execz .LBB123_197
; %bb.196:
	ds_read2_b64 v[228:231], v191 offset0:18 offset1:19
	ds_read2_b64 v[232:235], v191 offset0:20 offset1:21
	s_waitcnt vmcnt(35) lgkmcnt(2)
	v_mul_f32_e32 v240, v226, v137
	ds_read2_b64 v[236:239], v191 offset0:22 offset1:23
	v_mov_b32_e32 v137, v240
	s_waitcnt vmcnt(33) lgkmcnt(2)
	v_pk_fma_f32 v[160:161], v[240:241], v[228:229], v[160:161] op_sel_hi:[0,1,1] neg_lo:[1,0,0] neg_hi:[1,0,0]
	s_waitcnt vmcnt(31)
	v_pk_fma_f32 v[134:135], v[240:241], v[230:231], v[134:135] op_sel_hi:[0,1,1] neg_lo:[1,0,0] neg_hi:[1,0,0]
	ds_read2_b64 v[228:231], v191 offset0:24 offset1:25
	s_waitcnt vmcnt(29) lgkmcnt(2)
	v_pk_fma_f32 v[158:159], v[240:241], v[232:233], v[158:159] op_sel_hi:[0,1,1] neg_lo:[1,0,0] neg_hi:[1,0,0]
	s_waitcnt vmcnt(27)
	v_pk_fma_f32 v[132:133], v[240:241], v[234:235], v[132:133] op_sel_hi:[0,1,1] neg_lo:[1,0,0] neg_hi:[1,0,0]
	s_waitcnt vmcnt(25) lgkmcnt(1)
	v_pk_fma_f32 v[156:157], v[240:241], v[236:237], v[156:157] op_sel_hi:[0,1,1] neg_lo:[1,0,0] neg_hi:[1,0,0]
	s_waitcnt vmcnt(23)
	v_pk_fma_f32 v[130:131], v[240:241], v[238:239], v[130:131] op_sel_hi:[0,1,1] neg_lo:[1,0,0] neg_hi:[1,0,0]
	ds_read2_b64 v[232:235], v191 offset0:26 offset1:27
	ds_read2_b64 v[236:239], v191 offset0:28 offset1:29
	s_waitcnt vmcnt(21) lgkmcnt(2)
	v_pk_fma_f32 v[154:155], v[240:241], v[228:229], v[154:155] op_sel_hi:[0,1,1] neg_lo:[1,0,0] neg_hi:[1,0,0]
	ds_read_b64 v[228:229], v191 offset:240
	s_waitcnt vmcnt(19)
	v_pk_fma_f32 v[128:129], v[240:241], v[230:231], v[128:129] op_sel_hi:[0,1,1] neg_lo:[1,0,0] neg_hi:[1,0,0]
	s_waitcnt vmcnt(17) lgkmcnt(2)
	v_pk_fma_f32 v[152:153], v[240:241], v[232:233], v[152:153] op_sel_hi:[0,1,1] neg_lo:[1,0,0] neg_hi:[1,0,0]
	s_waitcnt vmcnt(15)
	v_pk_fma_f32 v[126:127], v[240:241], v[234:235], v[126:127] op_sel_hi:[0,1,1] neg_lo:[1,0,0] neg_hi:[1,0,0]
	s_waitcnt vmcnt(13) lgkmcnt(1)
	v_pk_fma_f32 v[150:151], v[240:241], v[236:237], v[150:151] op_sel_hi:[0,1,1] neg_lo:[1,0,0] neg_hi:[1,0,0]
	;; [unrolled: 4-line block ×3, first 2 shown]
.LBB123_197:
	s_or_b64 exec, exec, s[2:3]
	v_cmp_eq_u32_e32 vcc, 36, v187
	s_waitcnt lgkmcnt(0)
	s_barrier
	s_and_saveexec_b64 s[2:3], vcc
	s_cbranch_execz .LBB123_200
; %bb.198:
	s_waitcnt vmcnt(31)
	v_pk_mov_b32 v[228:229], v[160:161], v[134:135] op_sel:[1,0]
	ds_write_b32 v189, v160
	ds_write2_b32 v191, v228, v229 offset0:37 offset1:38
	s_waitcnt vmcnt(29)
	v_pk_mov_b32 v[228:229], v[134:135], v[158:159] op_sel:[1,0]
	ds_write2_b32 v191, v228, v229 offset0:39 offset1:40
	s_waitcnt vmcnt(27)
	v_pk_mov_b32 v[228:229], v[158:159], v[132:133] op_sel:[1,0]
	;; [unrolled: 3-line block ×11, first 2 shown]
	ds_write2_b32 v191, v228, v229 offset0:59 offset1:60
	ds_write_b32 v191, v177 offset:244
	ds_read_b32 v227, v189
	s_waitcnt lgkmcnt(0)
	v_cmp_neq_f32_e32 vcc, 0, v227
	s_and_b64 exec, exec, vcc
	s_cbranch_execz .LBB123_200
; %bb.199:
	v_div_scale_f32 v228, s[4:5], v227, v227, 1.0
	v_rcp_f32_e32 v229, v228
	v_div_scale_f32 v230, vcc, 1.0, v227, 1.0
	v_fma_f32 v231, -v228, v229, 1.0
	v_fmac_f32_e32 v229, v231, v229
	v_mul_f32_e32 v231, v230, v229
	v_fma_f32 v232, -v228, v231, v230
	v_fmac_f32_e32 v231, v232, v229
	v_fma_f32 v228, -v228, v231, v230
	v_div_fmas_f32 v228, v228, v229, v231
	v_div_fixup_f32 v227, v228, v227, 1.0
	ds_write_b32 v189, v227
.LBB123_200:
	s_or_b64 exec, exec, s[2:3]
	s_waitcnt lgkmcnt(0)
	s_barrier
	ds_read_b32 v227, v189
	v_cmp_lt_u32_e32 vcc, 36, v187
	s_and_saveexec_b64 s[2:3], vcc
	s_cbranch_execz .LBB123_202
; %bb.201:
	ds_read_b32 v240, v191 offset:148
	ds_read2_b64 v[228:231], v191 offset0:19 offset1:20
	ds_read2_b64 v[232:235], v191 offset0:21 offset1:22
	;; [unrolled: 1-line block ×3, first 2 shown]
	s_waitcnt vmcnt(34) lgkmcnt(4)
	v_mul_f32_e32 v160, v227, v160
	s_waitcnt vmcnt(33) lgkmcnt(3)
	v_fma_f32 v161, -v160, v240, v161
	s_waitcnt vmcnt(31) lgkmcnt(2)
	v_pk_fma_f32 v[134:135], v[160:161], v[228:229], v[134:135] op_sel_hi:[0,1,1] neg_lo:[1,0,0] neg_hi:[1,0,0]
	s_waitcnt vmcnt(29)
	v_pk_fma_f32 v[158:159], v[160:161], v[230:231], v[158:159] op_sel_hi:[0,1,1] neg_lo:[1,0,0] neg_hi:[1,0,0]
	s_waitcnt vmcnt(27) lgkmcnt(1)
	v_pk_fma_f32 v[132:133], v[160:161], v[232:233], v[132:133] op_sel_hi:[0,1,1] neg_lo:[1,0,0] neg_hi:[1,0,0]
	s_waitcnt vmcnt(25)
	v_pk_fma_f32 v[156:157], v[160:161], v[234:235], v[156:157] op_sel_hi:[0,1,1] neg_lo:[1,0,0] neg_hi:[1,0,0]
	ds_read2_b64 v[228:231], v191 offset0:25 offset1:26
	ds_read2_b64 v[232:235], v191 offset0:27 offset1:28
	s_waitcnt vmcnt(23) lgkmcnt(2)
	v_pk_fma_f32 v[130:131], v[160:161], v[236:237], v[130:131] op_sel_hi:[0,1,1] neg_lo:[1,0,0] neg_hi:[1,0,0]
	s_waitcnt vmcnt(21)
	v_pk_fma_f32 v[154:155], v[160:161], v[238:239], v[154:155] op_sel_hi:[0,1,1] neg_lo:[1,0,0] neg_hi:[1,0,0]
	ds_read2_b64 v[236:239], v191 offset0:29 offset1:30
	s_waitcnt vmcnt(19) lgkmcnt(2)
	v_pk_fma_f32 v[128:129], v[160:161], v[228:229], v[128:129] op_sel_hi:[0,1,1] neg_lo:[1,0,0] neg_hi:[1,0,0]
	s_waitcnt vmcnt(17)
	v_pk_fma_f32 v[152:153], v[160:161], v[230:231], v[152:153] op_sel_hi:[0,1,1] neg_lo:[1,0,0] neg_hi:[1,0,0]
	s_waitcnt vmcnt(15) lgkmcnt(1)
	v_pk_fma_f32 v[126:127], v[160:161], v[232:233], v[126:127] op_sel_hi:[0,1,1] neg_lo:[1,0,0] neg_hi:[1,0,0]
	s_waitcnt vmcnt(13)
	v_pk_fma_f32 v[150:151], v[160:161], v[234:235], v[150:151] op_sel_hi:[0,1,1] neg_lo:[1,0,0] neg_hi:[1,0,0]
	;; [unrolled: 4-line block ×3, first 2 shown]
.LBB123_202:
	s_or_b64 exec, exec, s[2:3]
	v_cmp_ne_u32_e32 vcc, 37, v187
	s_waitcnt lgkmcnt(0)
	s_barrier
	s_and_saveexec_b64 s[2:3], vcc
	s_xor_b64 s[2:3], exec, s[2:3]
	s_andn2_saveexec_b64 s[2:3], s[2:3]
	s_cbranch_execz .LBB123_206
; %bb.203:
	s_waitcnt vmcnt(33)
	ds_write_b32 v189, v161
	s_waitcnt vmcnt(29)
	ds_write2_b64 v191, v[134:135], v[158:159] offset0:19 offset1:20
	s_waitcnt vmcnt(25)
	ds_write2_b64 v191, v[132:133], v[156:157] offset0:21 offset1:22
	;; [unrolled: 2-line block ×6, first 2 shown]
	ds_read_b32 v228, v189
	s_waitcnt lgkmcnt(0)
	v_cmp_neq_f32_e32 vcc, 0, v228
	s_and_saveexec_b64 s[4:5], vcc
	s_cbranch_execz .LBB123_205
; %bb.204:
	v_div_scale_f32 v229, s[10:11], v228, v228, 1.0
	v_rcp_f32_e32 v230, v229
	v_div_scale_f32 v231, vcc, 1.0, v228, 1.0
	v_fma_f32 v232, -v229, v230, 1.0
	v_fmac_f32_e32 v230, v232, v230
	v_mul_f32_e32 v232, v231, v230
	v_fma_f32 v233, -v229, v232, v231
	v_fmac_f32_e32 v232, v233, v230
	v_fma_f32 v229, -v229, v232, v231
	v_div_fmas_f32 v229, v229, v230, v232
	v_div_fixup_f32 v228, v229, v228, 1.0
	ds_write_b32 v189, v228
.LBB123_205:
	s_or_b64 exec, exec, s[4:5]
.LBB123_206:
	s_or_b64 exec, exec, s[2:3]
	s_waitcnt lgkmcnt(0)
	s_barrier
	ds_read_b32 v228, v189
	v_cmp_lt_u32_e32 vcc, 37, v187
	s_and_saveexec_b64 s[2:3], vcc
	s_cbranch_execz .LBB123_208
; %bb.207:
	ds_read2_b64 v[230:233], v191 offset0:19 offset1:20
	ds_read2_b64 v[234:237], v191 offset0:21 offset1:22
	;; [unrolled: 1-line block ×3, first 2 shown]
	s_waitcnt vmcnt(33) lgkmcnt(3)
	v_mul_f32_e32 v242, v228, v161
	v_mov_b32_e32 v161, v242
	s_waitcnt vmcnt(31) lgkmcnt(2)
	v_pk_fma_f32 v[134:135], v[242:243], v[230:231], v[134:135] op_sel_hi:[0,1,1] neg_lo:[1,0,0] neg_hi:[1,0,0]
	s_waitcnt vmcnt(29)
	v_pk_fma_f32 v[158:159], v[242:243], v[232:233], v[158:159] op_sel_hi:[0,1,1] neg_lo:[1,0,0] neg_hi:[1,0,0]
	s_waitcnt vmcnt(27) lgkmcnt(1)
	v_pk_fma_f32 v[132:133], v[242:243], v[234:235], v[132:133] op_sel_hi:[0,1,1] neg_lo:[1,0,0] neg_hi:[1,0,0]
	s_waitcnt vmcnt(25)
	v_pk_fma_f32 v[156:157], v[242:243], v[236:237], v[156:157] op_sel_hi:[0,1,1] neg_lo:[1,0,0] neg_hi:[1,0,0]
	ds_read2_b64 v[230:233], v191 offset0:25 offset1:26
	s_waitcnt vmcnt(23) lgkmcnt(1)
	v_pk_fma_f32 v[130:131], v[242:243], v[238:239], v[130:131] op_sel_hi:[0,1,1] neg_lo:[1,0,0] neg_hi:[1,0,0]
	ds_read2_b64 v[234:237], v191 offset0:27 offset1:28
	s_waitcnt vmcnt(21)
	v_pk_fma_f32 v[154:155], v[242:243], v[240:241], v[154:155] op_sel_hi:[0,1,1] neg_lo:[1,0,0] neg_hi:[1,0,0]
	ds_read2_b64 v[238:241], v191 offset0:29 offset1:30
	s_waitcnt vmcnt(19) lgkmcnt(2)
	v_pk_fma_f32 v[128:129], v[242:243], v[230:231], v[128:129] op_sel_hi:[0,1,1] neg_lo:[1,0,0] neg_hi:[1,0,0]
	s_waitcnt vmcnt(17)
	v_pk_fma_f32 v[152:153], v[242:243], v[232:233], v[152:153] op_sel_hi:[0,1,1] neg_lo:[1,0,0] neg_hi:[1,0,0]
	s_waitcnt vmcnt(15) lgkmcnt(1)
	v_pk_fma_f32 v[126:127], v[242:243], v[234:235], v[126:127] op_sel_hi:[0,1,1] neg_lo:[1,0,0] neg_hi:[1,0,0]
	s_waitcnt vmcnt(13)
	v_pk_fma_f32 v[150:151], v[242:243], v[236:237], v[150:151] op_sel_hi:[0,1,1] neg_lo:[1,0,0] neg_hi:[1,0,0]
	;; [unrolled: 4-line block ×3, first 2 shown]
.LBB123_208:
	s_or_b64 exec, exec, s[2:3]
	v_cmp_eq_u32_e32 vcc, 38, v187
	s_waitcnt lgkmcnt(0)
	s_barrier
	s_and_saveexec_b64 s[2:3], vcc
	s_cbranch_execz .LBB123_211
; %bb.209:
	s_waitcnt vmcnt(29)
	v_pk_mov_b32 v[230:231], v[134:135], v[158:159] op_sel:[1,0]
	ds_write_b32 v189, v134
	ds_write2_b32 v191, v230, v231 offset0:39 offset1:40
	s_waitcnt vmcnt(27)
	v_pk_mov_b32 v[230:231], v[158:159], v[132:133] op_sel:[1,0]
	ds_write2_b32 v191, v230, v231 offset0:41 offset1:42
	s_waitcnt vmcnt(25)
	v_pk_mov_b32 v[230:231], v[132:133], v[156:157] op_sel:[1,0]
	;; [unrolled: 3-line block ×10, first 2 shown]
	ds_write2_b32 v191, v230, v231 offset0:59 offset1:60
	ds_write_b32 v191, v177 offset:244
	ds_read_b32 v229, v189
	s_waitcnt lgkmcnt(0)
	v_cmp_neq_f32_e32 vcc, 0, v229
	s_and_b64 exec, exec, vcc
	s_cbranch_execz .LBB123_211
; %bb.210:
	v_div_scale_f32 v230, s[4:5], v229, v229, 1.0
	v_rcp_f32_e32 v231, v230
	v_div_scale_f32 v232, vcc, 1.0, v229, 1.0
	v_fma_f32 v233, -v230, v231, 1.0
	v_fmac_f32_e32 v231, v233, v231
	v_mul_f32_e32 v233, v232, v231
	v_fma_f32 v234, -v230, v233, v232
	v_fmac_f32_e32 v233, v234, v231
	v_fma_f32 v230, -v230, v233, v232
	v_div_fmas_f32 v230, v230, v231, v233
	v_div_fixup_f32 v229, v230, v229, 1.0
	ds_write_b32 v189, v229
.LBB123_211:
	s_or_b64 exec, exec, s[2:3]
	s_waitcnt lgkmcnt(0)
	s_barrier
	ds_read_b32 v229, v189
	v_cmp_lt_u32_e32 vcc, 38, v187
	s_and_saveexec_b64 s[2:3], vcc
	s_cbranch_execz .LBB123_213
; %bb.212:
	ds_read_b32 v242, v191 offset:156
	ds_read2_b64 v[230:233], v191 offset0:20 offset1:21
	ds_read2_b64 v[234:237], v191 offset0:22 offset1:23
	;; [unrolled: 1-line block ×3, first 2 shown]
	s_waitcnt vmcnt(32) lgkmcnt(4)
	v_mul_f32_e32 v134, v229, v134
	s_waitcnt vmcnt(31) lgkmcnt(3)
	v_fma_f32 v135, -v134, v242, v135
	s_waitcnt vmcnt(29) lgkmcnt(2)
	v_pk_fma_f32 v[158:159], v[134:135], v[230:231], v[158:159] op_sel_hi:[0,1,1] neg_lo:[1,0,0] neg_hi:[1,0,0]
	s_waitcnt vmcnt(27)
	v_pk_fma_f32 v[132:133], v[134:135], v[232:233], v[132:133] op_sel_hi:[0,1,1] neg_lo:[1,0,0] neg_hi:[1,0,0]
	s_waitcnt vmcnt(25) lgkmcnt(1)
	v_pk_fma_f32 v[156:157], v[134:135], v[234:235], v[156:157] op_sel_hi:[0,1,1] neg_lo:[1,0,0] neg_hi:[1,0,0]
	s_waitcnt vmcnt(23)
	v_pk_fma_f32 v[130:131], v[134:135], v[236:237], v[130:131] op_sel_hi:[0,1,1] neg_lo:[1,0,0] neg_hi:[1,0,0]
	ds_read2_b64 v[230:233], v191 offset0:26 offset1:27
	ds_read2_b64 v[234:237], v191 offset0:28 offset1:29
	s_waitcnt vmcnt(21) lgkmcnt(2)
	v_pk_fma_f32 v[154:155], v[134:135], v[238:239], v[154:155] op_sel_hi:[0,1,1] neg_lo:[1,0,0] neg_hi:[1,0,0]
	ds_read_b64 v[238:239], v191 offset:240
	s_waitcnt vmcnt(19)
	v_pk_fma_f32 v[128:129], v[134:135], v[240:241], v[128:129] op_sel_hi:[0,1,1] neg_lo:[1,0,0] neg_hi:[1,0,0]
	s_waitcnt vmcnt(17) lgkmcnt(2)
	v_pk_fma_f32 v[152:153], v[134:135], v[230:231], v[152:153] op_sel_hi:[0,1,1] neg_lo:[1,0,0] neg_hi:[1,0,0]
	s_waitcnt vmcnt(15)
	v_pk_fma_f32 v[126:127], v[134:135], v[232:233], v[126:127] op_sel_hi:[0,1,1] neg_lo:[1,0,0] neg_hi:[1,0,0]
	s_waitcnt vmcnt(13) lgkmcnt(1)
	v_pk_fma_f32 v[150:151], v[134:135], v[234:235], v[150:151] op_sel_hi:[0,1,1] neg_lo:[1,0,0] neg_hi:[1,0,0]
	;; [unrolled: 4-line block ×3, first 2 shown]
.LBB123_213:
	s_or_b64 exec, exec, s[2:3]
	v_cmp_ne_u32_e32 vcc, 39, v187
	s_waitcnt lgkmcnt(0)
	s_barrier
	s_and_saveexec_b64 s[2:3], vcc
	s_xor_b64 s[2:3], exec, s[2:3]
	s_andn2_saveexec_b64 s[2:3], s[2:3]
	s_cbranch_execz .LBB123_217
; %bb.214:
	s_waitcnt vmcnt(30)
	v_mov_b32_e32 v230, v158
	s_waitcnt vmcnt(29)
	v_mov_b32_e32 v231, v159
	;; [unrolled: 2-line block ×4, first 2 shown]
	ds_write_b32 v189, v135
	ds_write2_b64 v191, v[230:231], v[232:233] offset0:20 offset1:21
	s_waitcnt vmcnt(26)
	v_mov_b32_e32 v230, v156
	s_waitcnt vmcnt(25)
	v_mov_b32_e32 v231, v157
	s_waitcnt vmcnt(24)
	v_mov_b32_e32 v232, v130
	s_waitcnt vmcnt(23)
	v_mov_b32_e32 v233, v131
	ds_write2_b64 v191, v[230:231], v[232:233] offset0:22 offset1:23
	s_waitcnt vmcnt(22)
	v_mov_b32_e32 v230, v154
	s_waitcnt vmcnt(21)
	v_mov_b32_e32 v231, v155
	s_waitcnt vmcnt(20)
	v_mov_b32_e32 v232, v128
	s_waitcnt vmcnt(19)
	v_mov_b32_e32 v233, v129
	ds_write2_b64 v191, v[230:231], v[232:233] offset0:24 offset1:25
	s_waitcnt vmcnt(18)
	v_mov_b32_e32 v230, v152
	s_waitcnt vmcnt(17)
	v_mov_b32_e32 v231, v153
	s_waitcnt vmcnt(16)
	v_mov_b32_e32 v232, v126
	s_waitcnt vmcnt(15)
	v_mov_b32_e32 v233, v127
	ds_write2_b64 v191, v[230:231], v[232:233] offset0:26 offset1:27
	s_waitcnt vmcnt(14)
	v_mov_b32_e32 v230, v150
	s_waitcnt vmcnt(13)
	v_mov_b32_e32 v231, v151
	s_waitcnt vmcnt(12)
	v_mov_b32_e32 v232, v124
	s_waitcnt vmcnt(11)
	v_mov_b32_e32 v233, v125
	ds_write2_b64 v191, v[230:231], v[232:233] offset0:28 offset1:29
	s_waitcnt vmcnt(9)
	ds_write_b64 v191, v[176:177] offset:240
	ds_read_b32 v230, v189
	s_waitcnt lgkmcnt(0)
	v_cmp_neq_f32_e32 vcc, 0, v230
	s_and_saveexec_b64 s[4:5], vcc
	s_cbranch_execz .LBB123_216
; %bb.215:
	v_div_scale_f32 v231, s[10:11], v230, v230, 1.0
	v_rcp_f32_e32 v232, v231
	v_div_scale_f32 v233, vcc, 1.0, v230, 1.0
	v_fma_f32 v234, -v231, v232, 1.0
	v_fmac_f32_e32 v232, v234, v232
	v_mul_f32_e32 v234, v233, v232
	v_fma_f32 v235, -v231, v234, v233
	v_fmac_f32_e32 v234, v235, v232
	v_fma_f32 v231, -v231, v234, v233
	v_div_fmas_f32 v231, v231, v232, v234
	v_div_fixup_f32 v230, v231, v230, 1.0
	ds_write_b32 v189, v230
.LBB123_216:
	s_or_b64 exec, exec, s[4:5]
.LBB123_217:
	s_or_b64 exec, exec, s[2:3]
	s_waitcnt lgkmcnt(0)
	s_barrier
	ds_read_b32 v230, v189
	v_cmp_lt_u32_e32 vcc, 39, v187
	s_and_saveexec_b64 s[2:3], vcc
	s_cbranch_execz .LBB123_219
; %bb.218:
	ds_read2_b64 v[232:235], v191 offset0:20 offset1:21
	ds_read2_b64 v[236:239], v191 offset0:22 offset1:23
	;; [unrolled: 1-line block ×3, first 2 shown]
	s_waitcnt vmcnt(31) lgkmcnt(3)
	v_mul_f32_e32 v244, v230, v135
	v_mov_b32_e32 v135, v244
	s_waitcnt vmcnt(29) lgkmcnt(2)
	v_pk_fma_f32 v[158:159], v[244:245], v[232:233], v[158:159] op_sel_hi:[0,1,1] neg_lo:[1,0,0] neg_hi:[1,0,0]
	s_waitcnt vmcnt(27)
	v_pk_fma_f32 v[132:133], v[244:245], v[234:235], v[132:133] op_sel_hi:[0,1,1] neg_lo:[1,0,0] neg_hi:[1,0,0]
	s_waitcnt vmcnt(25) lgkmcnt(1)
	v_pk_fma_f32 v[156:157], v[244:245], v[236:237], v[156:157] op_sel_hi:[0,1,1] neg_lo:[1,0,0] neg_hi:[1,0,0]
	s_waitcnt vmcnt(23)
	v_pk_fma_f32 v[130:131], v[244:245], v[238:239], v[130:131] op_sel_hi:[0,1,1] neg_lo:[1,0,0] neg_hi:[1,0,0]
	ds_read2_b64 v[232:235], v191 offset0:26 offset1:27
	s_waitcnt vmcnt(21) lgkmcnt(1)
	v_pk_fma_f32 v[154:155], v[244:245], v[240:241], v[154:155] op_sel_hi:[0,1,1] neg_lo:[1,0,0] neg_hi:[1,0,0]
	ds_read2_b64 v[236:239], v191 offset0:28 offset1:29
	ds_read_b64 v[240:241], v191 offset:240
	s_waitcnt vmcnt(19)
	v_pk_fma_f32 v[128:129], v[244:245], v[242:243], v[128:129] op_sel_hi:[0,1,1] neg_lo:[1,0,0] neg_hi:[1,0,0]
	s_waitcnt vmcnt(17) lgkmcnt(2)
	v_pk_fma_f32 v[152:153], v[244:245], v[232:233], v[152:153] op_sel_hi:[0,1,1] neg_lo:[1,0,0] neg_hi:[1,0,0]
	s_waitcnt vmcnt(15)
	v_pk_fma_f32 v[126:127], v[244:245], v[234:235], v[126:127] op_sel_hi:[0,1,1] neg_lo:[1,0,0] neg_hi:[1,0,0]
	s_waitcnt vmcnt(13) lgkmcnt(1)
	v_pk_fma_f32 v[150:151], v[244:245], v[236:237], v[150:151] op_sel_hi:[0,1,1] neg_lo:[1,0,0] neg_hi:[1,0,0]
	s_waitcnt vmcnt(11)
	v_pk_fma_f32 v[124:125], v[244:245], v[238:239], v[124:125] op_sel_hi:[0,1,1] neg_lo:[1,0,0] neg_hi:[1,0,0]
	s_waitcnt vmcnt(9) lgkmcnt(0)
	v_pk_fma_f32 v[176:177], v[244:245], v[240:241], v[176:177] op_sel_hi:[0,1,1] neg_lo:[1,0,0] neg_hi:[1,0,0]
.LBB123_219:
	s_or_b64 exec, exec, s[2:3]
	v_cmp_eq_u32_e32 vcc, 40, v187
	s_waitcnt lgkmcnt(0)
	s_barrier
	s_and_saveexec_b64 s[2:3], vcc
	s_cbranch_execz .LBB123_222
; %bb.220:
	s_waitcnt vmcnt(27)
	v_pk_mov_b32 v[232:233], v[158:159], v[132:133] op_sel:[1,0]
	ds_write_b32 v189, v158
	ds_write2_b32 v191, v232, v233 offset0:41 offset1:42
	s_waitcnt vmcnt(25)
	v_pk_mov_b32 v[232:233], v[132:133], v[156:157] op_sel:[1,0]
	ds_write2_b32 v191, v232, v233 offset0:43 offset1:44
	s_waitcnt vmcnt(23)
	v_pk_mov_b32 v[232:233], v[156:157], v[130:131] op_sel:[1,0]
	;; [unrolled: 3-line block ×9, first 2 shown]
	ds_write2_b32 v191, v232, v233 offset0:59 offset1:60
	ds_write_b32 v191, v177 offset:244
	ds_read_b32 v231, v189
	s_waitcnt lgkmcnt(0)
	v_cmp_neq_f32_e32 vcc, 0, v231
	s_and_b64 exec, exec, vcc
	s_cbranch_execz .LBB123_222
; %bb.221:
	v_div_scale_f32 v232, s[4:5], v231, v231, 1.0
	v_rcp_f32_e32 v233, v232
	v_div_scale_f32 v234, vcc, 1.0, v231, 1.0
	v_fma_f32 v235, -v232, v233, 1.0
	v_fmac_f32_e32 v233, v235, v233
	v_mul_f32_e32 v235, v234, v233
	v_fma_f32 v236, -v232, v235, v234
	v_fmac_f32_e32 v235, v236, v233
	v_fma_f32 v232, -v232, v235, v234
	v_div_fmas_f32 v232, v232, v233, v235
	v_div_fixup_f32 v231, v232, v231, 1.0
	ds_write_b32 v189, v231
.LBB123_222:
	s_or_b64 exec, exec, s[2:3]
	s_waitcnt lgkmcnt(0)
	s_barrier
	ds_read_b32 v231, v189
	v_cmp_lt_u32_e32 vcc, 40, v187
	s_and_saveexec_b64 s[2:3], vcc
	s_cbranch_execz .LBB123_224
; %bb.223:
	ds_read_b32 v240, v191 offset:164
	ds_read2_b64 v[232:235], v191 offset0:21 offset1:22
	ds_read2_b64 v[236:239], v191 offset0:23 offset1:24
	s_waitcnt vmcnt(30) lgkmcnt(3)
	v_mul_f32_e32 v158, v231, v158
	s_waitcnt vmcnt(29) lgkmcnt(2)
	v_fma_f32 v159, -v158, v240, v159
	s_waitcnt vmcnt(27) lgkmcnt(1)
	v_pk_fma_f32 v[132:133], v[158:159], v[232:233], v[132:133] op_sel_hi:[0,1,1] neg_lo:[1,0,0] neg_hi:[1,0,0]
	s_waitcnt vmcnt(25)
	v_pk_fma_f32 v[156:157], v[158:159], v[234:235], v[156:157] op_sel_hi:[0,1,1] neg_lo:[1,0,0] neg_hi:[1,0,0]
	ds_read2_b64 v[232:235], v191 offset0:25 offset1:26
	s_waitcnt vmcnt(23) lgkmcnt(1)
	v_pk_fma_f32 v[130:131], v[158:159], v[236:237], v[130:131] op_sel_hi:[0,1,1] neg_lo:[1,0,0] neg_hi:[1,0,0]
	ds_read2_b64 v[240:243], v191 offset0:27 offset1:28
	s_waitcnt vmcnt(21)
	v_pk_fma_f32 v[154:155], v[158:159], v[238:239], v[154:155] op_sel_hi:[0,1,1] neg_lo:[1,0,0] neg_hi:[1,0,0]
	ds_read2_b64 v[236:239], v191 offset0:29 offset1:30
	s_waitcnt vmcnt(19) lgkmcnt(2)
	v_pk_fma_f32 v[128:129], v[158:159], v[232:233], v[128:129] op_sel_hi:[0,1,1] neg_lo:[1,0,0] neg_hi:[1,0,0]
	s_waitcnt vmcnt(17)
	v_pk_fma_f32 v[152:153], v[158:159], v[234:235], v[152:153] op_sel_hi:[0,1,1] neg_lo:[1,0,0] neg_hi:[1,0,0]
	s_waitcnt vmcnt(15) lgkmcnt(1)
	v_pk_fma_f32 v[126:127], v[158:159], v[240:241], v[126:127] op_sel_hi:[0,1,1] neg_lo:[1,0,0] neg_hi:[1,0,0]
	s_waitcnt vmcnt(13)
	v_pk_fma_f32 v[150:151], v[158:159], v[242:243], v[150:151] op_sel_hi:[0,1,1] neg_lo:[1,0,0] neg_hi:[1,0,0]
	;; [unrolled: 4-line block ×3, first 2 shown]
.LBB123_224:
	s_or_b64 exec, exec, s[2:3]
	v_cmp_ne_u32_e32 vcc, 41, v187
	s_waitcnt lgkmcnt(0)
	s_barrier
	s_and_saveexec_b64 s[2:3], vcc
	s_xor_b64 s[2:3], exec, s[2:3]
	s_andn2_saveexec_b64 s[2:3], s[2:3]
	s_cbranch_execz .LBB123_228
; %bb.225:
	s_waitcnt vmcnt(29)
	ds_write_b32 v189, v159
	s_waitcnt vmcnt(25)
	ds_write2_b64 v191, v[132:133], v[156:157] offset0:21 offset1:22
	s_waitcnt vmcnt(21)
	ds_write2_b64 v191, v[130:131], v[154:155] offset0:23 offset1:24
	;; [unrolled: 2-line block ×5, first 2 shown]
	ds_read_b32 v232, v189
	s_waitcnt lgkmcnt(0)
	v_cmp_neq_f32_e32 vcc, 0, v232
	s_and_saveexec_b64 s[4:5], vcc
	s_cbranch_execz .LBB123_227
; %bb.226:
	v_div_scale_f32 v233, s[10:11], v232, v232, 1.0
	v_rcp_f32_e32 v234, v233
	v_div_scale_f32 v235, vcc, 1.0, v232, 1.0
	v_fma_f32 v236, -v233, v234, 1.0
	v_fmac_f32_e32 v234, v236, v234
	v_mul_f32_e32 v236, v235, v234
	v_fma_f32 v237, -v233, v236, v235
	v_fmac_f32_e32 v236, v237, v234
	v_fma_f32 v233, -v233, v236, v235
	v_div_fmas_f32 v233, v233, v234, v236
	v_div_fixup_f32 v232, v233, v232, 1.0
	ds_write_b32 v189, v232
.LBB123_227:
	s_or_b64 exec, exec, s[4:5]
.LBB123_228:
	s_or_b64 exec, exec, s[2:3]
	s_waitcnt lgkmcnt(0)
	s_barrier
	ds_read_b32 v232, v189
	v_cmp_lt_u32_e32 vcc, 41, v187
	s_and_saveexec_b64 s[2:3], vcc
	s_cbranch_execz .LBB123_230
; %bb.229:
	ds_read2_b64 v[234:237], v191 offset0:21 offset1:22
	ds_read2_b64 v[238:241], v191 offset0:23 offset1:24
	s_waitcnt vmcnt(29) lgkmcnt(2)
	v_mul_f32_e32 v246, v232, v159
	ds_read2_b64 v[242:245], v191 offset0:25 offset1:26
	v_mov_b32_e32 v159, v246
	s_waitcnt vmcnt(27) lgkmcnt(2)
	v_pk_fma_f32 v[132:133], v[246:247], v[234:235], v[132:133] op_sel_hi:[0,1,1] neg_lo:[1,0,0] neg_hi:[1,0,0]
	s_waitcnt vmcnt(25)
	v_pk_fma_f32 v[156:157], v[246:247], v[236:237], v[156:157] op_sel_hi:[0,1,1] neg_lo:[1,0,0] neg_hi:[1,0,0]
	s_waitcnt vmcnt(23) lgkmcnt(1)
	v_pk_fma_f32 v[130:131], v[246:247], v[238:239], v[130:131] op_sel_hi:[0,1,1] neg_lo:[1,0,0] neg_hi:[1,0,0]
	ds_read2_b64 v[234:237], v191 offset0:27 offset1:28
	s_waitcnt vmcnt(21)
	v_pk_fma_f32 v[154:155], v[246:247], v[240:241], v[154:155] op_sel_hi:[0,1,1] neg_lo:[1,0,0] neg_hi:[1,0,0]
	ds_read2_b64 v[238:241], v191 offset0:29 offset1:30
	s_waitcnt vmcnt(19) lgkmcnt(2)
	v_pk_fma_f32 v[128:129], v[246:247], v[242:243], v[128:129] op_sel_hi:[0,1,1] neg_lo:[1,0,0] neg_hi:[1,0,0]
	s_waitcnt vmcnt(17)
	v_pk_fma_f32 v[152:153], v[246:247], v[244:245], v[152:153] op_sel_hi:[0,1,1] neg_lo:[1,0,0] neg_hi:[1,0,0]
	s_waitcnt vmcnt(15) lgkmcnt(1)
	v_pk_fma_f32 v[126:127], v[246:247], v[234:235], v[126:127] op_sel_hi:[0,1,1] neg_lo:[1,0,0] neg_hi:[1,0,0]
	s_waitcnt vmcnt(13)
	v_pk_fma_f32 v[150:151], v[246:247], v[236:237], v[150:151] op_sel_hi:[0,1,1] neg_lo:[1,0,0] neg_hi:[1,0,0]
	s_waitcnt vmcnt(11) lgkmcnt(0)
	v_pk_fma_f32 v[124:125], v[246:247], v[238:239], v[124:125] op_sel_hi:[0,1,1] neg_lo:[1,0,0] neg_hi:[1,0,0]
	s_waitcnt vmcnt(9)
	v_pk_fma_f32 v[176:177], v[246:247], v[240:241], v[176:177] op_sel_hi:[0,1,1] neg_lo:[1,0,0] neg_hi:[1,0,0]
.LBB123_230:
	s_or_b64 exec, exec, s[2:3]
	v_cmp_eq_u32_e32 vcc, 42, v187
	s_waitcnt lgkmcnt(0)
	s_barrier
	s_and_saveexec_b64 s[2:3], vcc
	s_cbranch_execz .LBB123_233
; %bb.231:
	s_waitcnt vmcnt(25)
	v_pk_mov_b32 v[234:235], v[132:133], v[156:157] op_sel:[1,0]
	ds_write_b32 v189, v132
	ds_write2_b32 v191, v234, v235 offset0:43 offset1:44
	s_waitcnt vmcnt(23)
	v_pk_mov_b32 v[234:235], v[156:157], v[130:131] op_sel:[1,0]
	ds_write2_b32 v191, v234, v235 offset0:45 offset1:46
	s_waitcnt vmcnt(21)
	v_pk_mov_b32 v[234:235], v[130:131], v[154:155] op_sel:[1,0]
	;; [unrolled: 3-line block ×8, first 2 shown]
	ds_write2_b32 v191, v234, v235 offset0:59 offset1:60
	ds_write_b32 v191, v177 offset:244
	ds_read_b32 v233, v189
	s_waitcnt lgkmcnt(0)
	v_cmp_neq_f32_e32 vcc, 0, v233
	s_and_b64 exec, exec, vcc
	s_cbranch_execz .LBB123_233
; %bb.232:
	v_div_scale_f32 v234, s[4:5], v233, v233, 1.0
	v_rcp_f32_e32 v235, v234
	v_div_scale_f32 v236, vcc, 1.0, v233, 1.0
	v_fma_f32 v237, -v234, v235, 1.0
	v_fmac_f32_e32 v235, v237, v235
	v_mul_f32_e32 v237, v236, v235
	v_fma_f32 v238, -v234, v237, v236
	v_fmac_f32_e32 v237, v238, v235
	v_fma_f32 v234, -v234, v237, v236
	v_div_fmas_f32 v234, v234, v235, v237
	v_div_fixup_f32 v233, v234, v233, 1.0
	ds_write_b32 v189, v233
.LBB123_233:
	s_or_b64 exec, exec, s[2:3]
	s_waitcnt lgkmcnt(0)
	s_barrier
	ds_read_b32 v233, v189
	v_cmp_lt_u32_e32 vcc, 42, v187
	s_and_saveexec_b64 s[2:3], vcc
	s_cbranch_execz .LBB123_235
; %bb.234:
	ds_read_b32 v242, v191 offset:172
	ds_read2_b64 v[234:237], v191 offset0:22 offset1:23
	ds_read2_b64 v[238:241], v191 offset0:24 offset1:25
	s_waitcnt vmcnt(28) lgkmcnt(3)
	v_mul_f32_e32 v132, v233, v132
	s_waitcnt vmcnt(27) lgkmcnt(2)
	v_fma_f32 v133, -v132, v242, v133
	s_waitcnt vmcnt(25) lgkmcnt(1)
	v_pk_fma_f32 v[156:157], v[132:133], v[234:235], v[156:157] op_sel_hi:[0,1,1] neg_lo:[1,0,0] neg_hi:[1,0,0]
	s_waitcnt vmcnt(23)
	v_pk_fma_f32 v[130:131], v[132:133], v[236:237], v[130:131] op_sel_hi:[0,1,1] neg_lo:[1,0,0] neg_hi:[1,0,0]
	ds_read2_b64 v[234:237], v191 offset0:26 offset1:27
	s_waitcnt vmcnt(21) lgkmcnt(1)
	v_pk_fma_f32 v[154:155], v[132:133], v[238:239], v[154:155] op_sel_hi:[0,1,1] neg_lo:[1,0,0] neg_hi:[1,0,0]
	ds_read2_b64 v[242:245], v191 offset0:28 offset1:29
	ds_read_b64 v[238:239], v191 offset:240
	s_waitcnt vmcnt(19)
	v_pk_fma_f32 v[128:129], v[132:133], v[240:241], v[128:129] op_sel_hi:[0,1,1] neg_lo:[1,0,0] neg_hi:[1,0,0]
	s_waitcnt vmcnt(17) lgkmcnt(2)
	v_pk_fma_f32 v[152:153], v[132:133], v[234:235], v[152:153] op_sel_hi:[0,1,1] neg_lo:[1,0,0] neg_hi:[1,0,0]
	s_waitcnt vmcnt(15)
	v_pk_fma_f32 v[126:127], v[132:133], v[236:237], v[126:127] op_sel_hi:[0,1,1] neg_lo:[1,0,0] neg_hi:[1,0,0]
	s_waitcnt vmcnt(13) lgkmcnt(1)
	v_pk_fma_f32 v[150:151], v[132:133], v[242:243], v[150:151] op_sel_hi:[0,1,1] neg_lo:[1,0,0] neg_hi:[1,0,0]
	;; [unrolled: 4-line block ×3, first 2 shown]
.LBB123_235:
	s_or_b64 exec, exec, s[2:3]
	v_cmp_ne_u32_e32 vcc, 43, v187
	s_waitcnt lgkmcnt(0)
	s_barrier
	s_and_saveexec_b64 s[2:3], vcc
	s_xor_b64 s[2:3], exec, s[2:3]
	s_andn2_saveexec_b64 s[2:3], s[2:3]
	s_cbranch_execz .LBB123_239
; %bb.236:
	s_waitcnt vmcnt(26)
	v_mov_b32_e32 v234, v156
	s_waitcnt vmcnt(25)
	v_mov_b32_e32 v235, v157
	s_waitcnt vmcnt(24)
	v_mov_b32_e32 v236, v130
	s_waitcnt vmcnt(23)
	v_mov_b32_e32 v237, v131
	ds_write_b32 v189, v133
	ds_write2_b64 v191, v[234:235], v[236:237] offset0:22 offset1:23
	s_waitcnt vmcnt(22)
	v_mov_b32_e32 v234, v154
	s_waitcnt vmcnt(21)
	v_mov_b32_e32 v235, v155
	s_waitcnt vmcnt(20)
	v_mov_b32_e32 v236, v128
	s_waitcnt vmcnt(19)
	v_mov_b32_e32 v237, v129
	ds_write2_b64 v191, v[234:235], v[236:237] offset0:24 offset1:25
	s_waitcnt vmcnt(18)
	v_mov_b32_e32 v234, v152
	s_waitcnt vmcnt(17)
	v_mov_b32_e32 v235, v153
	s_waitcnt vmcnt(16)
	v_mov_b32_e32 v236, v126
	s_waitcnt vmcnt(15)
	v_mov_b32_e32 v237, v127
	;; [unrolled: 9-line block ×3, first 2 shown]
	ds_write2_b64 v191, v[234:235], v[236:237] offset0:28 offset1:29
	s_waitcnt vmcnt(9)
	ds_write_b64 v191, v[176:177] offset:240
	ds_read_b32 v234, v189
	s_waitcnt lgkmcnt(0)
	v_cmp_neq_f32_e32 vcc, 0, v234
	s_and_saveexec_b64 s[4:5], vcc
	s_cbranch_execz .LBB123_238
; %bb.237:
	v_div_scale_f32 v235, s[10:11], v234, v234, 1.0
	v_rcp_f32_e32 v236, v235
	v_div_scale_f32 v237, vcc, 1.0, v234, 1.0
	v_fma_f32 v238, -v235, v236, 1.0
	v_fmac_f32_e32 v236, v238, v236
	v_mul_f32_e32 v238, v237, v236
	v_fma_f32 v239, -v235, v238, v237
	v_fmac_f32_e32 v238, v239, v236
	v_fma_f32 v235, -v235, v238, v237
	v_div_fmas_f32 v235, v235, v236, v238
	v_div_fixup_f32 v234, v235, v234, 1.0
	ds_write_b32 v189, v234
.LBB123_238:
	s_or_b64 exec, exec, s[4:5]
.LBB123_239:
	s_or_b64 exec, exec, s[2:3]
	s_waitcnt lgkmcnt(0)
	s_barrier
	ds_read_b32 v234, v189
	v_cmp_lt_u32_e32 vcc, 43, v187
	s_and_saveexec_b64 s[2:3], vcc
	s_cbranch_execz .LBB123_241
; %bb.240:
	ds_read2_b64 v[236:239], v191 offset0:22 offset1:23
	ds_read2_b64 v[240:243], v191 offset0:24 offset1:25
	s_waitcnt vmcnt(27) lgkmcnt(2)
	v_mul_f32_e32 v248, v234, v133
	ds_read2_b64 v[244:247], v191 offset0:26 offset1:27
	v_mov_b32_e32 v133, v248
	s_waitcnt vmcnt(25) lgkmcnt(2)
	v_pk_fma_f32 v[156:157], v[248:249], v[236:237], v[156:157] op_sel_hi:[0,1,1] neg_lo:[1,0,0] neg_hi:[1,0,0]
	s_waitcnt vmcnt(23)
	v_pk_fma_f32 v[130:131], v[248:249], v[238:239], v[130:131] op_sel_hi:[0,1,1] neg_lo:[1,0,0] neg_hi:[1,0,0]
	s_waitcnt vmcnt(21) lgkmcnt(1)
	v_pk_fma_f32 v[154:155], v[248:249], v[240:241], v[154:155] op_sel_hi:[0,1,1] neg_lo:[1,0,0] neg_hi:[1,0,0]
	ds_read2_b64 v[236:239], v191 offset0:28 offset1:29
	ds_read_b64 v[240:241], v191 offset:240
	s_waitcnt vmcnt(19)
	v_pk_fma_f32 v[128:129], v[248:249], v[242:243], v[128:129] op_sel_hi:[0,1,1] neg_lo:[1,0,0] neg_hi:[1,0,0]
	s_waitcnt vmcnt(17) lgkmcnt(2)
	v_pk_fma_f32 v[152:153], v[248:249], v[244:245], v[152:153] op_sel_hi:[0,1,1] neg_lo:[1,0,0] neg_hi:[1,0,0]
	s_waitcnt vmcnt(15)
	v_pk_fma_f32 v[126:127], v[248:249], v[246:247], v[126:127] op_sel_hi:[0,1,1] neg_lo:[1,0,0] neg_hi:[1,0,0]
	s_waitcnt vmcnt(13) lgkmcnt(1)
	v_pk_fma_f32 v[150:151], v[248:249], v[236:237], v[150:151] op_sel_hi:[0,1,1] neg_lo:[1,0,0] neg_hi:[1,0,0]
	;; [unrolled: 4-line block ×3, first 2 shown]
.LBB123_241:
	s_or_b64 exec, exec, s[2:3]
	v_cmp_eq_u32_e32 vcc, 44, v187
	s_waitcnt lgkmcnt(0)
	s_barrier
	s_and_saveexec_b64 s[2:3], vcc
	s_cbranch_execz .LBB123_244
; %bb.242:
	s_waitcnt vmcnt(23)
	v_pk_mov_b32 v[236:237], v[156:157], v[130:131] op_sel:[1,0]
	ds_write_b32 v189, v156
	ds_write2_b32 v191, v236, v237 offset0:45 offset1:46
	s_waitcnt vmcnt(21)
	v_pk_mov_b32 v[236:237], v[130:131], v[154:155] op_sel:[1,0]
	ds_write2_b32 v191, v236, v237 offset0:47 offset1:48
	s_waitcnt vmcnt(19)
	v_pk_mov_b32 v[236:237], v[154:155], v[128:129] op_sel:[1,0]
	;; [unrolled: 3-line block ×7, first 2 shown]
	ds_write2_b32 v191, v236, v237 offset0:59 offset1:60
	ds_write_b32 v191, v177 offset:244
	ds_read_b32 v235, v189
	s_waitcnt lgkmcnt(0)
	v_cmp_neq_f32_e32 vcc, 0, v235
	s_and_b64 exec, exec, vcc
	s_cbranch_execz .LBB123_244
; %bb.243:
	v_div_scale_f32 v236, s[4:5], v235, v235, 1.0
	v_rcp_f32_e32 v237, v236
	v_div_scale_f32 v238, vcc, 1.0, v235, 1.0
	v_fma_f32 v239, -v236, v237, 1.0
	v_fmac_f32_e32 v237, v239, v237
	v_mul_f32_e32 v239, v238, v237
	v_fma_f32 v240, -v236, v239, v238
	v_fmac_f32_e32 v239, v240, v237
	v_fma_f32 v236, -v236, v239, v238
	v_div_fmas_f32 v236, v236, v237, v239
	v_div_fixup_f32 v235, v236, v235, 1.0
	ds_write_b32 v189, v235
.LBB123_244:
	s_or_b64 exec, exec, s[2:3]
	s_waitcnt lgkmcnt(0)
	s_barrier
	ds_read_b32 v235, v189
	v_cmp_lt_u32_e32 vcc, 44, v187
	s_and_saveexec_b64 s[2:3], vcc
	s_cbranch_execz .LBB123_246
; %bb.245:
	ds_read_b32 v248, v191 offset:180
	ds_read2_b64 v[236:239], v191 offset0:23 offset1:24
	s_waitcnt vmcnt(26) lgkmcnt(2)
	v_mul_f32_e32 v156, v235, v156
	ds_read2_b64 v[240:243], v191 offset0:25 offset1:26
	ds_read2_b64 v[244:247], v191 offset0:27 offset1:28
	s_waitcnt vmcnt(25) lgkmcnt(3)
	v_fma_f32 v157, -v156, v248, v157
	s_waitcnt vmcnt(23) lgkmcnt(2)
	v_pk_fma_f32 v[130:131], v[156:157], v[236:237], v[130:131] op_sel_hi:[0,1,1] neg_lo:[1,0,0] neg_hi:[1,0,0]
	s_waitcnt vmcnt(21)
	v_pk_fma_f32 v[154:155], v[156:157], v[238:239], v[154:155] op_sel_hi:[0,1,1] neg_lo:[1,0,0] neg_hi:[1,0,0]
	ds_read2_b64 v[236:239], v191 offset0:29 offset1:30
	s_waitcnt vmcnt(19) lgkmcnt(2)
	v_pk_fma_f32 v[128:129], v[156:157], v[240:241], v[128:129] op_sel_hi:[0,1,1] neg_lo:[1,0,0] neg_hi:[1,0,0]
	s_waitcnt vmcnt(17)
	v_pk_fma_f32 v[152:153], v[156:157], v[242:243], v[152:153] op_sel_hi:[0,1,1] neg_lo:[1,0,0] neg_hi:[1,0,0]
	s_waitcnt vmcnt(15) lgkmcnt(1)
	v_pk_fma_f32 v[126:127], v[156:157], v[244:245], v[126:127] op_sel_hi:[0,1,1] neg_lo:[1,0,0] neg_hi:[1,0,0]
	s_waitcnt vmcnt(13)
	v_pk_fma_f32 v[150:151], v[156:157], v[246:247], v[150:151] op_sel_hi:[0,1,1] neg_lo:[1,0,0] neg_hi:[1,0,0]
	;; [unrolled: 4-line block ×3, first 2 shown]
.LBB123_246:
	s_or_b64 exec, exec, s[2:3]
	v_cmp_ne_u32_e32 vcc, 45, v187
	s_waitcnt lgkmcnt(0)
	s_barrier
	s_and_saveexec_b64 s[2:3], vcc
	s_xor_b64 s[2:3], exec, s[2:3]
	s_andn2_saveexec_b64 s[2:3], s[2:3]
	s_cbranch_execz .LBB123_250
; %bb.247:
	s_waitcnt vmcnt(25)
	ds_write_b32 v189, v157
	s_waitcnt vmcnt(21)
	ds_write2_b64 v191, v[130:131], v[154:155] offset0:23 offset1:24
	s_waitcnt vmcnt(17)
	ds_write2_b64 v191, v[128:129], v[152:153] offset0:25 offset1:26
	;; [unrolled: 2-line block ×4, first 2 shown]
	ds_read_b32 v236, v189
	s_waitcnt lgkmcnt(0)
	v_cmp_neq_f32_e32 vcc, 0, v236
	s_and_saveexec_b64 s[4:5], vcc
	s_cbranch_execz .LBB123_249
; %bb.248:
	v_div_scale_f32 v237, s[10:11], v236, v236, 1.0
	v_rcp_f32_e32 v238, v237
	v_div_scale_f32 v239, vcc, 1.0, v236, 1.0
	v_fma_f32 v240, -v237, v238, 1.0
	v_fmac_f32_e32 v238, v240, v238
	v_mul_f32_e32 v240, v239, v238
	v_fma_f32 v241, -v237, v240, v239
	v_fmac_f32_e32 v240, v241, v238
	v_fma_f32 v237, -v237, v240, v239
	v_div_fmas_f32 v237, v237, v238, v240
	v_div_fixup_f32 v236, v237, v236, 1.0
	ds_write_b32 v189, v236
.LBB123_249:
	s_or_b64 exec, exec, s[4:5]
.LBB123_250:
	s_or_b64 exec, exec, s[2:3]
	s_waitcnt lgkmcnt(0)
	s_barrier
	ds_read_b32 v236, v189
	v_cmp_lt_u32_e32 vcc, 45, v187
	s_and_saveexec_b64 s[2:3], vcc
	s_cbranch_execz .LBB123_252
; %bb.251:
	ds_read2_b64 v[238:241], v191 offset0:23 offset1:24
	s_waitcnt vmcnt(25) lgkmcnt(1)
	v_mul_f32_e32 v250, v236, v157
	ds_read2_b64 v[242:245], v191 offset0:25 offset1:26
	ds_read2_b64 v[246:249], v191 offset0:27 offset1:28
	v_mov_b32_e32 v157, v250
	s_waitcnt vmcnt(23) lgkmcnt(2)
	v_pk_fma_f32 v[130:131], v[250:251], v[238:239], v[130:131] op_sel_hi:[0,1,1] neg_lo:[1,0,0] neg_hi:[1,0,0]
	s_waitcnt vmcnt(21)
	v_pk_fma_f32 v[154:155], v[250:251], v[240:241], v[154:155] op_sel_hi:[0,1,1] neg_lo:[1,0,0] neg_hi:[1,0,0]
	ds_read2_b64 v[238:241], v191 offset0:29 offset1:30
	s_waitcnt vmcnt(19) lgkmcnt(2)
	v_pk_fma_f32 v[128:129], v[250:251], v[242:243], v[128:129] op_sel_hi:[0,1,1] neg_lo:[1,0,0] neg_hi:[1,0,0]
	s_waitcnt vmcnt(17)
	v_pk_fma_f32 v[152:153], v[250:251], v[244:245], v[152:153] op_sel_hi:[0,1,1] neg_lo:[1,0,0] neg_hi:[1,0,0]
	s_waitcnt vmcnt(15) lgkmcnt(1)
	v_pk_fma_f32 v[126:127], v[250:251], v[246:247], v[126:127] op_sel_hi:[0,1,1] neg_lo:[1,0,0] neg_hi:[1,0,0]
	s_waitcnt vmcnt(13)
	v_pk_fma_f32 v[150:151], v[250:251], v[248:249], v[150:151] op_sel_hi:[0,1,1] neg_lo:[1,0,0] neg_hi:[1,0,0]
	;; [unrolled: 4-line block ×3, first 2 shown]
.LBB123_252:
	s_or_b64 exec, exec, s[2:3]
	v_cmp_eq_u32_e32 vcc, 46, v187
	s_waitcnt lgkmcnt(0)
	s_barrier
	s_and_saveexec_b64 s[2:3], vcc
	s_cbranch_execz .LBB123_255
; %bb.253:
	s_waitcnt vmcnt(21)
	v_pk_mov_b32 v[238:239], v[130:131], v[154:155] op_sel:[1,0]
	ds_write_b32 v189, v130
	ds_write2_b32 v191, v238, v239 offset0:47 offset1:48
	s_waitcnt vmcnt(19)
	v_pk_mov_b32 v[238:239], v[154:155], v[128:129] op_sel:[1,0]
	ds_write2_b32 v191, v238, v239 offset0:49 offset1:50
	s_waitcnt vmcnt(17)
	v_pk_mov_b32 v[238:239], v[128:129], v[152:153] op_sel:[1,0]
	;; [unrolled: 3-line block ×6, first 2 shown]
	ds_write2_b32 v191, v238, v239 offset0:59 offset1:60
	ds_write_b32 v191, v177 offset:244
	ds_read_b32 v237, v189
	s_waitcnt lgkmcnt(0)
	v_cmp_neq_f32_e32 vcc, 0, v237
	s_and_b64 exec, exec, vcc
	s_cbranch_execz .LBB123_255
; %bb.254:
	v_div_scale_f32 v238, s[4:5], v237, v237, 1.0
	v_rcp_f32_e32 v239, v238
	v_div_scale_f32 v240, vcc, 1.0, v237, 1.0
	v_fma_f32 v241, -v238, v239, 1.0
	v_fmac_f32_e32 v239, v241, v239
	v_mul_f32_e32 v241, v240, v239
	v_fma_f32 v242, -v238, v241, v240
	v_fmac_f32_e32 v241, v242, v239
	v_fma_f32 v238, -v238, v241, v240
	v_div_fmas_f32 v238, v238, v239, v241
	v_div_fixup_f32 v237, v238, v237, 1.0
	ds_write_b32 v189, v237
.LBB123_255:
	s_or_b64 exec, exec, s[2:3]
	s_waitcnt lgkmcnt(0)
	s_barrier
	ds_read_b32 v237, v189
	v_cmp_lt_u32_e32 vcc, 46, v187
	s_and_saveexec_b64 s[2:3], vcc
	s_cbranch_execz .LBB123_257
; %bb.256:
	ds_read_b32 v246, v191 offset:188
	s_waitcnt vmcnt(24) lgkmcnt(1)
	v_mul_f32_e32 v130, v237, v130
	ds_read2_b64 v[238:241], v191 offset0:24 offset1:25
	ds_read_b64 v[250:251], v191 offset:240
	ds_read2_b64 v[242:245], v191 offset0:26 offset1:27
	s_waitcnt vmcnt(23) lgkmcnt(3)
	v_fma_f32 v131, -v130, v246, v131
	ds_read2_b64 v[246:249], v191 offset0:28 offset1:29
	s_waitcnt vmcnt(21) lgkmcnt(3)
	v_pk_fma_f32 v[154:155], v[130:131], v[238:239], v[154:155] op_sel_hi:[0,1,1] neg_lo:[1,0,0] neg_hi:[1,0,0]
	s_waitcnt vmcnt(19)
	v_pk_fma_f32 v[128:129], v[130:131], v[240:241], v[128:129] op_sel_hi:[0,1,1] neg_lo:[1,0,0] neg_hi:[1,0,0]
	s_waitcnt vmcnt(17) lgkmcnt(1)
	v_pk_fma_f32 v[152:153], v[130:131], v[242:243], v[152:153] op_sel_hi:[0,1,1] neg_lo:[1,0,0] neg_hi:[1,0,0]
	s_waitcnt vmcnt(15)
	v_pk_fma_f32 v[126:127], v[130:131], v[244:245], v[126:127] op_sel_hi:[0,1,1] neg_lo:[1,0,0] neg_hi:[1,0,0]
	;; [unrolled: 4-line block ×3, first 2 shown]
	s_waitcnt vmcnt(9)
	v_pk_fma_f32 v[176:177], v[130:131], v[250:251], v[176:177] op_sel_hi:[0,1,1] neg_lo:[1,0,0] neg_hi:[1,0,0]
.LBB123_257:
	s_or_b64 exec, exec, s[2:3]
	v_cmp_ne_u32_e32 vcc, 47, v187
	s_waitcnt lgkmcnt(0)
	s_barrier
	s_and_saveexec_b64 s[2:3], vcc
	s_xor_b64 s[2:3], exec, s[2:3]
	s_andn2_saveexec_b64 s[2:3], s[2:3]
	s_cbranch_execz .LBB123_261
; %bb.258:
	s_waitcnt vmcnt(22)
	v_mov_b32_e32 v238, v154
	s_waitcnt vmcnt(21)
	v_mov_b32_e32 v239, v155
	;; [unrolled: 2-line block ×4, first 2 shown]
	ds_write_b32 v189, v131
	ds_write2_b64 v191, v[238:239], v[240:241] offset0:24 offset1:25
	s_waitcnt vmcnt(18)
	v_mov_b32_e32 v238, v152
	s_waitcnt vmcnt(17)
	v_mov_b32_e32 v239, v153
	;; [unrolled: 2-line block ×4, first 2 shown]
	ds_write2_b64 v191, v[238:239], v[240:241] offset0:26 offset1:27
	s_waitcnt vmcnt(14)
	v_mov_b32_e32 v238, v150
	s_waitcnt vmcnt(13)
	v_mov_b32_e32 v239, v151
	;; [unrolled: 2-line block ×4, first 2 shown]
	ds_write2_b64 v191, v[238:239], v[240:241] offset0:28 offset1:29
	s_waitcnt vmcnt(9)
	ds_write_b64 v191, v[176:177] offset:240
	ds_read_b32 v238, v189
	s_waitcnt lgkmcnt(0)
	v_cmp_neq_f32_e32 vcc, 0, v238
	s_and_saveexec_b64 s[4:5], vcc
	s_cbranch_execz .LBB123_260
; %bb.259:
	v_div_scale_f32 v239, s[10:11], v238, v238, 1.0
	v_rcp_f32_e32 v240, v239
	v_div_scale_f32 v241, vcc, 1.0, v238, 1.0
	v_fma_f32 v242, -v239, v240, 1.0
	v_fmac_f32_e32 v240, v242, v240
	v_mul_f32_e32 v242, v241, v240
	v_fma_f32 v243, -v239, v242, v241
	v_fmac_f32_e32 v242, v243, v240
	v_fma_f32 v239, -v239, v242, v241
	v_div_fmas_f32 v239, v239, v240, v242
	v_div_fixup_f32 v238, v239, v238, 1.0
	ds_write_b32 v189, v238
.LBB123_260:
	s_or_b64 exec, exec, s[4:5]
.LBB123_261:
	s_or_b64 exec, exec, s[2:3]
	s_waitcnt lgkmcnt(0)
	s_barrier
	ds_read_b32 v238, v189
	v_cmp_lt_u32_e32 vcc, 47, v187
	s_and_saveexec_b64 s[2:3], vcc
	s_cbranch_execz .LBB123_263
; %bb.262:
	ds_read2_b64 v[240:243], v191 offset0:24 offset1:25
	s_waitcnt vmcnt(23) lgkmcnt(1)
	v_mul_f32_e32 v252, v238, v131
	ds_read2_b64 v[244:247], v191 offset0:26 offset1:27
	ds_read2_b64 v[248:251], v191 offset0:28 offset1:29
	v_mov_b32_e32 v131, v252
	s_waitcnt vmcnt(21) lgkmcnt(2)
	v_pk_fma_f32 v[154:155], v[252:253], v[240:241], v[154:155] op_sel_hi:[0,1,1] neg_lo:[1,0,0] neg_hi:[1,0,0]
	ds_read_b64 v[240:241], v191 offset:240
	s_waitcnt vmcnt(19)
	v_pk_fma_f32 v[128:129], v[252:253], v[242:243], v[128:129] op_sel_hi:[0,1,1] neg_lo:[1,0,0] neg_hi:[1,0,0]
	s_waitcnt vmcnt(17) lgkmcnt(2)
	v_pk_fma_f32 v[152:153], v[252:253], v[244:245], v[152:153] op_sel_hi:[0,1,1] neg_lo:[1,0,0] neg_hi:[1,0,0]
	s_waitcnt vmcnt(15)
	v_pk_fma_f32 v[126:127], v[252:253], v[246:247], v[126:127] op_sel_hi:[0,1,1] neg_lo:[1,0,0] neg_hi:[1,0,0]
	s_waitcnt vmcnt(13) lgkmcnt(1)
	v_pk_fma_f32 v[150:151], v[252:253], v[248:249], v[150:151] op_sel_hi:[0,1,1] neg_lo:[1,0,0] neg_hi:[1,0,0]
	;; [unrolled: 4-line block ×3, first 2 shown]
.LBB123_263:
	s_or_b64 exec, exec, s[2:3]
	v_cmp_eq_u32_e32 vcc, 48, v187
	s_waitcnt lgkmcnt(0)
	s_barrier
	s_and_saveexec_b64 s[2:3], vcc
	s_cbranch_execz .LBB123_266
; %bb.264:
	s_waitcnt vmcnt(19)
	v_pk_mov_b32 v[240:241], v[154:155], v[128:129] op_sel:[1,0]
	ds_write_b32 v189, v154
	ds_write2_b32 v191, v240, v241 offset0:49 offset1:50
	s_waitcnt vmcnt(17)
	v_pk_mov_b32 v[240:241], v[128:129], v[152:153] op_sel:[1,0]
	ds_write2_b32 v191, v240, v241 offset0:51 offset1:52
	s_waitcnt vmcnt(15)
	v_pk_mov_b32 v[240:241], v[152:153], v[126:127] op_sel:[1,0]
	;; [unrolled: 3-line block ×5, first 2 shown]
	ds_write2_b32 v191, v240, v241 offset0:59 offset1:60
	ds_write_b32 v191, v177 offset:244
	ds_read_b32 v239, v189
	s_waitcnt lgkmcnt(0)
	v_cmp_neq_f32_e32 vcc, 0, v239
	s_and_b64 exec, exec, vcc
	s_cbranch_execz .LBB123_266
; %bb.265:
	v_div_scale_f32 v240, s[4:5], v239, v239, 1.0
	v_rcp_f32_e32 v241, v240
	v_div_scale_f32 v242, vcc, 1.0, v239, 1.0
	v_fma_f32 v243, -v240, v241, 1.0
	v_fmac_f32_e32 v241, v243, v241
	v_mul_f32_e32 v243, v242, v241
	v_fma_f32 v244, -v240, v243, v242
	v_fmac_f32_e32 v243, v244, v241
	v_fma_f32 v240, -v240, v243, v242
	v_div_fmas_f32 v240, v240, v241, v243
	v_div_fixup_f32 v239, v240, v239, 1.0
	ds_write_b32 v189, v239
.LBB123_266:
	s_or_b64 exec, exec, s[2:3]
	s_waitcnt lgkmcnt(0)
	s_barrier
	ds_read_b32 v239, v189
	v_cmp_lt_u32_e32 vcc, 48, v187
	s_and_saveexec_b64 s[2:3], vcc
	s_cbranch_execz .LBB123_268
; %bb.267:
	ds_read_b32 v252, v191 offset:196
	ds_read2_b64 v[240:243], v191 offset0:25 offset1:26
	ds_read2_b64 v[244:247], v191 offset0:27 offset1:28
	;; [unrolled: 1-line block ×3, first 2 shown]
	s_waitcnt vmcnt(22) lgkmcnt(4)
	v_mul_f32_e32 v154, v239, v154
	s_waitcnt vmcnt(21) lgkmcnt(3)
	v_fma_f32 v155, -v154, v252, v155
	s_waitcnt vmcnt(19) lgkmcnt(2)
	v_pk_fma_f32 v[128:129], v[154:155], v[240:241], v[128:129] op_sel_hi:[0,1,1] neg_lo:[1,0,0] neg_hi:[1,0,0]
	s_waitcnt vmcnt(17)
	v_pk_fma_f32 v[152:153], v[154:155], v[242:243], v[152:153] op_sel_hi:[0,1,1] neg_lo:[1,0,0] neg_hi:[1,0,0]
	s_waitcnt vmcnt(15) lgkmcnt(1)
	v_pk_fma_f32 v[126:127], v[154:155], v[244:245], v[126:127] op_sel_hi:[0,1,1] neg_lo:[1,0,0] neg_hi:[1,0,0]
	s_waitcnt vmcnt(13)
	v_pk_fma_f32 v[150:151], v[154:155], v[246:247], v[150:151] op_sel_hi:[0,1,1] neg_lo:[1,0,0] neg_hi:[1,0,0]
	;; [unrolled: 4-line block ×3, first 2 shown]
.LBB123_268:
	s_or_b64 exec, exec, s[2:3]
	v_cmp_ne_u32_e32 vcc, 49, v187
	s_waitcnt lgkmcnt(0)
	s_barrier
	s_and_saveexec_b64 s[2:3], vcc
	s_xor_b64 s[2:3], exec, s[2:3]
	s_andn2_saveexec_b64 s[2:3], s[2:3]
	s_cbranch_execz .LBB123_272
; %bb.269:
	s_waitcnt vmcnt(21)
	ds_write_b32 v189, v155
	s_waitcnt vmcnt(17)
	ds_write2_b64 v191, v[128:129], v[152:153] offset0:25 offset1:26
	s_waitcnt vmcnt(13)
	ds_write2_b64 v191, v[126:127], v[150:151] offset0:27 offset1:28
	;; [unrolled: 2-line block ×3, first 2 shown]
	ds_read_b32 v240, v189
	s_waitcnt lgkmcnt(0)
	v_cmp_neq_f32_e32 vcc, 0, v240
	s_and_saveexec_b64 s[4:5], vcc
	s_cbranch_execz .LBB123_271
; %bb.270:
	v_div_scale_f32 v241, s[10:11], v240, v240, 1.0
	v_rcp_f32_e32 v242, v241
	v_div_scale_f32 v243, vcc, 1.0, v240, 1.0
	v_fma_f32 v244, -v241, v242, 1.0
	v_fmac_f32_e32 v242, v244, v242
	v_mul_f32_e32 v244, v243, v242
	v_fma_f32 v245, -v241, v244, v243
	v_fmac_f32_e32 v244, v245, v242
	v_fma_f32 v241, -v241, v244, v243
	v_div_fmas_f32 v241, v241, v242, v244
	v_div_fixup_f32 v240, v241, v240, 1.0
	ds_write_b32 v189, v240
.LBB123_271:
	s_or_b64 exec, exec, s[4:5]
.LBB123_272:
	s_or_b64 exec, exec, s[2:3]
	s_waitcnt lgkmcnt(0)
	s_barrier
	ds_read_b32 v240, v189
	v_cmp_lt_u32_e32 vcc, 49, v187
	s_and_saveexec_b64 s[2:3], vcc
	s_cbranch_execz .LBB123_274
; %bb.273:
	ds_read2_b64 v[242:245], v191 offset0:25 offset1:26
	ds_read2_b64 v[246:249], v191 offset0:27 offset1:28
	;; [unrolled: 1-line block ×3, first 2 shown]
	s_waitcnt vmcnt(21) lgkmcnt(3)
	v_mul_f32_e32 v254, v240, v155
	v_mov_b32_e32 v155, v254
	s_waitcnt vmcnt(19) lgkmcnt(2)
	v_pk_fma_f32 v[128:129], v[254:255], v[242:243], v[128:129] op_sel_hi:[0,1,1] neg_lo:[1,0,0] neg_hi:[1,0,0]
	s_waitcnt vmcnt(17)
	v_pk_fma_f32 v[152:153], v[254:255], v[244:245], v[152:153] op_sel_hi:[0,1,1] neg_lo:[1,0,0] neg_hi:[1,0,0]
	s_waitcnt vmcnt(15) lgkmcnt(1)
	v_pk_fma_f32 v[126:127], v[254:255], v[246:247], v[126:127] op_sel_hi:[0,1,1] neg_lo:[1,0,0] neg_hi:[1,0,0]
	s_waitcnt vmcnt(13)
	v_pk_fma_f32 v[150:151], v[254:255], v[248:249], v[150:151] op_sel_hi:[0,1,1] neg_lo:[1,0,0] neg_hi:[1,0,0]
	;; [unrolled: 4-line block ×3, first 2 shown]
.LBB123_274:
	s_or_b64 exec, exec, s[2:3]
	v_cmp_eq_u32_e32 vcc, 50, v187
	s_waitcnt lgkmcnt(0)
	s_barrier
	s_and_saveexec_b64 s[2:3], vcc
	s_cbranch_execz .LBB123_277
; %bb.275:
	s_waitcnt vmcnt(17)
	v_pk_mov_b32 v[242:243], v[128:129], v[152:153] op_sel:[1,0]
	ds_write_b32 v189, v128
	ds_write2_b32 v191, v242, v243 offset0:51 offset1:52
	s_waitcnt vmcnt(15)
	v_pk_mov_b32 v[242:243], v[152:153], v[126:127] op_sel:[1,0]
	ds_write2_b32 v191, v242, v243 offset0:53 offset1:54
	s_waitcnt vmcnt(13)
	v_pk_mov_b32 v[242:243], v[126:127], v[150:151] op_sel:[1,0]
	;; [unrolled: 3-line block ×4, first 2 shown]
	ds_write2_b32 v191, v242, v243 offset0:59 offset1:60
	ds_write_b32 v191, v177 offset:244
	ds_read_b32 v241, v189
	s_waitcnt lgkmcnt(0)
	v_cmp_neq_f32_e32 vcc, 0, v241
	s_and_b64 exec, exec, vcc
	s_cbranch_execz .LBB123_277
; %bb.276:
	v_div_scale_f32 v242, s[4:5], v241, v241, 1.0
	v_rcp_f32_e32 v243, v242
	v_div_scale_f32 v244, vcc, 1.0, v241, 1.0
	v_fma_f32 v245, -v242, v243, 1.0
	v_fmac_f32_e32 v243, v245, v243
	v_mul_f32_e32 v245, v244, v243
	v_fma_f32 v246, -v242, v245, v244
	v_fmac_f32_e32 v245, v246, v243
	v_fma_f32 v242, -v242, v245, v244
	v_div_fmas_f32 v242, v242, v243, v245
	v_div_fixup_f32 v241, v242, v241, 1.0
	ds_write_b32 v189, v241
.LBB123_277:
	s_or_b64 exec, exec, s[2:3]
	s_waitcnt lgkmcnt(0)
	s_barrier
	ds_read_b32 v241, v189
	v_cmp_lt_u32_e32 vcc, 50, v187
	s_and_saveexec_b64 s[2:3], vcc
	s_cbranch_execz .LBB123_279
; %bb.278:
	ds_read_b32 v252, v191 offset:204
	ds_read2_b64 v[242:245], v191 offset0:26 offset1:27
	ds_read_b64 v[250:251], v191 offset:240
	ds_read2_b64 v[246:249], v191 offset0:28 offset1:29
	s_waitcnt vmcnt(20) lgkmcnt(4)
	v_mul_f32_e32 v128, v241, v128
	s_waitcnt vmcnt(19) lgkmcnt(3)
	v_fma_f32 v129, -v128, v252, v129
	s_waitcnt vmcnt(17) lgkmcnt(2)
	v_pk_fma_f32 v[152:153], v[128:129], v[242:243], v[152:153] op_sel_hi:[0,1,1] neg_lo:[1,0,0] neg_hi:[1,0,0]
	s_waitcnt vmcnt(15)
	v_pk_fma_f32 v[126:127], v[128:129], v[244:245], v[126:127] op_sel_hi:[0,1,1] neg_lo:[1,0,0] neg_hi:[1,0,0]
	s_waitcnt vmcnt(13) lgkmcnt(0)
	v_pk_fma_f32 v[150:151], v[128:129], v[246:247], v[150:151] op_sel_hi:[0,1,1] neg_lo:[1,0,0] neg_hi:[1,0,0]
	s_waitcnt vmcnt(11)
	v_pk_fma_f32 v[124:125], v[128:129], v[248:249], v[124:125] op_sel_hi:[0,1,1] neg_lo:[1,0,0] neg_hi:[1,0,0]
	s_waitcnt vmcnt(9)
	v_pk_fma_f32 v[176:177], v[128:129], v[250:251], v[176:177] op_sel_hi:[0,1,1] neg_lo:[1,0,0] neg_hi:[1,0,0]
.LBB123_279:
	s_or_b64 exec, exec, s[2:3]
	v_cmp_ne_u32_e32 vcc, 51, v187
	s_waitcnt lgkmcnt(0)
	s_barrier
	s_and_saveexec_b64 s[2:3], vcc
	s_xor_b64 s[2:3], exec, s[2:3]
	s_andn2_saveexec_b64 s[2:3], s[2:3]
	s_cbranch_execz .LBB123_283
; %bb.280:
	s_waitcnt vmcnt(18)
	v_mov_b32_e32 v242, v152
	s_waitcnt vmcnt(17)
	v_mov_b32_e32 v243, v153
	s_waitcnt vmcnt(16)
	v_mov_b32_e32 v244, v126
	s_waitcnt vmcnt(15)
	v_mov_b32_e32 v245, v127
	ds_write_b32 v189, v129
	ds_write2_b64 v191, v[242:243], v[244:245] offset0:26 offset1:27
	s_waitcnt vmcnt(14)
	v_mov_b32_e32 v242, v150
	s_waitcnt vmcnt(13)
	v_mov_b32_e32 v243, v151
	;; [unrolled: 2-line block ×4, first 2 shown]
	ds_write2_b64 v191, v[242:243], v[244:245] offset0:28 offset1:29
	s_waitcnt vmcnt(9)
	ds_write_b64 v191, v[176:177] offset:240
	ds_read_b32 v242, v189
	s_waitcnt lgkmcnt(0)
	v_cmp_neq_f32_e32 vcc, 0, v242
	s_and_saveexec_b64 s[4:5], vcc
	s_cbranch_execz .LBB123_282
; %bb.281:
	v_div_scale_f32 v243, s[10:11], v242, v242, 1.0
	v_rcp_f32_e32 v244, v243
	v_div_scale_f32 v245, vcc, 1.0, v242, 1.0
	v_fma_f32 v246, -v243, v244, 1.0
	v_fmac_f32_e32 v244, v246, v244
	v_mul_f32_e32 v246, v245, v244
	v_fma_f32 v247, -v243, v246, v245
	v_fmac_f32_e32 v246, v247, v244
	v_fma_f32 v243, -v243, v246, v245
	v_div_fmas_f32 v243, v243, v244, v246
	v_div_fixup_f32 v242, v243, v242, 1.0
	ds_write_b32 v189, v242
.LBB123_282:
	s_or_b64 exec, exec, s[4:5]
.LBB123_283:
	s_or_b64 exec, exec, s[2:3]
	s_waitcnt lgkmcnt(0)
	s_barrier
	ds_read_b32 v242, v189
	v_cmp_lt_u32_e32 vcc, 51, v187
	s_and_saveexec_b64 s[2:3], vcc
	s_cbranch_execz .LBB123_285
; %bb.284:
	ds_read2_b64 v[244:247], v191 offset0:26 offset1:27
	ds_read2_b64 v[248:251], v191 offset0:28 offset1:29
	ds_read_b64 v[254:255], v191 offset:240
	s_waitcnt vmcnt(19) lgkmcnt(3)
	v_mul_f32_e32 v252, v242, v129
	v_mov_b32_e32 v129, v252
	s_waitcnt vmcnt(17) lgkmcnt(2)
	v_pk_fma_f32 v[152:153], v[252:253], v[244:245], v[152:153] op_sel_hi:[0,1,1] neg_lo:[1,0,0] neg_hi:[1,0,0]
	s_waitcnt vmcnt(15)
	v_pk_fma_f32 v[126:127], v[252:253], v[246:247], v[126:127] op_sel_hi:[0,1,1] neg_lo:[1,0,0] neg_hi:[1,0,0]
	s_waitcnt vmcnt(13) lgkmcnt(1)
	v_pk_fma_f32 v[150:151], v[252:253], v[248:249], v[150:151] op_sel_hi:[0,1,1] neg_lo:[1,0,0] neg_hi:[1,0,0]
	s_waitcnt vmcnt(11)
	v_pk_fma_f32 v[124:125], v[252:253], v[250:251], v[124:125] op_sel_hi:[0,1,1] neg_lo:[1,0,0] neg_hi:[1,0,0]
	s_waitcnt vmcnt(9) lgkmcnt(0)
	v_pk_fma_f32 v[176:177], v[252:253], v[254:255], v[176:177] op_sel_hi:[0,1,1] neg_lo:[1,0,0] neg_hi:[1,0,0]
.LBB123_285:
	s_or_b64 exec, exec, s[2:3]
	v_cmp_eq_u32_e32 vcc, 52, v187
	s_waitcnt lgkmcnt(0)
	s_barrier
	s_and_saveexec_b64 s[2:3], vcc
	s_cbranch_execz .LBB123_288
; %bb.286:
	s_waitcnt vmcnt(15)
	v_pk_mov_b32 v[244:245], v[152:153], v[126:127] op_sel:[1,0]
	ds_write_b32 v189, v152
	ds_write2_b32 v191, v244, v245 offset0:53 offset1:54
	s_waitcnt vmcnt(13)
	v_pk_mov_b32 v[244:245], v[126:127], v[150:151] op_sel:[1,0]
	ds_write2_b32 v191, v244, v245 offset0:55 offset1:56
	s_waitcnt vmcnt(11)
	v_pk_mov_b32 v[244:245], v[150:151], v[124:125] op_sel:[1,0]
	;; [unrolled: 3-line block ×3, first 2 shown]
	ds_write2_b32 v191, v244, v245 offset0:59 offset1:60
	ds_write_b32 v191, v177 offset:244
	ds_read_b32 v243, v189
	s_waitcnt lgkmcnt(0)
	v_cmp_neq_f32_e32 vcc, 0, v243
	s_and_b64 exec, exec, vcc
	s_cbranch_execz .LBB123_288
; %bb.287:
	v_div_scale_f32 v244, s[4:5], v243, v243, 1.0
	v_rcp_f32_e32 v245, v244
	v_div_scale_f32 v246, vcc, 1.0, v243, 1.0
	v_fma_f32 v247, -v244, v245, 1.0
	v_fmac_f32_e32 v245, v247, v245
	v_mul_f32_e32 v247, v246, v245
	v_fma_f32 v248, -v244, v247, v246
	v_fmac_f32_e32 v247, v248, v245
	v_fma_f32 v244, -v244, v247, v246
	v_div_fmas_f32 v244, v244, v245, v247
	v_div_fixup_f32 v243, v244, v243, 1.0
	ds_write_b32 v189, v243
.LBB123_288:
	s_or_b64 exec, exec, s[2:3]
	s_waitcnt lgkmcnt(0)
	s_barrier
	ds_read_b32 v243, v189
	v_cmp_lt_u32_e32 vcc, 52, v187
	s_and_saveexec_b64 s[2:3], vcc
	s_cbranch_execz .LBB123_290
; %bb.289:
	ds_read_b32 v252, v191 offset:212
	ds_read2_b64 v[244:247], v191 offset0:27 offset1:28
	ds_read2_b64 v[248:251], v191 offset0:29 offset1:30
	s_waitcnt vmcnt(18) lgkmcnt(3)
	v_mul_f32_e32 v152, v243, v152
	s_waitcnt vmcnt(17) lgkmcnt(2)
	v_fma_f32 v153, -v152, v252, v153
	s_waitcnt vmcnt(15) lgkmcnt(1)
	v_pk_fma_f32 v[126:127], v[152:153], v[244:245], v[126:127] op_sel_hi:[0,1,1] neg_lo:[1,0,0] neg_hi:[1,0,0]
	s_waitcnt vmcnt(13)
	v_pk_fma_f32 v[150:151], v[152:153], v[246:247], v[150:151] op_sel_hi:[0,1,1] neg_lo:[1,0,0] neg_hi:[1,0,0]
	s_waitcnt vmcnt(11) lgkmcnt(0)
	v_pk_fma_f32 v[124:125], v[152:153], v[248:249], v[124:125] op_sel_hi:[0,1,1] neg_lo:[1,0,0] neg_hi:[1,0,0]
	s_waitcnt vmcnt(9)
	v_pk_fma_f32 v[176:177], v[152:153], v[250:251], v[176:177] op_sel_hi:[0,1,1] neg_lo:[1,0,0] neg_hi:[1,0,0]
.LBB123_290:
	s_or_b64 exec, exec, s[2:3]
	v_cmp_ne_u32_e32 vcc, 53, v187
	s_waitcnt lgkmcnt(0)
	s_barrier
	s_and_saveexec_b64 s[2:3], vcc
	s_xor_b64 s[2:3], exec, s[2:3]
	s_andn2_saveexec_b64 s[2:3], s[2:3]
	s_cbranch_execz .LBB123_294
; %bb.291:
	s_waitcnt vmcnt(17)
	ds_write_b32 v189, v153
	s_waitcnt vmcnt(13)
	ds_write2_b64 v191, v[126:127], v[150:151] offset0:27 offset1:28
	s_waitcnt vmcnt(9)
	ds_write2_b64 v191, v[124:125], v[176:177] offset0:29 offset1:30
	ds_read_b32 v244, v189
	s_waitcnt lgkmcnt(0)
	v_cmp_neq_f32_e32 vcc, 0, v244
	s_and_saveexec_b64 s[4:5], vcc
	s_cbranch_execz .LBB123_293
; %bb.292:
	v_div_scale_f32 v245, s[10:11], v244, v244, 1.0
	v_rcp_f32_e32 v246, v245
	v_div_scale_f32 v247, vcc, 1.0, v244, 1.0
	v_fma_f32 v248, -v245, v246, 1.0
	v_fmac_f32_e32 v246, v248, v246
	v_mul_f32_e32 v248, v247, v246
	v_fma_f32 v249, -v245, v248, v247
	v_fmac_f32_e32 v248, v249, v246
	v_fma_f32 v245, -v245, v248, v247
	v_div_fmas_f32 v245, v245, v246, v248
	v_div_fixup_f32 v244, v245, v244, 1.0
	ds_write_b32 v189, v244
.LBB123_293:
	s_or_b64 exec, exec, s[4:5]
.LBB123_294:
	s_or_b64 exec, exec, s[2:3]
	s_waitcnt lgkmcnt(0)
	s_barrier
	ds_read_b32 v244, v189
	v_cmp_lt_u32_e32 vcc, 53, v187
	s_and_saveexec_b64 s[2:3], vcc
	s_cbranch_execz .LBB123_296
; %bb.295:
	ds_read2_b64 v[246:249], v191 offset0:27 offset1:28
	ds_read2_b64 v[250:253], v191 offset0:29 offset1:30
	s_waitcnt vmcnt(17) lgkmcnt(2)
	v_mul_f32_e32 v254, v244, v153
	v_mov_b32_e32 v153, v254
	s_waitcnt vmcnt(15) lgkmcnt(1)
	v_pk_fma_f32 v[126:127], v[254:255], v[246:247], v[126:127] op_sel_hi:[0,1,1] neg_lo:[1,0,0] neg_hi:[1,0,0]
	s_waitcnt vmcnt(13)
	v_pk_fma_f32 v[150:151], v[254:255], v[248:249], v[150:151] op_sel_hi:[0,1,1] neg_lo:[1,0,0] neg_hi:[1,0,0]
	s_waitcnt vmcnt(11) lgkmcnt(0)
	v_pk_fma_f32 v[124:125], v[254:255], v[250:251], v[124:125] op_sel_hi:[0,1,1] neg_lo:[1,0,0] neg_hi:[1,0,0]
	s_waitcnt vmcnt(9)
	v_pk_fma_f32 v[176:177], v[254:255], v[252:253], v[176:177] op_sel_hi:[0,1,1] neg_lo:[1,0,0] neg_hi:[1,0,0]
.LBB123_296:
	s_or_b64 exec, exec, s[2:3]
	v_cmp_eq_u32_e32 vcc, 54, v187
	s_waitcnt lgkmcnt(0)
	s_barrier
	s_and_saveexec_b64 s[2:3], vcc
	s_cbranch_execz .LBB123_299
; %bb.297:
	s_waitcnt vmcnt(13)
	v_pk_mov_b32 v[246:247], v[126:127], v[150:151] op_sel:[1,0]
	ds_write_b32 v189, v126
	ds_write2_b32 v191, v246, v247 offset0:55 offset1:56
	s_waitcnt vmcnt(11)
	v_pk_mov_b32 v[246:247], v[150:151], v[124:125] op_sel:[1,0]
	ds_write2_b32 v191, v246, v247 offset0:57 offset1:58
	s_waitcnt vmcnt(9)
	v_pk_mov_b32 v[246:247], v[124:125], v[176:177] op_sel:[1,0]
	ds_write2_b32 v191, v246, v247 offset0:59 offset1:60
	ds_write_b32 v191, v177 offset:244
	ds_read_b32 v245, v189
	s_waitcnt lgkmcnt(0)
	v_cmp_neq_f32_e32 vcc, 0, v245
	s_and_b64 exec, exec, vcc
	s_cbranch_execz .LBB123_299
; %bb.298:
	v_div_scale_f32 v246, s[4:5], v245, v245, 1.0
	v_rcp_f32_e32 v247, v246
	v_div_scale_f32 v248, vcc, 1.0, v245, 1.0
	v_fma_f32 v249, -v246, v247, 1.0
	v_fmac_f32_e32 v247, v249, v247
	v_mul_f32_e32 v249, v248, v247
	v_fma_f32 v250, -v246, v249, v248
	v_fmac_f32_e32 v249, v250, v247
	v_fma_f32 v246, -v246, v249, v248
	v_div_fmas_f32 v246, v246, v247, v249
	v_div_fixup_f32 v245, v246, v245, 1.0
	ds_write_b32 v189, v245
.LBB123_299:
	s_or_b64 exec, exec, s[2:3]
	s_waitcnt lgkmcnt(0)
	s_barrier
	ds_read_b32 v245, v189
	v_cmp_lt_u32_e32 vcc, 54, v187
	s_and_saveexec_b64 s[2:3], vcc
	s_cbranch_execz .LBB123_301
; %bb.300:
	ds_read_b32 v252, v191 offset:220
	ds_read2_b64 v[246:249], v191 offset0:28 offset1:29
	ds_read_b64 v[250:251], v191 offset:240
	s_waitcnt vmcnt(16) lgkmcnt(3)
	v_mul_f32_e32 v126, v245, v126
	s_waitcnt vmcnt(15) lgkmcnt(2)
	v_fma_f32 v127, -v126, v252, v127
	s_waitcnt vmcnt(13) lgkmcnt(1)
	v_pk_fma_f32 v[150:151], v[126:127], v[246:247], v[150:151] op_sel_hi:[0,1,1] neg_lo:[1,0,0] neg_hi:[1,0,0]
	s_waitcnt vmcnt(11)
	v_pk_fma_f32 v[124:125], v[126:127], v[248:249], v[124:125] op_sel_hi:[0,1,1] neg_lo:[1,0,0] neg_hi:[1,0,0]
	s_waitcnt vmcnt(9) lgkmcnt(0)
	v_pk_fma_f32 v[176:177], v[126:127], v[250:251], v[176:177] op_sel_hi:[0,1,1] neg_lo:[1,0,0] neg_hi:[1,0,0]
.LBB123_301:
	s_or_b64 exec, exec, s[2:3]
	v_cmp_ne_u32_e32 vcc, 55, v187
	s_waitcnt lgkmcnt(0)
	s_barrier
	s_and_saveexec_b64 s[2:3], vcc
	s_xor_b64 s[2:3], exec, s[2:3]
	s_andn2_saveexec_b64 s[2:3], s[2:3]
	s_cbranch_execz .LBB123_305
; %bb.302:
	s_waitcnt vmcnt(14)
	v_mov_b32_e32 v246, v150
	s_waitcnt vmcnt(13)
	v_mov_b32_e32 v247, v151
	;; [unrolled: 2-line block ×4, first 2 shown]
	ds_write_b32 v189, v127
	ds_write2_b64 v191, v[246:247], v[248:249] offset0:28 offset1:29
	s_waitcnt vmcnt(9)
	ds_write_b64 v191, v[176:177] offset:240
	ds_read_b32 v246, v189
	s_waitcnt lgkmcnt(0)
	v_cmp_neq_f32_e32 vcc, 0, v246
	s_and_saveexec_b64 s[4:5], vcc
	s_cbranch_execz .LBB123_304
; %bb.303:
	v_div_scale_f32 v247, s[10:11], v246, v246, 1.0
	v_rcp_f32_e32 v248, v247
	v_div_scale_f32 v249, vcc, 1.0, v246, 1.0
	v_fma_f32 v250, -v247, v248, 1.0
	v_fmac_f32_e32 v248, v250, v248
	v_mul_f32_e32 v250, v249, v248
	v_fma_f32 v251, -v247, v250, v249
	v_fmac_f32_e32 v250, v251, v248
	v_fma_f32 v247, -v247, v250, v249
	v_div_fmas_f32 v247, v247, v248, v250
	v_div_fixup_f32 v246, v247, v246, 1.0
	ds_write_b32 v189, v246
.LBB123_304:
	s_or_b64 exec, exec, s[4:5]
.LBB123_305:
	s_or_b64 exec, exec, s[2:3]
	s_waitcnt lgkmcnt(0)
	s_barrier
	ds_read_b32 v246, v189
	v_cmp_lt_u32_e32 vcc, 55, v187
	s_and_saveexec_b64 s[2:3], vcc
	s_cbranch_execz .LBB123_307
; %bb.306:
	ds_read2_b64 v[248:251], v191 offset0:28 offset1:29
	ds_read_b64 v[252:253], v191 offset:240
	s_waitcnt vmcnt(15) lgkmcnt(2)
	v_mul_f32_e32 v254, v246, v127
	v_mov_b32_e32 v127, v254
	s_waitcnt vmcnt(13) lgkmcnt(1)
	v_pk_fma_f32 v[150:151], v[254:255], v[248:249], v[150:151] op_sel_hi:[0,1,1] neg_lo:[1,0,0] neg_hi:[1,0,0]
	s_waitcnt vmcnt(11)
	v_pk_fma_f32 v[124:125], v[254:255], v[250:251], v[124:125] op_sel_hi:[0,1,1] neg_lo:[1,0,0] neg_hi:[1,0,0]
	s_waitcnt vmcnt(9) lgkmcnt(0)
	v_pk_fma_f32 v[176:177], v[254:255], v[252:253], v[176:177] op_sel_hi:[0,1,1] neg_lo:[1,0,0] neg_hi:[1,0,0]
.LBB123_307:
	s_or_b64 exec, exec, s[2:3]
	v_cmp_eq_u32_e32 vcc, 56, v187
	s_waitcnt lgkmcnt(0)
	s_barrier
	s_and_saveexec_b64 s[2:3], vcc
	s_cbranch_execz .LBB123_310
; %bb.308:
	s_waitcnt vmcnt(11)
	v_pk_mov_b32 v[248:249], v[150:151], v[124:125] op_sel:[1,0]
	ds_write_b32 v189, v150
	ds_write2_b32 v191, v248, v249 offset0:57 offset1:58
	s_waitcnt vmcnt(9)
	v_pk_mov_b32 v[248:249], v[124:125], v[176:177] op_sel:[1,0]
	ds_write2_b32 v191, v248, v249 offset0:59 offset1:60
	ds_write_b32 v191, v177 offset:244
	ds_read_b32 v247, v189
	s_waitcnt lgkmcnt(0)
	v_cmp_neq_f32_e32 vcc, 0, v247
	s_and_b64 exec, exec, vcc
	s_cbranch_execz .LBB123_310
; %bb.309:
	v_div_scale_f32 v248, s[4:5], v247, v247, 1.0
	v_rcp_f32_e32 v249, v248
	v_div_scale_f32 v250, vcc, 1.0, v247, 1.0
	v_fma_f32 v251, -v248, v249, 1.0
	v_fmac_f32_e32 v249, v251, v249
	v_mul_f32_e32 v251, v250, v249
	v_fma_f32 v252, -v248, v251, v250
	v_fmac_f32_e32 v251, v252, v249
	v_fma_f32 v248, -v248, v251, v250
	v_div_fmas_f32 v248, v248, v249, v251
	v_div_fixup_f32 v247, v248, v247, 1.0
	ds_write_b32 v189, v247
.LBB123_310:
	s_or_b64 exec, exec, s[2:3]
	s_waitcnt lgkmcnt(0)
	s_barrier
	ds_read_b32 v247, v189
	v_cmp_lt_u32_e32 vcc, 56, v187
	s_and_saveexec_b64 s[2:3], vcc
	s_cbranch_execz .LBB123_312
; %bb.311:
	ds_read_b32 v252, v191 offset:228
	ds_read2_b64 v[248:251], v191 offset0:29 offset1:30
	s_waitcnt vmcnt(14) lgkmcnt(2)
	v_mul_f32_e32 v150, v247, v150
	s_waitcnt vmcnt(13) lgkmcnt(1)
	v_fma_f32 v151, -v150, v252, v151
	s_waitcnt vmcnt(11) lgkmcnt(0)
	v_pk_fma_f32 v[124:125], v[150:151], v[248:249], v[124:125] op_sel_hi:[0,1,1] neg_lo:[1,0,0] neg_hi:[1,0,0]
	s_waitcnt vmcnt(9)
	v_pk_fma_f32 v[176:177], v[150:151], v[250:251], v[176:177] op_sel_hi:[0,1,1] neg_lo:[1,0,0] neg_hi:[1,0,0]
.LBB123_312:
	s_or_b64 exec, exec, s[2:3]
	v_cmp_ne_u32_e32 vcc, 57, v187
	s_waitcnt lgkmcnt(0)
	s_barrier
	s_and_saveexec_b64 s[2:3], vcc
	s_xor_b64 s[2:3], exec, s[2:3]
	s_andn2_saveexec_b64 s[2:3], s[2:3]
	s_cbranch_execz .LBB123_316
; %bb.313:
	s_waitcnt vmcnt(13)
	ds_write_b32 v189, v151
	s_waitcnt vmcnt(9)
	ds_write2_b64 v191, v[124:125], v[176:177] offset0:29 offset1:30
	ds_read_b32 v248, v189
	s_waitcnt lgkmcnt(0)
	v_cmp_neq_f32_e32 vcc, 0, v248
	s_and_saveexec_b64 s[4:5], vcc
	s_cbranch_execz .LBB123_315
; %bb.314:
	v_div_scale_f32 v249, s[10:11], v248, v248, 1.0
	v_rcp_f32_e32 v250, v249
	v_div_scale_f32 v251, vcc, 1.0, v248, 1.0
	v_fma_f32 v252, -v249, v250, 1.0
	v_fmac_f32_e32 v250, v252, v250
	v_mul_f32_e32 v252, v251, v250
	v_fma_f32 v253, -v249, v252, v251
	v_fmac_f32_e32 v252, v253, v250
	v_fma_f32 v249, -v249, v252, v251
	v_div_fmas_f32 v249, v249, v250, v252
	v_div_fixup_f32 v248, v249, v248, 1.0
	ds_write_b32 v189, v248
.LBB123_315:
	s_or_b64 exec, exec, s[4:5]
.LBB123_316:
	s_or_b64 exec, exec, s[2:3]
	s_waitcnt lgkmcnt(0)
	s_barrier
	ds_read_b32 v248, v189
	v_cmp_lt_u32_e32 vcc, 57, v187
	s_and_saveexec_b64 s[2:3], vcc
	s_cbranch_execz .LBB123_318
; %bb.317:
	ds_read2_b64 v[250:253], v191 offset0:29 offset1:30
	s_waitcnt vmcnt(13) lgkmcnt(1)
	v_mul_f32_e32 v254, v248, v151
	v_mov_b32_e32 v151, v254
	s_waitcnt vmcnt(11) lgkmcnt(0)
	v_pk_fma_f32 v[124:125], v[254:255], v[250:251], v[124:125] op_sel_hi:[0,1,1] neg_lo:[1,0,0] neg_hi:[1,0,0]
	s_waitcnt vmcnt(9)
	v_pk_fma_f32 v[176:177], v[254:255], v[252:253], v[176:177] op_sel_hi:[0,1,1] neg_lo:[1,0,0] neg_hi:[1,0,0]
.LBB123_318:
	s_or_b64 exec, exec, s[2:3]
	v_cmp_eq_u32_e32 vcc, 58, v187
	s_waitcnt lgkmcnt(0)
	s_barrier
	s_and_saveexec_b64 s[2:3], vcc
	s_cbranch_execz .LBB123_321
; %bb.319:
	s_waitcnt vmcnt(9)
	v_pk_mov_b32 v[250:251], v[124:125], v[176:177] op_sel:[1,0]
	ds_write_b32 v189, v124
	ds_write2_b32 v191, v250, v251 offset0:59 offset1:60
	ds_write_b32 v191, v177 offset:244
	ds_read_b32 v249, v189
	s_waitcnt lgkmcnt(0)
	v_cmp_neq_f32_e32 vcc, 0, v249
	s_and_b64 exec, exec, vcc
	s_cbranch_execz .LBB123_321
; %bb.320:
	v_div_scale_f32 v250, s[4:5], v249, v249, 1.0
	v_rcp_f32_e32 v251, v250
	v_div_scale_f32 v252, vcc, 1.0, v249, 1.0
	v_fma_f32 v253, -v250, v251, 1.0
	v_fmac_f32_e32 v251, v253, v251
	v_mul_f32_e32 v253, v252, v251
	v_fma_f32 v254, -v250, v253, v252
	v_fmac_f32_e32 v253, v254, v251
	v_fma_f32 v250, -v250, v253, v252
	v_div_fmas_f32 v250, v250, v251, v253
	v_div_fixup_f32 v249, v250, v249, 1.0
	ds_write_b32 v189, v249
.LBB123_321:
	s_or_b64 exec, exec, s[2:3]
	s_waitcnt lgkmcnt(0)
	s_barrier
	ds_read_b32 v249, v189
	v_cmp_lt_u32_e32 vcc, 58, v187
	s_and_saveexec_b64 s[2:3], vcc
	s_cbranch_execz .LBB123_323
; %bb.322:
	ds_read_b32 v252, v191 offset:236
	ds_read_b64 v[250:251], v191 offset:240
	s_waitcnt vmcnt(12) lgkmcnt(2)
	v_mul_f32_e32 v124, v249, v124
	s_waitcnt vmcnt(11) lgkmcnt(1)
	v_fma_f32 v125, -v124, v252, v125
	s_waitcnt vmcnt(9) lgkmcnt(0)
	v_pk_fma_f32 v[176:177], v[124:125], v[250:251], v[176:177] op_sel_hi:[0,1,1] neg_lo:[1,0,0] neg_hi:[1,0,0]
.LBB123_323:
	s_or_b64 exec, exec, s[2:3]
	v_cmp_ne_u32_e32 vcc, 59, v187
	s_waitcnt lgkmcnt(0)
	s_barrier
	s_and_saveexec_b64 s[2:3], vcc
	s_xor_b64 s[2:3], exec, s[2:3]
	s_andn2_saveexec_b64 s[2:3], s[2:3]
	s_cbranch_execz .LBB123_327
; %bb.324:
	s_waitcnt vmcnt(11)
	ds_write_b32 v189, v125
	s_waitcnt vmcnt(9)
	ds_write_b64 v191, v[176:177] offset:240
	ds_read_b32 v250, v189
	s_waitcnt lgkmcnt(0)
	v_cmp_neq_f32_e32 vcc, 0, v250
	s_and_saveexec_b64 s[4:5], vcc
	s_cbranch_execz .LBB123_326
; %bb.325:
	v_div_scale_f32 v251, s[10:11], v250, v250, 1.0
	v_rcp_f32_e32 v252, v251
	v_div_scale_f32 v253, vcc, 1.0, v250, 1.0
	v_fma_f32 v254, -v251, v252, 1.0
	v_fmac_f32_e32 v252, v254, v252
	v_mul_f32_e32 v254, v253, v252
	v_fma_f32 v255, -v251, v254, v253
	v_fmac_f32_e32 v254, v255, v252
	v_fma_f32 v251, -v251, v254, v253
	v_div_fmas_f32 v251, v251, v252, v254
	v_div_fixup_f32 v250, v251, v250, 1.0
	ds_write_b32 v189, v250
.LBB123_326:
	s_or_b64 exec, exec, s[4:5]
.LBB123_327:
	s_or_b64 exec, exec, s[2:3]
	s_waitcnt lgkmcnt(0)
	s_barrier
	ds_read_b32 v250, v189
	v_cmp_lt_u32_e32 vcc, 59, v187
	s_and_saveexec_b64 s[2:3], vcc
	s_cbranch_execz .LBB123_329
; %bb.328:
	ds_read_b64 v[252:253], v191 offset:240
	s_waitcnt vmcnt(11) lgkmcnt(1)
	v_mul_f32_e32 v254, v250, v125
	v_mov_b32_e32 v125, v254
	s_waitcnt vmcnt(9) lgkmcnt(0)
	v_pk_fma_f32 v[176:177], v[254:255], v[252:253], v[176:177] op_sel_hi:[0,1,1] neg_lo:[1,0,0] neg_hi:[1,0,0]
.LBB123_329:
	s_or_b64 exec, exec, s[2:3]
	v_cmp_eq_u32_e32 vcc, 60, v187
	s_waitcnt lgkmcnt(0)
	s_barrier
	s_and_saveexec_b64 s[2:3], vcc
	s_cbranch_execz .LBB123_332
; %bb.330:
	s_waitcnt vmcnt(10)
	ds_write_b32 v189, v176
	s_waitcnt vmcnt(9)
	ds_write_b32 v191, v177 offset:244
	ds_read_b32 v251, v189
	s_waitcnt lgkmcnt(0)
	v_cmp_neq_f32_e32 vcc, 0, v251
	s_and_b64 exec, exec, vcc
	s_cbranch_execz .LBB123_332
; %bb.331:
	v_div_scale_f32 v252, s[4:5], v251, v251, 1.0
	v_rcp_f32_e32 v253, v252
	v_div_scale_f32 v254, vcc, 1.0, v251, 1.0
	v_fma_f32 v255, -v252, v253, 1.0
	v_fmac_f32_e32 v253, v255, v253
	v_mul_f32_e32 v255, v254, v253
	v_fma_f32 v190, -v252, v255, v254
	v_fmac_f32_e32 v255, v190, v253
	v_fma_f32 v190, -v252, v255, v254
	v_div_fmas_f32 v190, v190, v253, v255
	v_div_fixup_f32 v190, v190, v251, 1.0
	ds_write_b32 v189, v190
.LBB123_332:
	s_or_b64 exec, exec, s[2:3]
	s_waitcnt lgkmcnt(0)
	s_barrier
	ds_read_b32 v251, v189
	v_cmp_lt_u32_e32 vcc, 60, v187
	s_and_saveexec_b64 s[2:3], vcc
	s_cbranch_execz .LBB123_334
; %bb.333:
	ds_read_b32 v190, v191 offset:244
	s_waitcnt vmcnt(10) lgkmcnt(1)
	v_mul_f32_e32 v176, v251, v176
	s_waitcnt vmcnt(9) lgkmcnt(0)
	v_fma_f32 v177, -v176, v190, v177
.LBB123_334:
	s_or_b64 exec, exec, s[2:3]
	v_cmp_ne_u32_e32 vcc, 61, v187
	s_waitcnt lgkmcnt(0)
	s_barrier
	s_and_saveexec_b64 s[2:3], vcc
	s_xor_b64 s[2:3], exec, s[2:3]
	s_andn2_saveexec_b64 s[2:3], s[2:3]
	s_cbranch_execz .LBB123_338
; %bb.335:
	s_waitcnt vmcnt(9)
	v_cmp_neq_f32_e32 vcc, 0, v177
	ds_write_b32 v189, v177
	s_and_saveexec_b64 s[4:5], vcc
	s_cbranch_execz .LBB123_337
; %bb.336:
	v_div_scale_f32 v190, s[10:11], v177, v177, 1.0
	v_rcp_f32_e32 v191, v190
	v_div_scale_f32 v252, vcc, 1.0, v177, 1.0
	v_fma_f32 v253, -v190, v191, 1.0
	v_fmac_f32_e32 v191, v253, v191
	v_mul_f32_e32 v253, v252, v191
	v_fma_f32 v254, -v190, v253, v252
	v_fmac_f32_e32 v253, v254, v191
	v_fma_f32 v190, -v190, v253, v252
	v_div_fmas_f32 v190, v190, v191, v253
	v_div_fixup_f32 v190, v190, v177, 1.0
	ds_write_b32 v189, v190
.LBB123_337:
	s_or_b64 exec, exec, s[4:5]
.LBB123_338:
	s_or_b64 exec, exec, s[2:3]
	s_waitcnt lgkmcnt(0)
	s_barrier
	ds_read_b32 v189, v189
	s_waitcnt lgkmcnt(0)
	s_barrier
	s_and_saveexec_b64 s[2:3], s[0:1]
	s_cbranch_execz .LBB123_341
; %bb.339:
	scratch_load_dword v190, off, off       ; 4-byte Folded Reload
	v_cmp_neq_f32_e64 s[0:1], 0, v192
	v_mov_b32_e32 v191, s7
	s_waitcnt vmcnt(0)
	v_cmp_eq_f32_e32 vcc, 0, v190
	s_nop 1
	v_cndmask_b32_e64 v190, 0, 1, vcc
	s_or_b64 vcc, s[0:1], vcc
	v_cndmask_b32_e32 v190, 2, v190, vcc
	v_cmp_eq_f32_e32 vcc, 0, v193
	v_cmp_eq_u32_e64 s[0:1], 0, v190
	s_and_b64 s[0:1], vcc, s[0:1]
	v_cmp_eq_f32_e32 vcc, 0, v194
	v_cndmask_b32_e64 v190, v190, 3, s[0:1]
	v_cmp_eq_u32_e64 s[0:1], 0, v190
	s_and_b64 s[0:1], vcc, s[0:1]
	v_cmp_eq_f32_e32 vcc, 0, v195
	v_cndmask_b32_e64 v190, v190, 4, s[0:1]
	;; [unrolled: 4-line block ×40, first 2 shown]
	v_mov_b32_e32 v190, s6
	v_lshl_add_u64 v[24:25], v[24:25], 2, v[190:191]
	global_load_dword v191, v[24:25], off
	v_cmp_eq_u32_e64 s[0:1], 0, v192
	s_and_b64 s[0:1], vcc, s[0:1]
	v_cmp_eq_f32_e32 vcc, 0, v234
	v_cndmask_b32_e64 v190, v192, 43, s[0:1]
	v_cmp_eq_u32_e64 s[0:1], 0, v190
	s_and_b64 s[0:1], vcc, s[0:1]
	v_cmp_eq_f32_e32 vcc, 0, v235
	v_cndmask_b32_e64 v190, v190, 44, s[0:1]
	;; [unrolled: 4-line block ×19, first 2 shown]
	v_cmp_eq_u32_e64 s[0:1], 0, v190
	s_and_b64 s[0:1], vcc, s[0:1]
	s_waitcnt vmcnt(0)
	v_cmp_eq_u32_e32 vcc, 0, v191
	v_cndmask_b32_e64 v190, v190, 62, s[0:1]
	v_cmp_ne_u32_e64 s[0:1], 0, v190
	s_and_b64 s[0:1], vcc, s[0:1]
	s_and_b64 exec, exec, s[0:1]
	s_cbranch_execz .LBB123_341
; %bb.340:
	v_add_u32_e32 v190, s9, v190
	global_store_dword v[24:25], v190, off
.LBB123_341:
	s_or_b64 exec, exec, s[2:3]
	s_waitcnt vmcnt(9)
	v_mul_f32_e32 v24, v189, v177
	v_cmp_lt_u32_e32 vcc, 61, v187
	s_nop 1
	v_cndmask_b32_e32 v24, v177, v24, vcc
	s_waitcnt vmcnt(2)
	global_store_dword v[0:1], v186, off
	s_waitcnt vmcnt(2)
	global_store_dword v[184:185], v188, off
	global_store_dword v[2:3], v180, off
	;; [unrolled: 1-line block ×61, first 2 shown]
.LBB123_342:
	s_endpgm
	.section	.rodata,"a",@progbits
	.p2align	6, 0x0
	.amdhsa_kernel _ZN9rocsolver6v33100L23getf2_npvt_small_kernelILi62EfiiPfEEvT1_T3_lS3_lPT2_S3_S3_
		.amdhsa_group_segment_fixed_size 0
		.amdhsa_private_segment_fixed_size 8
		.amdhsa_kernarg_size 312
		.amdhsa_user_sgpr_count 2
		.amdhsa_user_sgpr_dispatch_ptr 0
		.amdhsa_user_sgpr_queue_ptr 0
		.amdhsa_user_sgpr_kernarg_segment_ptr 1
		.amdhsa_user_sgpr_dispatch_id 0
		.amdhsa_user_sgpr_kernarg_preload_length 0
		.amdhsa_user_sgpr_kernarg_preload_offset 0
		.amdhsa_user_sgpr_private_segment_size 0
		.amdhsa_uses_dynamic_stack 0
		.amdhsa_enable_private_segment 1
		.amdhsa_system_sgpr_workgroup_id_x 1
		.amdhsa_system_sgpr_workgroup_id_y 1
		.amdhsa_system_sgpr_workgroup_id_z 0
		.amdhsa_system_sgpr_workgroup_info 0
		.amdhsa_system_vgpr_workitem_id 1
		.amdhsa_next_free_vgpr 256
		.amdhsa_next_free_sgpr 16
		.amdhsa_accum_offset 256
		.amdhsa_reserve_vcc 1
		.amdhsa_float_round_mode_32 0
		.amdhsa_float_round_mode_16_64 0
		.amdhsa_float_denorm_mode_32 3
		.amdhsa_float_denorm_mode_16_64 3
		.amdhsa_dx10_clamp 1
		.amdhsa_ieee_mode 1
		.amdhsa_fp16_overflow 0
		.amdhsa_tg_split 0
		.amdhsa_exception_fp_ieee_invalid_op 0
		.amdhsa_exception_fp_denorm_src 0
		.amdhsa_exception_fp_ieee_div_zero 0
		.amdhsa_exception_fp_ieee_overflow 0
		.amdhsa_exception_fp_ieee_underflow 0
		.amdhsa_exception_fp_ieee_inexact 0
		.amdhsa_exception_int_div_zero 0
	.end_amdhsa_kernel
	.section	.text._ZN9rocsolver6v33100L23getf2_npvt_small_kernelILi62EfiiPfEEvT1_T3_lS3_lPT2_S3_S3_,"axG",@progbits,_ZN9rocsolver6v33100L23getf2_npvt_small_kernelILi62EfiiPfEEvT1_T3_lS3_lPT2_S3_S3_,comdat
.Lfunc_end123:
	.size	_ZN9rocsolver6v33100L23getf2_npvt_small_kernelILi62EfiiPfEEvT1_T3_lS3_lPT2_S3_S3_, .Lfunc_end123-_ZN9rocsolver6v33100L23getf2_npvt_small_kernelILi62EfiiPfEEvT1_T3_lS3_lPT2_S3_S3_
                                        ; -- End function
	.set _ZN9rocsolver6v33100L23getf2_npvt_small_kernelILi62EfiiPfEEvT1_T3_lS3_lPT2_S3_S3_.num_vgpr, 256
	.set _ZN9rocsolver6v33100L23getf2_npvt_small_kernelILi62EfiiPfEEvT1_T3_lS3_lPT2_S3_S3_.num_agpr, 0
	.set _ZN9rocsolver6v33100L23getf2_npvt_small_kernelILi62EfiiPfEEvT1_T3_lS3_lPT2_S3_S3_.numbered_sgpr, 16
	.set _ZN9rocsolver6v33100L23getf2_npvt_small_kernelILi62EfiiPfEEvT1_T3_lS3_lPT2_S3_S3_.num_named_barrier, 0
	.set _ZN9rocsolver6v33100L23getf2_npvt_small_kernelILi62EfiiPfEEvT1_T3_lS3_lPT2_S3_S3_.private_seg_size, 8
	.set _ZN9rocsolver6v33100L23getf2_npvt_small_kernelILi62EfiiPfEEvT1_T3_lS3_lPT2_S3_S3_.uses_vcc, 1
	.set _ZN9rocsolver6v33100L23getf2_npvt_small_kernelILi62EfiiPfEEvT1_T3_lS3_lPT2_S3_S3_.uses_flat_scratch, 0
	.set _ZN9rocsolver6v33100L23getf2_npvt_small_kernelILi62EfiiPfEEvT1_T3_lS3_lPT2_S3_S3_.has_dyn_sized_stack, 0
	.set _ZN9rocsolver6v33100L23getf2_npvt_small_kernelILi62EfiiPfEEvT1_T3_lS3_lPT2_S3_S3_.has_recursion, 0
	.set _ZN9rocsolver6v33100L23getf2_npvt_small_kernelILi62EfiiPfEEvT1_T3_lS3_lPT2_S3_S3_.has_indirect_call, 0
	.section	.AMDGPU.csdata,"",@progbits
; Kernel info:
; codeLenInByte = 44552
; TotalNumSgprs: 22
; NumVgprs: 256
; NumAgprs: 0
; TotalNumVgprs: 256
; ScratchSize: 8
; MemoryBound: 0
; FloatMode: 240
; IeeeMode: 1
; LDSByteSize: 0 bytes/workgroup (compile time only)
; SGPRBlocks: 2
; VGPRBlocks: 31
; NumSGPRsForWavesPerEU: 22
; NumVGPRsForWavesPerEU: 256
; AccumOffset: 256
; Occupancy: 2
; WaveLimiterHint : 0
; COMPUTE_PGM_RSRC2:SCRATCH_EN: 1
; COMPUTE_PGM_RSRC2:USER_SGPR: 2
; COMPUTE_PGM_RSRC2:TRAP_HANDLER: 0
; COMPUTE_PGM_RSRC2:TGID_X_EN: 1
; COMPUTE_PGM_RSRC2:TGID_Y_EN: 1
; COMPUTE_PGM_RSRC2:TGID_Z_EN: 0
; COMPUTE_PGM_RSRC2:TIDIG_COMP_CNT: 1
; COMPUTE_PGM_RSRC3_GFX90A:ACCUM_OFFSET: 63
; COMPUTE_PGM_RSRC3_GFX90A:TG_SPLIT: 0
	.section	.text._ZN9rocsolver6v33100L18getf2_small_kernelILi63EfiiPfEEvT1_T3_lS3_lPS3_llPT2_S3_S3_S5_l,"axG",@progbits,_ZN9rocsolver6v33100L18getf2_small_kernelILi63EfiiPfEEvT1_T3_lS3_lPS3_llPT2_S3_S3_S5_l,comdat
	.globl	_ZN9rocsolver6v33100L18getf2_small_kernelILi63EfiiPfEEvT1_T3_lS3_lPS3_llPT2_S3_S3_S5_l ; -- Begin function _ZN9rocsolver6v33100L18getf2_small_kernelILi63EfiiPfEEvT1_T3_lS3_lPS3_llPT2_S3_S3_S5_l
	.p2align	8
	.type	_ZN9rocsolver6v33100L18getf2_small_kernelILi63EfiiPfEEvT1_T3_lS3_lPS3_llPT2_S3_S3_S5_l,@function
_ZN9rocsolver6v33100L18getf2_small_kernelILi63EfiiPfEEvT1_T3_lS3_lPS3_llPT2_S3_S3_S5_l: ; @_ZN9rocsolver6v33100L18getf2_small_kernelILi63EfiiPfEEvT1_T3_lS3_lPS3_llPT2_S3_S3_S5_l
; %bb.0:
	s_load_dword s2, s[0:1], 0x6c
	s_load_dwordx2 s[18:19], s[0:1], 0x48
	v_bfe_u32 v69, v0, 10, 10
	s_waitcnt lgkmcnt(0)
	s_lshr_b32 s2, s2, 16
	s_mul_i32 s3, s3, s2
	v_add_u32_e32 v2, s3, v69
	v_cmp_gt_i32_e32 vcc, s18, v2
	s_and_saveexec_b64 s[2:3], vcc
	s_cbranch_execz .LBB124_1068
; %bb.1:
	s_load_dwordx4 s[4:7], s[0:1], 0x50
	v_ashrrev_i32_e32 v3, 31, v2
	v_mov_b64_e32 v[4:5], 0
	s_waitcnt lgkmcnt(0)
	s_cmp_eq_u64 s[4:5], 0
	s_cselect_b64 s[20:21], -1, 0
	s_and_b64 vcc, exec, s[20:21]
	s_cbranch_vccnz .LBB124_3
; %bb.2:
	v_mul_lo_u32 v1, s7, v2
	v_mul_lo_u32 v6, s6, v3
	v_mad_u64_u32 v[4:5], s[2:3], s6, v2, 0
	v_add3_u32 v5, v5, v6, v1
	v_lshl_add_u64 v[4:5], v[4:5], 2, s[4:5]
.LBB124_3:
	s_load_dwordx4 s[12:15], s[0:1], 0x8
	s_load_dwordx8 s[4:11], s[0:1], 0x20
	s_load_dword s16, s[0:1], 0x18
	s_load_dword s22, s[0:1], 0x0
	v_and_b32_e32 v96, 0x3ff, v0
	s_waitcnt lgkmcnt(0)
	v_mov_b32_e32 v6, s12
	v_mul_lo_u32 v1, s5, v2
	v_mul_lo_u32 v10, s4, v3
	v_mad_u64_u32 v[8:9], s[2:3], s4, v2, 0
	v_mov_b32_e32 v7, s13
	v_add3_u32 v9, v9, v10, v1
	s_add_i32 s18, s16, s16
	v_lshl_add_u64 v[6:7], v[8:9], 2, v[6:7]
	v_add_u32_e32 v0, s18, v96
	v_lshl_add_u64 v[6:7], s[14:15], 2, v[6:7]
	v_ashrrev_i32_e32 v1, 31, v0
	v_lshl_add_u64 v[60:61], v[0:1], 2, v[6:7]
	v_add_u32_e32 v0, s16, v0
	v_ashrrev_i32_e32 v1, 31, v0
	v_lshl_add_u64 v[76:77], v[0:1], 2, v[6:7]
	v_add_u32_e32 v0, s16, v0
	;; [unrolled: 3-line block ×4, first 2 shown]
	v_add_u32_e32 v58, s16, v0
	v_ashrrev_i32_e32 v1, 31, v0
	v_add_u32_e32 v86, s16, v58
	v_lshl_add_u64 v[88:89], v[0:1], 2, v[6:7]
	v_add_u32_e32 v0, s16, v86
	v_ashrrev_i32_e32 v1, 31, v0
	v_lshl_add_u64 v[72:73], v[0:1], 2, v[6:7]
	v_add_u32_e32 v0, s16, v0
	v_ashrrev_i32_e32 v1, 31, v0
	;; [unrolled: 3-line block ×16, first 2 shown]
	global_load_dword v53, v[8:9], off
	global_load_dword v50, v[10:11], off
	global_load_dword v51, v[12:13], off
	global_load_dword v46, v[14:15], off
	global_load_dword v47, v[16:17], off
	global_load_dword v40, v[18:19], off
	global_load_dword v41, v[20:21], off
	global_load_dword v32, v[22:23], off
	v_lshl_add_u64 v[8:9], v[0:1], 2, v[6:7]
	v_add_u32_e32 v0, s16, v0
	v_ashrrev_i32_e32 v1, 31, v0
	v_lshl_add_u64 v[10:11], v[0:1], 2, v[6:7]
	v_add_u32_e32 v0, s16, v0
	v_ashrrev_i32_e32 v1, 31, v0
	v_lshl_add_u64 v[12:13], v[0:1], 2, v[6:7]
	v_add_u32_e32 v0, s16, v0
	v_ashrrev_i32_e32 v1, 31, v0
	v_lshl_add_u64 v[14:15], v[0:1], 2, v[6:7]
	v_add_u32_e32 v0, s16, v0
	v_ashrrev_i32_e32 v1, 31, v0
	v_lshl_add_u64 v[16:17], v[0:1], 2, v[6:7]
	v_add_u32_e32 v0, s16, v0
	v_ashrrev_i32_e32 v1, 31, v0
	v_lshl_add_u64 v[18:19], v[0:1], 2, v[6:7]
	v_add_u32_e32 v0, s16, v0
	v_ashrrev_i32_e32 v1, 31, v0
	v_lshl_add_u64 v[20:21], v[0:1], 2, v[6:7]
	v_add_u32_e32 v0, s16, v0
	v_ashrrev_i32_e32 v1, 31, v0
	v_lshl_add_u64 v[22:23], v[0:1], 2, v[6:7]
	v_add_u32_e32 v0, s16, v0
	v_ashrrev_i32_e32 v1, 31, v0
	global_load_dword v33, v[8:9], off
	global_load_dword v48, v[10:11], off
	global_load_dword v49, v[12:13], off
	global_load_dword v42, v[14:15], off
	global_load_dword v43, v[16:17], off
	global_load_dword v34, v[18:19], off
	global_load_dword v35, v[20:21], off
	global_load_dword v24, v[22:23], off
	v_lshl_add_u64 v[8:9], v[0:1], 2, v[6:7]
	v_add_u32_e32 v0, s16, v0
	v_ashrrev_i32_e32 v1, 31, v0
	v_lshl_add_u64 v[10:11], v[0:1], 2, v[6:7]
	v_add_u32_e32 v0, s16, v0
	v_ashrrev_i32_e32 v1, 31, v0
	v_lshl_add_u64 v[12:13], v[0:1], 2, v[6:7]
	v_add_u32_e32 v0, s16, v0
	v_ashrrev_i32_e32 v1, 31, v0
	v_lshl_add_u64 v[14:15], v[0:1], 2, v[6:7]
	v_add_u32_e32 v0, s16, v0
	v_ashrrev_i32_e32 v1, 31, v0
	v_lshl_add_u64 v[16:17], v[0:1], 2, v[6:7]
	v_add_u32_e32 v0, s16, v0
	v_ashrrev_i32_e32 v1, 31, v0
	v_lshl_add_u64 v[20:21], v[0:1], 2, v[6:7]
	v_add_u32_e32 v0, s16, v0
	v_ashrrev_i32_e32 v1, 31, v0
	v_lshl_add_u64 v[22:23], v[0:1], 2, v[6:7]
	v_add_u32_e32 v0, s16, v0
	v_ashrrev_i32_e32 v1, 31, v0
	v_lshl_add_u64 v[28:29], v[0:1], 2, v[6:7]
	v_add_u32_e32 v0, s16, v0
	v_ashrrev_i32_e32 v1, 31, v0
	global_load_dword v25, v[8:9], off
	global_load_dword v44, v[10:11], off
	global_load_dword v45, v[12:13], off
	global_load_dword v36, v[14:15], off
	global_load_dword v37, v[16:17], off
	global_load_dword v26, v[20:21], off
	global_load_dword v27, v[22:23], off
	global_load_dword v18, v[28:29], off
	v_lshl_add_u64 v[8:9], v[0:1], 2, v[6:7]
	v_add_u32_e32 v0, s16, v0
	v_ashrrev_i32_e32 v1, 31, v0
	v_lshl_add_u64 v[10:11], v[0:1], 2, v[6:7]
	v_add_u32_e32 v0, s16, v0
	v_ashrrev_i32_e32 v1, 31, v0
	v_lshl_add_u64 v[14:15], v[0:1], 2, v[6:7]
	v_add_u32_e32 v0, s16, v0
	v_ashrrev_i32_e32 v1, 31, v0
	v_lshl_add_u64 v[16:17], v[0:1], 2, v[6:7]
	v_add_u32_e32 v0, s16, v0
	v_ashrrev_i32_e32 v1, 31, v0
	v_lshl_add_u64 v[22:23], v[0:1], 2, v[6:7]
	v_add_u32_e32 v0, s16, v0
	v_ashrrev_i32_e32 v1, 31, v0
	v_lshl_add_u64 v[30:31], v[0:1], 2, v[6:7]
	v_add_u32_e32 v0, s16, v0
	v_ashrrev_i32_e32 v1, 31, v0
	v_lshl_add_u64 v[62:63], v[0:1], 2, v[6:7]
	v_add_u32_e32 v0, s16, v0
	v_ashrrev_i32_e32 v1, 31, v0
	v_lshl_add_u64 v[64:65], v[0:1], 2, v[6:7]
	v_add_u32_e32 v0, s16, v0
	v_ashrrev_i32_e32 v1, 31, v0
	global_load_dword v19, v[8:9], off
	global_load_dword v38, v[10:11], off
	global_load_dword v39, v[14:15], off
	global_load_dword v28, v[16:17], off
	global_load_dword v29, v[22:23], off
	global_load_dword v20, v[30:31], off
	global_load_dword v21, v[62:63], off
	global_load_dword v12, v[64:65], off
	v_lshl_add_u64 v[8:9], v[0:1], 2, v[6:7]
	v_add_u32_e32 v0, s16, v0
	v_ashrrev_i32_e32 v1, 31, v0
	v_lshl_add_u64 v[10:11], v[0:1], 2, v[6:7]
	v_add_u32_e32 v0, s16, v0
	v_ashrrev_i32_e32 v1, 31, v0
	v_lshl_add_u64 v[16:17], v[0:1], 2, v[6:7]
	v_add_u32_e32 v0, s16, v0
	v_ashrrev_i32_e32 v1, 31, v0
	v_lshl_add_u64 v[62:63], v[0:1], 2, v[6:7]
	v_add_u32_e32 v0, s16, v0
	v_ashrrev_i32_e32 v1, 31, v0
	v_lshl_add_u64 v[64:65], v[0:1], 2, v[6:7]
	v_add_u32_e32 v0, s16, v0
	v_ashrrev_i32_e32 v1, 31, v0
	v_lshl_add_u64 v[66:67], v[0:1], 2, v[6:7]
	v_add_u32_e32 v0, s16, v0
	v_ashrrev_i32_e32 v1, 31, v0
	v_lshl_add_u64 v[98:99], v[0:1], 2, v[6:7]
	v_add_u32_e32 v0, s16, v0
	v_ashrrev_i32_e32 v1, 31, v0
	v_lshl_add_u64 v[100:101], v[0:1], 2, v[6:7]
	v_add_u32_e32 v0, s16, v0
	v_ashrrev_i32_e32 v1, 31, v0
	global_load_dword v13, v[8:9], off
	global_load_dword v30, v[10:11], off
	;; [unrolled: 1-line block ×7, first 2 shown]
                                        ; kill: killed $vgpr98_vgpr99
                                        ; kill: killed $vgpr8_vgpr9
                                        ; kill: killed $vgpr10_vgpr11
                                        ; kill: killed $vgpr16_vgpr17
                                        ; kill: killed $vgpr62_vgpr63
                                        ; kill: killed $vgpr64_vgpr65
                                        ; kill: killed $vgpr66_vgpr67
	global_load_dword v8, v[100:101], off
	v_lshl_add_u64 v[10:11], v[0:1], 2, v[6:7]
	v_add_u32_e32 v0, s16, v0
	v_add_u32_e32 v62, s16, v0
	v_ashrrev_i32_e32 v1, 31, v0
	v_ashrrev_i32_e32 v63, 31, v62
	v_lshl_add_u64 v[16:17], v[0:1], 2, v[6:7]
	v_lshl_add_u64 v[64:65], v[62:63], 2, v[6:7]
	global_load_dword v9, v[10:11], off
	global_load_dword v0, v[16:17], off
	;; [unrolled: 1-line block ×3, first 2 shown]
	v_add_u32_e32 v10, s16, v62
	v_ashrrev_i32_e32 v11, 31, v10
	v_lshl_add_u64 v[62:63], v[10:11], 2, v[6:7]
	v_add_u32_e32 v10, s16, v10
	v_ashrrev_i32_e32 v11, 31, v10
	v_lshl_add_u64 v[64:65], v[10:11], 2, v[6:7]
	v_add_u32_e32 v10, s16, v10
	v_ashrrev_i32_e32 v11, 31, v10
	v_lshlrev_b32_e32 v70, 2, v96
	v_mov_b32_e32 v71, 0
	v_lshl_add_u64 v[66:67], v[10:11], 2, v[6:7]
	v_add_u32_e32 v10, s16, v10
	v_lshl_add_u64 v[54:55], v[6:7], 0, v[70:71]
	s_ashr_i32 s17, s16, 31
	v_ashrrev_i32_e32 v11, 31, v10
	v_lshl_add_u64 v[56:57], s[16:17], 2, v[54:55]
	v_lshl_add_u64 v[98:99], v[10:11], 2, v[6:7]
	v_ashrrev_i32_e32 v59, 31, v58
	v_ashrrev_i32_e32 v87, 31, v86
	global_load_dword v16, v[62:63], off
	global_load_dword v17, v[64:65], off
	;; [unrolled: 1-line block ×4, first 2 shown]
	v_lshl_add_u64 v[98:99], v[58:59], 2, v[6:7]
	global_load_dword v66, v[56:57], off
	global_load_dword v67, v[60:61], off
	;; [unrolled: 1-line block ×8, first 2 shown]
	v_lshl_add_u64 v[76:77], v[86:87], 2, v[6:7]
	global_load_dword v60, v[72:73], off
	global_load_dword v61, v[74:75], off
	global_load_dword v56, v[78:79], off
	global_load_dword v57, v[82:83], off
	global_load_dword v54, v[90:91], off
	global_load_dword v55, v[92:93], off
	global_load_dword v52, v[94:95], off
	global_load_dword v59, v[76:77], off
	s_max_i32 s2, s22, 63
	v_mul_lo_u32 v72, s2, v69
	v_lshl_add_u32 v69, v72, 2, 0
	v_add_u32_e32 v70, v69, v70
	s_load_dwordx2 s[4:5], s[0:1], 0x40
	s_cmp_lt_i32 s22, 2
	v_lshlrev_b32_e32 v72, 2, v72
	s_waitcnt vmcnt(8)
	ds_write_b32 v70, v68
	s_waitcnt lgkmcnt(0)
	s_barrier
	ds_read_b32 v70, v69
	s_cbranch_scc1 .LBB124_6
; %bb.4:
	v_add3_u32 v73, v72, 0, 4
	v_mov_b32_e32 v71, 0
	s_mov_b32 s0, 1
.LBB124_5:                              ; =>This Inner Loop Header: Depth=1
	ds_read_b32 v74, v73
	v_mov_b32_e32 v75, s0
	s_add_i32 s0, s0, 1
	v_add_u32_e32 v73, 4, v73
	s_cmp_eq_u32 s22, s0
	s_waitcnt lgkmcnt(0)
	v_cmp_lt_f32_e64 vcc, |v70|, |v74|
	s_nop 1
	v_cndmask_b32_e32 v70, v70, v74, vcc
	v_cndmask_b32_e32 v71, v71, v75, vcc
	s_cbranch_scc0 .LBB124_5
.LBB124_6:
	v_cmp_ne_u32_e32 vcc, v96, v71
                                        ; implicit-def: $vgpr73
	s_and_saveexec_b64 s[0:1], vcc
	s_xor_b64 s[0:1], exec, s[0:1]
	s_cbranch_execz .LBB124_12
; %bb.7:
	v_cmp_eq_u32_e32 vcc, 0, v96
	s_and_saveexec_b64 s[2:3], vcc
	s_cbranch_execz .LBB124_11
; %bb.8:
	v_cmp_ne_u32_e32 vcc, 0, v71
	s_xor_b64 s[12:13], s[20:21], -1
	s_and_b64 s[14:15], s[12:13], vcc
	s_and_saveexec_b64 s[12:13], s[14:15]
	s_cbranch_execz .LBB124_10
; %bb.9:
	v_ashrrev_i32_e32 v75, 31, v71
	v_mov_b32_e32 v74, v71
	v_lshl_add_u64 v[74:75], v[74:75], 2, v[4:5]
	global_load_dword v73, v[74:75], off
	global_load_dword v76, v[4:5], off
	s_waitcnt vmcnt(1)
	global_store_dword v[4:5], v73, off
	s_waitcnt vmcnt(1)
	global_store_dword v[74:75], v76, off
.LBB124_10:
	s_or_b64 exec, exec, s[12:13]
	v_mov_b32_e32 v96, v71
.LBB124_11:
	s_or_b64 exec, exec, s[2:3]
	v_mov_b32_e32 v73, v96
                                        ; implicit-def: $vgpr96
.LBB124_12:
	s_or_saveexec_b64 s[0:1], s[0:1]
	v_mov_b32_e32 v71, v73
	s_xor_b64 exec, exec, s[0:1]
	s_cbranch_execz .LBB124_14
; %bb.13:
	v_mov_b32_e32 v73, 0
	v_mov_b32_e32 v71, v96
	ds_write2_b32 v69, v66, v67 offset0:1 offset1:2
	ds_write2_b32 v69, v64, v65 offset0:3 offset1:4
	;; [unrolled: 1-line block ×3, first 2 shown]
	s_waitcnt vmcnt(0)
	ds_write2_b32 v69, v58, v59 offset0:7 offset1:8
	ds_write2_b32 v69, v60, v61 offset0:9 offset1:10
	;; [unrolled: 1-line block ×28, first 2 shown]
.LBB124_14:
	s_or_b64 exec, exec, s[0:1]
	s_waitcnt lgkmcnt(0)
	v_cmp_eq_f32_e64 s[0:1], 0, v70
	v_cmp_lt_i32_e32 vcc, 0, v73
	s_barrier
	s_and_saveexec_b64 s[2:3], vcc
	s_cbranch_execz .LBB124_16
; %bb.15:
	v_div_scale_f32 v74, s[12:13], v70, v70, 1.0
	v_rcp_f32_e32 v75, v74
	v_div_scale_f32 v76, vcc, 1.0, v70, 1.0
	v_fma_f32 v77, -v74, v75, 1.0
	v_fmac_f32_e32 v75, v77, v75
	v_mul_f32_e32 v77, v76, v75
	v_fma_f32 v78, -v74, v77, v76
	v_fmac_f32_e32 v77, v78, v75
	v_fma_f32 v74, -v74, v77, v76
	v_div_fmas_f32 v74, v74, v75, v77
	v_div_fixup_f32 v74, v74, v70, 1.0
	v_cndmask_b32_e64 v70, v74, v70, s[0:1]
	ds_read2_b32 v[74:75], v69 offset0:1 offset1:2
	ds_read2_b32 v[76:77], v69 offset0:3 offset1:4
	;; [unrolled: 1-line block ×3, first 2 shown]
	v_mul_f32_e32 v68, v70, v68
	ds_read2_b32 v[80:81], v69 offset0:7 offset1:8
	s_waitcnt lgkmcnt(3)
	v_pk_fma_f32 v[66:67], v[68:69], v[74:75], v[66:67] op_sel_hi:[0,1,1] neg_lo:[1,0,0] neg_hi:[1,0,0]
	s_waitcnt lgkmcnt(2)
	v_pk_fma_f32 v[64:65], v[68:69], v[76:77], v[64:65] op_sel_hi:[0,1,1] neg_lo:[1,0,0] neg_hi:[1,0,0]
	;; [unrolled: 2-line block ×3, first 2 shown]
	ds_read2_b32 v[74:75], v69 offset0:9 offset1:10
	ds_read2_b32 v[76:77], v69 offset0:11 offset1:12
	;; [unrolled: 1-line block ×3, first 2 shown]
	s_waitcnt vmcnt(0) lgkmcnt(3)
	v_pk_fma_f32 v[58:59], v[68:69], v[80:81], v[58:59] op_sel_hi:[0,1,1] neg_lo:[1,0,0] neg_hi:[1,0,0]
	ds_read2_b32 v[80:81], v69 offset0:15 offset1:16
	s_waitcnt lgkmcnt(3)
	v_pk_fma_f32 v[60:61], v[68:69], v[74:75], v[60:61] op_sel_hi:[0,1,1] neg_lo:[1,0,0] neg_hi:[1,0,0]
	s_waitcnt lgkmcnt(2)
	v_pk_fma_f32 v[56:57], v[68:69], v[76:77], v[56:57] op_sel_hi:[0,1,1] neg_lo:[1,0,0] neg_hi:[1,0,0]
	s_waitcnt lgkmcnt(1)
	v_pk_fma_f32 v[54:55], v[68:69], v[78:79], v[54:55] op_sel_hi:[0,1,1] neg_lo:[1,0,0] neg_hi:[1,0,0]
	ds_read2_b32 v[74:75], v69 offset0:17 offset1:18
	ds_read2_b32 v[76:77], v69 offset0:19 offset1:20
	ds_read2_b32 v[78:79], v69 offset0:21 offset1:22
	s_waitcnt lgkmcnt(3)
	v_pk_fma_f32 v[52:53], v[68:69], v[80:81], v[52:53] op_sel_hi:[0,1,1] neg_lo:[1,0,0] neg_hi:[1,0,0]
	ds_read2_b32 v[80:81], v69 offset0:23 offset1:24
	s_waitcnt lgkmcnt(3)
	v_pk_fma_f32 v[50:51], v[68:69], v[74:75], v[50:51] op_sel_hi:[0,1,1] neg_lo:[1,0,0] neg_hi:[1,0,0]
	s_waitcnt lgkmcnt(2)
	v_pk_fma_f32 v[46:47], v[68:69], v[76:77], v[46:47] op_sel_hi:[0,1,1] neg_lo:[1,0,0] neg_hi:[1,0,0]
	s_waitcnt lgkmcnt(1)
	v_pk_fma_f32 v[40:41], v[68:69], v[78:79], v[40:41] op_sel_hi:[0,1,1] neg_lo:[1,0,0] neg_hi:[1,0,0]
	ds_read2_b32 v[74:75], v69 offset0:25 offset1:26
	ds_read2_b32 v[76:77], v69 offset0:27 offset1:28
	ds_read2_b32 v[78:79], v69 offset0:29 offset1:30
	s_waitcnt lgkmcnt(3)
	;; [unrolled: 12-line block ×4, first 2 shown]
	v_pk_fma_f32 v[18:19], v[68:69], v[80:81], v[18:19] op_sel_hi:[0,1,1] neg_lo:[1,0,0] neg_hi:[1,0,0]
	ds_read2_b32 v[80:81], v69 offset0:47 offset1:48
	s_waitcnt lgkmcnt(3)
	v_pk_fma_f32 v[38:39], v[68:69], v[74:75], v[38:39] op_sel_hi:[0,1,1] neg_lo:[1,0,0] neg_hi:[1,0,0]
	s_waitcnt lgkmcnt(2)
	v_pk_fma_f32 v[28:29], v[68:69], v[76:77], v[28:29] op_sel_hi:[0,1,1] neg_lo:[1,0,0] neg_hi:[1,0,0]
	ds_read2_b32 v[74:75], v69 offset0:49 offset1:50
	ds_read2_b32 v[76:77], v69 offset0:51 offset1:52
	s_waitcnt lgkmcnt(3)
	v_pk_fma_f32 v[20:21], v[68:69], v[78:79], v[20:21] op_sel_hi:[0,1,1] neg_lo:[1,0,0] neg_hi:[1,0,0]
	s_waitcnt lgkmcnt(2)
	v_pk_fma_f32 v[12:13], v[68:69], v[80:81], v[12:13] op_sel_hi:[0,1,1] neg_lo:[1,0,0] neg_hi:[1,0,0]
	ds_read2_b32 v[78:79], v69 offset0:53 offset1:54
	;; [unrolled: 6-line block ×3, first 2 shown]
	ds_read2_b32 v[76:77], v69 offset0:59 offset1:60
	ds_read2_b32 v[82:83], v69 offset0:61 offset1:62
	s_waitcnt lgkmcnt(4)
	v_pk_fma_f32 v[14:15], v[68:69], v[78:79], v[14:15] op_sel_hi:[0,1,1] neg_lo:[1,0,0] neg_hi:[1,0,0]
	s_waitcnt lgkmcnt(3)
	v_pk_fma_f32 v[8:9], v[68:69], v[80:81], v[8:9] op_sel_hi:[0,1,1] neg_lo:[1,0,0] neg_hi:[1,0,0]
	;; [unrolled: 2-line block ×5, first 2 shown]
.LBB124_16:
	s_or_b64 exec, exec, s[2:3]
	v_lshl_add_u32 v70, v73, 2, v69
	s_barrier
	ds_write_b32 v70, v66
	s_waitcnt lgkmcnt(0)
	s_barrier
	ds_read_b32 v74, v69 offset:4
	s_mov_b32 s2, 2
	s_cmp_lt_i32 s22, 3
	v_mov_b32_e32 v70, 1
	s_cbranch_scc1 .LBB124_19
; %bb.17:
	v_add3_u32 v75, v72, 0, 8
	v_mov_b32_e32 v70, 1
.LBB124_18:                             ; =>This Inner Loop Header: Depth=1
	ds_read_b32 v76, v75
	v_mov_b32_e32 v77, s2
	s_add_i32 s2, s2, 1
	v_add_u32_e32 v75, 4, v75
	s_cmp_lg_u32 s22, s2
	s_waitcnt lgkmcnt(0)
	v_cmp_lt_f32_e64 vcc, |v74|, |v76|
	s_nop 1
	v_cndmask_b32_e32 v74, v74, v76, vcc
	v_cndmask_b32_e32 v70, v70, v77, vcc
	s_cbranch_scc1 .LBB124_18
.LBB124_19:
	v_cmp_ne_u32_e32 vcc, v73, v70
	s_and_saveexec_b64 s[2:3], vcc
	s_xor_b64 s[2:3], exec, s[2:3]
	s_cbranch_execz .LBB124_25
; %bb.20:
	v_cmp_eq_u32_e32 vcc, 1, v73
	s_and_saveexec_b64 s[12:13], vcc
	s_cbranch_execz .LBB124_24
; %bb.21:
	v_cmp_ne_u32_e32 vcc, 1, v70
	s_xor_b64 s[14:15], s[20:21], -1
	s_and_b64 s[24:25], s[14:15], vcc
	s_and_saveexec_b64 s[14:15], s[24:25]
	s_cbranch_execz .LBB124_23
; %bb.22:
	v_ashrrev_i32_e32 v71, 31, v70
	v_lshl_add_u64 v[76:77], v[70:71], 2, v[4:5]
	global_load_dword v71, v[76:77], off
	global_load_dword v73, v[4:5], off offset:4
	s_waitcnt vmcnt(1)
	global_store_dword v[4:5], v71, off offset:4
	s_waitcnt vmcnt(1)
	global_store_dword v[76:77], v73, off
.LBB124_23:
	s_or_b64 exec, exec, s[14:15]
	v_mov_b32_e32 v71, v70
	v_mov_b32_e32 v73, v70
.LBB124_24:
	s_or_b64 exec, exec, s[12:13]
.LBB124_25:
	s_andn2_saveexec_b64 s[2:3], s[2:3]
	s_cbranch_execz .LBB124_27
; %bb.26:
	v_pk_mov_b32 v[76:77], v[66:67], v[64:65] op_sel:[1,0]
	ds_write2_b32 v69, v76, v77 offset0:2 offset1:3
	v_pk_mov_b32 v[76:77], v[64:65], v[62:63] op_sel:[1,0]
	ds_write2_b32 v69, v76, v77 offset0:4 offset1:5
	s_waitcnt vmcnt(0)
	v_pk_mov_b32 v[76:77], v[62:63], v[58:59] op_sel:[1,0]
	ds_write2_b32 v69, v76, v77 offset0:6 offset1:7
	v_pk_mov_b32 v[76:77], v[58:59], v[60:61] op_sel:[1,0]
	ds_write2_b32 v69, v76, v77 offset0:8 offset1:9
	;; [unrolled: 2-line block ×27, first 2 shown]
	v_pk_mov_b32 v[76:77], v[16:17], v[10:11] op_sel:[1,0]
	v_mov_b32_e32 v73, 1
	ds_write2_b32 v69, v76, v77 offset0:60 offset1:61
	ds_write_b32 v69, v11 offset:248
.LBB124_27:
	s_or_b64 exec, exec, s[2:3]
	s_waitcnt lgkmcnt(0)
	v_cmp_neq_f32_e64 s[2:3], 0, v74
	v_cmp_lt_i32_e32 vcc, 1, v73
	s_barrier
	s_and_saveexec_b64 s[12:13], vcc
	s_cbranch_execz .LBB124_29
; %bb.28:
	v_div_scale_f32 v70, s[14:15], v74, v74, 1.0
	v_rcp_f32_e32 v75, v70
	s_nop 0
	v_fma_f32 v76, -v70, v75, 1.0
	v_fmac_f32_e32 v75, v76, v75
	v_div_scale_f32 v76, vcc, 1.0, v74, 1.0
	v_mul_f32_e32 v77, v76, v75
	v_fma_f32 v78, -v70, v77, v76
	v_fmac_f32_e32 v77, v78, v75
	v_fma_f32 v70, -v70, v77, v76
	v_div_fmas_f32 v70, v70, v75, v77
	v_div_fixup_f32 v70, v70, v74, 1.0
	v_cndmask_b32_e64 v70, v74, v70, s[2:3]
	v_mul_f32_e32 v66, v70, v66
	ds_read_b32 v70, v69 offset:8
	ds_read2_b32 v[74:75], v69 offset0:3 offset1:4
	s_waitcnt lgkmcnt(1)
	v_fma_f32 v67, -v66, v70, v67
	s_waitcnt lgkmcnt(0)
	v_pk_fma_f32 v[64:65], v[66:67], v[74:75], v[64:65] op_sel_hi:[0,1,1] neg_lo:[1,0,0] neg_hi:[1,0,0]
	ds_read2_b32 v[74:75], v69 offset0:5 offset1:6
	s_waitcnt lgkmcnt(0)
	v_pk_fma_f32 v[62:63], v[66:67], v[74:75], v[62:63] op_sel_hi:[0,1,1] neg_lo:[1,0,0] neg_hi:[1,0,0]
	ds_read2_b32 v[74:75], v69 offset0:7 offset1:8
	s_waitcnt vmcnt(0) lgkmcnt(0)
	v_pk_fma_f32 v[58:59], v[66:67], v[74:75], v[58:59] op_sel_hi:[0,1,1] neg_lo:[1,0,0] neg_hi:[1,0,0]
	ds_read2_b32 v[74:75], v69 offset0:9 offset1:10
	s_waitcnt lgkmcnt(0)
	v_pk_fma_f32 v[60:61], v[66:67], v[74:75], v[60:61] op_sel_hi:[0,1,1] neg_lo:[1,0,0] neg_hi:[1,0,0]
	ds_read2_b32 v[74:75], v69 offset0:11 offset1:12
	s_waitcnt lgkmcnt(0)
	v_pk_fma_f32 v[56:57], v[66:67], v[74:75], v[56:57] op_sel_hi:[0,1,1] neg_lo:[1,0,0] neg_hi:[1,0,0]
	ds_read2_b32 v[74:75], v69 offset0:13 offset1:14
	s_waitcnt lgkmcnt(0)
	v_pk_fma_f32 v[54:55], v[66:67], v[74:75], v[54:55] op_sel_hi:[0,1,1] neg_lo:[1,0,0] neg_hi:[1,0,0]
	ds_read2_b32 v[74:75], v69 offset0:15 offset1:16
	s_waitcnt lgkmcnt(0)
	v_pk_fma_f32 v[52:53], v[66:67], v[74:75], v[52:53] op_sel_hi:[0,1,1] neg_lo:[1,0,0] neg_hi:[1,0,0]
	ds_read2_b32 v[74:75], v69 offset0:17 offset1:18
	s_waitcnt lgkmcnt(0)
	v_pk_fma_f32 v[50:51], v[66:67], v[74:75], v[50:51] op_sel_hi:[0,1,1] neg_lo:[1,0,0] neg_hi:[1,0,0]
	ds_read2_b32 v[74:75], v69 offset0:19 offset1:20
	s_waitcnt lgkmcnt(0)
	v_pk_fma_f32 v[46:47], v[66:67], v[74:75], v[46:47] op_sel_hi:[0,1,1] neg_lo:[1,0,0] neg_hi:[1,0,0]
	ds_read2_b32 v[74:75], v69 offset0:21 offset1:22
	s_waitcnt lgkmcnt(0)
	v_pk_fma_f32 v[40:41], v[66:67], v[74:75], v[40:41] op_sel_hi:[0,1,1] neg_lo:[1,0,0] neg_hi:[1,0,0]
	ds_read2_b32 v[74:75], v69 offset0:23 offset1:24
	s_waitcnt lgkmcnt(0)
	v_pk_fma_f32 v[32:33], v[66:67], v[74:75], v[32:33] op_sel_hi:[0,1,1] neg_lo:[1,0,0] neg_hi:[1,0,0]
	ds_read2_b32 v[74:75], v69 offset0:25 offset1:26
	s_waitcnt lgkmcnt(0)
	v_pk_fma_f32 v[48:49], v[66:67], v[74:75], v[48:49] op_sel_hi:[0,1,1] neg_lo:[1,0,0] neg_hi:[1,0,0]
	ds_read2_b32 v[74:75], v69 offset0:27 offset1:28
	s_waitcnt lgkmcnt(0)
	v_pk_fma_f32 v[42:43], v[66:67], v[74:75], v[42:43] op_sel_hi:[0,1,1] neg_lo:[1,0,0] neg_hi:[1,0,0]
	ds_read2_b32 v[74:75], v69 offset0:29 offset1:30
	s_waitcnt lgkmcnt(0)
	v_pk_fma_f32 v[34:35], v[66:67], v[74:75], v[34:35] op_sel_hi:[0,1,1] neg_lo:[1,0,0] neg_hi:[1,0,0]
	ds_read2_b32 v[74:75], v69 offset0:31 offset1:32
	s_waitcnt lgkmcnt(0)
	v_pk_fma_f32 v[24:25], v[66:67], v[74:75], v[24:25] op_sel_hi:[0,1,1] neg_lo:[1,0,0] neg_hi:[1,0,0]
	ds_read2_b32 v[74:75], v69 offset0:33 offset1:34
	s_waitcnt lgkmcnt(0)
	v_pk_fma_f32 v[44:45], v[66:67], v[74:75], v[44:45] op_sel_hi:[0,1,1] neg_lo:[1,0,0] neg_hi:[1,0,0]
	ds_read2_b32 v[74:75], v69 offset0:35 offset1:36
	s_waitcnt lgkmcnt(0)
	v_pk_fma_f32 v[36:37], v[66:67], v[74:75], v[36:37] op_sel_hi:[0,1,1] neg_lo:[1,0,0] neg_hi:[1,0,0]
	ds_read2_b32 v[74:75], v69 offset0:37 offset1:38
	s_waitcnt lgkmcnt(0)
	v_pk_fma_f32 v[26:27], v[66:67], v[74:75], v[26:27] op_sel_hi:[0,1,1] neg_lo:[1,0,0] neg_hi:[1,0,0]
	ds_read2_b32 v[74:75], v69 offset0:39 offset1:40
	s_waitcnt lgkmcnt(0)
	v_pk_fma_f32 v[18:19], v[66:67], v[74:75], v[18:19] op_sel_hi:[0,1,1] neg_lo:[1,0,0] neg_hi:[1,0,0]
	ds_read2_b32 v[74:75], v69 offset0:41 offset1:42
	s_waitcnt lgkmcnt(0)
	v_pk_fma_f32 v[38:39], v[66:67], v[74:75], v[38:39] op_sel_hi:[0,1,1] neg_lo:[1,0,0] neg_hi:[1,0,0]
	ds_read2_b32 v[74:75], v69 offset0:43 offset1:44
	s_waitcnt lgkmcnt(0)
	v_pk_fma_f32 v[28:29], v[66:67], v[74:75], v[28:29] op_sel_hi:[0,1,1] neg_lo:[1,0,0] neg_hi:[1,0,0]
	ds_read2_b32 v[74:75], v69 offset0:45 offset1:46
	s_waitcnt lgkmcnt(0)
	v_pk_fma_f32 v[20:21], v[66:67], v[74:75], v[20:21] op_sel_hi:[0,1,1] neg_lo:[1,0,0] neg_hi:[1,0,0]
	ds_read2_b32 v[74:75], v69 offset0:47 offset1:48
	s_waitcnt lgkmcnt(0)
	v_pk_fma_f32 v[12:13], v[66:67], v[74:75], v[12:13] op_sel_hi:[0,1,1] neg_lo:[1,0,0] neg_hi:[1,0,0]
	ds_read2_b32 v[74:75], v69 offset0:49 offset1:50
	s_waitcnt lgkmcnt(0)
	v_pk_fma_f32 v[30:31], v[66:67], v[74:75], v[30:31] op_sel_hi:[0,1,1] neg_lo:[1,0,0] neg_hi:[1,0,0]
	ds_read2_b32 v[74:75], v69 offset0:51 offset1:52
	s_waitcnt lgkmcnt(0)
	v_pk_fma_f32 v[22:23], v[66:67], v[74:75], v[22:23] op_sel_hi:[0,1,1] neg_lo:[1,0,0] neg_hi:[1,0,0]
	ds_read2_b32 v[74:75], v69 offset0:53 offset1:54
	s_waitcnt lgkmcnt(0)
	v_pk_fma_f32 v[14:15], v[66:67], v[74:75], v[14:15] op_sel_hi:[0,1,1] neg_lo:[1,0,0] neg_hi:[1,0,0]
	ds_read2_b32 v[74:75], v69 offset0:55 offset1:56
	s_waitcnt lgkmcnt(0)
	v_pk_fma_f32 v[8:9], v[66:67], v[74:75], v[8:9] op_sel_hi:[0,1,1] neg_lo:[1,0,0] neg_hi:[1,0,0]
	ds_read2_b32 v[74:75], v69 offset0:57 offset1:58
	s_waitcnt lgkmcnt(0)
	v_pk_fma_f32 v[0:1], v[66:67], v[74:75], v[0:1] op_sel_hi:[0,1,1] neg_lo:[1,0,0] neg_hi:[1,0,0]
	ds_read2_b32 v[74:75], v69 offset0:59 offset1:60
	s_waitcnt lgkmcnt(0)
	v_pk_fma_f32 v[16:17], v[66:67], v[74:75], v[16:17] op_sel_hi:[0,1,1] neg_lo:[1,0,0] neg_hi:[1,0,0]
	ds_read2_b32 v[74:75], v69 offset0:61 offset1:62
	s_waitcnt lgkmcnt(0)
	v_pk_fma_f32 v[10:11], v[66:67], v[74:75], v[10:11] op_sel_hi:[0,1,1] neg_lo:[1,0,0] neg_hi:[1,0,0]
.LBB124_29:
	s_or_b64 exec, exec, s[12:13]
	v_lshl_add_u32 v70, v73, 2, v69
	s_barrier
	ds_write_b32 v70, v67
	s_waitcnt lgkmcnt(0)
	s_barrier
	ds_read_b32 v75, v69 offset:8
	s_cmp_lt_i32 s22, 4
	v_mov_b32_e32 v70, 2
	s_cbranch_scc1 .LBB124_32
; %bb.30:
	v_mov_b32_e32 v70, 2
	v_add3_u32 v74, v72, 0, 12
	s_mov_b32 s12, 3
.LBB124_31:                             ; =>This Inner Loop Header: Depth=1
	ds_read_b32 v76, v74
	v_mov_b32_e32 v77, s12
	s_add_i32 s12, s12, 1
	v_add_u32_e32 v74, 4, v74
	s_cmp_lg_u32 s22, s12
	s_waitcnt lgkmcnt(0)
	v_cmp_lt_f32_e64 vcc, |v75|, |v76|
	s_nop 1
	v_cndmask_b32_e32 v75, v75, v76, vcc
	v_cndmask_b32_e32 v70, v70, v77, vcc
	s_cbranch_scc1 .LBB124_31
.LBB124_32:
	v_cndmask_b32_e64 v74, 2, 1, s[0:1]
	v_cndmask_b32_e64 v76, 0, 1, s[0:1]
	;; [unrolled: 1-line block ×3, first 2 shown]
	s_waitcnt lgkmcnt(0)
	v_cmp_eq_f32_e32 vcc, 0, v75
	s_and_saveexec_b64 s[0:1], vcc
	s_xor_b64 s[0:1], exec, s[0:1]
; %bb.33:
	v_cmp_ne_u32_e32 vcc, 0, v74
	s_nop 1
	v_cndmask_b32_e32 v74, 3, v74, vcc
; %bb.34:
	s_andn2_saveexec_b64 s[0:1], s[0:1]
	s_cbranch_execz .LBB124_36
; %bb.35:
	v_div_scale_f32 v76, s[2:3], v75, v75, 1.0
	v_rcp_f32_e32 v77, v76
	v_div_scale_f32 v78, vcc, 1.0, v75, 1.0
	v_fma_f32 v79, -v76, v77, 1.0
	v_fmac_f32_e32 v77, v79, v77
	v_mul_f32_e32 v79, v78, v77
	v_fma_f32 v80, -v76, v79, v78
	v_fmac_f32_e32 v79, v80, v77
	v_fma_f32 v76, -v76, v79, v78
	v_div_fmas_f32 v76, v76, v77, v79
	v_div_fixup_f32 v75, v76, v75, 1.0
.LBB124_36:
	s_or_b64 exec, exec, s[0:1]
	v_cmp_ne_u32_e32 vcc, v73, v70
	s_and_saveexec_b64 s[0:1], vcc
	s_xor_b64 s[0:1], exec, s[0:1]
	s_cbranch_execz .LBB124_42
; %bb.37:
	v_cmp_eq_u32_e32 vcc, 2, v73
	s_and_saveexec_b64 s[2:3], vcc
	s_cbranch_execz .LBB124_41
; %bb.38:
	v_cmp_ne_u32_e32 vcc, 2, v70
	s_xor_b64 s[12:13], s[20:21], -1
	s_and_b64 s[14:15], s[12:13], vcc
	s_and_saveexec_b64 s[12:13], s[14:15]
	s_cbranch_execz .LBB124_40
; %bb.39:
	v_ashrrev_i32_e32 v71, 31, v70
	v_lshl_add_u64 v[76:77], v[70:71], 2, v[4:5]
	global_load_dword v71, v[76:77], off
	global_load_dword v73, v[4:5], off offset:8
	s_waitcnt vmcnt(1)
	global_store_dword v[4:5], v71, off offset:8
	s_waitcnt vmcnt(1)
	global_store_dword v[76:77], v73, off
.LBB124_40:
	s_or_b64 exec, exec, s[12:13]
	v_mov_b32_e32 v71, v70
	v_mov_b32_e32 v73, v70
.LBB124_41:
	s_or_b64 exec, exec, s[2:3]
.LBB124_42:
	s_andn2_saveexec_b64 s[0:1], s[0:1]
	s_cbranch_execz .LBB124_44
; %bb.43:
	v_mov_b32_e32 v73, 2
	ds_write2_b32 v69, v64, v65 offset0:3 offset1:4
	ds_write2_b32 v69, v62, v63 offset0:5 offset1:6
	s_waitcnt vmcnt(0)
	ds_write2_b32 v69, v58, v59 offset0:7 offset1:8
	ds_write2_b32 v69, v60, v61 offset0:9 offset1:10
	;; [unrolled: 1-line block ×28, first 2 shown]
.LBB124_44:
	s_or_b64 exec, exec, s[0:1]
	v_cmp_lt_i32_e32 vcc, 2, v73
	s_waitcnt lgkmcnt(0)
	s_barrier
	s_and_saveexec_b64 s[0:1], vcc
	s_cbranch_execz .LBB124_46
; %bb.45:
	ds_read2_b32 v[76:77], v69 offset0:3 offset1:4
	ds_read2_b32 v[78:79], v69 offset0:5 offset1:6
	;; [unrolled: 1-line block ×4, first 2 shown]
	v_mul_f32_e32 v70, v75, v67
	s_waitcnt lgkmcnt(3)
	v_pk_fma_f32 v[64:65], v[70:71], v[76:77], v[64:65] op_sel_hi:[0,1,1] neg_lo:[1,0,0] neg_hi:[1,0,0]
	s_waitcnt lgkmcnt(2)
	v_pk_fma_f32 v[62:63], v[70:71], v[78:79], v[62:63] op_sel_hi:[0,1,1] neg_lo:[1,0,0] neg_hi:[1,0,0]
	s_waitcnt vmcnt(0) lgkmcnt(1)
	v_pk_fma_f32 v[58:59], v[70:71], v[80:81], v[58:59] op_sel_hi:[0,1,1] neg_lo:[1,0,0] neg_hi:[1,0,0]
	ds_read2_b32 v[76:77], v69 offset0:11 offset1:12
	ds_read2_b32 v[78:79], v69 offset0:13 offset1:14
	ds_read2_b32 v[80:81], v69 offset0:15 offset1:16
	s_waitcnt lgkmcnt(3)
	v_pk_fma_f32 v[60:61], v[70:71], v[82:83], v[60:61] op_sel_hi:[0,1,1] neg_lo:[1,0,0] neg_hi:[1,0,0]
	ds_read2_b32 v[82:83], v69 offset0:17 offset1:18
	s_waitcnt lgkmcnt(3)
	v_pk_fma_f32 v[56:57], v[70:71], v[76:77], v[56:57] op_sel_hi:[0,1,1] neg_lo:[1,0,0] neg_hi:[1,0,0]
	s_waitcnt lgkmcnt(2)
	v_pk_fma_f32 v[54:55], v[70:71], v[78:79], v[54:55] op_sel_hi:[0,1,1] neg_lo:[1,0,0] neg_hi:[1,0,0]
	s_waitcnt lgkmcnt(1)
	v_pk_fma_f32 v[52:53], v[70:71], v[80:81], v[52:53] op_sel_hi:[0,1,1] neg_lo:[1,0,0] neg_hi:[1,0,0]
	ds_read2_b32 v[76:77], v69 offset0:19 offset1:20
	ds_read2_b32 v[78:79], v69 offset0:21 offset1:22
	ds_read2_b32 v[80:81], v69 offset0:23 offset1:24
	s_waitcnt lgkmcnt(3)
	v_pk_fma_f32 v[50:51], v[70:71], v[82:83], v[50:51] op_sel_hi:[0,1,1] neg_lo:[1,0,0] neg_hi:[1,0,0]
	ds_read2_b32 v[82:83], v69 offset0:25 offset1:26
	s_waitcnt lgkmcnt(3)
	v_pk_fma_f32 v[46:47], v[70:71], v[76:77], v[46:47] op_sel_hi:[0,1,1] neg_lo:[1,0,0] neg_hi:[1,0,0]
	s_waitcnt lgkmcnt(2)
	v_pk_fma_f32 v[40:41], v[70:71], v[78:79], v[40:41] op_sel_hi:[0,1,1] neg_lo:[1,0,0] neg_hi:[1,0,0]
	s_waitcnt lgkmcnt(1)
	;; [unrolled: 12-line block ×4, first 2 shown]
	v_pk_fma_f32 v[18:19], v[70:71], v[80:81], v[18:19] op_sel_hi:[0,1,1] neg_lo:[1,0,0] neg_hi:[1,0,0]
	ds_read2_b32 v[76:77], v69 offset0:43 offset1:44
	ds_read2_b32 v[78:79], v69 offset0:45 offset1:46
	;; [unrolled: 1-line block ×3, first 2 shown]
	s_waitcnt lgkmcnt(3)
	v_pk_fma_f32 v[38:39], v[70:71], v[82:83], v[38:39] op_sel_hi:[0,1,1] neg_lo:[1,0,0] neg_hi:[1,0,0]
	ds_read2_b32 v[82:83], v69 offset0:49 offset1:50
	s_waitcnt lgkmcnt(3)
	v_pk_fma_f32 v[28:29], v[70:71], v[76:77], v[28:29] op_sel_hi:[0,1,1] neg_lo:[1,0,0] neg_hi:[1,0,0]
	ds_read2_b32 v[76:77], v69 offset0:51 offset1:52
	s_waitcnt lgkmcnt(3)
	v_pk_fma_f32 v[20:21], v[70:71], v[78:79], v[20:21] op_sel_hi:[0,1,1] neg_lo:[1,0,0] neg_hi:[1,0,0]
	s_waitcnt lgkmcnt(2)
	v_pk_fma_f32 v[12:13], v[70:71], v[80:81], v[12:13] op_sel_hi:[0,1,1] neg_lo:[1,0,0] neg_hi:[1,0,0]
	;; [unrolled: 2-line block ×3, first 2 shown]
	ds_read2_b32 v[78:79], v69 offset0:53 offset1:54
	ds_read2_b32 v[80:81], v69 offset0:55 offset1:56
	ds_read2_b32 v[82:83], v69 offset0:57 offset1:58
	s_waitcnt lgkmcnt(3)
	v_pk_fma_f32 v[22:23], v[70:71], v[76:77], v[22:23] op_sel_hi:[0,1,1] neg_lo:[1,0,0] neg_hi:[1,0,0]
	ds_read2_b32 v[76:77], v69 offset0:59 offset1:60
	ds_read2_b32 v[84:85], v69 offset0:61 offset1:62
	s_waitcnt lgkmcnt(4)
	v_pk_fma_f32 v[14:15], v[70:71], v[78:79], v[14:15] op_sel_hi:[0,1,1] neg_lo:[1,0,0] neg_hi:[1,0,0]
	s_waitcnt lgkmcnt(3)
	v_pk_fma_f32 v[8:9], v[70:71], v[80:81], v[8:9] op_sel_hi:[0,1,1] neg_lo:[1,0,0] neg_hi:[1,0,0]
	;; [unrolled: 2-line block ×5, first 2 shown]
	v_mov_b32_e32 v67, v70
.LBB124_46:
	s_or_b64 exec, exec, s[0:1]
	v_lshl_add_u32 v70, v73, 2, v69
	s_barrier
	ds_write_b32 v70, v64
	s_waitcnt lgkmcnt(0)
	s_barrier
	ds_read_b32 v75, v69 offset:12
	s_cmp_lt_i32 s22, 5
	v_mov_b32_e32 v70, 3
	s_cbranch_scc1 .LBB124_49
; %bb.47:
	v_add3_u32 v76, v72, 0, 16
	v_mov_b32_e32 v70, 3
	s_mov_b32 s0, 4
.LBB124_48:                             ; =>This Inner Loop Header: Depth=1
	ds_read_b32 v77, v76
	v_mov_b32_e32 v78, s0
	s_add_i32 s0, s0, 1
	v_add_u32_e32 v76, 4, v76
	s_cmp_lg_u32 s22, s0
	s_waitcnt lgkmcnt(0)
	v_cmp_lt_f32_e64 vcc, |v75|, |v77|
	s_nop 1
	v_cndmask_b32_e32 v75, v75, v77, vcc
	v_cndmask_b32_e32 v70, v70, v78, vcc
	s_cbranch_scc1 .LBB124_48
.LBB124_49:
	s_waitcnt lgkmcnt(0)
	v_cmp_eq_f32_e32 vcc, 0, v75
	s_and_saveexec_b64 s[0:1], vcc
	s_xor_b64 s[0:1], exec, s[0:1]
; %bb.50:
	v_cmp_ne_u32_e32 vcc, 0, v74
	s_nop 1
	v_cndmask_b32_e32 v74, 4, v74, vcc
; %bb.51:
	s_andn2_saveexec_b64 s[0:1], s[0:1]
	s_cbranch_execz .LBB124_53
; %bb.52:
	v_div_scale_f32 v76, s[2:3], v75, v75, 1.0
	v_rcp_f32_e32 v77, v76
	v_div_scale_f32 v78, vcc, 1.0, v75, 1.0
	v_fma_f32 v79, -v76, v77, 1.0
	v_fmac_f32_e32 v77, v79, v77
	v_mul_f32_e32 v79, v78, v77
	v_fma_f32 v80, -v76, v79, v78
	v_fmac_f32_e32 v79, v80, v77
	v_fma_f32 v76, -v76, v79, v78
	v_div_fmas_f32 v76, v76, v77, v79
	v_div_fixup_f32 v75, v76, v75, 1.0
.LBB124_53:
	s_or_b64 exec, exec, s[0:1]
	v_cmp_ne_u32_e32 vcc, v73, v70
	s_and_saveexec_b64 s[0:1], vcc
	s_xor_b64 s[0:1], exec, s[0:1]
	s_cbranch_execz .LBB124_59
; %bb.54:
	v_cmp_eq_u32_e32 vcc, 3, v73
	s_and_saveexec_b64 s[2:3], vcc
	s_cbranch_execz .LBB124_58
; %bb.55:
	v_cmp_ne_u32_e32 vcc, 3, v70
	s_xor_b64 s[12:13], s[20:21], -1
	s_and_b64 s[14:15], s[12:13], vcc
	s_and_saveexec_b64 s[12:13], s[14:15]
	s_cbranch_execz .LBB124_57
; %bb.56:
	v_ashrrev_i32_e32 v71, 31, v70
	v_lshl_add_u64 v[76:77], v[70:71], 2, v[4:5]
	global_load_dword v71, v[76:77], off
	global_load_dword v73, v[4:5], off offset:12
	s_waitcnt vmcnt(1)
	global_store_dword v[4:5], v71, off offset:12
	s_waitcnt vmcnt(1)
	global_store_dword v[76:77], v73, off
.LBB124_57:
	s_or_b64 exec, exec, s[12:13]
	v_mov_b32_e32 v71, v70
	v_mov_b32_e32 v73, v70
.LBB124_58:
	s_or_b64 exec, exec, s[2:3]
.LBB124_59:
	s_andn2_saveexec_b64 s[0:1], s[0:1]
	s_cbranch_execz .LBB124_61
; %bb.60:
	v_pk_mov_b32 v[76:77], v[64:65], v[62:63] op_sel:[1,0]
	ds_write2_b32 v69, v76, v77 offset0:4 offset1:5
	s_waitcnt vmcnt(0)
	v_pk_mov_b32 v[76:77], v[62:63], v[58:59] op_sel:[1,0]
	ds_write2_b32 v69, v76, v77 offset0:6 offset1:7
	v_pk_mov_b32 v[76:77], v[58:59], v[60:61] op_sel:[1,0]
	ds_write2_b32 v69, v76, v77 offset0:8 offset1:9
	v_pk_mov_b32 v[76:77], v[60:61], v[56:57] op_sel:[1,0]
	ds_write2_b32 v69, v76, v77 offset0:10 offset1:11
	v_pk_mov_b32 v[76:77], v[56:57], v[54:55] op_sel:[1,0]
	ds_write2_b32 v69, v76, v77 offset0:12 offset1:13
	v_pk_mov_b32 v[76:77], v[54:55], v[52:53] op_sel:[1,0]
	ds_write2_b32 v69, v76, v77 offset0:14 offset1:15
	v_pk_mov_b32 v[76:77], v[52:53], v[50:51] op_sel:[1,0]
	ds_write2_b32 v69, v76, v77 offset0:16 offset1:17
	v_pk_mov_b32 v[76:77], v[50:51], v[46:47] op_sel:[1,0]
	ds_write2_b32 v69, v76, v77 offset0:18 offset1:19
	v_pk_mov_b32 v[76:77], v[46:47], v[40:41] op_sel:[1,0]
	ds_write2_b32 v69, v76, v77 offset0:20 offset1:21
	v_pk_mov_b32 v[76:77], v[40:41], v[32:33] op_sel:[1,0]
	ds_write2_b32 v69, v76, v77 offset0:22 offset1:23
	v_pk_mov_b32 v[76:77], v[32:33], v[48:49] op_sel:[1,0]
	ds_write2_b32 v69, v76, v77 offset0:24 offset1:25
	v_pk_mov_b32 v[76:77], v[48:49], v[42:43] op_sel:[1,0]
	ds_write2_b32 v69, v76, v77 offset0:26 offset1:27
	v_pk_mov_b32 v[76:77], v[42:43], v[34:35] op_sel:[1,0]
	ds_write2_b32 v69, v76, v77 offset0:28 offset1:29
	v_pk_mov_b32 v[76:77], v[34:35], v[24:25] op_sel:[1,0]
	ds_write2_b32 v69, v76, v77 offset0:30 offset1:31
	v_pk_mov_b32 v[76:77], v[24:25], v[44:45] op_sel:[1,0]
	ds_write2_b32 v69, v76, v77 offset0:32 offset1:33
	v_pk_mov_b32 v[76:77], v[44:45], v[36:37] op_sel:[1,0]
	ds_write2_b32 v69, v76, v77 offset0:34 offset1:35
	v_pk_mov_b32 v[76:77], v[36:37], v[26:27] op_sel:[1,0]
	ds_write2_b32 v69, v76, v77 offset0:36 offset1:37
	v_pk_mov_b32 v[76:77], v[26:27], v[18:19] op_sel:[1,0]
	ds_write2_b32 v69, v76, v77 offset0:38 offset1:39
	v_pk_mov_b32 v[76:77], v[18:19], v[38:39] op_sel:[1,0]
	ds_write2_b32 v69, v76, v77 offset0:40 offset1:41
	v_pk_mov_b32 v[76:77], v[38:39], v[28:29] op_sel:[1,0]
	ds_write2_b32 v69, v76, v77 offset0:42 offset1:43
	v_pk_mov_b32 v[76:77], v[28:29], v[20:21] op_sel:[1,0]
	ds_write2_b32 v69, v76, v77 offset0:44 offset1:45
	v_pk_mov_b32 v[76:77], v[20:21], v[12:13] op_sel:[1,0]
	ds_write2_b32 v69, v76, v77 offset0:46 offset1:47
	v_pk_mov_b32 v[76:77], v[12:13], v[30:31] op_sel:[1,0]
	ds_write2_b32 v69, v76, v77 offset0:48 offset1:49
	v_pk_mov_b32 v[76:77], v[30:31], v[22:23] op_sel:[1,0]
	ds_write2_b32 v69, v76, v77 offset0:50 offset1:51
	v_pk_mov_b32 v[76:77], v[22:23], v[14:15] op_sel:[1,0]
	ds_write2_b32 v69, v76, v77 offset0:52 offset1:53
	v_pk_mov_b32 v[76:77], v[14:15], v[8:9] op_sel:[1,0]
	ds_write2_b32 v69, v76, v77 offset0:54 offset1:55
	v_pk_mov_b32 v[76:77], v[8:9], v[0:1] op_sel:[1,0]
	ds_write2_b32 v69, v76, v77 offset0:56 offset1:57
	v_pk_mov_b32 v[76:77], v[0:1], v[16:17] op_sel:[1,0]
	ds_write2_b32 v69, v76, v77 offset0:58 offset1:59
	v_pk_mov_b32 v[76:77], v[16:17], v[10:11] op_sel:[1,0]
	v_mov_b32_e32 v73, 3
	ds_write2_b32 v69, v76, v77 offset0:60 offset1:61
	ds_write_b32 v69, v11 offset:248
.LBB124_61:
	s_or_b64 exec, exec, s[0:1]
	v_cmp_lt_i32_e32 vcc, 3, v73
	s_waitcnt lgkmcnt(0)
	s_barrier
	s_and_saveexec_b64 s[0:1], vcc
	s_cbranch_execz .LBB124_63
; %bb.62:
	ds_read_b32 v70, v69 offset:16
	ds_read2_b32 v[76:77], v69 offset0:5 offset1:6
	ds_read2_b32 v[78:79], v69 offset0:7 offset1:8
	v_mul_f32_e32 v64, v75, v64
	ds_read2_b32 v[80:81], v69 offset0:9 offset1:10
	s_waitcnt lgkmcnt(3)
	v_fma_f32 v65, -v64, v70, v65
	s_waitcnt lgkmcnt(2)
	v_pk_fma_f32 v[62:63], v[64:65], v[76:77], v[62:63] op_sel_hi:[0,1,1] neg_lo:[1,0,0] neg_hi:[1,0,0]
	s_waitcnt vmcnt(0) lgkmcnt(1)
	v_pk_fma_f32 v[58:59], v[64:65], v[78:79], v[58:59] op_sel_hi:[0,1,1] neg_lo:[1,0,0] neg_hi:[1,0,0]
	ds_read2_b32 v[76:77], v69 offset0:11 offset1:12
	ds_read2_b32 v[78:79], v69 offset0:13 offset1:14
	ds_read2_b32 v[82:83], v69 offset0:15 offset1:16
	s_waitcnt lgkmcnt(3)
	v_pk_fma_f32 v[60:61], v[64:65], v[80:81], v[60:61] op_sel_hi:[0,1,1] neg_lo:[1,0,0] neg_hi:[1,0,0]
	ds_read2_b32 v[80:81], v69 offset0:17 offset1:18
	s_waitcnt lgkmcnt(3)
	v_pk_fma_f32 v[56:57], v[64:65], v[76:77], v[56:57] op_sel_hi:[0,1,1] neg_lo:[1,0,0] neg_hi:[1,0,0]
	s_waitcnt lgkmcnt(2)
	v_pk_fma_f32 v[54:55], v[64:65], v[78:79], v[54:55] op_sel_hi:[0,1,1] neg_lo:[1,0,0] neg_hi:[1,0,0]
	s_waitcnt lgkmcnt(1)
	v_pk_fma_f32 v[52:53], v[64:65], v[82:83], v[52:53] op_sel_hi:[0,1,1] neg_lo:[1,0,0] neg_hi:[1,0,0]
	ds_read2_b32 v[76:77], v69 offset0:19 offset1:20
	ds_read2_b32 v[78:79], v69 offset0:21 offset1:22
	ds_read2_b32 v[82:83], v69 offset0:23 offset1:24
	s_waitcnt lgkmcnt(3)
	v_pk_fma_f32 v[50:51], v[64:65], v[80:81], v[50:51] op_sel_hi:[0,1,1] neg_lo:[1,0,0] neg_hi:[1,0,0]
	ds_read2_b32 v[80:81], v69 offset0:25 offset1:26
	s_waitcnt lgkmcnt(3)
	v_pk_fma_f32 v[46:47], v[64:65], v[76:77], v[46:47] op_sel_hi:[0,1,1] neg_lo:[1,0,0] neg_hi:[1,0,0]
	s_waitcnt lgkmcnt(2)
	v_pk_fma_f32 v[40:41], v[64:65], v[78:79], v[40:41] op_sel_hi:[0,1,1] neg_lo:[1,0,0] neg_hi:[1,0,0]
	s_waitcnt lgkmcnt(1)
	;; [unrolled: 12-line block ×4, first 2 shown]
	v_pk_fma_f32 v[18:19], v[64:65], v[82:83], v[18:19] op_sel_hi:[0,1,1] neg_lo:[1,0,0] neg_hi:[1,0,0]
	ds_read2_b32 v[76:77], v69 offset0:43 offset1:44
	ds_read2_b32 v[78:79], v69 offset0:45 offset1:46
	;; [unrolled: 1-line block ×3, first 2 shown]
	s_waitcnt lgkmcnt(3)
	v_pk_fma_f32 v[38:39], v[64:65], v[80:81], v[38:39] op_sel_hi:[0,1,1] neg_lo:[1,0,0] neg_hi:[1,0,0]
	ds_read2_b32 v[80:81], v69 offset0:49 offset1:50
	s_waitcnt lgkmcnt(3)
	v_pk_fma_f32 v[28:29], v[64:65], v[76:77], v[28:29] op_sel_hi:[0,1,1] neg_lo:[1,0,0] neg_hi:[1,0,0]
	ds_read2_b32 v[76:77], v69 offset0:51 offset1:52
	s_waitcnt lgkmcnt(3)
	v_pk_fma_f32 v[20:21], v[64:65], v[78:79], v[20:21] op_sel_hi:[0,1,1] neg_lo:[1,0,0] neg_hi:[1,0,0]
	s_waitcnt lgkmcnt(2)
	v_pk_fma_f32 v[12:13], v[64:65], v[82:83], v[12:13] op_sel_hi:[0,1,1] neg_lo:[1,0,0] neg_hi:[1,0,0]
	;; [unrolled: 2-line block ×3, first 2 shown]
	ds_read2_b32 v[78:79], v69 offset0:53 offset1:54
	ds_read2_b32 v[80:81], v69 offset0:55 offset1:56
	;; [unrolled: 1-line block ×3, first 2 shown]
	s_waitcnt lgkmcnt(3)
	v_pk_fma_f32 v[22:23], v[64:65], v[76:77], v[22:23] op_sel_hi:[0,1,1] neg_lo:[1,0,0] neg_hi:[1,0,0]
	ds_read2_b32 v[76:77], v69 offset0:59 offset1:60
	ds_read2_b32 v[84:85], v69 offset0:61 offset1:62
	s_waitcnt lgkmcnt(4)
	v_pk_fma_f32 v[14:15], v[64:65], v[78:79], v[14:15] op_sel_hi:[0,1,1] neg_lo:[1,0,0] neg_hi:[1,0,0]
	s_waitcnt lgkmcnt(3)
	v_pk_fma_f32 v[8:9], v[64:65], v[80:81], v[8:9] op_sel_hi:[0,1,1] neg_lo:[1,0,0] neg_hi:[1,0,0]
	s_waitcnt lgkmcnt(2)
	v_pk_fma_f32 v[0:1], v[64:65], v[82:83], v[0:1] op_sel_hi:[0,1,1] neg_lo:[1,0,0] neg_hi:[1,0,0]
	s_waitcnt lgkmcnt(1)
	v_pk_fma_f32 v[16:17], v[64:65], v[76:77], v[16:17] op_sel_hi:[0,1,1] neg_lo:[1,0,0] neg_hi:[1,0,0]
	s_waitcnt lgkmcnt(0)
	v_pk_fma_f32 v[10:11], v[64:65], v[84:85], v[10:11] op_sel_hi:[0,1,1] neg_lo:[1,0,0] neg_hi:[1,0,0]
.LBB124_63:
	s_or_b64 exec, exec, s[0:1]
	v_lshl_add_u32 v70, v73, 2, v69
	s_barrier
	ds_write_b32 v70, v65
	s_waitcnt lgkmcnt(0)
	s_barrier
	ds_read_b32 v75, v69 offset:16
	s_cmp_lt_i32 s22, 6
	v_mov_b32_e32 v70, 4
	s_cbranch_scc1 .LBB124_66
; %bb.64:
	v_add3_u32 v76, v72, 0, 20
	v_mov_b32_e32 v70, 4
	s_mov_b32 s0, 5
.LBB124_65:                             ; =>This Inner Loop Header: Depth=1
	ds_read_b32 v77, v76
	v_mov_b32_e32 v78, s0
	s_add_i32 s0, s0, 1
	v_add_u32_e32 v76, 4, v76
	s_cmp_lg_u32 s22, s0
	s_waitcnt lgkmcnt(0)
	v_cmp_lt_f32_e64 vcc, |v75|, |v77|
	s_nop 1
	v_cndmask_b32_e32 v75, v75, v77, vcc
	v_cndmask_b32_e32 v70, v70, v78, vcc
	s_cbranch_scc1 .LBB124_65
.LBB124_66:
	s_waitcnt lgkmcnt(0)
	v_cmp_eq_f32_e32 vcc, 0, v75
	s_and_saveexec_b64 s[0:1], vcc
	s_xor_b64 s[0:1], exec, s[0:1]
; %bb.67:
	v_cmp_ne_u32_e32 vcc, 0, v74
	s_nop 1
	v_cndmask_b32_e32 v74, 5, v74, vcc
; %bb.68:
	s_andn2_saveexec_b64 s[0:1], s[0:1]
	s_cbranch_execz .LBB124_70
; %bb.69:
	v_div_scale_f32 v76, s[2:3], v75, v75, 1.0
	v_rcp_f32_e32 v77, v76
	v_div_scale_f32 v78, vcc, 1.0, v75, 1.0
	v_fma_f32 v79, -v76, v77, 1.0
	v_fmac_f32_e32 v77, v79, v77
	v_mul_f32_e32 v79, v78, v77
	v_fma_f32 v80, -v76, v79, v78
	v_fmac_f32_e32 v79, v80, v77
	v_fma_f32 v76, -v76, v79, v78
	v_div_fmas_f32 v76, v76, v77, v79
	v_div_fixup_f32 v75, v76, v75, 1.0
.LBB124_70:
	s_or_b64 exec, exec, s[0:1]
	v_cmp_ne_u32_e32 vcc, v73, v70
	s_and_saveexec_b64 s[0:1], vcc
	s_xor_b64 s[0:1], exec, s[0:1]
	s_cbranch_execz .LBB124_76
; %bb.71:
	v_cmp_eq_u32_e32 vcc, 4, v73
	s_and_saveexec_b64 s[2:3], vcc
	s_cbranch_execz .LBB124_75
; %bb.72:
	v_cmp_ne_u32_e32 vcc, 4, v70
	s_xor_b64 s[12:13], s[20:21], -1
	s_and_b64 s[14:15], s[12:13], vcc
	s_and_saveexec_b64 s[12:13], s[14:15]
	s_cbranch_execz .LBB124_74
; %bb.73:
	v_ashrrev_i32_e32 v71, 31, v70
	v_lshl_add_u64 v[76:77], v[70:71], 2, v[4:5]
	global_load_dword v71, v[76:77], off
	global_load_dword v73, v[4:5], off offset:16
	s_waitcnt vmcnt(1)
	global_store_dword v[4:5], v71, off offset:16
	s_waitcnt vmcnt(1)
	global_store_dword v[76:77], v73, off
.LBB124_74:
	s_or_b64 exec, exec, s[12:13]
	v_mov_b32_e32 v71, v70
	v_mov_b32_e32 v73, v70
.LBB124_75:
	s_or_b64 exec, exec, s[2:3]
.LBB124_76:
	s_andn2_saveexec_b64 s[0:1], s[0:1]
	s_cbranch_execz .LBB124_78
; %bb.77:
	v_mov_b32_e32 v73, 4
	ds_write2_b32 v69, v62, v63 offset0:5 offset1:6
	s_waitcnt vmcnt(0)
	ds_write2_b32 v69, v58, v59 offset0:7 offset1:8
	ds_write2_b32 v69, v60, v61 offset0:9 offset1:10
	;; [unrolled: 1-line block ×28, first 2 shown]
.LBB124_78:
	s_or_b64 exec, exec, s[0:1]
	v_cmp_lt_i32_e32 vcc, 4, v73
	s_waitcnt lgkmcnt(0)
	s_barrier
	s_and_saveexec_b64 s[0:1], vcc
	s_cbranch_execz .LBB124_80
; %bb.79:
	ds_read2_b32 v[76:77], v69 offset0:5 offset1:6
	ds_read2_b32 v[78:79], v69 offset0:7 offset1:8
	;; [unrolled: 1-line block ×3, first 2 shown]
	v_mul_f32_e32 v70, v75, v65
	ds_read2_b32 v[82:83], v69 offset0:11 offset1:12
	s_waitcnt lgkmcnt(3)
	v_pk_fma_f32 v[62:63], v[70:71], v[76:77], v[62:63] op_sel_hi:[0,1,1] neg_lo:[1,0,0] neg_hi:[1,0,0]
	s_waitcnt vmcnt(0) lgkmcnt(2)
	v_pk_fma_f32 v[58:59], v[70:71], v[78:79], v[58:59] op_sel_hi:[0,1,1] neg_lo:[1,0,0] neg_hi:[1,0,0]
	s_waitcnt lgkmcnt(1)
	v_pk_fma_f32 v[60:61], v[70:71], v[80:81], v[60:61] op_sel_hi:[0,1,1] neg_lo:[1,0,0] neg_hi:[1,0,0]
	ds_read2_b32 v[76:77], v69 offset0:13 offset1:14
	ds_read2_b32 v[78:79], v69 offset0:15 offset1:16
	ds_read2_b32 v[80:81], v69 offset0:17 offset1:18
	s_waitcnt lgkmcnt(3)
	v_pk_fma_f32 v[56:57], v[70:71], v[82:83], v[56:57] op_sel_hi:[0,1,1] neg_lo:[1,0,0] neg_hi:[1,0,0]
	ds_read2_b32 v[82:83], v69 offset0:19 offset1:20
	s_waitcnt lgkmcnt(3)
	v_pk_fma_f32 v[54:55], v[70:71], v[76:77], v[54:55] op_sel_hi:[0,1,1] neg_lo:[1,0,0] neg_hi:[1,0,0]
	s_waitcnt lgkmcnt(2)
	v_pk_fma_f32 v[52:53], v[70:71], v[78:79], v[52:53] op_sel_hi:[0,1,1] neg_lo:[1,0,0] neg_hi:[1,0,0]
	s_waitcnt lgkmcnt(1)
	v_pk_fma_f32 v[50:51], v[70:71], v[80:81], v[50:51] op_sel_hi:[0,1,1] neg_lo:[1,0,0] neg_hi:[1,0,0]
	ds_read2_b32 v[76:77], v69 offset0:21 offset1:22
	ds_read2_b32 v[78:79], v69 offset0:23 offset1:24
	ds_read2_b32 v[80:81], v69 offset0:25 offset1:26
	s_waitcnt lgkmcnt(3)
	v_pk_fma_f32 v[46:47], v[70:71], v[82:83], v[46:47] op_sel_hi:[0,1,1] neg_lo:[1,0,0] neg_hi:[1,0,0]
	ds_read2_b32 v[82:83], v69 offset0:27 offset1:28
	s_waitcnt lgkmcnt(3)
	v_pk_fma_f32 v[40:41], v[70:71], v[76:77], v[40:41] op_sel_hi:[0,1,1] neg_lo:[1,0,0] neg_hi:[1,0,0]
	s_waitcnt lgkmcnt(2)
	;; [unrolled: 12-line block ×4, first 2 shown]
	v_pk_fma_f32 v[18:19], v[70:71], v[78:79], v[18:19] op_sel_hi:[0,1,1] neg_lo:[1,0,0] neg_hi:[1,0,0]
	s_waitcnt lgkmcnt(1)
	v_pk_fma_f32 v[38:39], v[70:71], v[80:81], v[38:39] op_sel_hi:[0,1,1] neg_lo:[1,0,0] neg_hi:[1,0,0]
	ds_read2_b32 v[76:77], v69 offset0:45 offset1:46
	ds_read2_b32 v[78:79], v69 offset0:47 offset1:48
	;; [unrolled: 1-line block ×4, first 2 shown]
	s_waitcnt lgkmcnt(4)
	v_pk_fma_f32 v[28:29], v[70:71], v[82:83], v[28:29] op_sel_hi:[0,1,1] neg_lo:[1,0,0] neg_hi:[1,0,0]
	s_waitcnt lgkmcnt(3)
	v_pk_fma_f32 v[20:21], v[70:71], v[76:77], v[20:21] op_sel_hi:[0,1,1] neg_lo:[1,0,0] neg_hi:[1,0,0]
	;; [unrolled: 2-line block ×5, first 2 shown]
	ds_read2_b32 v[76:77], v69 offset0:53 offset1:54
	ds_read2_b32 v[78:79], v69 offset0:55 offset1:56
	;; [unrolled: 1-line block ×5, first 2 shown]
	s_waitcnt lgkmcnt(4)
	v_pk_fma_f32 v[14:15], v[70:71], v[76:77], v[14:15] op_sel_hi:[0,1,1] neg_lo:[1,0,0] neg_hi:[1,0,0]
	s_waitcnt lgkmcnt(3)
	v_pk_fma_f32 v[8:9], v[70:71], v[78:79], v[8:9] op_sel_hi:[0,1,1] neg_lo:[1,0,0] neg_hi:[1,0,0]
	;; [unrolled: 2-line block ×5, first 2 shown]
	v_mov_b32_e32 v65, v70
.LBB124_80:
	s_or_b64 exec, exec, s[0:1]
	v_lshl_add_u32 v70, v73, 2, v69
	s_barrier
	ds_write_b32 v70, v62
	s_waitcnt lgkmcnt(0)
	s_barrier
	ds_read_b32 v75, v69 offset:20
	s_cmp_lt_i32 s22, 7
	v_mov_b32_e32 v70, 5
	s_cbranch_scc1 .LBB124_83
; %bb.81:
	v_add3_u32 v76, v72, 0, 24
	v_mov_b32_e32 v70, 5
	s_mov_b32 s0, 6
.LBB124_82:                             ; =>This Inner Loop Header: Depth=1
	ds_read_b32 v77, v76
	v_mov_b32_e32 v78, s0
	s_add_i32 s0, s0, 1
	v_add_u32_e32 v76, 4, v76
	s_cmp_lg_u32 s22, s0
	s_waitcnt lgkmcnt(0)
	v_cmp_lt_f32_e64 vcc, |v75|, |v77|
	s_nop 1
	v_cndmask_b32_e32 v75, v75, v77, vcc
	v_cndmask_b32_e32 v70, v70, v78, vcc
	s_cbranch_scc1 .LBB124_82
.LBB124_83:
	s_waitcnt lgkmcnt(0)
	v_cmp_eq_f32_e32 vcc, 0, v75
	s_and_saveexec_b64 s[0:1], vcc
	s_xor_b64 s[0:1], exec, s[0:1]
; %bb.84:
	v_cmp_ne_u32_e32 vcc, 0, v74
	s_nop 1
	v_cndmask_b32_e32 v74, 6, v74, vcc
; %bb.85:
	s_andn2_saveexec_b64 s[0:1], s[0:1]
	s_cbranch_execz .LBB124_87
; %bb.86:
	v_div_scale_f32 v76, s[2:3], v75, v75, 1.0
	v_rcp_f32_e32 v77, v76
	v_div_scale_f32 v78, vcc, 1.0, v75, 1.0
	v_fma_f32 v79, -v76, v77, 1.0
	v_fmac_f32_e32 v77, v79, v77
	v_mul_f32_e32 v79, v78, v77
	v_fma_f32 v80, -v76, v79, v78
	v_fmac_f32_e32 v79, v80, v77
	v_fma_f32 v76, -v76, v79, v78
	v_div_fmas_f32 v76, v76, v77, v79
	v_div_fixup_f32 v75, v76, v75, 1.0
.LBB124_87:
	s_or_b64 exec, exec, s[0:1]
	v_cmp_ne_u32_e32 vcc, v73, v70
	s_and_saveexec_b64 s[0:1], vcc
	s_xor_b64 s[0:1], exec, s[0:1]
	s_cbranch_execz .LBB124_93
; %bb.88:
	v_cmp_eq_u32_e32 vcc, 5, v73
	s_and_saveexec_b64 s[2:3], vcc
	s_cbranch_execz .LBB124_92
; %bb.89:
	v_cmp_ne_u32_e32 vcc, 5, v70
	s_xor_b64 s[12:13], s[20:21], -1
	s_and_b64 s[14:15], s[12:13], vcc
	s_and_saveexec_b64 s[12:13], s[14:15]
	s_cbranch_execz .LBB124_91
; %bb.90:
	v_ashrrev_i32_e32 v71, 31, v70
	v_lshl_add_u64 v[76:77], v[70:71], 2, v[4:5]
	global_load_dword v71, v[76:77], off
	global_load_dword v73, v[4:5], off offset:20
	s_waitcnt vmcnt(1)
	global_store_dword v[4:5], v71, off offset:20
	s_waitcnt vmcnt(1)
	global_store_dword v[76:77], v73, off
.LBB124_91:
	s_or_b64 exec, exec, s[12:13]
	v_mov_b32_e32 v71, v70
	v_mov_b32_e32 v73, v70
.LBB124_92:
	s_or_b64 exec, exec, s[2:3]
.LBB124_93:
	s_andn2_saveexec_b64 s[0:1], s[0:1]
	s_cbranch_execz .LBB124_95
; %bb.94:
	s_waitcnt vmcnt(0)
	v_pk_mov_b32 v[76:77], v[62:63], v[58:59] op_sel:[1,0]
	ds_write2_b32 v69, v76, v77 offset0:6 offset1:7
	v_pk_mov_b32 v[76:77], v[58:59], v[60:61] op_sel:[1,0]
	ds_write2_b32 v69, v76, v77 offset0:8 offset1:9
	;; [unrolled: 2-line block ×27, first 2 shown]
	v_pk_mov_b32 v[76:77], v[16:17], v[10:11] op_sel:[1,0]
	v_mov_b32_e32 v73, 5
	ds_write2_b32 v69, v76, v77 offset0:60 offset1:61
	ds_write_b32 v69, v11 offset:248
.LBB124_95:
	s_or_b64 exec, exec, s[0:1]
	v_cmp_lt_i32_e32 vcc, 5, v73
	s_waitcnt lgkmcnt(0)
	s_barrier
	s_and_saveexec_b64 s[0:1], vcc
	s_cbranch_execz .LBB124_97
; %bb.96:
	ds_read_b32 v70, v69 offset:24
	ds_read2_b32 v[76:77], v69 offset0:7 offset1:8
	ds_read2_b32 v[78:79], v69 offset0:9 offset1:10
	v_mul_f32_e32 v62, v75, v62
	ds_read2_b32 v[80:81], v69 offset0:11 offset1:12
	s_waitcnt lgkmcnt(3)
	v_fma_f32 v63, -v62, v70, v63
	s_waitcnt vmcnt(0) lgkmcnt(2)
	v_pk_fma_f32 v[58:59], v[62:63], v[76:77], v[58:59] op_sel_hi:[0,1,1] neg_lo:[1,0,0] neg_hi:[1,0,0]
	s_waitcnt lgkmcnt(1)
	v_pk_fma_f32 v[60:61], v[62:63], v[78:79], v[60:61] op_sel_hi:[0,1,1] neg_lo:[1,0,0] neg_hi:[1,0,0]
	ds_read2_b32 v[76:77], v69 offset0:13 offset1:14
	ds_read2_b32 v[78:79], v69 offset0:15 offset1:16
	ds_read2_b32 v[82:83], v69 offset0:17 offset1:18
	s_waitcnt lgkmcnt(3)
	v_pk_fma_f32 v[56:57], v[62:63], v[80:81], v[56:57] op_sel_hi:[0,1,1] neg_lo:[1,0,0] neg_hi:[1,0,0]
	ds_read2_b32 v[80:81], v69 offset0:19 offset1:20
	s_waitcnt lgkmcnt(3)
	v_pk_fma_f32 v[54:55], v[62:63], v[76:77], v[54:55] op_sel_hi:[0,1,1] neg_lo:[1,0,0] neg_hi:[1,0,0]
	s_waitcnt lgkmcnt(2)
	v_pk_fma_f32 v[52:53], v[62:63], v[78:79], v[52:53] op_sel_hi:[0,1,1] neg_lo:[1,0,0] neg_hi:[1,0,0]
	s_waitcnt lgkmcnt(1)
	v_pk_fma_f32 v[50:51], v[62:63], v[82:83], v[50:51] op_sel_hi:[0,1,1] neg_lo:[1,0,0] neg_hi:[1,0,0]
	ds_read2_b32 v[76:77], v69 offset0:21 offset1:22
	ds_read2_b32 v[78:79], v69 offset0:23 offset1:24
	ds_read2_b32 v[82:83], v69 offset0:25 offset1:26
	s_waitcnt lgkmcnt(3)
	v_pk_fma_f32 v[46:47], v[62:63], v[80:81], v[46:47] op_sel_hi:[0,1,1] neg_lo:[1,0,0] neg_hi:[1,0,0]
	ds_read2_b32 v[80:81], v69 offset0:27 offset1:28
	s_waitcnt lgkmcnt(3)
	v_pk_fma_f32 v[40:41], v[62:63], v[76:77], v[40:41] op_sel_hi:[0,1,1] neg_lo:[1,0,0] neg_hi:[1,0,0]
	s_waitcnt lgkmcnt(2)
	;; [unrolled: 12-line block ×4, first 2 shown]
	v_pk_fma_f32 v[18:19], v[62:63], v[78:79], v[18:19] op_sel_hi:[0,1,1] neg_lo:[1,0,0] neg_hi:[1,0,0]
	s_waitcnt lgkmcnt(1)
	v_pk_fma_f32 v[38:39], v[62:63], v[82:83], v[38:39] op_sel_hi:[0,1,1] neg_lo:[1,0,0] neg_hi:[1,0,0]
	ds_read2_b32 v[76:77], v69 offset0:45 offset1:46
	ds_read2_b32 v[78:79], v69 offset0:47 offset1:48
	;; [unrolled: 1-line block ×4, first 2 shown]
	s_waitcnt lgkmcnt(4)
	v_pk_fma_f32 v[28:29], v[62:63], v[80:81], v[28:29] op_sel_hi:[0,1,1] neg_lo:[1,0,0] neg_hi:[1,0,0]
	s_waitcnt lgkmcnt(3)
	v_pk_fma_f32 v[20:21], v[62:63], v[76:77], v[20:21] op_sel_hi:[0,1,1] neg_lo:[1,0,0] neg_hi:[1,0,0]
	;; [unrolled: 2-line block ×5, first 2 shown]
	ds_read2_b32 v[76:77], v69 offset0:53 offset1:54
	ds_read2_b32 v[78:79], v69 offset0:55 offset1:56
	;; [unrolled: 1-line block ×5, first 2 shown]
	s_waitcnt lgkmcnt(4)
	v_pk_fma_f32 v[14:15], v[62:63], v[76:77], v[14:15] op_sel_hi:[0,1,1] neg_lo:[1,0,0] neg_hi:[1,0,0]
	s_waitcnt lgkmcnt(3)
	v_pk_fma_f32 v[8:9], v[62:63], v[78:79], v[8:9] op_sel_hi:[0,1,1] neg_lo:[1,0,0] neg_hi:[1,0,0]
	;; [unrolled: 2-line block ×5, first 2 shown]
.LBB124_97:
	s_or_b64 exec, exec, s[0:1]
	v_lshl_add_u32 v70, v73, 2, v69
	s_barrier
	ds_write_b32 v70, v63
	s_waitcnt lgkmcnt(0)
	s_barrier
	ds_read_b32 v75, v69 offset:24
	s_cmp_lt_i32 s22, 8
	v_mov_b32_e32 v70, 6
	s_cbranch_scc1 .LBB124_100
; %bb.98:
	v_add3_u32 v76, v72, 0, 28
	v_mov_b32_e32 v70, 6
	s_mov_b32 s0, 7
.LBB124_99:                             ; =>This Inner Loop Header: Depth=1
	ds_read_b32 v77, v76
	v_mov_b32_e32 v78, s0
	s_add_i32 s0, s0, 1
	v_add_u32_e32 v76, 4, v76
	s_cmp_lg_u32 s22, s0
	s_waitcnt lgkmcnt(0)
	v_cmp_lt_f32_e64 vcc, |v75|, |v77|
	s_nop 1
	v_cndmask_b32_e32 v75, v75, v77, vcc
	v_cndmask_b32_e32 v70, v70, v78, vcc
	s_cbranch_scc1 .LBB124_99
.LBB124_100:
	s_waitcnt lgkmcnt(0)
	v_cmp_eq_f32_e32 vcc, 0, v75
	s_and_saveexec_b64 s[0:1], vcc
	s_xor_b64 s[0:1], exec, s[0:1]
; %bb.101:
	v_cmp_ne_u32_e32 vcc, 0, v74
	s_nop 1
	v_cndmask_b32_e32 v74, 7, v74, vcc
; %bb.102:
	s_andn2_saveexec_b64 s[0:1], s[0:1]
	s_cbranch_execz .LBB124_104
; %bb.103:
	v_div_scale_f32 v76, s[2:3], v75, v75, 1.0
	v_rcp_f32_e32 v77, v76
	v_div_scale_f32 v78, vcc, 1.0, v75, 1.0
	v_fma_f32 v79, -v76, v77, 1.0
	v_fmac_f32_e32 v77, v79, v77
	v_mul_f32_e32 v79, v78, v77
	v_fma_f32 v80, -v76, v79, v78
	v_fmac_f32_e32 v79, v80, v77
	v_fma_f32 v76, -v76, v79, v78
	v_div_fmas_f32 v76, v76, v77, v79
	v_div_fixup_f32 v75, v76, v75, 1.0
.LBB124_104:
	s_or_b64 exec, exec, s[0:1]
	v_cmp_ne_u32_e32 vcc, v73, v70
	s_and_saveexec_b64 s[0:1], vcc
	s_xor_b64 s[0:1], exec, s[0:1]
	s_cbranch_execz .LBB124_110
; %bb.105:
	v_cmp_eq_u32_e32 vcc, 6, v73
	s_and_saveexec_b64 s[2:3], vcc
	s_cbranch_execz .LBB124_109
; %bb.106:
	v_cmp_ne_u32_e32 vcc, 6, v70
	s_xor_b64 s[12:13], s[20:21], -1
	s_and_b64 s[14:15], s[12:13], vcc
	s_and_saveexec_b64 s[12:13], s[14:15]
	s_cbranch_execz .LBB124_108
; %bb.107:
	v_ashrrev_i32_e32 v71, 31, v70
	v_lshl_add_u64 v[76:77], v[70:71], 2, v[4:5]
	global_load_dword v71, v[76:77], off
	global_load_dword v73, v[4:5], off offset:24
	s_waitcnt vmcnt(1)
	global_store_dword v[4:5], v71, off offset:24
	s_waitcnt vmcnt(1)
	global_store_dword v[76:77], v73, off
.LBB124_108:
	s_or_b64 exec, exec, s[12:13]
	v_mov_b32_e32 v71, v70
	v_mov_b32_e32 v73, v70
.LBB124_109:
	s_or_b64 exec, exec, s[2:3]
.LBB124_110:
	s_andn2_saveexec_b64 s[0:1], s[0:1]
	s_cbranch_execz .LBB124_112
; %bb.111:
	v_mov_b32_e32 v73, 6
	s_waitcnt vmcnt(0)
	ds_write2_b32 v69, v58, v59 offset0:7 offset1:8
	ds_write2_b32 v69, v60, v61 offset0:9 offset1:10
	;; [unrolled: 1-line block ×28, first 2 shown]
.LBB124_112:
	s_or_b64 exec, exec, s[0:1]
	v_cmp_lt_i32_e32 vcc, 6, v73
	s_waitcnt lgkmcnt(0)
	s_barrier
	s_and_saveexec_b64 s[0:1], vcc
	s_cbranch_execz .LBB124_114
; %bb.113:
	ds_read2_b32 v[76:77], v69 offset0:7 offset1:8
	ds_read2_b32 v[78:79], v69 offset0:9 offset1:10
	;; [unrolled: 1-line block ×3, first 2 shown]
	v_mul_f32_e32 v70, v75, v63
	ds_read2_b32 v[82:83], v69 offset0:13 offset1:14
	s_waitcnt vmcnt(0) lgkmcnt(3)
	v_pk_fma_f32 v[58:59], v[70:71], v[76:77], v[58:59] op_sel_hi:[0,1,1] neg_lo:[1,0,0] neg_hi:[1,0,0]
	s_waitcnt lgkmcnt(2)
	v_pk_fma_f32 v[60:61], v[70:71], v[78:79], v[60:61] op_sel_hi:[0,1,1] neg_lo:[1,0,0] neg_hi:[1,0,0]
	s_waitcnt lgkmcnt(1)
	v_pk_fma_f32 v[56:57], v[70:71], v[80:81], v[56:57] op_sel_hi:[0,1,1] neg_lo:[1,0,0] neg_hi:[1,0,0]
	ds_read2_b32 v[76:77], v69 offset0:15 offset1:16
	ds_read2_b32 v[78:79], v69 offset0:17 offset1:18
	ds_read2_b32 v[80:81], v69 offset0:19 offset1:20
	s_waitcnt lgkmcnt(3)
	v_pk_fma_f32 v[54:55], v[70:71], v[82:83], v[54:55] op_sel_hi:[0,1,1] neg_lo:[1,0,0] neg_hi:[1,0,0]
	ds_read2_b32 v[82:83], v69 offset0:21 offset1:22
	s_waitcnt lgkmcnt(3)
	v_pk_fma_f32 v[52:53], v[70:71], v[76:77], v[52:53] op_sel_hi:[0,1,1] neg_lo:[1,0,0] neg_hi:[1,0,0]
	s_waitcnt lgkmcnt(2)
	v_pk_fma_f32 v[50:51], v[70:71], v[78:79], v[50:51] op_sel_hi:[0,1,1] neg_lo:[1,0,0] neg_hi:[1,0,0]
	s_waitcnt lgkmcnt(1)
	v_pk_fma_f32 v[46:47], v[70:71], v[80:81], v[46:47] op_sel_hi:[0,1,1] neg_lo:[1,0,0] neg_hi:[1,0,0]
	ds_read2_b32 v[76:77], v69 offset0:23 offset1:24
	ds_read2_b32 v[78:79], v69 offset0:25 offset1:26
	ds_read2_b32 v[80:81], v69 offset0:27 offset1:28
	s_waitcnt lgkmcnt(3)
	v_pk_fma_f32 v[40:41], v[70:71], v[82:83], v[40:41] op_sel_hi:[0,1,1] neg_lo:[1,0,0] neg_hi:[1,0,0]
	ds_read2_b32 v[82:83], v69 offset0:29 offset1:30
	s_waitcnt lgkmcnt(3)
	;; [unrolled: 12-line block ×5, first 2 shown]
	v_pk_fma_f32 v[12:13], v[70:71], v[76:77], v[12:13] op_sel_hi:[0,1,1] neg_lo:[1,0,0] neg_hi:[1,0,0]
	s_waitcnt lgkmcnt(2)
	v_pk_fma_f32 v[30:31], v[70:71], v[78:79], v[30:31] op_sel_hi:[0,1,1] neg_lo:[1,0,0] neg_hi:[1,0,0]
	s_waitcnt lgkmcnt(1)
	v_pk_fma_f32 v[22:23], v[70:71], v[80:81], v[22:23] op_sel_hi:[0,1,1] neg_lo:[1,0,0] neg_hi:[1,0,0]
	ds_read2_b32 v[76:77], v69 offset0:55 offset1:56
	ds_read2_b32 v[78:79], v69 offset0:57 offset1:58
	;; [unrolled: 1-line block ×4, first 2 shown]
	s_waitcnt lgkmcnt(4)
	v_pk_fma_f32 v[14:15], v[70:71], v[82:83], v[14:15] op_sel_hi:[0,1,1] neg_lo:[1,0,0] neg_hi:[1,0,0]
	s_waitcnt lgkmcnt(3)
	v_pk_fma_f32 v[8:9], v[70:71], v[76:77], v[8:9] op_sel_hi:[0,1,1] neg_lo:[1,0,0] neg_hi:[1,0,0]
	;; [unrolled: 2-line block ×5, first 2 shown]
	v_mov_b32_e32 v63, v70
.LBB124_114:
	s_or_b64 exec, exec, s[0:1]
	v_lshl_add_u32 v70, v73, 2, v69
	s_barrier
	ds_write_b32 v70, v58
	s_waitcnt lgkmcnt(0)
	s_barrier
	ds_read_b32 v75, v69 offset:28
	s_cmp_lt_i32 s22, 9
	v_mov_b32_e32 v70, 7
	s_cbranch_scc1 .LBB124_117
; %bb.115:
	v_add3_u32 v76, v72, 0, 32
	v_mov_b32_e32 v70, 7
	s_mov_b32 s0, 8
.LBB124_116:                            ; =>This Inner Loop Header: Depth=1
	ds_read_b32 v77, v76
	v_mov_b32_e32 v78, s0
	s_add_i32 s0, s0, 1
	v_add_u32_e32 v76, 4, v76
	s_cmp_lg_u32 s22, s0
	s_waitcnt lgkmcnt(0)
	v_cmp_lt_f32_e64 vcc, |v75|, |v77|
	s_nop 1
	v_cndmask_b32_e32 v75, v75, v77, vcc
	v_cndmask_b32_e32 v70, v70, v78, vcc
	s_cbranch_scc1 .LBB124_116
.LBB124_117:
	s_waitcnt lgkmcnt(0)
	v_cmp_eq_f32_e32 vcc, 0, v75
	s_and_saveexec_b64 s[0:1], vcc
	s_xor_b64 s[0:1], exec, s[0:1]
; %bb.118:
	v_cmp_ne_u32_e32 vcc, 0, v74
	s_nop 1
	v_cndmask_b32_e32 v74, 8, v74, vcc
; %bb.119:
	s_andn2_saveexec_b64 s[0:1], s[0:1]
	s_cbranch_execz .LBB124_121
; %bb.120:
	v_div_scale_f32 v76, s[2:3], v75, v75, 1.0
	v_rcp_f32_e32 v77, v76
	v_div_scale_f32 v78, vcc, 1.0, v75, 1.0
	v_fma_f32 v79, -v76, v77, 1.0
	v_fmac_f32_e32 v77, v79, v77
	v_mul_f32_e32 v79, v78, v77
	v_fma_f32 v80, -v76, v79, v78
	v_fmac_f32_e32 v79, v80, v77
	v_fma_f32 v76, -v76, v79, v78
	v_div_fmas_f32 v76, v76, v77, v79
	v_div_fixup_f32 v75, v76, v75, 1.0
.LBB124_121:
	s_or_b64 exec, exec, s[0:1]
	v_cmp_ne_u32_e32 vcc, v73, v70
	s_and_saveexec_b64 s[0:1], vcc
	s_xor_b64 s[0:1], exec, s[0:1]
	s_cbranch_execz .LBB124_127
; %bb.122:
	v_cmp_eq_u32_e32 vcc, 7, v73
	s_and_saveexec_b64 s[2:3], vcc
	s_cbranch_execz .LBB124_126
; %bb.123:
	v_cmp_ne_u32_e32 vcc, 7, v70
	s_xor_b64 s[12:13], s[20:21], -1
	s_and_b64 s[14:15], s[12:13], vcc
	s_and_saveexec_b64 s[12:13], s[14:15]
	s_cbranch_execz .LBB124_125
; %bb.124:
	v_ashrrev_i32_e32 v71, 31, v70
	v_lshl_add_u64 v[76:77], v[70:71], 2, v[4:5]
	global_load_dword v71, v[76:77], off
	global_load_dword v73, v[4:5], off offset:28
	s_waitcnt vmcnt(1)
	global_store_dword v[4:5], v71, off offset:28
	s_waitcnt vmcnt(1)
	global_store_dword v[76:77], v73, off
.LBB124_125:
	s_or_b64 exec, exec, s[12:13]
	v_mov_b32_e32 v71, v70
	v_mov_b32_e32 v73, v70
.LBB124_126:
	s_or_b64 exec, exec, s[2:3]
.LBB124_127:
	s_andn2_saveexec_b64 s[0:1], s[0:1]
	s_cbranch_execz .LBB124_129
; %bb.128:
	s_waitcnt vmcnt(0)
	v_pk_mov_b32 v[76:77], v[58:59], v[60:61] op_sel:[1,0]
	ds_write2_b32 v69, v76, v77 offset0:8 offset1:9
	v_pk_mov_b32 v[76:77], v[60:61], v[56:57] op_sel:[1,0]
	ds_write2_b32 v69, v76, v77 offset0:10 offset1:11
	;; [unrolled: 2-line block ×26, first 2 shown]
	v_pk_mov_b32 v[76:77], v[16:17], v[10:11] op_sel:[1,0]
	v_mov_b32_e32 v73, 7
	ds_write2_b32 v69, v76, v77 offset0:60 offset1:61
	ds_write_b32 v69, v11 offset:248
.LBB124_129:
	s_or_b64 exec, exec, s[0:1]
	v_cmp_lt_i32_e32 vcc, 7, v73
	s_waitcnt lgkmcnt(0)
	s_barrier
	s_and_saveexec_b64 s[0:1], vcc
	s_cbranch_execz .LBB124_131
; %bb.130:
	ds_read_b32 v70, v69 offset:32
	ds_read2_b32 v[76:77], v69 offset0:9 offset1:10
	ds_read2_b32 v[78:79], v69 offset0:11 offset1:12
	v_mul_f32_e32 v58, v75, v58
	ds_read2_b32 v[80:81], v69 offset0:13 offset1:14
	s_waitcnt vmcnt(0) lgkmcnt(3)
	v_fma_f32 v59, -v58, v70, v59
	s_waitcnt lgkmcnt(2)
	v_pk_fma_f32 v[60:61], v[58:59], v[76:77], v[60:61] op_sel_hi:[0,1,1] neg_lo:[1,0,0] neg_hi:[1,0,0]
	s_waitcnt lgkmcnt(1)
	v_pk_fma_f32 v[56:57], v[58:59], v[78:79], v[56:57] op_sel_hi:[0,1,1] neg_lo:[1,0,0] neg_hi:[1,0,0]
	ds_read2_b32 v[76:77], v69 offset0:15 offset1:16
	ds_read2_b32 v[78:79], v69 offset0:17 offset1:18
	ds_read2_b32 v[82:83], v69 offset0:19 offset1:20
	s_waitcnt lgkmcnt(3)
	v_pk_fma_f32 v[54:55], v[58:59], v[80:81], v[54:55] op_sel_hi:[0,1,1] neg_lo:[1,0,0] neg_hi:[1,0,0]
	ds_read2_b32 v[80:81], v69 offset0:21 offset1:22
	s_waitcnt lgkmcnt(3)
	v_pk_fma_f32 v[52:53], v[58:59], v[76:77], v[52:53] op_sel_hi:[0,1,1] neg_lo:[1,0,0] neg_hi:[1,0,0]
	s_waitcnt lgkmcnt(2)
	v_pk_fma_f32 v[50:51], v[58:59], v[78:79], v[50:51] op_sel_hi:[0,1,1] neg_lo:[1,0,0] neg_hi:[1,0,0]
	s_waitcnt lgkmcnt(1)
	v_pk_fma_f32 v[46:47], v[58:59], v[82:83], v[46:47] op_sel_hi:[0,1,1] neg_lo:[1,0,0] neg_hi:[1,0,0]
	ds_read2_b32 v[76:77], v69 offset0:23 offset1:24
	ds_read2_b32 v[78:79], v69 offset0:25 offset1:26
	ds_read2_b32 v[82:83], v69 offset0:27 offset1:28
	s_waitcnt lgkmcnt(3)
	v_pk_fma_f32 v[40:41], v[58:59], v[80:81], v[40:41] op_sel_hi:[0,1,1] neg_lo:[1,0,0] neg_hi:[1,0,0]
	ds_read2_b32 v[80:81], v69 offset0:29 offset1:30
	s_waitcnt lgkmcnt(3)
	v_pk_fma_f32 v[32:33], v[58:59], v[76:77], v[32:33] op_sel_hi:[0,1,1] neg_lo:[1,0,0] neg_hi:[1,0,0]
	;; [unrolled: 12-line block ×5, first 2 shown]
	s_waitcnt lgkmcnt(2)
	v_pk_fma_f32 v[30:31], v[58:59], v[78:79], v[30:31] op_sel_hi:[0,1,1] neg_lo:[1,0,0] neg_hi:[1,0,0]
	s_waitcnt lgkmcnt(1)
	v_pk_fma_f32 v[22:23], v[58:59], v[82:83], v[22:23] op_sel_hi:[0,1,1] neg_lo:[1,0,0] neg_hi:[1,0,0]
	ds_read2_b32 v[76:77], v69 offset0:55 offset1:56
	ds_read2_b32 v[78:79], v69 offset0:57 offset1:58
	;; [unrolled: 1-line block ×4, first 2 shown]
	s_waitcnt lgkmcnt(4)
	v_pk_fma_f32 v[14:15], v[58:59], v[80:81], v[14:15] op_sel_hi:[0,1,1] neg_lo:[1,0,0] neg_hi:[1,0,0]
	s_waitcnt lgkmcnt(3)
	v_pk_fma_f32 v[8:9], v[58:59], v[76:77], v[8:9] op_sel_hi:[0,1,1] neg_lo:[1,0,0] neg_hi:[1,0,0]
	;; [unrolled: 2-line block ×5, first 2 shown]
.LBB124_131:
	s_or_b64 exec, exec, s[0:1]
	v_lshl_add_u32 v70, v73, 2, v69
	s_barrier
	s_waitcnt vmcnt(0)
	ds_write_b32 v70, v59
	s_waitcnt lgkmcnt(0)
	s_barrier
	ds_read_b32 v75, v69 offset:32
	s_cmp_lt_i32 s22, 10
	v_mov_b32_e32 v70, 8
	s_cbranch_scc1 .LBB124_134
; %bb.132:
	v_add3_u32 v76, v72, 0, 36
	v_mov_b32_e32 v70, 8
	s_mov_b32 s0, 9
.LBB124_133:                            ; =>This Inner Loop Header: Depth=1
	ds_read_b32 v77, v76
	v_mov_b32_e32 v78, s0
	s_add_i32 s0, s0, 1
	v_add_u32_e32 v76, 4, v76
	s_cmp_lg_u32 s22, s0
	s_waitcnt lgkmcnt(0)
	v_cmp_lt_f32_e64 vcc, |v75|, |v77|
	s_nop 1
	v_cndmask_b32_e32 v75, v75, v77, vcc
	v_cndmask_b32_e32 v70, v70, v78, vcc
	s_cbranch_scc1 .LBB124_133
.LBB124_134:
	s_waitcnt lgkmcnt(0)
	v_cmp_eq_f32_e32 vcc, 0, v75
	s_and_saveexec_b64 s[0:1], vcc
	s_xor_b64 s[0:1], exec, s[0:1]
; %bb.135:
	v_cmp_ne_u32_e32 vcc, 0, v74
	s_nop 1
	v_cndmask_b32_e32 v74, 9, v74, vcc
; %bb.136:
	s_andn2_saveexec_b64 s[0:1], s[0:1]
	s_cbranch_execz .LBB124_138
; %bb.137:
	v_div_scale_f32 v76, s[2:3], v75, v75, 1.0
	v_rcp_f32_e32 v77, v76
	v_div_scale_f32 v78, vcc, 1.0, v75, 1.0
	v_fma_f32 v79, -v76, v77, 1.0
	v_fmac_f32_e32 v77, v79, v77
	v_mul_f32_e32 v79, v78, v77
	v_fma_f32 v80, -v76, v79, v78
	v_fmac_f32_e32 v79, v80, v77
	v_fma_f32 v76, -v76, v79, v78
	v_div_fmas_f32 v76, v76, v77, v79
	v_div_fixup_f32 v75, v76, v75, 1.0
.LBB124_138:
	s_or_b64 exec, exec, s[0:1]
	v_cmp_ne_u32_e32 vcc, v73, v70
	s_and_saveexec_b64 s[0:1], vcc
	s_xor_b64 s[0:1], exec, s[0:1]
	s_cbranch_execz .LBB124_144
; %bb.139:
	v_cmp_eq_u32_e32 vcc, 8, v73
	s_and_saveexec_b64 s[2:3], vcc
	s_cbranch_execz .LBB124_143
; %bb.140:
	v_cmp_ne_u32_e32 vcc, 8, v70
	s_xor_b64 s[12:13], s[20:21], -1
	s_and_b64 s[14:15], s[12:13], vcc
	s_and_saveexec_b64 s[12:13], s[14:15]
	s_cbranch_execz .LBB124_142
; %bb.141:
	v_ashrrev_i32_e32 v71, 31, v70
	v_lshl_add_u64 v[76:77], v[70:71], 2, v[4:5]
	global_load_dword v71, v[76:77], off
	global_load_dword v73, v[4:5], off offset:32
	s_waitcnt vmcnt(1)
	global_store_dword v[4:5], v71, off offset:32
	s_waitcnt vmcnt(1)
	global_store_dword v[76:77], v73, off
.LBB124_142:
	s_or_b64 exec, exec, s[12:13]
	v_mov_b32_e32 v71, v70
	v_mov_b32_e32 v73, v70
.LBB124_143:
	s_or_b64 exec, exec, s[2:3]
.LBB124_144:
	s_andn2_saveexec_b64 s[0:1], s[0:1]
	s_cbranch_execz .LBB124_146
; %bb.145:
	v_mov_b32_e32 v73, 8
	ds_write2_b32 v69, v60, v61 offset0:9 offset1:10
	ds_write2_b32 v69, v56, v57 offset0:11 offset1:12
	;; [unrolled: 1-line block ×27, first 2 shown]
.LBB124_146:
	s_or_b64 exec, exec, s[0:1]
	v_cmp_lt_i32_e32 vcc, 8, v73
	s_waitcnt lgkmcnt(0)
	s_barrier
	s_and_saveexec_b64 s[0:1], vcc
	s_cbranch_execz .LBB124_148
; %bb.147:
	ds_read2_b32 v[76:77], v69 offset0:9 offset1:10
	ds_read2_b32 v[78:79], v69 offset0:11 offset1:12
	;; [unrolled: 1-line block ×3, first 2 shown]
	v_mul_f32_e32 v70, v75, v59
	ds_read2_b32 v[82:83], v69 offset0:15 offset1:16
	s_waitcnt lgkmcnt(3)
	v_pk_fma_f32 v[60:61], v[70:71], v[76:77], v[60:61] op_sel_hi:[0,1,1] neg_lo:[1,0,0] neg_hi:[1,0,0]
	s_waitcnt lgkmcnt(2)
	v_pk_fma_f32 v[56:57], v[70:71], v[78:79], v[56:57] op_sel_hi:[0,1,1] neg_lo:[1,0,0] neg_hi:[1,0,0]
	s_waitcnt lgkmcnt(1)
	v_pk_fma_f32 v[54:55], v[70:71], v[80:81], v[54:55] op_sel_hi:[0,1,1] neg_lo:[1,0,0] neg_hi:[1,0,0]
	ds_read2_b32 v[76:77], v69 offset0:17 offset1:18
	ds_read2_b32 v[78:79], v69 offset0:19 offset1:20
	ds_read2_b32 v[80:81], v69 offset0:21 offset1:22
	s_waitcnt lgkmcnt(3)
	v_pk_fma_f32 v[52:53], v[70:71], v[82:83], v[52:53] op_sel_hi:[0,1,1] neg_lo:[1,0,0] neg_hi:[1,0,0]
	ds_read2_b32 v[82:83], v69 offset0:23 offset1:24
	s_waitcnt lgkmcnt(3)
	v_pk_fma_f32 v[50:51], v[70:71], v[76:77], v[50:51] op_sel_hi:[0,1,1] neg_lo:[1,0,0] neg_hi:[1,0,0]
	s_waitcnt lgkmcnt(2)
	v_pk_fma_f32 v[46:47], v[70:71], v[78:79], v[46:47] op_sel_hi:[0,1,1] neg_lo:[1,0,0] neg_hi:[1,0,0]
	s_waitcnt lgkmcnt(1)
	v_pk_fma_f32 v[40:41], v[70:71], v[80:81], v[40:41] op_sel_hi:[0,1,1] neg_lo:[1,0,0] neg_hi:[1,0,0]
	ds_read2_b32 v[76:77], v69 offset0:25 offset1:26
	ds_read2_b32 v[78:79], v69 offset0:27 offset1:28
	ds_read2_b32 v[80:81], v69 offset0:29 offset1:30
	s_waitcnt lgkmcnt(3)
	v_pk_fma_f32 v[32:33], v[70:71], v[82:83], v[32:33] op_sel_hi:[0,1,1] neg_lo:[1,0,0] neg_hi:[1,0,0]
	;; [unrolled: 12-line block ×4, first 2 shown]
	ds_read2_b32 v[82:83], v69 offset0:47 offset1:48
	s_waitcnt lgkmcnt(3)
	v_pk_fma_f32 v[38:39], v[70:71], v[76:77], v[38:39] op_sel_hi:[0,1,1] neg_lo:[1,0,0] neg_hi:[1,0,0]
	s_waitcnt lgkmcnt(2)
	v_pk_fma_f32 v[28:29], v[70:71], v[78:79], v[28:29] op_sel_hi:[0,1,1] neg_lo:[1,0,0] neg_hi:[1,0,0]
	ds_read2_b32 v[76:77], v69 offset0:49 offset1:50
	ds_read2_b32 v[78:79], v69 offset0:51 offset1:52
	s_waitcnt lgkmcnt(3)
	v_pk_fma_f32 v[20:21], v[70:71], v[80:81], v[20:21] op_sel_hi:[0,1,1] neg_lo:[1,0,0] neg_hi:[1,0,0]
	s_waitcnt lgkmcnt(2)
	v_pk_fma_f32 v[12:13], v[70:71], v[82:83], v[12:13] op_sel_hi:[0,1,1] neg_lo:[1,0,0] neg_hi:[1,0,0]
	ds_read2_b32 v[80:81], v69 offset0:53 offset1:54
	;; [unrolled: 6-line block ×3, first 2 shown]
	ds_read2_b32 v[78:79], v69 offset0:59 offset1:60
	ds_read2_b32 v[84:85], v69 offset0:61 offset1:62
	s_waitcnt lgkmcnt(4)
	v_pk_fma_f32 v[14:15], v[70:71], v[80:81], v[14:15] op_sel_hi:[0,1,1] neg_lo:[1,0,0] neg_hi:[1,0,0]
	s_waitcnt lgkmcnt(3)
	v_pk_fma_f32 v[8:9], v[70:71], v[82:83], v[8:9] op_sel_hi:[0,1,1] neg_lo:[1,0,0] neg_hi:[1,0,0]
	;; [unrolled: 2-line block ×5, first 2 shown]
	v_mov_b32_e32 v59, v70
.LBB124_148:
	s_or_b64 exec, exec, s[0:1]
	v_lshl_add_u32 v70, v73, 2, v69
	s_barrier
	ds_write_b32 v70, v60
	s_waitcnt lgkmcnt(0)
	s_barrier
	ds_read_b32 v75, v69 offset:36
	s_cmp_lt_i32 s22, 11
	v_mov_b32_e32 v70, 9
	s_cbranch_scc1 .LBB124_151
; %bb.149:
	v_add3_u32 v76, v72, 0, 40
	v_mov_b32_e32 v70, 9
	s_mov_b32 s0, 10
.LBB124_150:                            ; =>This Inner Loop Header: Depth=1
	ds_read_b32 v77, v76
	v_mov_b32_e32 v78, s0
	s_add_i32 s0, s0, 1
	v_add_u32_e32 v76, 4, v76
	s_cmp_lg_u32 s22, s0
	s_waitcnt lgkmcnt(0)
	v_cmp_lt_f32_e64 vcc, |v75|, |v77|
	s_nop 1
	v_cndmask_b32_e32 v75, v75, v77, vcc
	v_cndmask_b32_e32 v70, v70, v78, vcc
	s_cbranch_scc1 .LBB124_150
.LBB124_151:
	s_waitcnt lgkmcnt(0)
	v_cmp_eq_f32_e32 vcc, 0, v75
	s_and_saveexec_b64 s[0:1], vcc
	s_xor_b64 s[0:1], exec, s[0:1]
; %bb.152:
	v_cmp_ne_u32_e32 vcc, 0, v74
	s_nop 1
	v_cndmask_b32_e32 v74, 10, v74, vcc
; %bb.153:
	s_andn2_saveexec_b64 s[0:1], s[0:1]
	s_cbranch_execz .LBB124_155
; %bb.154:
	v_div_scale_f32 v76, s[2:3], v75, v75, 1.0
	v_rcp_f32_e32 v77, v76
	v_div_scale_f32 v78, vcc, 1.0, v75, 1.0
	v_fma_f32 v79, -v76, v77, 1.0
	v_fmac_f32_e32 v77, v79, v77
	v_mul_f32_e32 v79, v78, v77
	v_fma_f32 v80, -v76, v79, v78
	v_fmac_f32_e32 v79, v80, v77
	v_fma_f32 v76, -v76, v79, v78
	v_div_fmas_f32 v76, v76, v77, v79
	v_div_fixup_f32 v75, v76, v75, 1.0
.LBB124_155:
	s_or_b64 exec, exec, s[0:1]
	v_cmp_ne_u32_e32 vcc, v73, v70
	s_and_saveexec_b64 s[0:1], vcc
	s_xor_b64 s[0:1], exec, s[0:1]
	s_cbranch_execz .LBB124_161
; %bb.156:
	v_cmp_eq_u32_e32 vcc, 9, v73
	s_and_saveexec_b64 s[2:3], vcc
	s_cbranch_execz .LBB124_160
; %bb.157:
	v_cmp_ne_u32_e32 vcc, 9, v70
	s_xor_b64 s[12:13], s[20:21], -1
	s_and_b64 s[14:15], s[12:13], vcc
	s_and_saveexec_b64 s[12:13], s[14:15]
	s_cbranch_execz .LBB124_159
; %bb.158:
	v_ashrrev_i32_e32 v71, 31, v70
	v_lshl_add_u64 v[76:77], v[70:71], 2, v[4:5]
	global_load_dword v71, v[76:77], off
	global_load_dword v73, v[4:5], off offset:36
	s_waitcnt vmcnt(1)
	global_store_dword v[4:5], v71, off offset:36
	s_waitcnt vmcnt(1)
	global_store_dword v[76:77], v73, off
.LBB124_159:
	s_or_b64 exec, exec, s[12:13]
	v_mov_b32_e32 v71, v70
	v_mov_b32_e32 v73, v70
.LBB124_160:
	s_or_b64 exec, exec, s[2:3]
.LBB124_161:
	s_andn2_saveexec_b64 s[0:1], s[0:1]
	s_cbranch_execz .LBB124_163
; %bb.162:
	v_pk_mov_b32 v[76:77], v[60:61], v[56:57] op_sel:[1,0]
	ds_write2_b32 v69, v76, v77 offset0:10 offset1:11
	v_pk_mov_b32 v[76:77], v[56:57], v[54:55] op_sel:[1,0]
	ds_write2_b32 v69, v76, v77 offset0:12 offset1:13
	v_pk_mov_b32 v[76:77], v[54:55], v[52:53] op_sel:[1,0]
	ds_write2_b32 v69, v76, v77 offset0:14 offset1:15
	v_pk_mov_b32 v[76:77], v[52:53], v[50:51] op_sel:[1,0]
	ds_write2_b32 v69, v76, v77 offset0:16 offset1:17
	v_pk_mov_b32 v[76:77], v[50:51], v[46:47] op_sel:[1,0]
	ds_write2_b32 v69, v76, v77 offset0:18 offset1:19
	v_pk_mov_b32 v[76:77], v[46:47], v[40:41] op_sel:[1,0]
	ds_write2_b32 v69, v76, v77 offset0:20 offset1:21
	v_pk_mov_b32 v[76:77], v[40:41], v[32:33] op_sel:[1,0]
	ds_write2_b32 v69, v76, v77 offset0:22 offset1:23
	v_pk_mov_b32 v[76:77], v[32:33], v[48:49] op_sel:[1,0]
	ds_write2_b32 v69, v76, v77 offset0:24 offset1:25
	v_pk_mov_b32 v[76:77], v[48:49], v[42:43] op_sel:[1,0]
	ds_write2_b32 v69, v76, v77 offset0:26 offset1:27
	v_pk_mov_b32 v[76:77], v[42:43], v[34:35] op_sel:[1,0]
	ds_write2_b32 v69, v76, v77 offset0:28 offset1:29
	v_pk_mov_b32 v[76:77], v[34:35], v[24:25] op_sel:[1,0]
	ds_write2_b32 v69, v76, v77 offset0:30 offset1:31
	v_pk_mov_b32 v[76:77], v[24:25], v[44:45] op_sel:[1,0]
	ds_write2_b32 v69, v76, v77 offset0:32 offset1:33
	v_pk_mov_b32 v[76:77], v[44:45], v[36:37] op_sel:[1,0]
	ds_write2_b32 v69, v76, v77 offset0:34 offset1:35
	v_pk_mov_b32 v[76:77], v[36:37], v[26:27] op_sel:[1,0]
	ds_write2_b32 v69, v76, v77 offset0:36 offset1:37
	v_pk_mov_b32 v[76:77], v[26:27], v[18:19] op_sel:[1,0]
	ds_write2_b32 v69, v76, v77 offset0:38 offset1:39
	v_pk_mov_b32 v[76:77], v[18:19], v[38:39] op_sel:[1,0]
	ds_write2_b32 v69, v76, v77 offset0:40 offset1:41
	v_pk_mov_b32 v[76:77], v[38:39], v[28:29] op_sel:[1,0]
	ds_write2_b32 v69, v76, v77 offset0:42 offset1:43
	v_pk_mov_b32 v[76:77], v[28:29], v[20:21] op_sel:[1,0]
	ds_write2_b32 v69, v76, v77 offset0:44 offset1:45
	v_pk_mov_b32 v[76:77], v[20:21], v[12:13] op_sel:[1,0]
	ds_write2_b32 v69, v76, v77 offset0:46 offset1:47
	v_pk_mov_b32 v[76:77], v[12:13], v[30:31] op_sel:[1,0]
	ds_write2_b32 v69, v76, v77 offset0:48 offset1:49
	v_pk_mov_b32 v[76:77], v[30:31], v[22:23] op_sel:[1,0]
	ds_write2_b32 v69, v76, v77 offset0:50 offset1:51
	v_pk_mov_b32 v[76:77], v[22:23], v[14:15] op_sel:[1,0]
	ds_write2_b32 v69, v76, v77 offset0:52 offset1:53
	v_pk_mov_b32 v[76:77], v[14:15], v[8:9] op_sel:[1,0]
	ds_write2_b32 v69, v76, v77 offset0:54 offset1:55
	v_pk_mov_b32 v[76:77], v[8:9], v[0:1] op_sel:[1,0]
	ds_write2_b32 v69, v76, v77 offset0:56 offset1:57
	v_pk_mov_b32 v[76:77], v[0:1], v[16:17] op_sel:[1,0]
	ds_write2_b32 v69, v76, v77 offset0:58 offset1:59
	v_pk_mov_b32 v[76:77], v[16:17], v[10:11] op_sel:[1,0]
	v_mov_b32_e32 v73, 9
	ds_write2_b32 v69, v76, v77 offset0:60 offset1:61
	ds_write_b32 v69, v11 offset:248
.LBB124_163:
	s_or_b64 exec, exec, s[0:1]
	v_cmp_lt_i32_e32 vcc, 9, v73
	s_waitcnt lgkmcnt(0)
	s_barrier
	s_and_saveexec_b64 s[0:1], vcc
	s_cbranch_execz .LBB124_165
; %bb.164:
	ds_read_b32 v70, v69 offset:40
	ds_read2_b32 v[76:77], v69 offset0:11 offset1:12
	ds_read2_b32 v[78:79], v69 offset0:13 offset1:14
	v_mul_f32_e32 v60, v75, v60
	ds_read2_b32 v[80:81], v69 offset0:15 offset1:16
	s_waitcnt lgkmcnt(3)
	v_fma_f32 v61, -v60, v70, v61
	s_waitcnt lgkmcnt(2)
	v_pk_fma_f32 v[56:57], v[60:61], v[76:77], v[56:57] op_sel_hi:[0,1,1] neg_lo:[1,0,0] neg_hi:[1,0,0]
	s_waitcnt lgkmcnt(1)
	v_pk_fma_f32 v[54:55], v[60:61], v[78:79], v[54:55] op_sel_hi:[0,1,1] neg_lo:[1,0,0] neg_hi:[1,0,0]
	ds_read2_b32 v[76:77], v69 offset0:17 offset1:18
	ds_read2_b32 v[78:79], v69 offset0:19 offset1:20
	ds_read2_b32 v[82:83], v69 offset0:21 offset1:22
	s_waitcnt lgkmcnt(3)
	v_pk_fma_f32 v[52:53], v[60:61], v[80:81], v[52:53] op_sel_hi:[0,1,1] neg_lo:[1,0,0] neg_hi:[1,0,0]
	ds_read2_b32 v[80:81], v69 offset0:23 offset1:24
	s_waitcnt lgkmcnt(3)
	v_pk_fma_f32 v[50:51], v[60:61], v[76:77], v[50:51] op_sel_hi:[0,1,1] neg_lo:[1,0,0] neg_hi:[1,0,0]
	s_waitcnt lgkmcnt(2)
	v_pk_fma_f32 v[46:47], v[60:61], v[78:79], v[46:47] op_sel_hi:[0,1,1] neg_lo:[1,0,0] neg_hi:[1,0,0]
	s_waitcnt lgkmcnt(1)
	v_pk_fma_f32 v[40:41], v[60:61], v[82:83], v[40:41] op_sel_hi:[0,1,1] neg_lo:[1,0,0] neg_hi:[1,0,0]
	ds_read2_b32 v[76:77], v69 offset0:25 offset1:26
	ds_read2_b32 v[78:79], v69 offset0:27 offset1:28
	ds_read2_b32 v[82:83], v69 offset0:29 offset1:30
	s_waitcnt lgkmcnt(3)
	v_pk_fma_f32 v[32:33], v[60:61], v[80:81], v[32:33] op_sel_hi:[0,1,1] neg_lo:[1,0,0] neg_hi:[1,0,0]
	ds_read2_b32 v[80:81], v69 offset0:31 offset1:32
	s_waitcnt lgkmcnt(3)
	v_pk_fma_f32 v[48:49], v[60:61], v[76:77], v[48:49] op_sel_hi:[0,1,1] neg_lo:[1,0,0] neg_hi:[1,0,0]
	;; [unrolled: 12-line block ×4, first 2 shown]
	s_waitcnt lgkmcnt(2)
	v_pk_fma_f32 v[28:29], v[60:61], v[78:79], v[28:29] op_sel_hi:[0,1,1] neg_lo:[1,0,0] neg_hi:[1,0,0]
	ds_read2_b32 v[76:77], v69 offset0:49 offset1:50
	ds_read2_b32 v[78:79], v69 offset0:51 offset1:52
	s_waitcnt lgkmcnt(3)
	v_pk_fma_f32 v[20:21], v[60:61], v[82:83], v[20:21] op_sel_hi:[0,1,1] neg_lo:[1,0,0] neg_hi:[1,0,0]
	s_waitcnt lgkmcnt(2)
	v_pk_fma_f32 v[12:13], v[60:61], v[80:81], v[12:13] op_sel_hi:[0,1,1] neg_lo:[1,0,0] neg_hi:[1,0,0]
	ds_read2_b32 v[80:81], v69 offset0:53 offset1:54
	ds_read2_b32 v[82:83], v69 offset0:55 offset1:56
	s_waitcnt lgkmcnt(3)
	v_pk_fma_f32 v[30:31], v[60:61], v[76:77], v[30:31] op_sel_hi:[0,1,1] neg_lo:[1,0,0] neg_hi:[1,0,0]
	s_waitcnt lgkmcnt(2)
	v_pk_fma_f32 v[22:23], v[60:61], v[78:79], v[22:23] op_sel_hi:[0,1,1] neg_lo:[1,0,0] neg_hi:[1,0,0]
	ds_read2_b32 v[76:77], v69 offset0:57 offset1:58
	ds_read2_b32 v[78:79], v69 offset0:59 offset1:60
	;; [unrolled: 1-line block ×3, first 2 shown]
	s_waitcnt lgkmcnt(4)
	v_pk_fma_f32 v[14:15], v[60:61], v[80:81], v[14:15] op_sel_hi:[0,1,1] neg_lo:[1,0,0] neg_hi:[1,0,0]
	s_waitcnt lgkmcnt(3)
	v_pk_fma_f32 v[8:9], v[60:61], v[82:83], v[8:9] op_sel_hi:[0,1,1] neg_lo:[1,0,0] neg_hi:[1,0,0]
	;; [unrolled: 2-line block ×5, first 2 shown]
.LBB124_165:
	s_or_b64 exec, exec, s[0:1]
	v_lshl_add_u32 v70, v73, 2, v69
	s_barrier
	ds_write_b32 v70, v61
	s_waitcnt lgkmcnt(0)
	s_barrier
	ds_read_b32 v75, v69 offset:40
	s_cmp_lt_i32 s22, 12
	v_mov_b32_e32 v70, 10
	s_cbranch_scc1 .LBB124_168
; %bb.166:
	v_add3_u32 v76, v72, 0, 44
	v_mov_b32_e32 v70, 10
	s_mov_b32 s0, 11
.LBB124_167:                            ; =>This Inner Loop Header: Depth=1
	ds_read_b32 v77, v76
	v_mov_b32_e32 v78, s0
	s_add_i32 s0, s0, 1
	v_add_u32_e32 v76, 4, v76
	s_cmp_lg_u32 s22, s0
	s_waitcnt lgkmcnt(0)
	v_cmp_lt_f32_e64 vcc, |v75|, |v77|
	s_nop 1
	v_cndmask_b32_e32 v75, v75, v77, vcc
	v_cndmask_b32_e32 v70, v70, v78, vcc
	s_cbranch_scc1 .LBB124_167
.LBB124_168:
	s_waitcnt lgkmcnt(0)
	v_cmp_eq_f32_e32 vcc, 0, v75
	s_and_saveexec_b64 s[0:1], vcc
	s_xor_b64 s[0:1], exec, s[0:1]
; %bb.169:
	v_cmp_ne_u32_e32 vcc, 0, v74
	s_nop 1
	v_cndmask_b32_e32 v74, 11, v74, vcc
; %bb.170:
	s_andn2_saveexec_b64 s[0:1], s[0:1]
	s_cbranch_execz .LBB124_172
; %bb.171:
	v_div_scale_f32 v76, s[2:3], v75, v75, 1.0
	v_rcp_f32_e32 v77, v76
	v_div_scale_f32 v78, vcc, 1.0, v75, 1.0
	v_fma_f32 v79, -v76, v77, 1.0
	v_fmac_f32_e32 v77, v79, v77
	v_mul_f32_e32 v79, v78, v77
	v_fma_f32 v80, -v76, v79, v78
	v_fmac_f32_e32 v79, v80, v77
	v_fma_f32 v76, -v76, v79, v78
	v_div_fmas_f32 v76, v76, v77, v79
	v_div_fixup_f32 v75, v76, v75, 1.0
.LBB124_172:
	s_or_b64 exec, exec, s[0:1]
	v_cmp_ne_u32_e32 vcc, v73, v70
	s_and_saveexec_b64 s[0:1], vcc
	s_xor_b64 s[0:1], exec, s[0:1]
	s_cbranch_execz .LBB124_178
; %bb.173:
	v_cmp_eq_u32_e32 vcc, 10, v73
	s_and_saveexec_b64 s[2:3], vcc
	s_cbranch_execz .LBB124_177
; %bb.174:
	v_cmp_ne_u32_e32 vcc, 10, v70
	s_xor_b64 s[12:13], s[20:21], -1
	s_and_b64 s[14:15], s[12:13], vcc
	s_and_saveexec_b64 s[12:13], s[14:15]
	s_cbranch_execz .LBB124_176
; %bb.175:
	v_ashrrev_i32_e32 v71, 31, v70
	v_lshl_add_u64 v[76:77], v[70:71], 2, v[4:5]
	global_load_dword v71, v[76:77], off
	global_load_dword v73, v[4:5], off offset:40
	s_waitcnt vmcnt(1)
	global_store_dword v[4:5], v71, off offset:40
	s_waitcnt vmcnt(1)
	global_store_dword v[76:77], v73, off
.LBB124_176:
	s_or_b64 exec, exec, s[12:13]
	v_mov_b32_e32 v71, v70
	v_mov_b32_e32 v73, v70
.LBB124_177:
	s_or_b64 exec, exec, s[2:3]
.LBB124_178:
	s_andn2_saveexec_b64 s[0:1], s[0:1]
	s_cbranch_execz .LBB124_180
; %bb.179:
	v_mov_b32_e32 v73, 10
	ds_write2_b32 v69, v56, v57 offset0:11 offset1:12
	ds_write2_b32 v69, v54, v55 offset0:13 offset1:14
	;; [unrolled: 1-line block ×26, first 2 shown]
.LBB124_180:
	s_or_b64 exec, exec, s[0:1]
	v_cmp_lt_i32_e32 vcc, 10, v73
	s_waitcnt lgkmcnt(0)
	s_barrier
	s_and_saveexec_b64 s[0:1], vcc
	s_cbranch_execz .LBB124_182
; %bb.181:
	ds_read2_b32 v[76:77], v69 offset0:11 offset1:12
	ds_read2_b32 v[78:79], v69 offset0:13 offset1:14
	;; [unrolled: 1-line block ×4, first 2 shown]
	v_mul_f32_e32 v70, v75, v61
	s_waitcnt lgkmcnt(3)
	v_pk_fma_f32 v[56:57], v[70:71], v[76:77], v[56:57] op_sel_hi:[0,1,1] neg_lo:[1,0,0] neg_hi:[1,0,0]
	s_waitcnt lgkmcnt(2)
	v_pk_fma_f32 v[54:55], v[70:71], v[78:79], v[54:55] op_sel_hi:[0,1,1] neg_lo:[1,0,0] neg_hi:[1,0,0]
	s_waitcnt lgkmcnt(1)
	v_pk_fma_f32 v[52:53], v[70:71], v[80:81], v[52:53] op_sel_hi:[0,1,1] neg_lo:[1,0,0] neg_hi:[1,0,0]
	ds_read2_b32 v[76:77], v69 offset0:19 offset1:20
	ds_read2_b32 v[78:79], v69 offset0:21 offset1:22
	ds_read2_b32 v[80:81], v69 offset0:23 offset1:24
	s_waitcnt lgkmcnt(3)
	v_pk_fma_f32 v[50:51], v[70:71], v[82:83], v[50:51] op_sel_hi:[0,1,1] neg_lo:[1,0,0] neg_hi:[1,0,0]
	ds_read2_b32 v[82:83], v69 offset0:25 offset1:26
	s_waitcnt lgkmcnt(3)
	v_pk_fma_f32 v[46:47], v[70:71], v[76:77], v[46:47] op_sel_hi:[0,1,1] neg_lo:[1,0,0] neg_hi:[1,0,0]
	s_waitcnt lgkmcnt(2)
	v_pk_fma_f32 v[40:41], v[70:71], v[78:79], v[40:41] op_sel_hi:[0,1,1] neg_lo:[1,0,0] neg_hi:[1,0,0]
	s_waitcnt lgkmcnt(1)
	v_pk_fma_f32 v[32:33], v[70:71], v[80:81], v[32:33] op_sel_hi:[0,1,1] neg_lo:[1,0,0] neg_hi:[1,0,0]
	ds_read2_b32 v[76:77], v69 offset0:27 offset1:28
	ds_read2_b32 v[78:79], v69 offset0:29 offset1:30
	ds_read2_b32 v[80:81], v69 offset0:31 offset1:32
	s_waitcnt lgkmcnt(3)
	v_pk_fma_f32 v[48:49], v[70:71], v[82:83], v[48:49] op_sel_hi:[0,1,1] neg_lo:[1,0,0] neg_hi:[1,0,0]
	ds_read2_b32 v[82:83], v69 offset0:33 offset1:34
	;; [unrolled: 12-line block ×4, first 2 shown]
	s_waitcnt lgkmcnt(3)
	v_pk_fma_f32 v[28:29], v[70:71], v[76:77], v[28:29] op_sel_hi:[0,1,1] neg_lo:[1,0,0] neg_hi:[1,0,0]
	ds_read2_b32 v[76:77], v69 offset0:51 offset1:52
	s_waitcnt lgkmcnt(3)
	v_pk_fma_f32 v[20:21], v[70:71], v[78:79], v[20:21] op_sel_hi:[0,1,1] neg_lo:[1,0,0] neg_hi:[1,0,0]
	s_waitcnt lgkmcnt(2)
	v_pk_fma_f32 v[12:13], v[70:71], v[80:81], v[12:13] op_sel_hi:[0,1,1] neg_lo:[1,0,0] neg_hi:[1,0,0]
	;; [unrolled: 2-line block ×3, first 2 shown]
	ds_read2_b32 v[78:79], v69 offset0:53 offset1:54
	ds_read2_b32 v[80:81], v69 offset0:55 offset1:56
	;; [unrolled: 1-line block ×3, first 2 shown]
	s_waitcnt lgkmcnt(3)
	v_pk_fma_f32 v[22:23], v[70:71], v[76:77], v[22:23] op_sel_hi:[0,1,1] neg_lo:[1,0,0] neg_hi:[1,0,0]
	ds_read2_b32 v[76:77], v69 offset0:59 offset1:60
	ds_read2_b32 v[84:85], v69 offset0:61 offset1:62
	s_waitcnt lgkmcnt(4)
	v_pk_fma_f32 v[14:15], v[70:71], v[78:79], v[14:15] op_sel_hi:[0,1,1] neg_lo:[1,0,0] neg_hi:[1,0,0]
	s_waitcnt lgkmcnt(3)
	v_pk_fma_f32 v[8:9], v[70:71], v[80:81], v[8:9] op_sel_hi:[0,1,1] neg_lo:[1,0,0] neg_hi:[1,0,0]
	;; [unrolled: 2-line block ×5, first 2 shown]
	v_mov_b32_e32 v61, v70
.LBB124_182:
	s_or_b64 exec, exec, s[0:1]
	v_lshl_add_u32 v70, v73, 2, v69
	s_barrier
	ds_write_b32 v70, v56
	s_waitcnt lgkmcnt(0)
	s_barrier
	ds_read_b32 v75, v69 offset:44
	s_cmp_lt_i32 s22, 13
	v_mov_b32_e32 v70, 11
	s_cbranch_scc1 .LBB124_185
; %bb.183:
	v_add3_u32 v76, v72, 0, 48
	v_mov_b32_e32 v70, 11
	s_mov_b32 s0, 12
.LBB124_184:                            ; =>This Inner Loop Header: Depth=1
	ds_read_b32 v77, v76
	v_mov_b32_e32 v78, s0
	s_add_i32 s0, s0, 1
	v_add_u32_e32 v76, 4, v76
	s_cmp_lg_u32 s22, s0
	s_waitcnt lgkmcnt(0)
	v_cmp_lt_f32_e64 vcc, |v75|, |v77|
	s_nop 1
	v_cndmask_b32_e32 v75, v75, v77, vcc
	v_cndmask_b32_e32 v70, v70, v78, vcc
	s_cbranch_scc1 .LBB124_184
.LBB124_185:
	s_waitcnt lgkmcnt(0)
	v_cmp_eq_f32_e32 vcc, 0, v75
	s_and_saveexec_b64 s[0:1], vcc
	s_xor_b64 s[0:1], exec, s[0:1]
; %bb.186:
	v_cmp_ne_u32_e32 vcc, 0, v74
	s_nop 1
	v_cndmask_b32_e32 v74, 12, v74, vcc
; %bb.187:
	s_andn2_saveexec_b64 s[0:1], s[0:1]
	s_cbranch_execz .LBB124_189
; %bb.188:
	v_div_scale_f32 v76, s[2:3], v75, v75, 1.0
	v_rcp_f32_e32 v77, v76
	v_div_scale_f32 v78, vcc, 1.0, v75, 1.0
	v_fma_f32 v79, -v76, v77, 1.0
	v_fmac_f32_e32 v77, v79, v77
	v_mul_f32_e32 v79, v78, v77
	v_fma_f32 v80, -v76, v79, v78
	v_fmac_f32_e32 v79, v80, v77
	v_fma_f32 v76, -v76, v79, v78
	v_div_fmas_f32 v76, v76, v77, v79
	v_div_fixup_f32 v75, v76, v75, 1.0
.LBB124_189:
	s_or_b64 exec, exec, s[0:1]
	v_cmp_ne_u32_e32 vcc, v73, v70
	s_and_saveexec_b64 s[0:1], vcc
	s_xor_b64 s[0:1], exec, s[0:1]
	s_cbranch_execz .LBB124_195
; %bb.190:
	v_cmp_eq_u32_e32 vcc, 11, v73
	s_and_saveexec_b64 s[2:3], vcc
	s_cbranch_execz .LBB124_194
; %bb.191:
	v_cmp_ne_u32_e32 vcc, 11, v70
	s_xor_b64 s[12:13], s[20:21], -1
	s_and_b64 s[14:15], s[12:13], vcc
	s_and_saveexec_b64 s[12:13], s[14:15]
	s_cbranch_execz .LBB124_193
; %bb.192:
	v_ashrrev_i32_e32 v71, 31, v70
	v_lshl_add_u64 v[76:77], v[70:71], 2, v[4:5]
	global_load_dword v71, v[76:77], off
	global_load_dword v73, v[4:5], off offset:44
	s_waitcnt vmcnt(1)
	global_store_dword v[4:5], v71, off offset:44
	s_waitcnt vmcnt(1)
	global_store_dword v[76:77], v73, off
.LBB124_193:
	s_or_b64 exec, exec, s[12:13]
	v_mov_b32_e32 v71, v70
	v_mov_b32_e32 v73, v70
.LBB124_194:
	s_or_b64 exec, exec, s[2:3]
.LBB124_195:
	s_andn2_saveexec_b64 s[0:1], s[0:1]
	s_cbranch_execz .LBB124_197
; %bb.196:
	v_pk_mov_b32 v[76:77], v[56:57], v[54:55] op_sel:[1,0]
	ds_write2_b32 v69, v76, v77 offset0:12 offset1:13
	v_pk_mov_b32 v[76:77], v[54:55], v[52:53] op_sel:[1,0]
	ds_write2_b32 v69, v76, v77 offset0:14 offset1:15
	;; [unrolled: 2-line block ×24, first 2 shown]
	v_pk_mov_b32 v[76:77], v[16:17], v[10:11] op_sel:[1,0]
	v_mov_b32_e32 v73, 11
	ds_write2_b32 v69, v76, v77 offset0:60 offset1:61
	ds_write_b32 v69, v11 offset:248
.LBB124_197:
	s_or_b64 exec, exec, s[0:1]
	v_cmp_lt_i32_e32 vcc, 11, v73
	s_waitcnt lgkmcnt(0)
	s_barrier
	s_and_saveexec_b64 s[0:1], vcc
	s_cbranch_execz .LBB124_199
; %bb.198:
	ds_read_b32 v70, v69 offset:48
	ds_read2_b32 v[76:77], v69 offset0:13 offset1:14
	ds_read2_b32 v[78:79], v69 offset0:15 offset1:16
	v_mul_f32_e32 v56, v75, v56
	ds_read2_b32 v[80:81], v69 offset0:17 offset1:18
	s_waitcnt lgkmcnt(3)
	v_fma_f32 v57, -v56, v70, v57
	s_waitcnt lgkmcnt(2)
	v_pk_fma_f32 v[54:55], v[56:57], v[76:77], v[54:55] op_sel_hi:[0,1,1] neg_lo:[1,0,0] neg_hi:[1,0,0]
	s_waitcnt lgkmcnt(1)
	v_pk_fma_f32 v[52:53], v[56:57], v[78:79], v[52:53] op_sel_hi:[0,1,1] neg_lo:[1,0,0] neg_hi:[1,0,0]
	ds_read2_b32 v[76:77], v69 offset0:19 offset1:20
	ds_read2_b32 v[78:79], v69 offset0:21 offset1:22
	ds_read2_b32 v[82:83], v69 offset0:23 offset1:24
	s_waitcnt lgkmcnt(3)
	v_pk_fma_f32 v[50:51], v[56:57], v[80:81], v[50:51] op_sel_hi:[0,1,1] neg_lo:[1,0,0] neg_hi:[1,0,0]
	ds_read2_b32 v[80:81], v69 offset0:25 offset1:26
	s_waitcnt lgkmcnt(3)
	v_pk_fma_f32 v[46:47], v[56:57], v[76:77], v[46:47] op_sel_hi:[0,1,1] neg_lo:[1,0,0] neg_hi:[1,0,0]
	s_waitcnt lgkmcnt(2)
	v_pk_fma_f32 v[40:41], v[56:57], v[78:79], v[40:41] op_sel_hi:[0,1,1] neg_lo:[1,0,0] neg_hi:[1,0,0]
	s_waitcnt lgkmcnt(1)
	v_pk_fma_f32 v[32:33], v[56:57], v[82:83], v[32:33] op_sel_hi:[0,1,1] neg_lo:[1,0,0] neg_hi:[1,0,0]
	ds_read2_b32 v[76:77], v69 offset0:27 offset1:28
	ds_read2_b32 v[78:79], v69 offset0:29 offset1:30
	ds_read2_b32 v[82:83], v69 offset0:31 offset1:32
	s_waitcnt lgkmcnt(3)
	v_pk_fma_f32 v[48:49], v[56:57], v[80:81], v[48:49] op_sel_hi:[0,1,1] neg_lo:[1,0,0] neg_hi:[1,0,0]
	ds_read2_b32 v[80:81], v69 offset0:33 offset1:34
	s_waitcnt lgkmcnt(3)
	v_pk_fma_f32 v[42:43], v[56:57], v[76:77], v[42:43] op_sel_hi:[0,1,1] neg_lo:[1,0,0] neg_hi:[1,0,0]
	;; [unrolled: 12-line block ×4, first 2 shown]
	ds_read2_b32 v[76:77], v69 offset0:51 offset1:52
	s_waitcnt lgkmcnt(3)
	v_pk_fma_f32 v[20:21], v[56:57], v[78:79], v[20:21] op_sel_hi:[0,1,1] neg_lo:[1,0,0] neg_hi:[1,0,0]
	s_waitcnt lgkmcnt(2)
	v_pk_fma_f32 v[12:13], v[56:57], v[82:83], v[12:13] op_sel_hi:[0,1,1] neg_lo:[1,0,0] neg_hi:[1,0,0]
	s_waitcnt lgkmcnt(1)
	v_pk_fma_f32 v[30:31], v[56:57], v[80:81], v[30:31] op_sel_hi:[0,1,1] neg_lo:[1,0,0] neg_hi:[1,0,0]
	ds_read2_b32 v[78:79], v69 offset0:53 offset1:54
	ds_read2_b32 v[80:81], v69 offset0:55 offset1:56
	;; [unrolled: 1-line block ×3, first 2 shown]
	s_waitcnt lgkmcnt(3)
	v_pk_fma_f32 v[22:23], v[56:57], v[76:77], v[22:23] op_sel_hi:[0,1,1] neg_lo:[1,0,0] neg_hi:[1,0,0]
	ds_read2_b32 v[76:77], v69 offset0:59 offset1:60
	ds_read2_b32 v[84:85], v69 offset0:61 offset1:62
	s_waitcnt lgkmcnt(4)
	v_pk_fma_f32 v[14:15], v[56:57], v[78:79], v[14:15] op_sel_hi:[0,1,1] neg_lo:[1,0,0] neg_hi:[1,0,0]
	s_waitcnt lgkmcnt(3)
	v_pk_fma_f32 v[8:9], v[56:57], v[80:81], v[8:9] op_sel_hi:[0,1,1] neg_lo:[1,0,0] neg_hi:[1,0,0]
	;; [unrolled: 2-line block ×5, first 2 shown]
.LBB124_199:
	s_or_b64 exec, exec, s[0:1]
	v_lshl_add_u32 v70, v73, 2, v69
	s_barrier
	ds_write_b32 v70, v57
	s_waitcnt lgkmcnt(0)
	s_barrier
	ds_read_b32 v75, v69 offset:48
	s_cmp_lt_i32 s22, 14
	v_mov_b32_e32 v70, 12
	s_cbranch_scc1 .LBB124_202
; %bb.200:
	v_add3_u32 v76, v72, 0, 52
	v_mov_b32_e32 v70, 12
	s_mov_b32 s0, 13
.LBB124_201:                            ; =>This Inner Loop Header: Depth=1
	ds_read_b32 v77, v76
	v_mov_b32_e32 v78, s0
	s_add_i32 s0, s0, 1
	v_add_u32_e32 v76, 4, v76
	s_cmp_lg_u32 s22, s0
	s_waitcnt lgkmcnt(0)
	v_cmp_lt_f32_e64 vcc, |v75|, |v77|
	s_nop 1
	v_cndmask_b32_e32 v75, v75, v77, vcc
	v_cndmask_b32_e32 v70, v70, v78, vcc
	s_cbranch_scc1 .LBB124_201
.LBB124_202:
	s_waitcnt lgkmcnt(0)
	v_cmp_eq_f32_e32 vcc, 0, v75
	s_and_saveexec_b64 s[0:1], vcc
	s_xor_b64 s[0:1], exec, s[0:1]
; %bb.203:
	v_cmp_ne_u32_e32 vcc, 0, v74
	s_nop 1
	v_cndmask_b32_e32 v74, 13, v74, vcc
; %bb.204:
	s_andn2_saveexec_b64 s[0:1], s[0:1]
	s_cbranch_execz .LBB124_206
; %bb.205:
	v_div_scale_f32 v76, s[2:3], v75, v75, 1.0
	v_rcp_f32_e32 v77, v76
	v_div_scale_f32 v78, vcc, 1.0, v75, 1.0
	v_fma_f32 v79, -v76, v77, 1.0
	v_fmac_f32_e32 v77, v79, v77
	v_mul_f32_e32 v79, v78, v77
	v_fma_f32 v80, -v76, v79, v78
	v_fmac_f32_e32 v79, v80, v77
	v_fma_f32 v76, -v76, v79, v78
	v_div_fmas_f32 v76, v76, v77, v79
	v_div_fixup_f32 v75, v76, v75, 1.0
.LBB124_206:
	s_or_b64 exec, exec, s[0:1]
	v_cmp_ne_u32_e32 vcc, v73, v70
	s_and_saveexec_b64 s[0:1], vcc
	s_xor_b64 s[0:1], exec, s[0:1]
	s_cbranch_execz .LBB124_212
; %bb.207:
	v_cmp_eq_u32_e32 vcc, 12, v73
	s_and_saveexec_b64 s[2:3], vcc
	s_cbranch_execz .LBB124_211
; %bb.208:
	v_cmp_ne_u32_e32 vcc, 12, v70
	s_xor_b64 s[12:13], s[20:21], -1
	s_and_b64 s[14:15], s[12:13], vcc
	s_and_saveexec_b64 s[12:13], s[14:15]
	s_cbranch_execz .LBB124_210
; %bb.209:
	v_ashrrev_i32_e32 v71, 31, v70
	v_lshl_add_u64 v[76:77], v[70:71], 2, v[4:5]
	global_load_dword v71, v[76:77], off
	global_load_dword v73, v[4:5], off offset:48
	s_waitcnt vmcnt(1)
	global_store_dword v[4:5], v71, off offset:48
	s_waitcnt vmcnt(1)
	global_store_dword v[76:77], v73, off
.LBB124_210:
	s_or_b64 exec, exec, s[12:13]
	v_mov_b32_e32 v71, v70
	v_mov_b32_e32 v73, v70
.LBB124_211:
	s_or_b64 exec, exec, s[2:3]
.LBB124_212:
	s_andn2_saveexec_b64 s[0:1], s[0:1]
	s_cbranch_execz .LBB124_214
; %bb.213:
	v_mov_b32_e32 v73, 12
	ds_write2_b32 v69, v54, v55 offset0:13 offset1:14
	ds_write2_b32 v69, v52, v53 offset0:15 offset1:16
	;; [unrolled: 1-line block ×25, first 2 shown]
.LBB124_214:
	s_or_b64 exec, exec, s[0:1]
	v_cmp_lt_i32_e32 vcc, 12, v73
	s_waitcnt lgkmcnt(0)
	s_barrier
	s_and_saveexec_b64 s[0:1], vcc
	s_cbranch_execz .LBB124_216
; %bb.215:
	ds_read2_b32 v[76:77], v69 offset0:13 offset1:14
	ds_read2_b32 v[78:79], v69 offset0:15 offset1:16
	;; [unrolled: 1-line block ×3, first 2 shown]
	v_mul_f32_e32 v70, v75, v57
	ds_read2_b32 v[82:83], v69 offset0:19 offset1:20
	s_waitcnt lgkmcnt(3)
	v_pk_fma_f32 v[54:55], v[70:71], v[76:77], v[54:55] op_sel_hi:[0,1,1] neg_lo:[1,0,0] neg_hi:[1,0,0]
	s_waitcnt lgkmcnt(2)
	v_pk_fma_f32 v[52:53], v[70:71], v[78:79], v[52:53] op_sel_hi:[0,1,1] neg_lo:[1,0,0] neg_hi:[1,0,0]
	s_waitcnt lgkmcnt(1)
	v_pk_fma_f32 v[50:51], v[70:71], v[80:81], v[50:51] op_sel_hi:[0,1,1] neg_lo:[1,0,0] neg_hi:[1,0,0]
	ds_read2_b32 v[76:77], v69 offset0:21 offset1:22
	ds_read2_b32 v[78:79], v69 offset0:23 offset1:24
	ds_read2_b32 v[80:81], v69 offset0:25 offset1:26
	s_waitcnt lgkmcnt(3)
	v_pk_fma_f32 v[46:47], v[70:71], v[82:83], v[46:47] op_sel_hi:[0,1,1] neg_lo:[1,0,0] neg_hi:[1,0,0]
	ds_read2_b32 v[82:83], v69 offset0:27 offset1:28
	s_waitcnt lgkmcnt(3)
	v_pk_fma_f32 v[40:41], v[70:71], v[76:77], v[40:41] op_sel_hi:[0,1,1] neg_lo:[1,0,0] neg_hi:[1,0,0]
	s_waitcnt lgkmcnt(2)
	v_pk_fma_f32 v[32:33], v[70:71], v[78:79], v[32:33] op_sel_hi:[0,1,1] neg_lo:[1,0,0] neg_hi:[1,0,0]
	s_waitcnt lgkmcnt(1)
	v_pk_fma_f32 v[48:49], v[70:71], v[80:81], v[48:49] op_sel_hi:[0,1,1] neg_lo:[1,0,0] neg_hi:[1,0,0]
	ds_read2_b32 v[76:77], v69 offset0:29 offset1:30
	ds_read2_b32 v[78:79], v69 offset0:31 offset1:32
	ds_read2_b32 v[80:81], v69 offset0:33 offset1:34
	s_waitcnt lgkmcnt(3)
	v_pk_fma_f32 v[42:43], v[70:71], v[82:83], v[42:43] op_sel_hi:[0,1,1] neg_lo:[1,0,0] neg_hi:[1,0,0]
	;; [unrolled: 12-line block ×3, first 2 shown]
	ds_read2_b32 v[82:83], v69 offset0:43 offset1:44
	s_waitcnt lgkmcnt(3)
	v_pk_fma_f32 v[26:27], v[70:71], v[76:77], v[26:27] op_sel_hi:[0,1,1] neg_lo:[1,0,0] neg_hi:[1,0,0]
	s_waitcnt lgkmcnt(2)
	v_pk_fma_f32 v[18:19], v[70:71], v[78:79], v[18:19] op_sel_hi:[0,1,1] neg_lo:[1,0,0] neg_hi:[1,0,0]
	;; [unrolled: 2-line block ×3, first 2 shown]
	ds_read2_b32 v[76:77], v69 offset0:45 offset1:46
	ds_read2_b32 v[78:79], v69 offset0:47 offset1:48
	;; [unrolled: 1-line block ×4, first 2 shown]
	s_waitcnt lgkmcnt(4)
	v_pk_fma_f32 v[28:29], v[70:71], v[82:83], v[28:29] op_sel_hi:[0,1,1] neg_lo:[1,0,0] neg_hi:[1,0,0]
	s_waitcnt lgkmcnt(3)
	v_pk_fma_f32 v[20:21], v[70:71], v[76:77], v[20:21] op_sel_hi:[0,1,1] neg_lo:[1,0,0] neg_hi:[1,0,0]
	s_waitcnt lgkmcnt(2)
	v_pk_fma_f32 v[12:13], v[70:71], v[78:79], v[12:13] op_sel_hi:[0,1,1] neg_lo:[1,0,0] neg_hi:[1,0,0]
	s_waitcnt lgkmcnt(1)
	v_pk_fma_f32 v[30:31], v[70:71], v[80:81], v[30:31] op_sel_hi:[0,1,1] neg_lo:[1,0,0] neg_hi:[1,0,0]
	s_waitcnt lgkmcnt(0)
	v_pk_fma_f32 v[22:23], v[70:71], v[84:85], v[22:23] op_sel_hi:[0,1,1] neg_lo:[1,0,0] neg_hi:[1,0,0]
	ds_read2_b32 v[76:77], v69 offset0:53 offset1:54
	ds_read2_b32 v[78:79], v69 offset0:55 offset1:56
	;; [unrolled: 1-line block ×5, first 2 shown]
	s_waitcnt lgkmcnt(4)
	v_pk_fma_f32 v[14:15], v[70:71], v[76:77], v[14:15] op_sel_hi:[0,1,1] neg_lo:[1,0,0] neg_hi:[1,0,0]
	s_waitcnt lgkmcnt(3)
	v_pk_fma_f32 v[8:9], v[70:71], v[78:79], v[8:9] op_sel_hi:[0,1,1] neg_lo:[1,0,0] neg_hi:[1,0,0]
	;; [unrolled: 2-line block ×5, first 2 shown]
	v_mov_b32_e32 v57, v70
.LBB124_216:
	s_or_b64 exec, exec, s[0:1]
	v_lshl_add_u32 v70, v73, 2, v69
	s_barrier
	ds_write_b32 v70, v54
	s_waitcnt lgkmcnt(0)
	s_barrier
	ds_read_b32 v75, v69 offset:52
	s_cmp_lt_i32 s22, 15
	v_mov_b32_e32 v70, 13
	s_cbranch_scc1 .LBB124_219
; %bb.217:
	v_add3_u32 v76, v72, 0, 56
	v_mov_b32_e32 v70, 13
	s_mov_b32 s0, 14
.LBB124_218:                            ; =>This Inner Loop Header: Depth=1
	ds_read_b32 v77, v76
	v_mov_b32_e32 v78, s0
	s_add_i32 s0, s0, 1
	v_add_u32_e32 v76, 4, v76
	s_cmp_lg_u32 s22, s0
	s_waitcnt lgkmcnt(0)
	v_cmp_lt_f32_e64 vcc, |v75|, |v77|
	s_nop 1
	v_cndmask_b32_e32 v75, v75, v77, vcc
	v_cndmask_b32_e32 v70, v70, v78, vcc
	s_cbranch_scc1 .LBB124_218
.LBB124_219:
	s_waitcnt lgkmcnt(0)
	v_cmp_eq_f32_e32 vcc, 0, v75
	s_and_saveexec_b64 s[0:1], vcc
	s_xor_b64 s[0:1], exec, s[0:1]
; %bb.220:
	v_cmp_ne_u32_e32 vcc, 0, v74
	s_nop 1
	v_cndmask_b32_e32 v74, 14, v74, vcc
; %bb.221:
	s_andn2_saveexec_b64 s[0:1], s[0:1]
	s_cbranch_execz .LBB124_223
; %bb.222:
	v_div_scale_f32 v76, s[2:3], v75, v75, 1.0
	v_rcp_f32_e32 v77, v76
	v_div_scale_f32 v78, vcc, 1.0, v75, 1.0
	v_fma_f32 v79, -v76, v77, 1.0
	v_fmac_f32_e32 v77, v79, v77
	v_mul_f32_e32 v79, v78, v77
	v_fma_f32 v80, -v76, v79, v78
	v_fmac_f32_e32 v79, v80, v77
	v_fma_f32 v76, -v76, v79, v78
	v_div_fmas_f32 v76, v76, v77, v79
	v_div_fixup_f32 v75, v76, v75, 1.0
.LBB124_223:
	s_or_b64 exec, exec, s[0:1]
	v_cmp_ne_u32_e32 vcc, v73, v70
	s_and_saveexec_b64 s[0:1], vcc
	s_xor_b64 s[0:1], exec, s[0:1]
	s_cbranch_execz .LBB124_229
; %bb.224:
	v_cmp_eq_u32_e32 vcc, 13, v73
	s_and_saveexec_b64 s[2:3], vcc
	s_cbranch_execz .LBB124_228
; %bb.225:
	v_cmp_ne_u32_e32 vcc, 13, v70
	s_xor_b64 s[12:13], s[20:21], -1
	s_and_b64 s[14:15], s[12:13], vcc
	s_and_saveexec_b64 s[12:13], s[14:15]
	s_cbranch_execz .LBB124_227
; %bb.226:
	v_ashrrev_i32_e32 v71, 31, v70
	v_lshl_add_u64 v[76:77], v[70:71], 2, v[4:5]
	global_load_dword v71, v[76:77], off
	global_load_dword v73, v[4:5], off offset:52
	s_waitcnt vmcnt(1)
	global_store_dword v[4:5], v71, off offset:52
	s_waitcnt vmcnt(1)
	global_store_dword v[76:77], v73, off
.LBB124_227:
	s_or_b64 exec, exec, s[12:13]
	v_mov_b32_e32 v71, v70
	v_mov_b32_e32 v73, v70
.LBB124_228:
	s_or_b64 exec, exec, s[2:3]
.LBB124_229:
	s_andn2_saveexec_b64 s[0:1], s[0:1]
	s_cbranch_execz .LBB124_231
; %bb.230:
	v_pk_mov_b32 v[76:77], v[54:55], v[52:53] op_sel:[1,0]
	ds_write2_b32 v69, v76, v77 offset0:14 offset1:15
	v_pk_mov_b32 v[76:77], v[52:53], v[50:51] op_sel:[1,0]
	ds_write2_b32 v69, v76, v77 offset0:16 offset1:17
	;; [unrolled: 2-line block ×23, first 2 shown]
	v_pk_mov_b32 v[76:77], v[16:17], v[10:11] op_sel:[1,0]
	v_mov_b32_e32 v73, 13
	ds_write2_b32 v69, v76, v77 offset0:60 offset1:61
	ds_write_b32 v69, v11 offset:248
.LBB124_231:
	s_or_b64 exec, exec, s[0:1]
	v_cmp_lt_i32_e32 vcc, 13, v73
	s_waitcnt lgkmcnt(0)
	s_barrier
	s_and_saveexec_b64 s[0:1], vcc
	s_cbranch_execz .LBB124_233
; %bb.232:
	ds_read_b32 v70, v69 offset:56
	ds_read2_b32 v[76:77], v69 offset0:15 offset1:16
	ds_read2_b32 v[78:79], v69 offset0:17 offset1:18
	v_mul_f32_e32 v54, v75, v54
	ds_read2_b32 v[80:81], v69 offset0:19 offset1:20
	s_waitcnt lgkmcnt(3)
	v_fma_f32 v55, -v54, v70, v55
	s_waitcnt lgkmcnt(2)
	v_pk_fma_f32 v[52:53], v[54:55], v[76:77], v[52:53] op_sel_hi:[0,1,1] neg_lo:[1,0,0] neg_hi:[1,0,0]
	s_waitcnt lgkmcnt(1)
	v_pk_fma_f32 v[50:51], v[54:55], v[78:79], v[50:51] op_sel_hi:[0,1,1] neg_lo:[1,0,0] neg_hi:[1,0,0]
	ds_read2_b32 v[76:77], v69 offset0:21 offset1:22
	ds_read2_b32 v[78:79], v69 offset0:23 offset1:24
	ds_read2_b32 v[82:83], v69 offset0:25 offset1:26
	s_waitcnt lgkmcnt(3)
	v_pk_fma_f32 v[46:47], v[54:55], v[80:81], v[46:47] op_sel_hi:[0,1,1] neg_lo:[1,0,0] neg_hi:[1,0,0]
	ds_read2_b32 v[80:81], v69 offset0:27 offset1:28
	s_waitcnt lgkmcnt(3)
	v_pk_fma_f32 v[40:41], v[54:55], v[76:77], v[40:41] op_sel_hi:[0,1,1] neg_lo:[1,0,0] neg_hi:[1,0,0]
	s_waitcnt lgkmcnt(2)
	v_pk_fma_f32 v[32:33], v[54:55], v[78:79], v[32:33] op_sel_hi:[0,1,1] neg_lo:[1,0,0] neg_hi:[1,0,0]
	s_waitcnt lgkmcnt(1)
	v_pk_fma_f32 v[48:49], v[54:55], v[82:83], v[48:49] op_sel_hi:[0,1,1] neg_lo:[1,0,0] neg_hi:[1,0,0]
	ds_read2_b32 v[76:77], v69 offset0:29 offset1:30
	ds_read2_b32 v[78:79], v69 offset0:31 offset1:32
	ds_read2_b32 v[82:83], v69 offset0:33 offset1:34
	s_waitcnt lgkmcnt(3)
	v_pk_fma_f32 v[42:43], v[54:55], v[80:81], v[42:43] op_sel_hi:[0,1,1] neg_lo:[1,0,0] neg_hi:[1,0,0]
	ds_read2_b32 v[80:81], v69 offset0:35 offset1:36
	s_waitcnt lgkmcnt(3)
	v_pk_fma_f32 v[34:35], v[54:55], v[76:77], v[34:35] op_sel_hi:[0,1,1] neg_lo:[1,0,0] neg_hi:[1,0,0]
	s_waitcnt lgkmcnt(2)
	v_pk_fma_f32 v[24:25], v[54:55], v[78:79], v[24:25] op_sel_hi:[0,1,1] neg_lo:[1,0,0] neg_hi:[1,0,0]
	s_waitcnt lgkmcnt(1)
	v_pk_fma_f32 v[44:45], v[54:55], v[82:83], v[44:45] op_sel_hi:[0,1,1] neg_lo:[1,0,0] neg_hi:[1,0,0]
	ds_read2_b32 v[76:77], v69 offset0:37 offset1:38
	ds_read2_b32 v[78:79], v69 offset0:39 offset1:40
	ds_read2_b32 v[82:83], v69 offset0:41 offset1:42
	s_waitcnt lgkmcnt(3)
	v_pk_fma_f32 v[36:37], v[54:55], v[80:81], v[36:37] op_sel_hi:[0,1,1] neg_lo:[1,0,0] neg_hi:[1,0,0]
	ds_read2_b32 v[80:81], v69 offset0:43 offset1:44
	s_waitcnt lgkmcnt(3)
	v_pk_fma_f32 v[26:27], v[54:55], v[76:77], v[26:27] op_sel_hi:[0,1,1] neg_lo:[1,0,0] neg_hi:[1,0,0]
	s_waitcnt lgkmcnt(2)
	v_pk_fma_f32 v[18:19], v[54:55], v[78:79], v[18:19] op_sel_hi:[0,1,1] neg_lo:[1,0,0] neg_hi:[1,0,0]
	s_waitcnt lgkmcnt(1)
	v_pk_fma_f32 v[38:39], v[54:55], v[82:83], v[38:39] op_sel_hi:[0,1,1] neg_lo:[1,0,0] neg_hi:[1,0,0]
	ds_read2_b32 v[76:77], v69 offset0:45 offset1:46
	ds_read2_b32 v[78:79], v69 offset0:47 offset1:48
	;; [unrolled: 1-line block ×4, first 2 shown]
	s_waitcnt lgkmcnt(4)
	v_pk_fma_f32 v[28:29], v[54:55], v[80:81], v[28:29] op_sel_hi:[0,1,1] neg_lo:[1,0,0] neg_hi:[1,0,0]
	s_waitcnt lgkmcnt(3)
	v_pk_fma_f32 v[20:21], v[54:55], v[76:77], v[20:21] op_sel_hi:[0,1,1] neg_lo:[1,0,0] neg_hi:[1,0,0]
	;; [unrolled: 2-line block ×5, first 2 shown]
	ds_read2_b32 v[76:77], v69 offset0:53 offset1:54
	ds_read2_b32 v[78:79], v69 offset0:55 offset1:56
	;; [unrolled: 1-line block ×5, first 2 shown]
	s_waitcnt lgkmcnt(4)
	v_pk_fma_f32 v[14:15], v[54:55], v[76:77], v[14:15] op_sel_hi:[0,1,1] neg_lo:[1,0,0] neg_hi:[1,0,0]
	s_waitcnt lgkmcnt(3)
	v_pk_fma_f32 v[8:9], v[54:55], v[78:79], v[8:9] op_sel_hi:[0,1,1] neg_lo:[1,0,0] neg_hi:[1,0,0]
	;; [unrolled: 2-line block ×5, first 2 shown]
.LBB124_233:
	s_or_b64 exec, exec, s[0:1]
	v_lshl_add_u32 v70, v73, 2, v69
	s_barrier
	ds_write_b32 v70, v55
	s_waitcnt lgkmcnt(0)
	s_barrier
	ds_read_b32 v75, v69 offset:56
	s_cmp_lt_i32 s22, 16
	v_mov_b32_e32 v70, 14
	s_cbranch_scc1 .LBB124_236
; %bb.234:
	v_add3_u32 v76, v72, 0, 60
	v_mov_b32_e32 v70, 14
	s_mov_b32 s0, 15
.LBB124_235:                            ; =>This Inner Loop Header: Depth=1
	ds_read_b32 v77, v76
	v_mov_b32_e32 v78, s0
	s_add_i32 s0, s0, 1
	v_add_u32_e32 v76, 4, v76
	s_cmp_lg_u32 s22, s0
	s_waitcnt lgkmcnt(0)
	v_cmp_lt_f32_e64 vcc, |v75|, |v77|
	s_nop 1
	v_cndmask_b32_e32 v75, v75, v77, vcc
	v_cndmask_b32_e32 v70, v70, v78, vcc
	s_cbranch_scc1 .LBB124_235
.LBB124_236:
	s_waitcnt lgkmcnt(0)
	v_cmp_eq_f32_e32 vcc, 0, v75
	s_and_saveexec_b64 s[0:1], vcc
	s_xor_b64 s[0:1], exec, s[0:1]
; %bb.237:
	v_cmp_ne_u32_e32 vcc, 0, v74
	s_nop 1
	v_cndmask_b32_e32 v74, 15, v74, vcc
; %bb.238:
	s_andn2_saveexec_b64 s[0:1], s[0:1]
	s_cbranch_execz .LBB124_240
; %bb.239:
	v_div_scale_f32 v76, s[2:3], v75, v75, 1.0
	v_rcp_f32_e32 v77, v76
	v_div_scale_f32 v78, vcc, 1.0, v75, 1.0
	v_fma_f32 v79, -v76, v77, 1.0
	v_fmac_f32_e32 v77, v79, v77
	v_mul_f32_e32 v79, v78, v77
	v_fma_f32 v80, -v76, v79, v78
	v_fmac_f32_e32 v79, v80, v77
	v_fma_f32 v76, -v76, v79, v78
	v_div_fmas_f32 v76, v76, v77, v79
	v_div_fixup_f32 v75, v76, v75, 1.0
.LBB124_240:
	s_or_b64 exec, exec, s[0:1]
	v_cmp_ne_u32_e32 vcc, v73, v70
	s_and_saveexec_b64 s[0:1], vcc
	s_xor_b64 s[0:1], exec, s[0:1]
	s_cbranch_execz .LBB124_246
; %bb.241:
	v_cmp_eq_u32_e32 vcc, 14, v73
	s_and_saveexec_b64 s[2:3], vcc
	s_cbranch_execz .LBB124_245
; %bb.242:
	v_cmp_ne_u32_e32 vcc, 14, v70
	s_xor_b64 s[12:13], s[20:21], -1
	s_and_b64 s[14:15], s[12:13], vcc
	s_and_saveexec_b64 s[12:13], s[14:15]
	s_cbranch_execz .LBB124_244
; %bb.243:
	v_ashrrev_i32_e32 v71, 31, v70
	v_lshl_add_u64 v[76:77], v[70:71], 2, v[4:5]
	global_load_dword v71, v[76:77], off
	global_load_dword v73, v[4:5], off offset:56
	s_waitcnt vmcnt(1)
	global_store_dword v[4:5], v71, off offset:56
	s_waitcnt vmcnt(1)
	global_store_dword v[76:77], v73, off
.LBB124_244:
	s_or_b64 exec, exec, s[12:13]
	v_mov_b32_e32 v71, v70
	v_mov_b32_e32 v73, v70
.LBB124_245:
	s_or_b64 exec, exec, s[2:3]
.LBB124_246:
	s_andn2_saveexec_b64 s[0:1], s[0:1]
	s_cbranch_execz .LBB124_248
; %bb.247:
	v_mov_b32_e32 v73, 14
	ds_write2_b32 v69, v52, v53 offset0:15 offset1:16
	ds_write2_b32 v69, v50, v51 offset0:17 offset1:18
	;; [unrolled: 1-line block ×24, first 2 shown]
.LBB124_248:
	s_or_b64 exec, exec, s[0:1]
	v_cmp_lt_i32_e32 vcc, 14, v73
	s_waitcnt lgkmcnt(0)
	s_barrier
	s_and_saveexec_b64 s[0:1], vcc
	s_cbranch_execz .LBB124_250
; %bb.249:
	ds_read2_b32 v[76:77], v69 offset0:15 offset1:16
	ds_read2_b32 v[78:79], v69 offset0:17 offset1:18
	;; [unrolled: 1-line block ×3, first 2 shown]
	v_mul_f32_e32 v70, v75, v55
	ds_read2_b32 v[82:83], v69 offset0:21 offset1:22
	s_waitcnt lgkmcnt(3)
	v_pk_fma_f32 v[52:53], v[70:71], v[76:77], v[52:53] op_sel_hi:[0,1,1] neg_lo:[1,0,0] neg_hi:[1,0,0]
	s_waitcnt lgkmcnt(2)
	v_pk_fma_f32 v[50:51], v[70:71], v[78:79], v[50:51] op_sel_hi:[0,1,1] neg_lo:[1,0,0] neg_hi:[1,0,0]
	s_waitcnt lgkmcnt(1)
	v_pk_fma_f32 v[46:47], v[70:71], v[80:81], v[46:47] op_sel_hi:[0,1,1] neg_lo:[1,0,0] neg_hi:[1,0,0]
	ds_read2_b32 v[76:77], v69 offset0:23 offset1:24
	ds_read2_b32 v[78:79], v69 offset0:25 offset1:26
	ds_read2_b32 v[80:81], v69 offset0:27 offset1:28
	s_waitcnt lgkmcnt(3)
	v_pk_fma_f32 v[40:41], v[70:71], v[82:83], v[40:41] op_sel_hi:[0,1,1] neg_lo:[1,0,0] neg_hi:[1,0,0]
	ds_read2_b32 v[82:83], v69 offset0:29 offset1:30
	s_waitcnt lgkmcnt(3)
	v_pk_fma_f32 v[32:33], v[70:71], v[76:77], v[32:33] op_sel_hi:[0,1,1] neg_lo:[1,0,0] neg_hi:[1,0,0]
	s_waitcnt lgkmcnt(2)
	v_pk_fma_f32 v[48:49], v[70:71], v[78:79], v[48:49] op_sel_hi:[0,1,1] neg_lo:[1,0,0] neg_hi:[1,0,0]
	s_waitcnt lgkmcnt(1)
	v_pk_fma_f32 v[42:43], v[70:71], v[80:81], v[42:43] op_sel_hi:[0,1,1] neg_lo:[1,0,0] neg_hi:[1,0,0]
	ds_read2_b32 v[76:77], v69 offset0:31 offset1:32
	ds_read2_b32 v[78:79], v69 offset0:33 offset1:34
	ds_read2_b32 v[80:81], v69 offset0:35 offset1:36
	s_waitcnt lgkmcnt(3)
	v_pk_fma_f32 v[34:35], v[70:71], v[82:83], v[34:35] op_sel_hi:[0,1,1] neg_lo:[1,0,0] neg_hi:[1,0,0]
	;; [unrolled: 12-line block ×4, first 2 shown]
	ds_read2_b32 v[82:83], v69 offset0:53 offset1:54
	s_waitcnt lgkmcnt(3)
	v_pk_fma_f32 v[12:13], v[70:71], v[76:77], v[12:13] op_sel_hi:[0,1,1] neg_lo:[1,0,0] neg_hi:[1,0,0]
	s_waitcnt lgkmcnt(2)
	v_pk_fma_f32 v[30:31], v[70:71], v[78:79], v[30:31] op_sel_hi:[0,1,1] neg_lo:[1,0,0] neg_hi:[1,0,0]
	;; [unrolled: 2-line block ×3, first 2 shown]
	ds_read2_b32 v[76:77], v69 offset0:55 offset1:56
	ds_read2_b32 v[78:79], v69 offset0:57 offset1:58
	;; [unrolled: 1-line block ×4, first 2 shown]
	s_waitcnt lgkmcnt(4)
	v_pk_fma_f32 v[14:15], v[70:71], v[82:83], v[14:15] op_sel_hi:[0,1,1] neg_lo:[1,0,0] neg_hi:[1,0,0]
	s_waitcnt lgkmcnt(3)
	v_pk_fma_f32 v[8:9], v[70:71], v[76:77], v[8:9] op_sel_hi:[0,1,1] neg_lo:[1,0,0] neg_hi:[1,0,0]
	;; [unrolled: 2-line block ×5, first 2 shown]
	v_mov_b32_e32 v55, v70
.LBB124_250:
	s_or_b64 exec, exec, s[0:1]
	v_lshl_add_u32 v70, v73, 2, v69
	s_barrier
	ds_write_b32 v70, v52
	s_waitcnt lgkmcnt(0)
	s_barrier
	ds_read_b32 v75, v69 offset:60
	s_cmp_lt_i32 s22, 17
	v_mov_b32_e32 v70, 15
	s_cbranch_scc1 .LBB124_253
; %bb.251:
	v_add3_u32 v72, v72, 0, 64
	v_mov_b32_e32 v70, 15
	s_mov_b32 s0, 16
.LBB124_252:                            ; =>This Inner Loop Header: Depth=1
	ds_read_b32 v76, v72
	v_mov_b32_e32 v77, s0
	s_add_i32 s0, s0, 1
	v_add_u32_e32 v72, 4, v72
	s_cmp_lg_u32 s22, s0
	s_waitcnt lgkmcnt(0)
	v_cmp_lt_f32_e64 vcc, |v75|, |v76|
	s_nop 1
	v_cndmask_b32_e32 v75, v75, v76, vcc
	v_cndmask_b32_e32 v70, v70, v77, vcc
	s_cbranch_scc1 .LBB124_252
.LBB124_253:
	s_waitcnt lgkmcnt(0)
	v_cmp_eq_f32_e32 vcc, 0, v75
	s_and_saveexec_b64 s[0:1], vcc
	s_xor_b64 s[0:1], exec, s[0:1]
; %bb.254:
	v_cmp_ne_u32_e32 vcc, 0, v74
	s_nop 1
	v_cndmask_b32_e32 v74, 16, v74, vcc
; %bb.255:
	s_andn2_saveexec_b64 s[0:1], s[0:1]
	s_cbranch_execz .LBB124_257
; %bb.256:
	v_div_scale_f32 v72, s[2:3], v75, v75, 1.0
	v_rcp_f32_e32 v76, v72
	v_div_scale_f32 v77, vcc, 1.0, v75, 1.0
	v_fma_f32 v78, -v72, v76, 1.0
	v_fmac_f32_e32 v76, v78, v76
	v_mul_f32_e32 v78, v77, v76
	v_fma_f32 v79, -v72, v78, v77
	v_fmac_f32_e32 v78, v79, v76
	v_fma_f32 v72, -v72, v78, v77
	v_div_fmas_f32 v72, v72, v76, v78
	v_div_fixup_f32 v75, v72, v75, 1.0
.LBB124_257:
	s_or_b64 exec, exec, s[0:1]
	v_cmp_ne_u32_e32 vcc, v73, v70
	s_and_saveexec_b64 s[0:1], vcc
	s_xor_b64 s[0:1], exec, s[0:1]
	s_cbranch_execz .LBB124_263
; %bb.258:
	v_cmp_eq_u32_e32 vcc, 15, v73
	s_and_saveexec_b64 s[2:3], vcc
	s_cbranch_execz .LBB124_262
; %bb.259:
	v_cmp_ne_u32_e32 vcc, 15, v70
	s_xor_b64 s[12:13], s[20:21], -1
	s_and_b64 s[14:15], s[12:13], vcc
	s_and_saveexec_b64 s[12:13], s[14:15]
	s_cbranch_execz .LBB124_261
; %bb.260:
	v_ashrrev_i32_e32 v71, 31, v70
	v_lshl_add_u64 v[72:73], v[70:71], 2, v[4:5]
	global_load_dword v71, v[72:73], off
	global_load_dword v76, v[4:5], off offset:60
	s_waitcnt vmcnt(1)
	global_store_dword v[4:5], v71, off offset:60
	s_waitcnt vmcnt(1)
	global_store_dword v[72:73], v76, off
.LBB124_261:
	s_or_b64 exec, exec, s[12:13]
	v_mov_b32_e32 v71, v70
	v_mov_b32_e32 v73, v70
.LBB124_262:
	s_or_b64 exec, exec, s[2:3]
.LBB124_263:
	s_andn2_saveexec_b64 s[0:1], s[0:1]
	s_cbranch_execz .LBB124_265
; %bb.264:
	v_pk_mov_b32 v[72:73], v[52:53], v[50:51] op_sel:[1,0]
	ds_write2_b32 v69, v72, v73 offset0:16 offset1:17
	v_pk_mov_b32 v[72:73], v[50:51], v[46:47] op_sel:[1,0]
	ds_write2_b32 v69, v72, v73 offset0:18 offset1:19
	;; [unrolled: 2-line block ×23, first 2 shown]
	ds_write_b32 v69, v11 offset:248
	v_mov_b32_e32 v73, 15
.LBB124_265:
	s_or_b64 exec, exec, s[0:1]
	v_cmp_lt_i32_e32 vcc, 15, v73
	s_waitcnt lgkmcnt(0)
	s_barrier
	s_and_saveexec_b64 s[0:1], vcc
	s_cbranch_execz .LBB124_267
; %bb.266:
	ds_read_b32 v70, v69 offset:64
	ds_read2_b32 v[76:77], v69 offset0:17 offset1:18
	ds_read2_b32 v[78:79], v69 offset0:19 offset1:20
	v_mul_f32_e32 v52, v75, v52
	ds_read2_b32 v[80:81], v69 offset0:21 offset1:22
	s_waitcnt lgkmcnt(3)
	v_fma_f32 v53, -v52, v70, v53
	s_waitcnt lgkmcnt(2)
	v_pk_fma_f32 v[50:51], v[52:53], v[76:77], v[50:51] op_sel_hi:[0,1,1] neg_lo:[1,0,0] neg_hi:[1,0,0]
	s_waitcnt lgkmcnt(1)
	v_pk_fma_f32 v[46:47], v[52:53], v[78:79], v[46:47] op_sel_hi:[0,1,1] neg_lo:[1,0,0] neg_hi:[1,0,0]
	ds_read2_b32 v[76:77], v69 offset0:23 offset1:24
	ds_read2_b32 v[78:79], v69 offset0:25 offset1:26
	ds_read2_b32 v[82:83], v69 offset0:27 offset1:28
	s_waitcnt lgkmcnt(3)
	v_pk_fma_f32 v[40:41], v[52:53], v[80:81], v[40:41] op_sel_hi:[0,1,1] neg_lo:[1,0,0] neg_hi:[1,0,0]
	ds_read2_b32 v[80:81], v69 offset0:29 offset1:30
	s_waitcnt lgkmcnt(3)
	v_pk_fma_f32 v[32:33], v[52:53], v[76:77], v[32:33] op_sel_hi:[0,1,1] neg_lo:[1,0,0] neg_hi:[1,0,0]
	s_waitcnt lgkmcnt(2)
	v_pk_fma_f32 v[48:49], v[52:53], v[78:79], v[48:49] op_sel_hi:[0,1,1] neg_lo:[1,0,0] neg_hi:[1,0,0]
	s_waitcnt lgkmcnt(1)
	v_pk_fma_f32 v[42:43], v[52:53], v[82:83], v[42:43] op_sel_hi:[0,1,1] neg_lo:[1,0,0] neg_hi:[1,0,0]
	ds_read2_b32 v[76:77], v69 offset0:31 offset1:32
	ds_read2_b32 v[78:79], v69 offset0:33 offset1:34
	ds_read2_b32 v[82:83], v69 offset0:35 offset1:36
	s_waitcnt lgkmcnt(3)
	v_pk_fma_f32 v[34:35], v[52:53], v[80:81], v[34:35] op_sel_hi:[0,1,1] neg_lo:[1,0,0] neg_hi:[1,0,0]
	ds_read2_b32 v[80:81], v69 offset0:37 offset1:38
	s_waitcnt lgkmcnt(3)
	v_pk_fma_f32 v[24:25], v[52:53], v[76:77], v[24:25] op_sel_hi:[0,1,1] neg_lo:[1,0,0] neg_hi:[1,0,0]
	;; [unrolled: 12-line block ×4, first 2 shown]
	s_waitcnt lgkmcnt(2)
	v_pk_fma_f32 v[30:31], v[52:53], v[78:79], v[30:31] op_sel_hi:[0,1,1] neg_lo:[1,0,0] neg_hi:[1,0,0]
	s_waitcnt lgkmcnt(1)
	v_pk_fma_f32 v[22:23], v[52:53], v[82:83], v[22:23] op_sel_hi:[0,1,1] neg_lo:[1,0,0] neg_hi:[1,0,0]
	ds_read2_b32 v[76:77], v69 offset0:55 offset1:56
	ds_read2_b32 v[78:79], v69 offset0:57 offset1:58
	;; [unrolled: 1-line block ×4, first 2 shown]
	s_waitcnt lgkmcnt(4)
	v_pk_fma_f32 v[14:15], v[52:53], v[80:81], v[14:15] op_sel_hi:[0,1,1] neg_lo:[1,0,0] neg_hi:[1,0,0]
	s_waitcnt lgkmcnt(3)
	v_pk_fma_f32 v[8:9], v[52:53], v[76:77], v[8:9] op_sel_hi:[0,1,1] neg_lo:[1,0,0] neg_hi:[1,0,0]
	;; [unrolled: 2-line block ×5, first 2 shown]
.LBB124_267:
	s_or_b64 exec, exec, s[0:1]
	v_lshl_add_u32 v70, v73, 2, v69
	s_barrier
	ds_write_b32 v70, v53
	s_waitcnt lgkmcnt(0)
	s_barrier
	ds_read_b32 v72, v69 offset:64
	s_cmp_lt_i32 s22, 18
	v_mov_b32_e32 v70, 16
	s_cbranch_scc1 .LBB124_270
; %bb.268:
	v_add_u32_e32 v75, 0x44, v69
	v_mov_b32_e32 v70, 16
	s_mov_b32 s0, 17
.LBB124_269:                            ; =>This Inner Loop Header: Depth=1
	ds_read_b32 v76, v75
	v_mov_b32_e32 v77, s0
	s_add_i32 s0, s0, 1
	v_add_u32_e32 v75, 4, v75
	s_cmp_lg_u32 s22, s0
	s_waitcnt lgkmcnt(0)
	v_cmp_lt_f32_e64 vcc, |v72|, |v76|
	s_nop 1
	v_cndmask_b32_e32 v72, v72, v76, vcc
	v_cndmask_b32_e32 v70, v70, v77, vcc
	s_cbranch_scc1 .LBB124_269
.LBB124_270:
	s_waitcnt lgkmcnt(0)
	v_cmp_eq_f32_e32 vcc, 0, v72
	s_and_saveexec_b64 s[0:1], vcc
	s_xor_b64 s[0:1], exec, s[0:1]
; %bb.271:
	v_cmp_ne_u32_e32 vcc, 0, v74
	s_nop 1
	v_cndmask_b32_e32 v74, 17, v74, vcc
; %bb.272:
	s_andn2_saveexec_b64 s[0:1], s[0:1]
	s_cbranch_execz .LBB124_274
; %bb.273:
	v_div_scale_f32 v75, s[2:3], v72, v72, 1.0
	v_rcp_f32_e32 v76, v75
	v_div_scale_f32 v77, vcc, 1.0, v72, 1.0
	v_fma_f32 v78, -v75, v76, 1.0
	v_fmac_f32_e32 v76, v78, v76
	v_mul_f32_e32 v78, v77, v76
	v_fma_f32 v79, -v75, v78, v77
	v_fmac_f32_e32 v78, v79, v76
	v_fma_f32 v75, -v75, v78, v77
	v_div_fmas_f32 v75, v75, v76, v78
	v_div_fixup_f32 v72, v75, v72, 1.0
.LBB124_274:
	s_or_b64 exec, exec, s[0:1]
	v_cmp_ne_u32_e32 vcc, v73, v70
	s_and_saveexec_b64 s[0:1], vcc
	s_xor_b64 s[0:1], exec, s[0:1]
	s_cbranch_execz .LBB124_280
; %bb.275:
	v_cmp_eq_u32_e32 vcc, 16, v73
	s_and_saveexec_b64 s[2:3], vcc
	s_cbranch_execz .LBB124_279
; %bb.276:
	v_cmp_ne_u32_e32 vcc, 16, v70
	s_xor_b64 s[12:13], s[20:21], -1
	s_and_b64 s[14:15], s[12:13], vcc
	s_and_saveexec_b64 s[12:13], s[14:15]
	s_cbranch_execz .LBB124_278
; %bb.277:
	v_ashrrev_i32_e32 v71, 31, v70
	v_lshl_add_u64 v[76:77], v[70:71], 2, v[4:5]
	global_load_dword v71, v[76:77], off
	global_load_dword v73, v[4:5], off offset:64
	s_waitcnt vmcnt(1)
	global_store_dword v[4:5], v71, off offset:64
	s_waitcnt vmcnt(1)
	global_store_dword v[76:77], v73, off
.LBB124_278:
	s_or_b64 exec, exec, s[12:13]
	v_mov_b32_e32 v71, v70
	v_mov_b32_e32 v73, v70
.LBB124_279:
	s_or_b64 exec, exec, s[2:3]
.LBB124_280:
	s_andn2_saveexec_b64 s[0:1], s[0:1]
	s_cbranch_execz .LBB124_282
; %bb.281:
	v_mov_b32_e32 v73, 16
	ds_write2_b32 v69, v50, v51 offset0:17 offset1:18
	ds_write2_b32 v69, v46, v47 offset0:19 offset1:20
	;; [unrolled: 1-line block ×23, first 2 shown]
.LBB124_282:
	s_or_b64 exec, exec, s[0:1]
	v_cmp_lt_i32_e32 vcc, 16, v73
	s_waitcnt lgkmcnt(0)
	s_barrier
	s_and_saveexec_b64 s[0:1], vcc
	s_cbranch_execz .LBB124_284
; %bb.283:
	ds_read2_b32 v[76:77], v69 offset0:17 offset1:18
	ds_read2_b32 v[78:79], v69 offset0:19 offset1:20
	;; [unrolled: 1-line block ×3, first 2 shown]
	v_mul_f32_e32 v70, v72, v53
	ds_read2_b32 v[82:83], v69 offset0:23 offset1:24
	s_waitcnt lgkmcnt(3)
	v_pk_fma_f32 v[50:51], v[70:71], v[76:77], v[50:51] op_sel_hi:[0,1,1] neg_lo:[1,0,0] neg_hi:[1,0,0]
	s_waitcnt lgkmcnt(2)
	v_pk_fma_f32 v[46:47], v[70:71], v[78:79], v[46:47] op_sel_hi:[0,1,1] neg_lo:[1,0,0] neg_hi:[1,0,0]
	s_waitcnt lgkmcnt(1)
	v_pk_fma_f32 v[40:41], v[70:71], v[80:81], v[40:41] op_sel_hi:[0,1,1] neg_lo:[1,0,0] neg_hi:[1,0,0]
	ds_read2_b32 v[76:77], v69 offset0:25 offset1:26
	ds_read2_b32 v[78:79], v69 offset0:27 offset1:28
	ds_read2_b32 v[80:81], v69 offset0:29 offset1:30
	s_waitcnt lgkmcnt(3)
	v_pk_fma_f32 v[32:33], v[70:71], v[82:83], v[32:33] op_sel_hi:[0,1,1] neg_lo:[1,0,0] neg_hi:[1,0,0]
	ds_read2_b32 v[82:83], v69 offset0:31 offset1:32
	s_waitcnt lgkmcnt(3)
	v_pk_fma_f32 v[48:49], v[70:71], v[76:77], v[48:49] op_sel_hi:[0,1,1] neg_lo:[1,0,0] neg_hi:[1,0,0]
	s_waitcnt lgkmcnt(2)
	v_pk_fma_f32 v[42:43], v[70:71], v[78:79], v[42:43] op_sel_hi:[0,1,1] neg_lo:[1,0,0] neg_hi:[1,0,0]
	s_waitcnt lgkmcnt(1)
	v_pk_fma_f32 v[34:35], v[70:71], v[80:81], v[34:35] op_sel_hi:[0,1,1] neg_lo:[1,0,0] neg_hi:[1,0,0]
	ds_read2_b32 v[76:77], v69 offset0:33 offset1:34
	ds_read2_b32 v[78:79], v69 offset0:35 offset1:36
	ds_read2_b32 v[80:81], v69 offset0:37 offset1:38
	s_waitcnt lgkmcnt(3)
	v_pk_fma_f32 v[24:25], v[70:71], v[82:83], v[24:25] op_sel_hi:[0,1,1] neg_lo:[1,0,0] neg_hi:[1,0,0]
	;; [unrolled: 12-line block ×3, first 2 shown]
	ds_read2_b32 v[82:83], v69 offset0:47 offset1:48
	s_waitcnt lgkmcnt(3)
	v_pk_fma_f32 v[38:39], v[70:71], v[76:77], v[38:39] op_sel_hi:[0,1,1] neg_lo:[1,0,0] neg_hi:[1,0,0]
	s_waitcnt lgkmcnt(2)
	v_pk_fma_f32 v[28:29], v[70:71], v[78:79], v[28:29] op_sel_hi:[0,1,1] neg_lo:[1,0,0] neg_hi:[1,0,0]
	ds_read2_b32 v[76:77], v69 offset0:49 offset1:50
	ds_read2_b32 v[78:79], v69 offset0:51 offset1:52
	s_waitcnt lgkmcnt(3)
	v_pk_fma_f32 v[20:21], v[70:71], v[80:81], v[20:21] op_sel_hi:[0,1,1] neg_lo:[1,0,0] neg_hi:[1,0,0]
	s_waitcnt lgkmcnt(2)
	v_pk_fma_f32 v[12:13], v[70:71], v[82:83], v[12:13] op_sel_hi:[0,1,1] neg_lo:[1,0,0] neg_hi:[1,0,0]
	ds_read2_b32 v[80:81], v69 offset0:53 offset1:54
	;; [unrolled: 6-line block ×3, first 2 shown]
	ds_read2_b32 v[78:79], v69 offset0:59 offset1:60
	ds_read2_b32 v[84:85], v69 offset0:61 offset1:62
	s_waitcnt lgkmcnt(4)
	v_pk_fma_f32 v[14:15], v[70:71], v[80:81], v[14:15] op_sel_hi:[0,1,1] neg_lo:[1,0,0] neg_hi:[1,0,0]
	s_waitcnt lgkmcnt(3)
	v_pk_fma_f32 v[8:9], v[70:71], v[82:83], v[8:9] op_sel_hi:[0,1,1] neg_lo:[1,0,0] neg_hi:[1,0,0]
	s_waitcnt lgkmcnt(2)
	v_pk_fma_f32 v[0:1], v[70:71], v[76:77], v[0:1] op_sel_hi:[0,1,1] neg_lo:[1,0,0] neg_hi:[1,0,0]
	s_waitcnt lgkmcnt(1)
	v_pk_fma_f32 v[16:17], v[70:71], v[78:79], v[16:17] op_sel_hi:[0,1,1] neg_lo:[1,0,0] neg_hi:[1,0,0]
	s_waitcnt lgkmcnt(0)
	v_pk_fma_f32 v[10:11], v[70:71], v[84:85], v[10:11] op_sel_hi:[0,1,1] neg_lo:[1,0,0] neg_hi:[1,0,0]
	v_mov_b32_e32 v53, v70
.LBB124_284:
	s_or_b64 exec, exec, s[0:1]
	v_lshl_add_u32 v70, v73, 2, v69
	s_barrier
	ds_write_b32 v70, v50
	s_waitcnt lgkmcnt(0)
	s_barrier
	ds_read_b32 v72, v69 offset:68
	s_cmp_lt_i32 s22, 19
	v_mov_b32_e32 v70, 17
	s_cbranch_scc1 .LBB124_287
; %bb.285:
	v_add_u32_e32 v75, 0x48, v69
	v_mov_b32_e32 v70, 17
	s_mov_b32 s0, 18
.LBB124_286:                            ; =>This Inner Loop Header: Depth=1
	ds_read_b32 v76, v75
	v_mov_b32_e32 v77, s0
	s_add_i32 s0, s0, 1
	v_add_u32_e32 v75, 4, v75
	s_cmp_lg_u32 s22, s0
	s_waitcnt lgkmcnt(0)
	v_cmp_lt_f32_e64 vcc, |v72|, |v76|
	s_nop 1
	v_cndmask_b32_e32 v72, v72, v76, vcc
	v_cndmask_b32_e32 v70, v70, v77, vcc
	s_cbranch_scc1 .LBB124_286
.LBB124_287:
	s_waitcnt lgkmcnt(0)
	v_cmp_eq_f32_e32 vcc, 0, v72
	s_and_saveexec_b64 s[0:1], vcc
	s_xor_b64 s[0:1], exec, s[0:1]
; %bb.288:
	v_cmp_ne_u32_e32 vcc, 0, v74
	s_nop 1
	v_cndmask_b32_e32 v74, 18, v74, vcc
; %bb.289:
	s_andn2_saveexec_b64 s[0:1], s[0:1]
	s_cbranch_execz .LBB124_291
; %bb.290:
	v_div_scale_f32 v75, s[2:3], v72, v72, 1.0
	v_rcp_f32_e32 v76, v75
	v_div_scale_f32 v77, vcc, 1.0, v72, 1.0
	v_fma_f32 v78, -v75, v76, 1.0
	v_fmac_f32_e32 v76, v78, v76
	v_mul_f32_e32 v78, v77, v76
	v_fma_f32 v79, -v75, v78, v77
	v_fmac_f32_e32 v78, v79, v76
	v_fma_f32 v75, -v75, v78, v77
	v_div_fmas_f32 v75, v75, v76, v78
	v_div_fixup_f32 v72, v75, v72, 1.0
.LBB124_291:
	s_or_b64 exec, exec, s[0:1]
	v_cmp_ne_u32_e32 vcc, v73, v70
	s_and_saveexec_b64 s[0:1], vcc
	s_xor_b64 s[0:1], exec, s[0:1]
	s_cbranch_execz .LBB124_297
; %bb.292:
	v_cmp_eq_u32_e32 vcc, 17, v73
	s_and_saveexec_b64 s[2:3], vcc
	s_cbranch_execz .LBB124_296
; %bb.293:
	v_cmp_ne_u32_e32 vcc, 17, v70
	s_xor_b64 s[12:13], s[20:21], -1
	s_and_b64 s[14:15], s[12:13], vcc
	s_and_saveexec_b64 s[12:13], s[14:15]
	s_cbranch_execz .LBB124_295
; %bb.294:
	v_ashrrev_i32_e32 v71, 31, v70
	v_lshl_add_u64 v[76:77], v[70:71], 2, v[4:5]
	global_load_dword v71, v[76:77], off
	global_load_dword v73, v[4:5], off offset:68
	s_waitcnt vmcnt(1)
	global_store_dword v[4:5], v71, off offset:68
	s_waitcnt vmcnt(1)
	global_store_dword v[76:77], v73, off
.LBB124_295:
	s_or_b64 exec, exec, s[12:13]
	v_mov_b32_e32 v71, v70
	v_mov_b32_e32 v73, v70
.LBB124_296:
	s_or_b64 exec, exec, s[2:3]
.LBB124_297:
	s_andn2_saveexec_b64 s[0:1], s[0:1]
	s_cbranch_execz .LBB124_299
; %bb.298:
	v_pk_mov_b32 v[76:77], v[50:51], v[46:47] op_sel:[1,0]
	ds_write2_b32 v69, v76, v77 offset0:18 offset1:19
	v_pk_mov_b32 v[76:77], v[46:47], v[40:41] op_sel:[1,0]
	ds_write2_b32 v69, v76, v77 offset0:20 offset1:21
	;; [unrolled: 2-line block ×21, first 2 shown]
	v_pk_mov_b32 v[76:77], v[16:17], v[10:11] op_sel:[1,0]
	v_mov_b32_e32 v73, 17
	ds_write2_b32 v69, v76, v77 offset0:60 offset1:61
	ds_write_b32 v69, v11 offset:248
.LBB124_299:
	s_or_b64 exec, exec, s[0:1]
	v_cmp_lt_i32_e32 vcc, 17, v73
	s_waitcnt lgkmcnt(0)
	s_barrier
	s_and_saveexec_b64 s[0:1], vcc
	s_cbranch_execz .LBB124_301
; %bb.300:
	ds_read_b32 v70, v69 offset:72
	ds_read2_b32 v[76:77], v69 offset0:19 offset1:20
	ds_read2_b32 v[78:79], v69 offset0:21 offset1:22
	v_mul_f32_e32 v50, v72, v50
	ds_read2_b32 v[80:81], v69 offset0:23 offset1:24
	s_waitcnt lgkmcnt(3)
	v_fma_f32 v51, -v50, v70, v51
	s_waitcnt lgkmcnt(2)
	v_pk_fma_f32 v[46:47], v[50:51], v[76:77], v[46:47] op_sel_hi:[0,1,1] neg_lo:[1,0,0] neg_hi:[1,0,0]
	s_waitcnt lgkmcnt(1)
	v_pk_fma_f32 v[40:41], v[50:51], v[78:79], v[40:41] op_sel_hi:[0,1,1] neg_lo:[1,0,0] neg_hi:[1,0,0]
	ds_read2_b32 v[76:77], v69 offset0:25 offset1:26
	ds_read2_b32 v[78:79], v69 offset0:27 offset1:28
	ds_read2_b32 v[82:83], v69 offset0:29 offset1:30
	s_waitcnt lgkmcnt(3)
	v_pk_fma_f32 v[32:33], v[50:51], v[80:81], v[32:33] op_sel_hi:[0,1,1] neg_lo:[1,0,0] neg_hi:[1,0,0]
	ds_read2_b32 v[80:81], v69 offset0:31 offset1:32
	s_waitcnt lgkmcnt(3)
	v_pk_fma_f32 v[48:49], v[50:51], v[76:77], v[48:49] op_sel_hi:[0,1,1] neg_lo:[1,0,0] neg_hi:[1,0,0]
	s_waitcnt lgkmcnt(2)
	v_pk_fma_f32 v[42:43], v[50:51], v[78:79], v[42:43] op_sel_hi:[0,1,1] neg_lo:[1,0,0] neg_hi:[1,0,0]
	s_waitcnt lgkmcnt(1)
	v_pk_fma_f32 v[34:35], v[50:51], v[82:83], v[34:35] op_sel_hi:[0,1,1] neg_lo:[1,0,0] neg_hi:[1,0,0]
	ds_read2_b32 v[76:77], v69 offset0:33 offset1:34
	ds_read2_b32 v[78:79], v69 offset0:35 offset1:36
	ds_read2_b32 v[82:83], v69 offset0:37 offset1:38
	s_waitcnt lgkmcnt(3)
	v_pk_fma_f32 v[24:25], v[50:51], v[80:81], v[24:25] op_sel_hi:[0,1,1] neg_lo:[1,0,0] neg_hi:[1,0,0]
	ds_read2_b32 v[80:81], v69 offset0:39 offset1:40
	s_waitcnt lgkmcnt(3)
	v_pk_fma_f32 v[44:45], v[50:51], v[76:77], v[44:45] op_sel_hi:[0,1,1] neg_lo:[1,0,0] neg_hi:[1,0,0]
	;; [unrolled: 12-line block ×3, first 2 shown]
	s_waitcnt lgkmcnt(2)
	v_pk_fma_f32 v[28:29], v[50:51], v[78:79], v[28:29] op_sel_hi:[0,1,1] neg_lo:[1,0,0] neg_hi:[1,0,0]
	ds_read2_b32 v[76:77], v69 offset0:49 offset1:50
	ds_read2_b32 v[78:79], v69 offset0:51 offset1:52
	s_waitcnt lgkmcnt(3)
	v_pk_fma_f32 v[20:21], v[50:51], v[82:83], v[20:21] op_sel_hi:[0,1,1] neg_lo:[1,0,0] neg_hi:[1,0,0]
	s_waitcnt lgkmcnt(2)
	v_pk_fma_f32 v[12:13], v[50:51], v[80:81], v[12:13] op_sel_hi:[0,1,1] neg_lo:[1,0,0] neg_hi:[1,0,0]
	ds_read2_b32 v[80:81], v69 offset0:53 offset1:54
	ds_read2_b32 v[82:83], v69 offset0:55 offset1:56
	s_waitcnt lgkmcnt(3)
	v_pk_fma_f32 v[30:31], v[50:51], v[76:77], v[30:31] op_sel_hi:[0,1,1] neg_lo:[1,0,0] neg_hi:[1,0,0]
	s_waitcnt lgkmcnt(2)
	v_pk_fma_f32 v[22:23], v[50:51], v[78:79], v[22:23] op_sel_hi:[0,1,1] neg_lo:[1,0,0] neg_hi:[1,0,0]
	ds_read2_b32 v[76:77], v69 offset0:57 offset1:58
	ds_read2_b32 v[78:79], v69 offset0:59 offset1:60
	;; [unrolled: 1-line block ×3, first 2 shown]
	s_waitcnt lgkmcnt(4)
	v_pk_fma_f32 v[14:15], v[50:51], v[80:81], v[14:15] op_sel_hi:[0,1,1] neg_lo:[1,0,0] neg_hi:[1,0,0]
	s_waitcnt lgkmcnt(3)
	v_pk_fma_f32 v[8:9], v[50:51], v[82:83], v[8:9] op_sel_hi:[0,1,1] neg_lo:[1,0,0] neg_hi:[1,0,0]
	;; [unrolled: 2-line block ×5, first 2 shown]
.LBB124_301:
	s_or_b64 exec, exec, s[0:1]
	v_lshl_add_u32 v70, v73, 2, v69
	s_barrier
	ds_write_b32 v70, v51
	s_waitcnt lgkmcnt(0)
	s_barrier
	ds_read_b32 v72, v69 offset:72
	s_cmp_lt_i32 s22, 20
	v_mov_b32_e32 v70, 18
	s_cbranch_scc1 .LBB124_304
; %bb.302:
	v_add_u32_e32 v75, 0x4c, v69
	v_mov_b32_e32 v70, 18
	s_mov_b32 s0, 19
.LBB124_303:                            ; =>This Inner Loop Header: Depth=1
	ds_read_b32 v76, v75
	v_mov_b32_e32 v77, s0
	s_add_i32 s0, s0, 1
	v_add_u32_e32 v75, 4, v75
	s_cmp_lg_u32 s22, s0
	s_waitcnt lgkmcnt(0)
	v_cmp_lt_f32_e64 vcc, |v72|, |v76|
	s_nop 1
	v_cndmask_b32_e32 v72, v72, v76, vcc
	v_cndmask_b32_e32 v70, v70, v77, vcc
	s_cbranch_scc1 .LBB124_303
.LBB124_304:
	s_waitcnt lgkmcnt(0)
	v_cmp_eq_f32_e32 vcc, 0, v72
	s_and_saveexec_b64 s[0:1], vcc
	s_xor_b64 s[0:1], exec, s[0:1]
; %bb.305:
	v_cmp_ne_u32_e32 vcc, 0, v74
	s_nop 1
	v_cndmask_b32_e32 v74, 19, v74, vcc
; %bb.306:
	s_andn2_saveexec_b64 s[0:1], s[0:1]
	s_cbranch_execz .LBB124_308
; %bb.307:
	v_div_scale_f32 v75, s[2:3], v72, v72, 1.0
	v_rcp_f32_e32 v76, v75
	v_div_scale_f32 v77, vcc, 1.0, v72, 1.0
	v_fma_f32 v78, -v75, v76, 1.0
	v_fmac_f32_e32 v76, v78, v76
	v_mul_f32_e32 v78, v77, v76
	v_fma_f32 v79, -v75, v78, v77
	v_fmac_f32_e32 v78, v79, v76
	v_fma_f32 v75, -v75, v78, v77
	v_div_fmas_f32 v75, v75, v76, v78
	v_div_fixup_f32 v72, v75, v72, 1.0
.LBB124_308:
	s_or_b64 exec, exec, s[0:1]
	v_cmp_ne_u32_e32 vcc, v73, v70
	s_and_saveexec_b64 s[0:1], vcc
	s_xor_b64 s[0:1], exec, s[0:1]
	s_cbranch_execz .LBB124_314
; %bb.309:
	v_cmp_eq_u32_e32 vcc, 18, v73
	s_and_saveexec_b64 s[2:3], vcc
	s_cbranch_execz .LBB124_313
; %bb.310:
	v_cmp_ne_u32_e32 vcc, 18, v70
	s_xor_b64 s[12:13], s[20:21], -1
	s_and_b64 s[14:15], s[12:13], vcc
	s_and_saveexec_b64 s[12:13], s[14:15]
	s_cbranch_execz .LBB124_312
; %bb.311:
	v_ashrrev_i32_e32 v71, 31, v70
	v_lshl_add_u64 v[76:77], v[70:71], 2, v[4:5]
	global_load_dword v71, v[76:77], off
	global_load_dword v73, v[4:5], off offset:72
	s_waitcnt vmcnt(1)
	global_store_dword v[4:5], v71, off offset:72
	s_waitcnt vmcnt(1)
	global_store_dword v[76:77], v73, off
.LBB124_312:
	s_or_b64 exec, exec, s[12:13]
	v_mov_b32_e32 v71, v70
	v_mov_b32_e32 v73, v70
.LBB124_313:
	s_or_b64 exec, exec, s[2:3]
.LBB124_314:
	s_andn2_saveexec_b64 s[0:1], s[0:1]
	s_cbranch_execz .LBB124_316
; %bb.315:
	v_mov_b32_e32 v73, 18
	ds_write2_b32 v69, v46, v47 offset0:19 offset1:20
	ds_write2_b32 v69, v40, v41 offset0:21 offset1:22
	;; [unrolled: 1-line block ×22, first 2 shown]
.LBB124_316:
	s_or_b64 exec, exec, s[0:1]
	v_cmp_lt_i32_e32 vcc, 18, v73
	s_waitcnt lgkmcnt(0)
	s_barrier
	s_and_saveexec_b64 s[0:1], vcc
	s_cbranch_execz .LBB124_318
; %bb.317:
	ds_read2_b32 v[76:77], v69 offset0:19 offset1:20
	ds_read2_b32 v[78:79], v69 offset0:21 offset1:22
	;; [unrolled: 1-line block ×4, first 2 shown]
	v_mul_f32_e32 v70, v72, v51
	s_waitcnt lgkmcnt(3)
	v_pk_fma_f32 v[46:47], v[70:71], v[76:77], v[46:47] op_sel_hi:[0,1,1] neg_lo:[1,0,0] neg_hi:[1,0,0]
	s_waitcnt lgkmcnt(2)
	v_pk_fma_f32 v[40:41], v[70:71], v[78:79], v[40:41] op_sel_hi:[0,1,1] neg_lo:[1,0,0] neg_hi:[1,0,0]
	s_waitcnt lgkmcnt(1)
	v_pk_fma_f32 v[32:33], v[70:71], v[80:81], v[32:33] op_sel_hi:[0,1,1] neg_lo:[1,0,0] neg_hi:[1,0,0]
	ds_read2_b32 v[76:77], v69 offset0:27 offset1:28
	ds_read2_b32 v[78:79], v69 offset0:29 offset1:30
	ds_read2_b32 v[80:81], v69 offset0:31 offset1:32
	s_waitcnt lgkmcnt(3)
	v_pk_fma_f32 v[48:49], v[70:71], v[82:83], v[48:49] op_sel_hi:[0,1,1] neg_lo:[1,0,0] neg_hi:[1,0,0]
	ds_read2_b32 v[82:83], v69 offset0:33 offset1:34
	s_waitcnt lgkmcnt(3)
	v_pk_fma_f32 v[42:43], v[70:71], v[76:77], v[42:43] op_sel_hi:[0,1,1] neg_lo:[1,0,0] neg_hi:[1,0,0]
	s_waitcnt lgkmcnt(2)
	v_pk_fma_f32 v[34:35], v[70:71], v[78:79], v[34:35] op_sel_hi:[0,1,1] neg_lo:[1,0,0] neg_hi:[1,0,0]
	s_waitcnt lgkmcnt(1)
	v_pk_fma_f32 v[24:25], v[70:71], v[80:81], v[24:25] op_sel_hi:[0,1,1] neg_lo:[1,0,0] neg_hi:[1,0,0]
	ds_read2_b32 v[76:77], v69 offset0:35 offset1:36
	ds_read2_b32 v[78:79], v69 offset0:37 offset1:38
	ds_read2_b32 v[80:81], v69 offset0:39 offset1:40
	s_waitcnt lgkmcnt(3)
	v_pk_fma_f32 v[44:45], v[70:71], v[82:83], v[44:45] op_sel_hi:[0,1,1] neg_lo:[1,0,0] neg_hi:[1,0,0]
	ds_read2_b32 v[82:83], v69 offset0:41 offset1:42
	;; [unrolled: 12-line block ×3, first 2 shown]
	s_waitcnt lgkmcnt(3)
	v_pk_fma_f32 v[28:29], v[70:71], v[76:77], v[28:29] op_sel_hi:[0,1,1] neg_lo:[1,0,0] neg_hi:[1,0,0]
	ds_read2_b32 v[76:77], v69 offset0:51 offset1:52
	s_waitcnt lgkmcnt(3)
	v_pk_fma_f32 v[20:21], v[70:71], v[78:79], v[20:21] op_sel_hi:[0,1,1] neg_lo:[1,0,0] neg_hi:[1,0,0]
	s_waitcnt lgkmcnt(2)
	v_pk_fma_f32 v[12:13], v[70:71], v[80:81], v[12:13] op_sel_hi:[0,1,1] neg_lo:[1,0,0] neg_hi:[1,0,0]
	;; [unrolled: 2-line block ×3, first 2 shown]
	ds_read2_b32 v[78:79], v69 offset0:53 offset1:54
	ds_read2_b32 v[80:81], v69 offset0:55 offset1:56
	ds_read2_b32 v[82:83], v69 offset0:57 offset1:58
	s_waitcnt lgkmcnt(3)
	v_pk_fma_f32 v[22:23], v[70:71], v[76:77], v[22:23] op_sel_hi:[0,1,1] neg_lo:[1,0,0] neg_hi:[1,0,0]
	ds_read2_b32 v[76:77], v69 offset0:59 offset1:60
	ds_read2_b32 v[84:85], v69 offset0:61 offset1:62
	s_waitcnt lgkmcnt(4)
	v_pk_fma_f32 v[14:15], v[70:71], v[78:79], v[14:15] op_sel_hi:[0,1,1] neg_lo:[1,0,0] neg_hi:[1,0,0]
	s_waitcnt lgkmcnt(3)
	v_pk_fma_f32 v[8:9], v[70:71], v[80:81], v[8:9] op_sel_hi:[0,1,1] neg_lo:[1,0,0] neg_hi:[1,0,0]
	;; [unrolled: 2-line block ×5, first 2 shown]
	v_mov_b32_e32 v51, v70
.LBB124_318:
	s_or_b64 exec, exec, s[0:1]
	v_lshl_add_u32 v70, v73, 2, v69
	s_barrier
	ds_write_b32 v70, v46
	s_waitcnt lgkmcnt(0)
	s_barrier
	ds_read_b32 v72, v69 offset:76
	s_cmp_lt_i32 s22, 21
	v_mov_b32_e32 v70, 19
	s_cbranch_scc1 .LBB124_321
; %bb.319:
	v_add_u32_e32 v75, 0x50, v69
	v_mov_b32_e32 v70, 19
	s_mov_b32 s0, 20
.LBB124_320:                            ; =>This Inner Loop Header: Depth=1
	ds_read_b32 v76, v75
	v_mov_b32_e32 v77, s0
	s_add_i32 s0, s0, 1
	v_add_u32_e32 v75, 4, v75
	s_cmp_lg_u32 s22, s0
	s_waitcnt lgkmcnt(0)
	v_cmp_lt_f32_e64 vcc, |v72|, |v76|
	s_nop 1
	v_cndmask_b32_e32 v72, v72, v76, vcc
	v_cndmask_b32_e32 v70, v70, v77, vcc
	s_cbranch_scc1 .LBB124_320
.LBB124_321:
	s_waitcnt lgkmcnt(0)
	v_cmp_eq_f32_e32 vcc, 0, v72
	s_and_saveexec_b64 s[0:1], vcc
	s_xor_b64 s[0:1], exec, s[0:1]
; %bb.322:
	v_cmp_ne_u32_e32 vcc, 0, v74
	s_nop 1
	v_cndmask_b32_e32 v74, 20, v74, vcc
; %bb.323:
	s_andn2_saveexec_b64 s[0:1], s[0:1]
	s_cbranch_execz .LBB124_325
; %bb.324:
	v_div_scale_f32 v75, s[2:3], v72, v72, 1.0
	v_rcp_f32_e32 v76, v75
	v_div_scale_f32 v77, vcc, 1.0, v72, 1.0
	v_fma_f32 v78, -v75, v76, 1.0
	v_fmac_f32_e32 v76, v78, v76
	v_mul_f32_e32 v78, v77, v76
	v_fma_f32 v79, -v75, v78, v77
	v_fmac_f32_e32 v78, v79, v76
	v_fma_f32 v75, -v75, v78, v77
	v_div_fmas_f32 v75, v75, v76, v78
	v_div_fixup_f32 v72, v75, v72, 1.0
.LBB124_325:
	s_or_b64 exec, exec, s[0:1]
	v_cmp_ne_u32_e32 vcc, v73, v70
	s_and_saveexec_b64 s[0:1], vcc
	s_xor_b64 s[0:1], exec, s[0:1]
	s_cbranch_execz .LBB124_331
; %bb.326:
	v_cmp_eq_u32_e32 vcc, 19, v73
	s_and_saveexec_b64 s[2:3], vcc
	s_cbranch_execz .LBB124_330
; %bb.327:
	v_cmp_ne_u32_e32 vcc, 19, v70
	s_xor_b64 s[12:13], s[20:21], -1
	s_and_b64 s[14:15], s[12:13], vcc
	s_and_saveexec_b64 s[12:13], s[14:15]
	s_cbranch_execz .LBB124_329
; %bb.328:
	v_ashrrev_i32_e32 v71, 31, v70
	v_lshl_add_u64 v[76:77], v[70:71], 2, v[4:5]
	global_load_dword v71, v[76:77], off
	global_load_dword v73, v[4:5], off offset:76
	s_waitcnt vmcnt(1)
	global_store_dword v[4:5], v71, off offset:76
	s_waitcnt vmcnt(1)
	global_store_dword v[76:77], v73, off
.LBB124_329:
	s_or_b64 exec, exec, s[12:13]
	v_mov_b32_e32 v71, v70
	v_mov_b32_e32 v73, v70
.LBB124_330:
	s_or_b64 exec, exec, s[2:3]
.LBB124_331:
	s_andn2_saveexec_b64 s[0:1], s[0:1]
	s_cbranch_execz .LBB124_333
; %bb.332:
	v_pk_mov_b32 v[76:77], v[46:47], v[40:41] op_sel:[1,0]
	ds_write2_b32 v69, v76, v77 offset0:20 offset1:21
	v_pk_mov_b32 v[76:77], v[40:41], v[32:33] op_sel:[1,0]
	ds_write2_b32 v69, v76, v77 offset0:22 offset1:23
	;; [unrolled: 2-line block ×20, first 2 shown]
	v_pk_mov_b32 v[76:77], v[16:17], v[10:11] op_sel:[1,0]
	v_mov_b32_e32 v73, 19
	ds_write2_b32 v69, v76, v77 offset0:60 offset1:61
	ds_write_b32 v69, v11 offset:248
.LBB124_333:
	s_or_b64 exec, exec, s[0:1]
	v_cmp_lt_i32_e32 vcc, 19, v73
	s_waitcnt lgkmcnt(0)
	s_barrier
	s_and_saveexec_b64 s[0:1], vcc
	s_cbranch_execz .LBB124_335
; %bb.334:
	ds_read_b32 v70, v69 offset:80
	ds_read2_b32 v[76:77], v69 offset0:21 offset1:22
	ds_read2_b32 v[78:79], v69 offset0:23 offset1:24
	v_mul_f32_e32 v46, v72, v46
	ds_read2_b32 v[80:81], v69 offset0:25 offset1:26
	s_waitcnt lgkmcnt(3)
	v_fma_f32 v47, -v46, v70, v47
	s_waitcnt lgkmcnt(2)
	v_pk_fma_f32 v[40:41], v[46:47], v[76:77], v[40:41] op_sel_hi:[0,1,1] neg_lo:[1,0,0] neg_hi:[1,0,0]
	s_waitcnt lgkmcnt(1)
	v_pk_fma_f32 v[32:33], v[46:47], v[78:79], v[32:33] op_sel_hi:[0,1,1] neg_lo:[1,0,0] neg_hi:[1,0,0]
	ds_read2_b32 v[76:77], v69 offset0:27 offset1:28
	ds_read2_b32 v[78:79], v69 offset0:29 offset1:30
	ds_read2_b32 v[82:83], v69 offset0:31 offset1:32
	s_waitcnt lgkmcnt(3)
	v_pk_fma_f32 v[48:49], v[46:47], v[80:81], v[48:49] op_sel_hi:[0,1,1] neg_lo:[1,0,0] neg_hi:[1,0,0]
	ds_read2_b32 v[80:81], v69 offset0:33 offset1:34
	s_waitcnt lgkmcnt(3)
	v_pk_fma_f32 v[42:43], v[46:47], v[76:77], v[42:43] op_sel_hi:[0,1,1] neg_lo:[1,0,0] neg_hi:[1,0,0]
	s_waitcnt lgkmcnt(2)
	v_pk_fma_f32 v[34:35], v[46:47], v[78:79], v[34:35] op_sel_hi:[0,1,1] neg_lo:[1,0,0] neg_hi:[1,0,0]
	s_waitcnt lgkmcnt(1)
	v_pk_fma_f32 v[24:25], v[46:47], v[82:83], v[24:25] op_sel_hi:[0,1,1] neg_lo:[1,0,0] neg_hi:[1,0,0]
	ds_read2_b32 v[76:77], v69 offset0:35 offset1:36
	ds_read2_b32 v[78:79], v69 offset0:37 offset1:38
	ds_read2_b32 v[82:83], v69 offset0:39 offset1:40
	s_waitcnt lgkmcnt(3)
	v_pk_fma_f32 v[44:45], v[46:47], v[80:81], v[44:45] op_sel_hi:[0,1,1] neg_lo:[1,0,0] neg_hi:[1,0,0]
	ds_read2_b32 v[80:81], v69 offset0:41 offset1:42
	s_waitcnt lgkmcnt(3)
	v_pk_fma_f32 v[36:37], v[46:47], v[76:77], v[36:37] op_sel_hi:[0,1,1] neg_lo:[1,0,0] neg_hi:[1,0,0]
	;; [unrolled: 12-line block ×3, first 2 shown]
	ds_read2_b32 v[76:77], v69 offset0:51 offset1:52
	s_waitcnt lgkmcnt(3)
	v_pk_fma_f32 v[20:21], v[46:47], v[78:79], v[20:21] op_sel_hi:[0,1,1] neg_lo:[1,0,0] neg_hi:[1,0,0]
	s_waitcnt lgkmcnt(2)
	v_pk_fma_f32 v[12:13], v[46:47], v[82:83], v[12:13] op_sel_hi:[0,1,1] neg_lo:[1,0,0] neg_hi:[1,0,0]
	;; [unrolled: 2-line block ×3, first 2 shown]
	ds_read2_b32 v[78:79], v69 offset0:53 offset1:54
	ds_read2_b32 v[80:81], v69 offset0:55 offset1:56
	;; [unrolled: 1-line block ×3, first 2 shown]
	s_waitcnt lgkmcnt(3)
	v_pk_fma_f32 v[22:23], v[46:47], v[76:77], v[22:23] op_sel_hi:[0,1,1] neg_lo:[1,0,0] neg_hi:[1,0,0]
	ds_read2_b32 v[76:77], v69 offset0:59 offset1:60
	ds_read2_b32 v[84:85], v69 offset0:61 offset1:62
	s_waitcnt lgkmcnt(4)
	v_pk_fma_f32 v[14:15], v[46:47], v[78:79], v[14:15] op_sel_hi:[0,1,1] neg_lo:[1,0,0] neg_hi:[1,0,0]
	s_waitcnt lgkmcnt(3)
	v_pk_fma_f32 v[8:9], v[46:47], v[80:81], v[8:9] op_sel_hi:[0,1,1] neg_lo:[1,0,0] neg_hi:[1,0,0]
	;; [unrolled: 2-line block ×5, first 2 shown]
.LBB124_335:
	s_or_b64 exec, exec, s[0:1]
	v_lshl_add_u32 v70, v73, 2, v69
	s_barrier
	ds_write_b32 v70, v47
	s_waitcnt lgkmcnt(0)
	s_barrier
	ds_read_b32 v72, v69 offset:80
	s_cmp_lt_i32 s22, 22
	v_mov_b32_e32 v70, 20
	s_cbranch_scc1 .LBB124_338
; %bb.336:
	v_add_u32_e32 v75, 0x54, v69
	v_mov_b32_e32 v70, 20
	s_mov_b32 s0, 21
.LBB124_337:                            ; =>This Inner Loop Header: Depth=1
	ds_read_b32 v76, v75
	v_mov_b32_e32 v77, s0
	s_add_i32 s0, s0, 1
	v_add_u32_e32 v75, 4, v75
	s_cmp_lg_u32 s22, s0
	s_waitcnt lgkmcnt(0)
	v_cmp_lt_f32_e64 vcc, |v72|, |v76|
	s_nop 1
	v_cndmask_b32_e32 v72, v72, v76, vcc
	v_cndmask_b32_e32 v70, v70, v77, vcc
	s_cbranch_scc1 .LBB124_337
.LBB124_338:
	s_waitcnt lgkmcnt(0)
	v_cmp_eq_f32_e32 vcc, 0, v72
	s_and_saveexec_b64 s[0:1], vcc
	s_xor_b64 s[0:1], exec, s[0:1]
; %bb.339:
	v_cmp_ne_u32_e32 vcc, 0, v74
	s_nop 1
	v_cndmask_b32_e32 v74, 21, v74, vcc
; %bb.340:
	s_andn2_saveexec_b64 s[0:1], s[0:1]
	s_cbranch_execz .LBB124_342
; %bb.341:
	v_div_scale_f32 v75, s[2:3], v72, v72, 1.0
	v_rcp_f32_e32 v76, v75
	v_div_scale_f32 v77, vcc, 1.0, v72, 1.0
	v_fma_f32 v78, -v75, v76, 1.0
	v_fmac_f32_e32 v76, v78, v76
	v_mul_f32_e32 v78, v77, v76
	v_fma_f32 v79, -v75, v78, v77
	v_fmac_f32_e32 v78, v79, v76
	v_fma_f32 v75, -v75, v78, v77
	v_div_fmas_f32 v75, v75, v76, v78
	v_div_fixup_f32 v72, v75, v72, 1.0
.LBB124_342:
	s_or_b64 exec, exec, s[0:1]
	v_cmp_ne_u32_e32 vcc, v73, v70
	s_and_saveexec_b64 s[0:1], vcc
	s_xor_b64 s[0:1], exec, s[0:1]
	s_cbranch_execz .LBB124_348
; %bb.343:
	v_cmp_eq_u32_e32 vcc, 20, v73
	s_and_saveexec_b64 s[2:3], vcc
	s_cbranch_execz .LBB124_347
; %bb.344:
	v_cmp_ne_u32_e32 vcc, 20, v70
	s_xor_b64 s[12:13], s[20:21], -1
	s_and_b64 s[14:15], s[12:13], vcc
	s_and_saveexec_b64 s[12:13], s[14:15]
	s_cbranch_execz .LBB124_346
; %bb.345:
	v_ashrrev_i32_e32 v71, 31, v70
	v_lshl_add_u64 v[76:77], v[70:71], 2, v[4:5]
	global_load_dword v71, v[76:77], off
	global_load_dword v73, v[4:5], off offset:80
	s_waitcnt vmcnt(1)
	global_store_dword v[4:5], v71, off offset:80
	s_waitcnt vmcnt(1)
	global_store_dword v[76:77], v73, off
.LBB124_346:
	s_or_b64 exec, exec, s[12:13]
	v_mov_b32_e32 v71, v70
	v_mov_b32_e32 v73, v70
.LBB124_347:
	s_or_b64 exec, exec, s[2:3]
.LBB124_348:
	s_andn2_saveexec_b64 s[0:1], s[0:1]
	s_cbranch_execz .LBB124_350
; %bb.349:
	v_mov_b32_e32 v73, 20
	ds_write2_b32 v69, v40, v41 offset0:21 offset1:22
	ds_write2_b32 v69, v32, v33 offset0:23 offset1:24
	;; [unrolled: 1-line block ×21, first 2 shown]
.LBB124_350:
	s_or_b64 exec, exec, s[0:1]
	v_cmp_lt_i32_e32 vcc, 20, v73
	s_waitcnt lgkmcnt(0)
	s_barrier
	s_and_saveexec_b64 s[0:1], vcc
	s_cbranch_execz .LBB124_352
; %bb.351:
	ds_read2_b32 v[76:77], v69 offset0:21 offset1:22
	ds_read2_b32 v[78:79], v69 offset0:23 offset1:24
	;; [unrolled: 1-line block ×3, first 2 shown]
	v_mul_f32_e32 v70, v72, v47
	ds_read2_b32 v[82:83], v69 offset0:27 offset1:28
	s_waitcnt lgkmcnt(3)
	v_pk_fma_f32 v[40:41], v[70:71], v[76:77], v[40:41] op_sel_hi:[0,1,1] neg_lo:[1,0,0] neg_hi:[1,0,0]
	s_waitcnt lgkmcnt(2)
	v_pk_fma_f32 v[32:33], v[70:71], v[78:79], v[32:33] op_sel_hi:[0,1,1] neg_lo:[1,0,0] neg_hi:[1,0,0]
	;; [unrolled: 2-line block ×3, first 2 shown]
	ds_read2_b32 v[76:77], v69 offset0:29 offset1:30
	ds_read2_b32 v[78:79], v69 offset0:31 offset1:32
	;; [unrolled: 1-line block ×3, first 2 shown]
	s_waitcnt lgkmcnt(3)
	v_pk_fma_f32 v[42:43], v[70:71], v[82:83], v[42:43] op_sel_hi:[0,1,1] neg_lo:[1,0,0] neg_hi:[1,0,0]
	ds_read2_b32 v[82:83], v69 offset0:35 offset1:36
	s_waitcnt lgkmcnt(3)
	v_pk_fma_f32 v[34:35], v[70:71], v[76:77], v[34:35] op_sel_hi:[0,1,1] neg_lo:[1,0,0] neg_hi:[1,0,0]
	s_waitcnt lgkmcnt(2)
	v_pk_fma_f32 v[24:25], v[70:71], v[78:79], v[24:25] op_sel_hi:[0,1,1] neg_lo:[1,0,0] neg_hi:[1,0,0]
	;; [unrolled: 2-line block ×3, first 2 shown]
	ds_read2_b32 v[76:77], v69 offset0:37 offset1:38
	ds_read2_b32 v[78:79], v69 offset0:39 offset1:40
	;; [unrolled: 1-line block ×3, first 2 shown]
	s_waitcnt lgkmcnt(3)
	v_pk_fma_f32 v[36:37], v[70:71], v[82:83], v[36:37] op_sel_hi:[0,1,1] neg_lo:[1,0,0] neg_hi:[1,0,0]
	ds_read2_b32 v[82:83], v69 offset0:43 offset1:44
	s_waitcnt lgkmcnt(3)
	v_pk_fma_f32 v[26:27], v[70:71], v[76:77], v[26:27] op_sel_hi:[0,1,1] neg_lo:[1,0,0] neg_hi:[1,0,0]
	s_waitcnt lgkmcnt(2)
	v_pk_fma_f32 v[18:19], v[70:71], v[78:79], v[18:19] op_sel_hi:[0,1,1] neg_lo:[1,0,0] neg_hi:[1,0,0]
	;; [unrolled: 2-line block ×3, first 2 shown]
	ds_read2_b32 v[76:77], v69 offset0:45 offset1:46
	ds_read2_b32 v[78:79], v69 offset0:47 offset1:48
	;; [unrolled: 1-line block ×4, first 2 shown]
	s_waitcnt lgkmcnt(4)
	v_pk_fma_f32 v[28:29], v[70:71], v[82:83], v[28:29] op_sel_hi:[0,1,1] neg_lo:[1,0,0] neg_hi:[1,0,0]
	s_waitcnt lgkmcnt(3)
	v_pk_fma_f32 v[20:21], v[70:71], v[76:77], v[20:21] op_sel_hi:[0,1,1] neg_lo:[1,0,0] neg_hi:[1,0,0]
	;; [unrolled: 2-line block ×5, first 2 shown]
	ds_read2_b32 v[76:77], v69 offset0:53 offset1:54
	ds_read2_b32 v[78:79], v69 offset0:55 offset1:56
	;; [unrolled: 1-line block ×5, first 2 shown]
	s_waitcnt lgkmcnt(4)
	v_pk_fma_f32 v[14:15], v[70:71], v[76:77], v[14:15] op_sel_hi:[0,1,1] neg_lo:[1,0,0] neg_hi:[1,0,0]
	s_waitcnt lgkmcnt(3)
	v_pk_fma_f32 v[8:9], v[70:71], v[78:79], v[8:9] op_sel_hi:[0,1,1] neg_lo:[1,0,0] neg_hi:[1,0,0]
	;; [unrolled: 2-line block ×5, first 2 shown]
	v_mov_b32_e32 v47, v70
.LBB124_352:
	s_or_b64 exec, exec, s[0:1]
	v_lshl_add_u32 v70, v73, 2, v69
	s_barrier
	ds_write_b32 v70, v40
	s_waitcnt lgkmcnt(0)
	s_barrier
	ds_read_b32 v72, v69 offset:84
	s_cmp_lt_i32 s22, 23
	v_mov_b32_e32 v70, 21
	s_cbranch_scc1 .LBB124_355
; %bb.353:
	v_add_u32_e32 v75, 0x58, v69
	v_mov_b32_e32 v70, 21
	s_mov_b32 s0, 22
.LBB124_354:                            ; =>This Inner Loop Header: Depth=1
	ds_read_b32 v76, v75
	v_mov_b32_e32 v77, s0
	s_add_i32 s0, s0, 1
	v_add_u32_e32 v75, 4, v75
	s_cmp_lg_u32 s22, s0
	s_waitcnt lgkmcnt(0)
	v_cmp_lt_f32_e64 vcc, |v72|, |v76|
	s_nop 1
	v_cndmask_b32_e32 v72, v72, v76, vcc
	v_cndmask_b32_e32 v70, v70, v77, vcc
	s_cbranch_scc1 .LBB124_354
.LBB124_355:
	s_waitcnt lgkmcnt(0)
	v_cmp_eq_f32_e32 vcc, 0, v72
	s_and_saveexec_b64 s[0:1], vcc
	s_xor_b64 s[0:1], exec, s[0:1]
; %bb.356:
	v_cmp_ne_u32_e32 vcc, 0, v74
	s_nop 1
	v_cndmask_b32_e32 v74, 22, v74, vcc
; %bb.357:
	s_andn2_saveexec_b64 s[0:1], s[0:1]
	s_cbranch_execz .LBB124_359
; %bb.358:
	v_div_scale_f32 v75, s[2:3], v72, v72, 1.0
	v_rcp_f32_e32 v76, v75
	v_div_scale_f32 v77, vcc, 1.0, v72, 1.0
	v_fma_f32 v78, -v75, v76, 1.0
	v_fmac_f32_e32 v76, v78, v76
	v_mul_f32_e32 v78, v77, v76
	v_fma_f32 v79, -v75, v78, v77
	v_fmac_f32_e32 v78, v79, v76
	v_fma_f32 v75, -v75, v78, v77
	v_div_fmas_f32 v75, v75, v76, v78
	v_div_fixup_f32 v72, v75, v72, 1.0
.LBB124_359:
	s_or_b64 exec, exec, s[0:1]
	v_cmp_ne_u32_e32 vcc, v73, v70
	s_and_saveexec_b64 s[0:1], vcc
	s_xor_b64 s[0:1], exec, s[0:1]
	s_cbranch_execz .LBB124_365
; %bb.360:
	v_cmp_eq_u32_e32 vcc, 21, v73
	s_and_saveexec_b64 s[2:3], vcc
	s_cbranch_execz .LBB124_364
; %bb.361:
	v_cmp_ne_u32_e32 vcc, 21, v70
	s_xor_b64 s[12:13], s[20:21], -1
	s_and_b64 s[14:15], s[12:13], vcc
	s_and_saveexec_b64 s[12:13], s[14:15]
	s_cbranch_execz .LBB124_363
; %bb.362:
	v_ashrrev_i32_e32 v71, 31, v70
	v_lshl_add_u64 v[76:77], v[70:71], 2, v[4:5]
	global_load_dword v71, v[76:77], off
	global_load_dword v73, v[4:5], off offset:84
	s_waitcnt vmcnt(1)
	global_store_dword v[4:5], v71, off offset:84
	s_waitcnt vmcnt(1)
	global_store_dword v[76:77], v73, off
.LBB124_363:
	s_or_b64 exec, exec, s[12:13]
	v_mov_b32_e32 v71, v70
	v_mov_b32_e32 v73, v70
.LBB124_364:
	s_or_b64 exec, exec, s[2:3]
.LBB124_365:
	s_andn2_saveexec_b64 s[0:1], s[0:1]
	s_cbranch_execz .LBB124_367
; %bb.366:
	v_pk_mov_b32 v[76:77], v[40:41], v[32:33] op_sel:[1,0]
	ds_write2_b32 v69, v76, v77 offset0:22 offset1:23
	v_pk_mov_b32 v[76:77], v[32:33], v[48:49] op_sel:[1,0]
	ds_write2_b32 v69, v76, v77 offset0:24 offset1:25
	;; [unrolled: 2-line block ×19, first 2 shown]
	v_pk_mov_b32 v[76:77], v[16:17], v[10:11] op_sel:[1,0]
	v_mov_b32_e32 v73, 21
	ds_write2_b32 v69, v76, v77 offset0:60 offset1:61
	ds_write_b32 v69, v11 offset:248
.LBB124_367:
	s_or_b64 exec, exec, s[0:1]
	v_cmp_lt_i32_e32 vcc, 21, v73
	s_waitcnt lgkmcnt(0)
	s_barrier
	s_and_saveexec_b64 s[0:1], vcc
	s_cbranch_execz .LBB124_369
; %bb.368:
	ds_read_b32 v70, v69 offset:88
	ds_read2_b32 v[76:77], v69 offset0:23 offset1:24
	ds_read2_b32 v[78:79], v69 offset0:25 offset1:26
	v_mul_f32_e32 v40, v72, v40
	ds_read2_b32 v[80:81], v69 offset0:27 offset1:28
	s_waitcnt lgkmcnt(3)
	v_fma_f32 v41, -v40, v70, v41
	s_waitcnt lgkmcnt(2)
	v_pk_fma_f32 v[32:33], v[40:41], v[76:77], v[32:33] op_sel_hi:[0,1,1] neg_lo:[1,0,0] neg_hi:[1,0,0]
	s_waitcnt lgkmcnt(1)
	v_pk_fma_f32 v[48:49], v[40:41], v[78:79], v[48:49] op_sel_hi:[0,1,1] neg_lo:[1,0,0] neg_hi:[1,0,0]
	ds_read2_b32 v[76:77], v69 offset0:29 offset1:30
	ds_read2_b32 v[78:79], v69 offset0:31 offset1:32
	;; [unrolled: 1-line block ×3, first 2 shown]
	s_waitcnt lgkmcnt(3)
	v_pk_fma_f32 v[42:43], v[40:41], v[80:81], v[42:43] op_sel_hi:[0,1,1] neg_lo:[1,0,0] neg_hi:[1,0,0]
	ds_read2_b32 v[80:81], v69 offset0:35 offset1:36
	s_waitcnt lgkmcnt(3)
	v_pk_fma_f32 v[34:35], v[40:41], v[76:77], v[34:35] op_sel_hi:[0,1,1] neg_lo:[1,0,0] neg_hi:[1,0,0]
	s_waitcnt lgkmcnt(2)
	v_pk_fma_f32 v[24:25], v[40:41], v[78:79], v[24:25] op_sel_hi:[0,1,1] neg_lo:[1,0,0] neg_hi:[1,0,0]
	;; [unrolled: 2-line block ×3, first 2 shown]
	ds_read2_b32 v[76:77], v69 offset0:37 offset1:38
	ds_read2_b32 v[78:79], v69 offset0:39 offset1:40
	;; [unrolled: 1-line block ×3, first 2 shown]
	s_waitcnt lgkmcnt(3)
	v_pk_fma_f32 v[36:37], v[40:41], v[80:81], v[36:37] op_sel_hi:[0,1,1] neg_lo:[1,0,0] neg_hi:[1,0,0]
	ds_read2_b32 v[80:81], v69 offset0:43 offset1:44
	s_waitcnt lgkmcnt(3)
	v_pk_fma_f32 v[26:27], v[40:41], v[76:77], v[26:27] op_sel_hi:[0,1,1] neg_lo:[1,0,0] neg_hi:[1,0,0]
	s_waitcnt lgkmcnt(2)
	v_pk_fma_f32 v[18:19], v[40:41], v[78:79], v[18:19] op_sel_hi:[0,1,1] neg_lo:[1,0,0] neg_hi:[1,0,0]
	;; [unrolled: 2-line block ×3, first 2 shown]
	ds_read2_b32 v[76:77], v69 offset0:45 offset1:46
	ds_read2_b32 v[78:79], v69 offset0:47 offset1:48
	;; [unrolled: 1-line block ×4, first 2 shown]
	s_waitcnt lgkmcnt(4)
	v_pk_fma_f32 v[28:29], v[40:41], v[80:81], v[28:29] op_sel_hi:[0,1,1] neg_lo:[1,0,0] neg_hi:[1,0,0]
	s_waitcnt lgkmcnt(3)
	v_pk_fma_f32 v[20:21], v[40:41], v[76:77], v[20:21] op_sel_hi:[0,1,1] neg_lo:[1,0,0] neg_hi:[1,0,0]
	;; [unrolled: 2-line block ×5, first 2 shown]
	ds_read2_b32 v[76:77], v69 offset0:53 offset1:54
	ds_read2_b32 v[78:79], v69 offset0:55 offset1:56
	;; [unrolled: 1-line block ×5, first 2 shown]
	s_waitcnt lgkmcnt(4)
	v_pk_fma_f32 v[14:15], v[40:41], v[76:77], v[14:15] op_sel_hi:[0,1,1] neg_lo:[1,0,0] neg_hi:[1,0,0]
	s_waitcnt lgkmcnt(3)
	v_pk_fma_f32 v[8:9], v[40:41], v[78:79], v[8:9] op_sel_hi:[0,1,1] neg_lo:[1,0,0] neg_hi:[1,0,0]
	;; [unrolled: 2-line block ×5, first 2 shown]
.LBB124_369:
	s_or_b64 exec, exec, s[0:1]
	v_lshl_add_u32 v70, v73, 2, v69
	s_barrier
	ds_write_b32 v70, v41
	s_waitcnt lgkmcnt(0)
	s_barrier
	ds_read_b32 v72, v69 offset:88
	s_cmp_lt_i32 s22, 24
	v_mov_b32_e32 v70, 22
	s_cbranch_scc1 .LBB124_372
; %bb.370:
	v_add_u32_e32 v75, 0x5c, v69
	v_mov_b32_e32 v70, 22
	s_mov_b32 s0, 23
.LBB124_371:                            ; =>This Inner Loop Header: Depth=1
	ds_read_b32 v76, v75
	v_mov_b32_e32 v77, s0
	s_add_i32 s0, s0, 1
	v_add_u32_e32 v75, 4, v75
	s_cmp_lg_u32 s22, s0
	s_waitcnt lgkmcnt(0)
	v_cmp_lt_f32_e64 vcc, |v72|, |v76|
	s_nop 1
	v_cndmask_b32_e32 v72, v72, v76, vcc
	v_cndmask_b32_e32 v70, v70, v77, vcc
	s_cbranch_scc1 .LBB124_371
.LBB124_372:
	s_waitcnt lgkmcnt(0)
	v_cmp_eq_f32_e32 vcc, 0, v72
	s_and_saveexec_b64 s[0:1], vcc
	s_xor_b64 s[0:1], exec, s[0:1]
; %bb.373:
	v_cmp_ne_u32_e32 vcc, 0, v74
	s_nop 1
	v_cndmask_b32_e32 v74, 23, v74, vcc
; %bb.374:
	s_andn2_saveexec_b64 s[0:1], s[0:1]
	s_cbranch_execz .LBB124_376
; %bb.375:
	v_div_scale_f32 v75, s[2:3], v72, v72, 1.0
	v_rcp_f32_e32 v76, v75
	v_div_scale_f32 v77, vcc, 1.0, v72, 1.0
	v_fma_f32 v78, -v75, v76, 1.0
	v_fmac_f32_e32 v76, v78, v76
	v_mul_f32_e32 v78, v77, v76
	v_fma_f32 v79, -v75, v78, v77
	v_fmac_f32_e32 v78, v79, v76
	v_fma_f32 v75, -v75, v78, v77
	v_div_fmas_f32 v75, v75, v76, v78
	v_div_fixup_f32 v72, v75, v72, 1.0
.LBB124_376:
	s_or_b64 exec, exec, s[0:1]
	v_cmp_ne_u32_e32 vcc, v73, v70
	s_and_saveexec_b64 s[0:1], vcc
	s_xor_b64 s[0:1], exec, s[0:1]
	s_cbranch_execz .LBB124_382
; %bb.377:
	v_cmp_eq_u32_e32 vcc, 22, v73
	s_and_saveexec_b64 s[2:3], vcc
	s_cbranch_execz .LBB124_381
; %bb.378:
	v_cmp_ne_u32_e32 vcc, 22, v70
	s_xor_b64 s[12:13], s[20:21], -1
	s_and_b64 s[14:15], s[12:13], vcc
	s_and_saveexec_b64 s[12:13], s[14:15]
	s_cbranch_execz .LBB124_380
; %bb.379:
	v_ashrrev_i32_e32 v71, 31, v70
	v_lshl_add_u64 v[76:77], v[70:71], 2, v[4:5]
	global_load_dword v71, v[76:77], off
	global_load_dword v73, v[4:5], off offset:88
	s_waitcnt vmcnt(1)
	global_store_dword v[4:5], v71, off offset:88
	s_waitcnt vmcnt(1)
	global_store_dword v[76:77], v73, off
.LBB124_380:
	s_or_b64 exec, exec, s[12:13]
	v_mov_b32_e32 v71, v70
	v_mov_b32_e32 v73, v70
.LBB124_381:
	s_or_b64 exec, exec, s[2:3]
.LBB124_382:
	s_andn2_saveexec_b64 s[0:1], s[0:1]
	s_cbranch_execz .LBB124_384
; %bb.383:
	v_mov_b32_e32 v73, 22
	ds_write2_b32 v69, v32, v33 offset0:23 offset1:24
	ds_write2_b32 v69, v48, v49 offset0:25 offset1:26
	;; [unrolled: 1-line block ×20, first 2 shown]
.LBB124_384:
	s_or_b64 exec, exec, s[0:1]
	v_cmp_lt_i32_e32 vcc, 22, v73
	s_waitcnt lgkmcnt(0)
	s_barrier
	s_and_saveexec_b64 s[0:1], vcc
	s_cbranch_execz .LBB124_386
; %bb.385:
	ds_read2_b32 v[76:77], v69 offset0:23 offset1:24
	ds_read2_b32 v[78:79], v69 offset0:25 offset1:26
	;; [unrolled: 1-line block ×3, first 2 shown]
	v_mul_f32_e32 v70, v72, v41
	ds_read2_b32 v[82:83], v69 offset0:29 offset1:30
	s_waitcnt lgkmcnt(3)
	v_pk_fma_f32 v[32:33], v[70:71], v[76:77], v[32:33] op_sel_hi:[0,1,1] neg_lo:[1,0,0] neg_hi:[1,0,0]
	s_waitcnt lgkmcnt(2)
	v_pk_fma_f32 v[48:49], v[70:71], v[78:79], v[48:49] op_sel_hi:[0,1,1] neg_lo:[1,0,0] neg_hi:[1,0,0]
	s_waitcnt lgkmcnt(1)
	v_pk_fma_f32 v[42:43], v[70:71], v[80:81], v[42:43] op_sel_hi:[0,1,1] neg_lo:[1,0,0] neg_hi:[1,0,0]
	ds_read2_b32 v[76:77], v69 offset0:31 offset1:32
	ds_read2_b32 v[78:79], v69 offset0:33 offset1:34
	ds_read2_b32 v[80:81], v69 offset0:35 offset1:36
	s_waitcnt lgkmcnt(3)
	v_pk_fma_f32 v[34:35], v[70:71], v[82:83], v[34:35] op_sel_hi:[0,1,1] neg_lo:[1,0,0] neg_hi:[1,0,0]
	ds_read2_b32 v[82:83], v69 offset0:37 offset1:38
	s_waitcnt lgkmcnt(3)
	v_pk_fma_f32 v[24:25], v[70:71], v[76:77], v[24:25] op_sel_hi:[0,1,1] neg_lo:[1,0,0] neg_hi:[1,0,0]
	s_waitcnt lgkmcnt(2)
	v_pk_fma_f32 v[44:45], v[70:71], v[78:79], v[44:45] op_sel_hi:[0,1,1] neg_lo:[1,0,0] neg_hi:[1,0,0]
	s_waitcnt lgkmcnt(1)
	v_pk_fma_f32 v[36:37], v[70:71], v[80:81], v[36:37] op_sel_hi:[0,1,1] neg_lo:[1,0,0] neg_hi:[1,0,0]
	ds_read2_b32 v[76:77], v69 offset0:39 offset1:40
	ds_read2_b32 v[78:79], v69 offset0:41 offset1:42
	ds_read2_b32 v[80:81], v69 offset0:43 offset1:44
	s_waitcnt lgkmcnt(3)
	v_pk_fma_f32 v[26:27], v[70:71], v[82:83], v[26:27] op_sel_hi:[0,1,1] neg_lo:[1,0,0] neg_hi:[1,0,0]
	;; [unrolled: 12-line block ×3, first 2 shown]
	ds_read2_b32 v[82:83], v69 offset0:53 offset1:54
	s_waitcnt lgkmcnt(3)
	v_pk_fma_f32 v[12:13], v[70:71], v[76:77], v[12:13] op_sel_hi:[0,1,1] neg_lo:[1,0,0] neg_hi:[1,0,0]
	s_waitcnt lgkmcnt(2)
	v_pk_fma_f32 v[30:31], v[70:71], v[78:79], v[30:31] op_sel_hi:[0,1,1] neg_lo:[1,0,0] neg_hi:[1,0,0]
	;; [unrolled: 2-line block ×3, first 2 shown]
	ds_read2_b32 v[76:77], v69 offset0:55 offset1:56
	ds_read2_b32 v[78:79], v69 offset0:57 offset1:58
	;; [unrolled: 1-line block ×4, first 2 shown]
	s_waitcnt lgkmcnt(4)
	v_pk_fma_f32 v[14:15], v[70:71], v[82:83], v[14:15] op_sel_hi:[0,1,1] neg_lo:[1,0,0] neg_hi:[1,0,0]
	s_waitcnt lgkmcnt(3)
	v_pk_fma_f32 v[8:9], v[70:71], v[76:77], v[8:9] op_sel_hi:[0,1,1] neg_lo:[1,0,0] neg_hi:[1,0,0]
	;; [unrolled: 2-line block ×5, first 2 shown]
	v_mov_b32_e32 v41, v70
.LBB124_386:
	s_or_b64 exec, exec, s[0:1]
	v_lshl_add_u32 v70, v73, 2, v69
	s_barrier
	ds_write_b32 v70, v32
	s_waitcnt lgkmcnt(0)
	s_barrier
	ds_read_b32 v72, v69 offset:92
	s_cmp_lt_i32 s22, 25
	v_mov_b32_e32 v70, 23
	s_cbranch_scc1 .LBB124_389
; %bb.387:
	v_add_u32_e32 v75, 0x60, v69
	v_mov_b32_e32 v70, 23
	s_mov_b32 s0, 24
.LBB124_388:                            ; =>This Inner Loop Header: Depth=1
	ds_read_b32 v76, v75
	v_mov_b32_e32 v77, s0
	s_add_i32 s0, s0, 1
	v_add_u32_e32 v75, 4, v75
	s_cmp_lg_u32 s22, s0
	s_waitcnt lgkmcnt(0)
	v_cmp_lt_f32_e64 vcc, |v72|, |v76|
	s_nop 1
	v_cndmask_b32_e32 v72, v72, v76, vcc
	v_cndmask_b32_e32 v70, v70, v77, vcc
	s_cbranch_scc1 .LBB124_388
.LBB124_389:
	s_waitcnt lgkmcnt(0)
	v_cmp_eq_f32_e32 vcc, 0, v72
	s_and_saveexec_b64 s[0:1], vcc
	s_xor_b64 s[0:1], exec, s[0:1]
; %bb.390:
	v_cmp_ne_u32_e32 vcc, 0, v74
	s_nop 1
	v_cndmask_b32_e32 v74, 24, v74, vcc
; %bb.391:
	s_andn2_saveexec_b64 s[0:1], s[0:1]
	s_cbranch_execz .LBB124_393
; %bb.392:
	v_div_scale_f32 v75, s[2:3], v72, v72, 1.0
	v_rcp_f32_e32 v76, v75
	v_div_scale_f32 v77, vcc, 1.0, v72, 1.0
	v_fma_f32 v78, -v75, v76, 1.0
	v_fmac_f32_e32 v76, v78, v76
	v_mul_f32_e32 v78, v77, v76
	v_fma_f32 v79, -v75, v78, v77
	v_fmac_f32_e32 v78, v79, v76
	v_fma_f32 v75, -v75, v78, v77
	v_div_fmas_f32 v75, v75, v76, v78
	v_div_fixup_f32 v72, v75, v72, 1.0
.LBB124_393:
	s_or_b64 exec, exec, s[0:1]
	v_cmp_ne_u32_e32 vcc, v73, v70
	s_and_saveexec_b64 s[0:1], vcc
	s_xor_b64 s[0:1], exec, s[0:1]
	s_cbranch_execz .LBB124_399
; %bb.394:
	v_cmp_eq_u32_e32 vcc, 23, v73
	s_and_saveexec_b64 s[2:3], vcc
	s_cbranch_execz .LBB124_398
; %bb.395:
	v_cmp_ne_u32_e32 vcc, 23, v70
	s_xor_b64 s[12:13], s[20:21], -1
	s_and_b64 s[14:15], s[12:13], vcc
	s_and_saveexec_b64 s[12:13], s[14:15]
	s_cbranch_execz .LBB124_397
; %bb.396:
	v_ashrrev_i32_e32 v71, 31, v70
	v_lshl_add_u64 v[76:77], v[70:71], 2, v[4:5]
	global_load_dword v71, v[76:77], off
	global_load_dword v73, v[4:5], off offset:92
	s_waitcnt vmcnt(1)
	global_store_dword v[4:5], v71, off offset:92
	s_waitcnt vmcnt(1)
	global_store_dword v[76:77], v73, off
.LBB124_397:
	s_or_b64 exec, exec, s[12:13]
	v_mov_b32_e32 v71, v70
	v_mov_b32_e32 v73, v70
.LBB124_398:
	s_or_b64 exec, exec, s[2:3]
.LBB124_399:
	s_andn2_saveexec_b64 s[0:1], s[0:1]
	s_cbranch_execz .LBB124_401
; %bb.400:
	v_pk_mov_b32 v[76:77], v[32:33], v[48:49] op_sel:[1,0]
	ds_write2_b32 v69, v76, v77 offset0:24 offset1:25
	v_pk_mov_b32 v[76:77], v[48:49], v[42:43] op_sel:[1,0]
	ds_write2_b32 v69, v76, v77 offset0:26 offset1:27
	;; [unrolled: 2-line block ×18, first 2 shown]
	v_pk_mov_b32 v[76:77], v[16:17], v[10:11] op_sel:[1,0]
	v_mov_b32_e32 v73, 23
	ds_write2_b32 v69, v76, v77 offset0:60 offset1:61
	ds_write_b32 v69, v11 offset:248
.LBB124_401:
	s_or_b64 exec, exec, s[0:1]
	v_cmp_lt_i32_e32 vcc, 23, v73
	s_waitcnt lgkmcnt(0)
	s_barrier
	s_and_saveexec_b64 s[0:1], vcc
	s_cbranch_execz .LBB124_403
; %bb.402:
	ds_read_b32 v70, v69 offset:96
	ds_read2_b32 v[76:77], v69 offset0:25 offset1:26
	ds_read2_b32 v[78:79], v69 offset0:27 offset1:28
	v_mul_f32_e32 v32, v72, v32
	ds_read2_b32 v[80:81], v69 offset0:29 offset1:30
	s_waitcnt lgkmcnt(3)
	v_fma_f32 v33, -v32, v70, v33
	s_waitcnt lgkmcnt(2)
	v_pk_fma_f32 v[48:49], v[32:33], v[76:77], v[48:49] op_sel_hi:[0,1,1] neg_lo:[1,0,0] neg_hi:[1,0,0]
	s_waitcnt lgkmcnt(1)
	v_pk_fma_f32 v[42:43], v[32:33], v[78:79], v[42:43] op_sel_hi:[0,1,1] neg_lo:[1,0,0] neg_hi:[1,0,0]
	ds_read2_b32 v[76:77], v69 offset0:31 offset1:32
	ds_read2_b32 v[78:79], v69 offset0:33 offset1:34
	ds_read2_b32 v[82:83], v69 offset0:35 offset1:36
	s_waitcnt lgkmcnt(3)
	v_pk_fma_f32 v[34:35], v[32:33], v[80:81], v[34:35] op_sel_hi:[0,1,1] neg_lo:[1,0,0] neg_hi:[1,0,0]
	ds_read2_b32 v[80:81], v69 offset0:37 offset1:38
	s_waitcnt lgkmcnt(3)
	v_pk_fma_f32 v[24:25], v[32:33], v[76:77], v[24:25] op_sel_hi:[0,1,1] neg_lo:[1,0,0] neg_hi:[1,0,0]
	s_waitcnt lgkmcnt(2)
	v_pk_fma_f32 v[44:45], v[32:33], v[78:79], v[44:45] op_sel_hi:[0,1,1] neg_lo:[1,0,0] neg_hi:[1,0,0]
	s_waitcnt lgkmcnt(1)
	v_pk_fma_f32 v[36:37], v[32:33], v[82:83], v[36:37] op_sel_hi:[0,1,1] neg_lo:[1,0,0] neg_hi:[1,0,0]
	ds_read2_b32 v[76:77], v69 offset0:39 offset1:40
	ds_read2_b32 v[78:79], v69 offset0:41 offset1:42
	ds_read2_b32 v[82:83], v69 offset0:43 offset1:44
	s_waitcnt lgkmcnt(3)
	v_pk_fma_f32 v[26:27], v[32:33], v[80:81], v[26:27] op_sel_hi:[0,1,1] neg_lo:[1,0,0] neg_hi:[1,0,0]
	ds_read2_b32 v[80:81], v69 offset0:45 offset1:46
	s_waitcnt lgkmcnt(3)
	v_pk_fma_f32 v[18:19], v[32:33], v[76:77], v[18:19] op_sel_hi:[0,1,1] neg_lo:[1,0,0] neg_hi:[1,0,0]
	;; [unrolled: 12-line block ×3, first 2 shown]
	s_waitcnt lgkmcnt(2)
	v_pk_fma_f32 v[30:31], v[32:33], v[78:79], v[30:31] op_sel_hi:[0,1,1] neg_lo:[1,0,0] neg_hi:[1,0,0]
	s_waitcnt lgkmcnt(1)
	v_pk_fma_f32 v[22:23], v[32:33], v[82:83], v[22:23] op_sel_hi:[0,1,1] neg_lo:[1,0,0] neg_hi:[1,0,0]
	ds_read2_b32 v[76:77], v69 offset0:55 offset1:56
	ds_read2_b32 v[78:79], v69 offset0:57 offset1:58
	ds_read2_b32 v[82:83], v69 offset0:59 offset1:60
	ds_read2_b32 v[84:85], v69 offset0:61 offset1:62
	s_waitcnt lgkmcnt(4)
	v_pk_fma_f32 v[14:15], v[32:33], v[80:81], v[14:15] op_sel_hi:[0,1,1] neg_lo:[1,0,0] neg_hi:[1,0,0]
	s_waitcnt lgkmcnt(3)
	v_pk_fma_f32 v[8:9], v[32:33], v[76:77], v[8:9] op_sel_hi:[0,1,1] neg_lo:[1,0,0] neg_hi:[1,0,0]
	;; [unrolled: 2-line block ×5, first 2 shown]
.LBB124_403:
	s_or_b64 exec, exec, s[0:1]
	v_lshl_add_u32 v70, v73, 2, v69
	s_barrier
	ds_write_b32 v70, v33
	s_waitcnt lgkmcnt(0)
	s_barrier
	ds_read_b32 v72, v69 offset:96
	s_cmp_lt_i32 s22, 26
	v_mov_b32_e32 v70, 24
	s_cbranch_scc1 .LBB124_406
; %bb.404:
	v_add_u32_e32 v75, 0x64, v69
	v_mov_b32_e32 v70, 24
	s_mov_b32 s0, 25
.LBB124_405:                            ; =>This Inner Loop Header: Depth=1
	ds_read_b32 v76, v75
	v_mov_b32_e32 v77, s0
	s_add_i32 s0, s0, 1
	v_add_u32_e32 v75, 4, v75
	s_cmp_lg_u32 s22, s0
	s_waitcnt lgkmcnt(0)
	v_cmp_lt_f32_e64 vcc, |v72|, |v76|
	s_nop 1
	v_cndmask_b32_e32 v72, v72, v76, vcc
	v_cndmask_b32_e32 v70, v70, v77, vcc
	s_cbranch_scc1 .LBB124_405
.LBB124_406:
	s_waitcnt lgkmcnt(0)
	v_cmp_eq_f32_e32 vcc, 0, v72
	s_and_saveexec_b64 s[0:1], vcc
	s_xor_b64 s[0:1], exec, s[0:1]
; %bb.407:
	v_cmp_ne_u32_e32 vcc, 0, v74
	s_nop 1
	v_cndmask_b32_e32 v74, 25, v74, vcc
; %bb.408:
	s_andn2_saveexec_b64 s[0:1], s[0:1]
	s_cbranch_execz .LBB124_410
; %bb.409:
	v_div_scale_f32 v75, s[2:3], v72, v72, 1.0
	v_rcp_f32_e32 v76, v75
	v_div_scale_f32 v77, vcc, 1.0, v72, 1.0
	v_fma_f32 v78, -v75, v76, 1.0
	v_fmac_f32_e32 v76, v78, v76
	v_mul_f32_e32 v78, v77, v76
	v_fma_f32 v79, -v75, v78, v77
	v_fmac_f32_e32 v78, v79, v76
	v_fma_f32 v75, -v75, v78, v77
	v_div_fmas_f32 v75, v75, v76, v78
	v_div_fixup_f32 v72, v75, v72, 1.0
.LBB124_410:
	s_or_b64 exec, exec, s[0:1]
	v_cmp_ne_u32_e32 vcc, v73, v70
	s_and_saveexec_b64 s[0:1], vcc
	s_xor_b64 s[0:1], exec, s[0:1]
	s_cbranch_execz .LBB124_416
; %bb.411:
	v_cmp_eq_u32_e32 vcc, 24, v73
	s_and_saveexec_b64 s[2:3], vcc
	s_cbranch_execz .LBB124_415
; %bb.412:
	v_cmp_ne_u32_e32 vcc, 24, v70
	s_xor_b64 s[12:13], s[20:21], -1
	s_and_b64 s[14:15], s[12:13], vcc
	s_and_saveexec_b64 s[12:13], s[14:15]
	s_cbranch_execz .LBB124_414
; %bb.413:
	v_ashrrev_i32_e32 v71, 31, v70
	v_lshl_add_u64 v[76:77], v[70:71], 2, v[4:5]
	global_load_dword v71, v[76:77], off
	global_load_dword v73, v[4:5], off offset:96
	s_waitcnt vmcnt(1)
	global_store_dword v[4:5], v71, off offset:96
	s_waitcnt vmcnt(1)
	global_store_dword v[76:77], v73, off
.LBB124_414:
	s_or_b64 exec, exec, s[12:13]
	v_mov_b32_e32 v71, v70
	v_mov_b32_e32 v73, v70
.LBB124_415:
	s_or_b64 exec, exec, s[2:3]
.LBB124_416:
	s_andn2_saveexec_b64 s[0:1], s[0:1]
	s_cbranch_execz .LBB124_418
; %bb.417:
	v_mov_b32_e32 v73, 24
	ds_write2_b32 v69, v48, v49 offset0:25 offset1:26
	ds_write2_b32 v69, v42, v43 offset0:27 offset1:28
	;; [unrolled: 1-line block ×19, first 2 shown]
.LBB124_418:
	s_or_b64 exec, exec, s[0:1]
	v_cmp_lt_i32_e32 vcc, 24, v73
	s_waitcnt lgkmcnt(0)
	s_barrier
	s_and_saveexec_b64 s[0:1], vcc
	s_cbranch_execz .LBB124_420
; %bb.419:
	ds_read2_b32 v[76:77], v69 offset0:25 offset1:26
	ds_read2_b32 v[78:79], v69 offset0:27 offset1:28
	;; [unrolled: 1-line block ×3, first 2 shown]
	v_mul_f32_e32 v70, v72, v33
	ds_read2_b32 v[82:83], v69 offset0:31 offset1:32
	s_waitcnt lgkmcnt(3)
	v_pk_fma_f32 v[48:49], v[70:71], v[76:77], v[48:49] op_sel_hi:[0,1,1] neg_lo:[1,0,0] neg_hi:[1,0,0]
	s_waitcnt lgkmcnt(2)
	v_pk_fma_f32 v[42:43], v[70:71], v[78:79], v[42:43] op_sel_hi:[0,1,1] neg_lo:[1,0,0] neg_hi:[1,0,0]
	;; [unrolled: 2-line block ×3, first 2 shown]
	ds_read2_b32 v[76:77], v69 offset0:33 offset1:34
	ds_read2_b32 v[78:79], v69 offset0:35 offset1:36
	;; [unrolled: 1-line block ×3, first 2 shown]
	s_waitcnt lgkmcnt(3)
	v_pk_fma_f32 v[24:25], v[70:71], v[82:83], v[24:25] op_sel_hi:[0,1,1] neg_lo:[1,0,0] neg_hi:[1,0,0]
	ds_read2_b32 v[82:83], v69 offset0:39 offset1:40
	s_waitcnt lgkmcnt(3)
	v_pk_fma_f32 v[44:45], v[70:71], v[76:77], v[44:45] op_sel_hi:[0,1,1] neg_lo:[1,0,0] neg_hi:[1,0,0]
	s_waitcnt lgkmcnt(2)
	v_pk_fma_f32 v[36:37], v[70:71], v[78:79], v[36:37] op_sel_hi:[0,1,1] neg_lo:[1,0,0] neg_hi:[1,0,0]
	;; [unrolled: 2-line block ×3, first 2 shown]
	ds_read2_b32 v[76:77], v69 offset0:41 offset1:42
	ds_read2_b32 v[78:79], v69 offset0:43 offset1:44
	;; [unrolled: 1-line block ×3, first 2 shown]
	s_waitcnt lgkmcnt(3)
	v_pk_fma_f32 v[18:19], v[70:71], v[82:83], v[18:19] op_sel_hi:[0,1,1] neg_lo:[1,0,0] neg_hi:[1,0,0]
	ds_read2_b32 v[82:83], v69 offset0:47 offset1:48
	s_waitcnt lgkmcnt(3)
	v_pk_fma_f32 v[38:39], v[70:71], v[76:77], v[38:39] op_sel_hi:[0,1,1] neg_lo:[1,0,0] neg_hi:[1,0,0]
	s_waitcnt lgkmcnt(2)
	v_pk_fma_f32 v[28:29], v[70:71], v[78:79], v[28:29] op_sel_hi:[0,1,1] neg_lo:[1,0,0] neg_hi:[1,0,0]
	ds_read2_b32 v[76:77], v69 offset0:49 offset1:50
	ds_read2_b32 v[78:79], v69 offset0:51 offset1:52
	s_waitcnt lgkmcnt(3)
	v_pk_fma_f32 v[20:21], v[70:71], v[80:81], v[20:21] op_sel_hi:[0,1,1] neg_lo:[1,0,0] neg_hi:[1,0,0]
	s_waitcnt lgkmcnt(2)
	v_pk_fma_f32 v[12:13], v[70:71], v[82:83], v[12:13] op_sel_hi:[0,1,1] neg_lo:[1,0,0] neg_hi:[1,0,0]
	ds_read2_b32 v[80:81], v69 offset0:53 offset1:54
	;; [unrolled: 6-line block ×3, first 2 shown]
	ds_read2_b32 v[78:79], v69 offset0:59 offset1:60
	ds_read2_b32 v[84:85], v69 offset0:61 offset1:62
	s_waitcnt lgkmcnt(4)
	v_pk_fma_f32 v[14:15], v[70:71], v[80:81], v[14:15] op_sel_hi:[0,1,1] neg_lo:[1,0,0] neg_hi:[1,0,0]
	s_waitcnt lgkmcnt(3)
	v_pk_fma_f32 v[8:9], v[70:71], v[82:83], v[8:9] op_sel_hi:[0,1,1] neg_lo:[1,0,0] neg_hi:[1,0,0]
	;; [unrolled: 2-line block ×5, first 2 shown]
	v_mov_b32_e32 v33, v70
.LBB124_420:
	s_or_b64 exec, exec, s[0:1]
	v_lshl_add_u32 v70, v73, 2, v69
	s_barrier
	ds_write_b32 v70, v48
	s_waitcnt lgkmcnt(0)
	s_barrier
	ds_read_b32 v72, v69 offset:100
	s_cmp_lt_i32 s22, 27
	v_mov_b32_e32 v70, 25
	s_cbranch_scc1 .LBB124_423
; %bb.421:
	v_add_u32_e32 v75, 0x68, v69
	v_mov_b32_e32 v70, 25
	s_mov_b32 s0, 26
.LBB124_422:                            ; =>This Inner Loop Header: Depth=1
	ds_read_b32 v76, v75
	v_mov_b32_e32 v77, s0
	s_add_i32 s0, s0, 1
	v_add_u32_e32 v75, 4, v75
	s_cmp_lg_u32 s22, s0
	s_waitcnt lgkmcnt(0)
	v_cmp_lt_f32_e64 vcc, |v72|, |v76|
	s_nop 1
	v_cndmask_b32_e32 v72, v72, v76, vcc
	v_cndmask_b32_e32 v70, v70, v77, vcc
	s_cbranch_scc1 .LBB124_422
.LBB124_423:
	s_waitcnt lgkmcnt(0)
	v_cmp_eq_f32_e32 vcc, 0, v72
	s_and_saveexec_b64 s[0:1], vcc
	s_xor_b64 s[0:1], exec, s[0:1]
; %bb.424:
	v_cmp_ne_u32_e32 vcc, 0, v74
	s_nop 1
	v_cndmask_b32_e32 v74, 26, v74, vcc
; %bb.425:
	s_andn2_saveexec_b64 s[0:1], s[0:1]
	s_cbranch_execz .LBB124_427
; %bb.426:
	v_div_scale_f32 v75, s[2:3], v72, v72, 1.0
	v_rcp_f32_e32 v76, v75
	v_div_scale_f32 v77, vcc, 1.0, v72, 1.0
	v_fma_f32 v78, -v75, v76, 1.0
	v_fmac_f32_e32 v76, v78, v76
	v_mul_f32_e32 v78, v77, v76
	v_fma_f32 v79, -v75, v78, v77
	v_fmac_f32_e32 v78, v79, v76
	v_fma_f32 v75, -v75, v78, v77
	v_div_fmas_f32 v75, v75, v76, v78
	v_div_fixup_f32 v72, v75, v72, 1.0
.LBB124_427:
	s_or_b64 exec, exec, s[0:1]
	v_cmp_ne_u32_e32 vcc, v73, v70
	s_and_saveexec_b64 s[0:1], vcc
	s_xor_b64 s[0:1], exec, s[0:1]
	s_cbranch_execz .LBB124_433
; %bb.428:
	v_cmp_eq_u32_e32 vcc, 25, v73
	s_and_saveexec_b64 s[2:3], vcc
	s_cbranch_execz .LBB124_432
; %bb.429:
	v_cmp_ne_u32_e32 vcc, 25, v70
	s_xor_b64 s[12:13], s[20:21], -1
	s_and_b64 s[14:15], s[12:13], vcc
	s_and_saveexec_b64 s[12:13], s[14:15]
	s_cbranch_execz .LBB124_431
; %bb.430:
	v_ashrrev_i32_e32 v71, 31, v70
	v_lshl_add_u64 v[76:77], v[70:71], 2, v[4:5]
	global_load_dword v71, v[76:77], off
	global_load_dword v73, v[4:5], off offset:100
	s_waitcnt vmcnt(1)
	global_store_dword v[4:5], v71, off offset:100
	s_waitcnt vmcnt(1)
	global_store_dword v[76:77], v73, off
.LBB124_431:
	s_or_b64 exec, exec, s[12:13]
	v_mov_b32_e32 v71, v70
	v_mov_b32_e32 v73, v70
.LBB124_432:
	s_or_b64 exec, exec, s[2:3]
.LBB124_433:
	s_andn2_saveexec_b64 s[0:1], s[0:1]
	s_cbranch_execz .LBB124_435
; %bb.434:
	v_pk_mov_b32 v[76:77], v[48:49], v[42:43] op_sel:[1,0]
	ds_write2_b32 v69, v76, v77 offset0:26 offset1:27
	v_pk_mov_b32 v[76:77], v[42:43], v[34:35] op_sel:[1,0]
	ds_write2_b32 v69, v76, v77 offset0:28 offset1:29
	;; [unrolled: 2-line block ×17, first 2 shown]
	v_pk_mov_b32 v[76:77], v[16:17], v[10:11] op_sel:[1,0]
	v_mov_b32_e32 v73, 25
	ds_write2_b32 v69, v76, v77 offset0:60 offset1:61
	ds_write_b32 v69, v11 offset:248
.LBB124_435:
	s_or_b64 exec, exec, s[0:1]
	v_cmp_lt_i32_e32 vcc, 25, v73
	s_waitcnt lgkmcnt(0)
	s_barrier
	s_and_saveexec_b64 s[0:1], vcc
	s_cbranch_execz .LBB124_437
; %bb.436:
	ds_read_b32 v70, v69 offset:104
	ds_read2_b32 v[76:77], v69 offset0:27 offset1:28
	ds_read2_b32 v[78:79], v69 offset0:29 offset1:30
	v_mul_f32_e32 v48, v72, v48
	ds_read2_b32 v[80:81], v69 offset0:31 offset1:32
	s_waitcnt lgkmcnt(3)
	v_fma_f32 v49, -v48, v70, v49
	s_waitcnt lgkmcnt(2)
	v_pk_fma_f32 v[42:43], v[48:49], v[76:77], v[42:43] op_sel_hi:[0,1,1] neg_lo:[1,0,0] neg_hi:[1,0,0]
	s_waitcnt lgkmcnt(1)
	v_pk_fma_f32 v[34:35], v[48:49], v[78:79], v[34:35] op_sel_hi:[0,1,1] neg_lo:[1,0,0] neg_hi:[1,0,0]
	ds_read2_b32 v[76:77], v69 offset0:33 offset1:34
	ds_read2_b32 v[78:79], v69 offset0:35 offset1:36
	;; [unrolled: 1-line block ×3, first 2 shown]
	s_waitcnt lgkmcnt(3)
	v_pk_fma_f32 v[24:25], v[48:49], v[80:81], v[24:25] op_sel_hi:[0,1,1] neg_lo:[1,0,0] neg_hi:[1,0,0]
	ds_read2_b32 v[80:81], v69 offset0:39 offset1:40
	s_waitcnt lgkmcnt(3)
	v_pk_fma_f32 v[44:45], v[48:49], v[76:77], v[44:45] op_sel_hi:[0,1,1] neg_lo:[1,0,0] neg_hi:[1,0,0]
	s_waitcnt lgkmcnt(2)
	v_pk_fma_f32 v[36:37], v[48:49], v[78:79], v[36:37] op_sel_hi:[0,1,1] neg_lo:[1,0,0] neg_hi:[1,0,0]
	;; [unrolled: 2-line block ×3, first 2 shown]
	ds_read2_b32 v[76:77], v69 offset0:41 offset1:42
	ds_read2_b32 v[78:79], v69 offset0:43 offset1:44
	;; [unrolled: 1-line block ×3, first 2 shown]
	s_waitcnt lgkmcnt(3)
	v_pk_fma_f32 v[18:19], v[48:49], v[80:81], v[18:19] op_sel_hi:[0,1,1] neg_lo:[1,0,0] neg_hi:[1,0,0]
	ds_read2_b32 v[80:81], v69 offset0:47 offset1:48
	s_waitcnt lgkmcnt(3)
	v_pk_fma_f32 v[38:39], v[48:49], v[76:77], v[38:39] op_sel_hi:[0,1,1] neg_lo:[1,0,0] neg_hi:[1,0,0]
	s_waitcnt lgkmcnt(2)
	v_pk_fma_f32 v[28:29], v[48:49], v[78:79], v[28:29] op_sel_hi:[0,1,1] neg_lo:[1,0,0] neg_hi:[1,0,0]
	ds_read2_b32 v[76:77], v69 offset0:49 offset1:50
	ds_read2_b32 v[78:79], v69 offset0:51 offset1:52
	s_waitcnt lgkmcnt(3)
	v_pk_fma_f32 v[20:21], v[48:49], v[82:83], v[20:21] op_sel_hi:[0,1,1] neg_lo:[1,0,0] neg_hi:[1,0,0]
	s_waitcnt lgkmcnt(2)
	v_pk_fma_f32 v[12:13], v[48:49], v[80:81], v[12:13] op_sel_hi:[0,1,1] neg_lo:[1,0,0] neg_hi:[1,0,0]
	ds_read2_b32 v[80:81], v69 offset0:53 offset1:54
	ds_read2_b32 v[82:83], v69 offset0:55 offset1:56
	s_waitcnt lgkmcnt(3)
	v_pk_fma_f32 v[30:31], v[48:49], v[76:77], v[30:31] op_sel_hi:[0,1,1] neg_lo:[1,0,0] neg_hi:[1,0,0]
	s_waitcnt lgkmcnt(2)
	v_pk_fma_f32 v[22:23], v[48:49], v[78:79], v[22:23] op_sel_hi:[0,1,1] neg_lo:[1,0,0] neg_hi:[1,0,0]
	ds_read2_b32 v[76:77], v69 offset0:57 offset1:58
	ds_read2_b32 v[78:79], v69 offset0:59 offset1:60
	ds_read2_b32 v[84:85], v69 offset0:61 offset1:62
	s_waitcnt lgkmcnt(4)
	v_pk_fma_f32 v[14:15], v[48:49], v[80:81], v[14:15] op_sel_hi:[0,1,1] neg_lo:[1,0,0] neg_hi:[1,0,0]
	s_waitcnt lgkmcnt(3)
	v_pk_fma_f32 v[8:9], v[48:49], v[82:83], v[8:9] op_sel_hi:[0,1,1] neg_lo:[1,0,0] neg_hi:[1,0,0]
	;; [unrolled: 2-line block ×5, first 2 shown]
.LBB124_437:
	s_or_b64 exec, exec, s[0:1]
	v_lshl_add_u32 v70, v73, 2, v69
	s_barrier
	ds_write_b32 v70, v49
	s_waitcnt lgkmcnt(0)
	s_barrier
	ds_read_b32 v72, v69 offset:104
	s_cmp_lt_i32 s22, 28
	v_mov_b32_e32 v70, 26
	s_cbranch_scc1 .LBB124_440
; %bb.438:
	v_add_u32_e32 v75, 0x6c, v69
	v_mov_b32_e32 v70, 26
	s_mov_b32 s0, 27
.LBB124_439:                            ; =>This Inner Loop Header: Depth=1
	ds_read_b32 v76, v75
	v_mov_b32_e32 v77, s0
	s_add_i32 s0, s0, 1
	v_add_u32_e32 v75, 4, v75
	s_cmp_lg_u32 s22, s0
	s_waitcnt lgkmcnt(0)
	v_cmp_lt_f32_e64 vcc, |v72|, |v76|
	s_nop 1
	v_cndmask_b32_e32 v72, v72, v76, vcc
	v_cndmask_b32_e32 v70, v70, v77, vcc
	s_cbranch_scc1 .LBB124_439
.LBB124_440:
	s_waitcnt lgkmcnt(0)
	v_cmp_eq_f32_e32 vcc, 0, v72
	s_and_saveexec_b64 s[0:1], vcc
	s_xor_b64 s[0:1], exec, s[0:1]
; %bb.441:
	v_cmp_ne_u32_e32 vcc, 0, v74
	s_nop 1
	v_cndmask_b32_e32 v74, 27, v74, vcc
; %bb.442:
	s_andn2_saveexec_b64 s[0:1], s[0:1]
	s_cbranch_execz .LBB124_444
; %bb.443:
	v_div_scale_f32 v75, s[2:3], v72, v72, 1.0
	v_rcp_f32_e32 v76, v75
	v_div_scale_f32 v77, vcc, 1.0, v72, 1.0
	v_fma_f32 v78, -v75, v76, 1.0
	v_fmac_f32_e32 v76, v78, v76
	v_mul_f32_e32 v78, v77, v76
	v_fma_f32 v79, -v75, v78, v77
	v_fmac_f32_e32 v78, v79, v76
	v_fma_f32 v75, -v75, v78, v77
	v_div_fmas_f32 v75, v75, v76, v78
	v_div_fixup_f32 v72, v75, v72, 1.0
.LBB124_444:
	s_or_b64 exec, exec, s[0:1]
	v_cmp_ne_u32_e32 vcc, v73, v70
	s_and_saveexec_b64 s[0:1], vcc
	s_xor_b64 s[0:1], exec, s[0:1]
	s_cbranch_execz .LBB124_450
; %bb.445:
	v_cmp_eq_u32_e32 vcc, 26, v73
	s_and_saveexec_b64 s[2:3], vcc
	s_cbranch_execz .LBB124_449
; %bb.446:
	v_cmp_ne_u32_e32 vcc, 26, v70
	s_xor_b64 s[12:13], s[20:21], -1
	s_and_b64 s[14:15], s[12:13], vcc
	s_and_saveexec_b64 s[12:13], s[14:15]
	s_cbranch_execz .LBB124_448
; %bb.447:
	v_ashrrev_i32_e32 v71, 31, v70
	v_lshl_add_u64 v[76:77], v[70:71], 2, v[4:5]
	global_load_dword v71, v[76:77], off
	global_load_dword v73, v[4:5], off offset:104
	s_waitcnt vmcnt(1)
	global_store_dword v[4:5], v71, off offset:104
	s_waitcnt vmcnt(1)
	global_store_dword v[76:77], v73, off
.LBB124_448:
	s_or_b64 exec, exec, s[12:13]
	v_mov_b32_e32 v71, v70
	v_mov_b32_e32 v73, v70
.LBB124_449:
	s_or_b64 exec, exec, s[2:3]
.LBB124_450:
	s_andn2_saveexec_b64 s[0:1], s[0:1]
	s_cbranch_execz .LBB124_452
; %bb.451:
	v_mov_b32_e32 v73, 26
	ds_write2_b32 v69, v42, v43 offset0:27 offset1:28
	ds_write2_b32 v69, v34, v35 offset0:29 offset1:30
	;; [unrolled: 1-line block ×18, first 2 shown]
.LBB124_452:
	s_or_b64 exec, exec, s[0:1]
	v_cmp_lt_i32_e32 vcc, 26, v73
	s_waitcnt lgkmcnt(0)
	s_barrier
	s_and_saveexec_b64 s[0:1], vcc
	s_cbranch_execz .LBB124_454
; %bb.453:
	ds_read2_b32 v[76:77], v69 offset0:27 offset1:28
	ds_read2_b32 v[78:79], v69 offset0:29 offset1:30
	;; [unrolled: 1-line block ×4, first 2 shown]
	v_mul_f32_e32 v70, v72, v49
	s_waitcnt lgkmcnt(3)
	v_pk_fma_f32 v[42:43], v[70:71], v[76:77], v[42:43] op_sel_hi:[0,1,1] neg_lo:[1,0,0] neg_hi:[1,0,0]
	s_waitcnt lgkmcnt(2)
	v_pk_fma_f32 v[34:35], v[70:71], v[78:79], v[34:35] op_sel_hi:[0,1,1] neg_lo:[1,0,0] neg_hi:[1,0,0]
	;; [unrolled: 2-line block ×3, first 2 shown]
	ds_read2_b32 v[76:77], v69 offset0:35 offset1:36
	ds_read2_b32 v[78:79], v69 offset0:37 offset1:38
	;; [unrolled: 1-line block ×3, first 2 shown]
	s_waitcnt lgkmcnt(3)
	v_pk_fma_f32 v[44:45], v[70:71], v[82:83], v[44:45] op_sel_hi:[0,1,1] neg_lo:[1,0,0] neg_hi:[1,0,0]
	ds_read2_b32 v[82:83], v69 offset0:41 offset1:42
	s_waitcnt lgkmcnt(3)
	v_pk_fma_f32 v[36:37], v[70:71], v[76:77], v[36:37] op_sel_hi:[0,1,1] neg_lo:[1,0,0] neg_hi:[1,0,0]
	s_waitcnt lgkmcnt(2)
	v_pk_fma_f32 v[26:27], v[70:71], v[78:79], v[26:27] op_sel_hi:[0,1,1] neg_lo:[1,0,0] neg_hi:[1,0,0]
	;; [unrolled: 2-line block ×3, first 2 shown]
	ds_read2_b32 v[76:77], v69 offset0:43 offset1:44
	ds_read2_b32 v[78:79], v69 offset0:45 offset1:46
	;; [unrolled: 1-line block ×3, first 2 shown]
	s_waitcnt lgkmcnt(3)
	v_pk_fma_f32 v[38:39], v[70:71], v[82:83], v[38:39] op_sel_hi:[0,1,1] neg_lo:[1,0,0] neg_hi:[1,0,0]
	ds_read2_b32 v[82:83], v69 offset0:49 offset1:50
	s_waitcnt lgkmcnt(3)
	v_pk_fma_f32 v[28:29], v[70:71], v[76:77], v[28:29] op_sel_hi:[0,1,1] neg_lo:[1,0,0] neg_hi:[1,0,0]
	ds_read2_b32 v[76:77], v69 offset0:51 offset1:52
	s_waitcnt lgkmcnt(3)
	v_pk_fma_f32 v[20:21], v[70:71], v[78:79], v[20:21] op_sel_hi:[0,1,1] neg_lo:[1,0,0] neg_hi:[1,0,0]
	s_waitcnt lgkmcnt(2)
	v_pk_fma_f32 v[12:13], v[70:71], v[80:81], v[12:13] op_sel_hi:[0,1,1] neg_lo:[1,0,0] neg_hi:[1,0,0]
	;; [unrolled: 2-line block ×3, first 2 shown]
	ds_read2_b32 v[78:79], v69 offset0:53 offset1:54
	ds_read2_b32 v[80:81], v69 offset0:55 offset1:56
	;; [unrolled: 1-line block ×3, first 2 shown]
	s_waitcnt lgkmcnt(3)
	v_pk_fma_f32 v[22:23], v[70:71], v[76:77], v[22:23] op_sel_hi:[0,1,1] neg_lo:[1,0,0] neg_hi:[1,0,0]
	ds_read2_b32 v[76:77], v69 offset0:59 offset1:60
	ds_read2_b32 v[84:85], v69 offset0:61 offset1:62
	s_waitcnt lgkmcnt(4)
	v_pk_fma_f32 v[14:15], v[70:71], v[78:79], v[14:15] op_sel_hi:[0,1,1] neg_lo:[1,0,0] neg_hi:[1,0,0]
	s_waitcnt lgkmcnt(3)
	v_pk_fma_f32 v[8:9], v[70:71], v[80:81], v[8:9] op_sel_hi:[0,1,1] neg_lo:[1,0,0] neg_hi:[1,0,0]
	;; [unrolled: 2-line block ×5, first 2 shown]
	v_mov_b32_e32 v49, v70
.LBB124_454:
	s_or_b64 exec, exec, s[0:1]
	v_lshl_add_u32 v70, v73, 2, v69
	s_barrier
	ds_write_b32 v70, v42
	s_waitcnt lgkmcnt(0)
	s_barrier
	ds_read_b32 v72, v69 offset:108
	s_cmp_lt_i32 s22, 29
	v_mov_b32_e32 v70, 27
	s_cbranch_scc1 .LBB124_457
; %bb.455:
	v_add_u32_e32 v75, 0x70, v69
	v_mov_b32_e32 v70, 27
	s_mov_b32 s0, 28
.LBB124_456:                            ; =>This Inner Loop Header: Depth=1
	ds_read_b32 v76, v75
	v_mov_b32_e32 v77, s0
	s_add_i32 s0, s0, 1
	v_add_u32_e32 v75, 4, v75
	s_cmp_lg_u32 s22, s0
	s_waitcnt lgkmcnt(0)
	v_cmp_lt_f32_e64 vcc, |v72|, |v76|
	s_nop 1
	v_cndmask_b32_e32 v72, v72, v76, vcc
	v_cndmask_b32_e32 v70, v70, v77, vcc
	s_cbranch_scc1 .LBB124_456
.LBB124_457:
	s_waitcnt lgkmcnt(0)
	v_cmp_eq_f32_e32 vcc, 0, v72
	s_and_saveexec_b64 s[0:1], vcc
	s_xor_b64 s[0:1], exec, s[0:1]
; %bb.458:
	v_cmp_ne_u32_e32 vcc, 0, v74
	s_nop 1
	v_cndmask_b32_e32 v74, 28, v74, vcc
; %bb.459:
	s_andn2_saveexec_b64 s[0:1], s[0:1]
	s_cbranch_execz .LBB124_461
; %bb.460:
	v_div_scale_f32 v75, s[2:3], v72, v72, 1.0
	v_rcp_f32_e32 v76, v75
	v_div_scale_f32 v77, vcc, 1.0, v72, 1.0
	v_fma_f32 v78, -v75, v76, 1.0
	v_fmac_f32_e32 v76, v78, v76
	v_mul_f32_e32 v78, v77, v76
	v_fma_f32 v79, -v75, v78, v77
	v_fmac_f32_e32 v78, v79, v76
	v_fma_f32 v75, -v75, v78, v77
	v_div_fmas_f32 v75, v75, v76, v78
	v_div_fixup_f32 v72, v75, v72, 1.0
.LBB124_461:
	s_or_b64 exec, exec, s[0:1]
	v_cmp_ne_u32_e32 vcc, v73, v70
	s_and_saveexec_b64 s[0:1], vcc
	s_xor_b64 s[0:1], exec, s[0:1]
	s_cbranch_execz .LBB124_467
; %bb.462:
	v_cmp_eq_u32_e32 vcc, 27, v73
	s_and_saveexec_b64 s[2:3], vcc
	s_cbranch_execz .LBB124_466
; %bb.463:
	v_cmp_ne_u32_e32 vcc, 27, v70
	s_xor_b64 s[12:13], s[20:21], -1
	s_and_b64 s[14:15], s[12:13], vcc
	s_and_saveexec_b64 s[12:13], s[14:15]
	s_cbranch_execz .LBB124_465
; %bb.464:
	v_ashrrev_i32_e32 v71, 31, v70
	v_lshl_add_u64 v[76:77], v[70:71], 2, v[4:5]
	global_load_dword v71, v[76:77], off
	global_load_dword v73, v[4:5], off offset:108
	s_waitcnt vmcnt(1)
	global_store_dword v[4:5], v71, off offset:108
	s_waitcnt vmcnt(1)
	global_store_dword v[76:77], v73, off
.LBB124_465:
	s_or_b64 exec, exec, s[12:13]
	v_mov_b32_e32 v71, v70
	v_mov_b32_e32 v73, v70
.LBB124_466:
	s_or_b64 exec, exec, s[2:3]
.LBB124_467:
	s_andn2_saveexec_b64 s[0:1], s[0:1]
	s_cbranch_execz .LBB124_469
; %bb.468:
	v_pk_mov_b32 v[76:77], v[42:43], v[34:35] op_sel:[1,0]
	ds_write2_b32 v69, v76, v77 offset0:28 offset1:29
	v_pk_mov_b32 v[76:77], v[34:35], v[24:25] op_sel:[1,0]
	ds_write2_b32 v69, v76, v77 offset0:30 offset1:31
	;; [unrolled: 2-line block ×16, first 2 shown]
	v_pk_mov_b32 v[76:77], v[16:17], v[10:11] op_sel:[1,0]
	v_mov_b32_e32 v73, 27
	ds_write2_b32 v69, v76, v77 offset0:60 offset1:61
	ds_write_b32 v69, v11 offset:248
.LBB124_469:
	s_or_b64 exec, exec, s[0:1]
	v_cmp_lt_i32_e32 vcc, 27, v73
	s_waitcnt lgkmcnt(0)
	s_barrier
	s_and_saveexec_b64 s[0:1], vcc
	s_cbranch_execz .LBB124_471
; %bb.470:
	ds_read_b32 v70, v69 offset:112
	ds_read2_b32 v[76:77], v69 offset0:29 offset1:30
	ds_read2_b32 v[78:79], v69 offset0:31 offset1:32
	v_mul_f32_e32 v42, v72, v42
	ds_read2_b32 v[80:81], v69 offset0:33 offset1:34
	s_waitcnt lgkmcnt(3)
	v_fma_f32 v43, -v42, v70, v43
	s_waitcnt lgkmcnt(2)
	v_pk_fma_f32 v[34:35], v[42:43], v[76:77], v[34:35] op_sel_hi:[0,1,1] neg_lo:[1,0,0] neg_hi:[1,0,0]
	s_waitcnt lgkmcnt(1)
	v_pk_fma_f32 v[24:25], v[42:43], v[78:79], v[24:25] op_sel_hi:[0,1,1] neg_lo:[1,0,0] neg_hi:[1,0,0]
	ds_read2_b32 v[76:77], v69 offset0:35 offset1:36
	ds_read2_b32 v[78:79], v69 offset0:37 offset1:38
	;; [unrolled: 1-line block ×3, first 2 shown]
	s_waitcnt lgkmcnt(3)
	v_pk_fma_f32 v[44:45], v[42:43], v[80:81], v[44:45] op_sel_hi:[0,1,1] neg_lo:[1,0,0] neg_hi:[1,0,0]
	ds_read2_b32 v[80:81], v69 offset0:41 offset1:42
	s_waitcnt lgkmcnt(3)
	v_pk_fma_f32 v[36:37], v[42:43], v[76:77], v[36:37] op_sel_hi:[0,1,1] neg_lo:[1,0,0] neg_hi:[1,0,0]
	s_waitcnt lgkmcnt(2)
	v_pk_fma_f32 v[26:27], v[42:43], v[78:79], v[26:27] op_sel_hi:[0,1,1] neg_lo:[1,0,0] neg_hi:[1,0,0]
	;; [unrolled: 2-line block ×3, first 2 shown]
	ds_read2_b32 v[76:77], v69 offset0:43 offset1:44
	ds_read2_b32 v[78:79], v69 offset0:45 offset1:46
	ds_read2_b32 v[82:83], v69 offset0:47 offset1:48
	s_waitcnt lgkmcnt(3)
	v_pk_fma_f32 v[38:39], v[42:43], v[80:81], v[38:39] op_sel_hi:[0,1,1] neg_lo:[1,0,0] neg_hi:[1,0,0]
	ds_read2_b32 v[80:81], v69 offset0:49 offset1:50
	s_waitcnt lgkmcnt(3)
	v_pk_fma_f32 v[28:29], v[42:43], v[76:77], v[28:29] op_sel_hi:[0,1,1] neg_lo:[1,0,0] neg_hi:[1,0,0]
	ds_read2_b32 v[76:77], v69 offset0:51 offset1:52
	s_waitcnt lgkmcnt(3)
	v_pk_fma_f32 v[20:21], v[42:43], v[78:79], v[20:21] op_sel_hi:[0,1,1] neg_lo:[1,0,0] neg_hi:[1,0,0]
	s_waitcnt lgkmcnt(2)
	v_pk_fma_f32 v[12:13], v[42:43], v[82:83], v[12:13] op_sel_hi:[0,1,1] neg_lo:[1,0,0] neg_hi:[1,0,0]
	s_waitcnt lgkmcnt(1)
	v_pk_fma_f32 v[30:31], v[42:43], v[80:81], v[30:31] op_sel_hi:[0,1,1] neg_lo:[1,0,0] neg_hi:[1,0,0]
	ds_read2_b32 v[78:79], v69 offset0:53 offset1:54
	ds_read2_b32 v[80:81], v69 offset0:55 offset1:56
	;; [unrolled: 1-line block ×3, first 2 shown]
	s_waitcnt lgkmcnt(3)
	v_pk_fma_f32 v[22:23], v[42:43], v[76:77], v[22:23] op_sel_hi:[0,1,1] neg_lo:[1,0,0] neg_hi:[1,0,0]
	ds_read2_b32 v[76:77], v69 offset0:59 offset1:60
	ds_read2_b32 v[84:85], v69 offset0:61 offset1:62
	s_waitcnt lgkmcnt(4)
	v_pk_fma_f32 v[14:15], v[42:43], v[78:79], v[14:15] op_sel_hi:[0,1,1] neg_lo:[1,0,0] neg_hi:[1,0,0]
	s_waitcnt lgkmcnt(3)
	v_pk_fma_f32 v[8:9], v[42:43], v[80:81], v[8:9] op_sel_hi:[0,1,1] neg_lo:[1,0,0] neg_hi:[1,0,0]
	s_waitcnt lgkmcnt(2)
	v_pk_fma_f32 v[0:1], v[42:43], v[82:83], v[0:1] op_sel_hi:[0,1,1] neg_lo:[1,0,0] neg_hi:[1,0,0]
	s_waitcnt lgkmcnt(1)
	v_pk_fma_f32 v[16:17], v[42:43], v[76:77], v[16:17] op_sel_hi:[0,1,1] neg_lo:[1,0,0] neg_hi:[1,0,0]
	s_waitcnt lgkmcnt(0)
	v_pk_fma_f32 v[10:11], v[42:43], v[84:85], v[10:11] op_sel_hi:[0,1,1] neg_lo:[1,0,0] neg_hi:[1,0,0]
.LBB124_471:
	s_or_b64 exec, exec, s[0:1]
	v_lshl_add_u32 v70, v73, 2, v69
	s_barrier
	ds_write_b32 v70, v43
	s_waitcnt lgkmcnt(0)
	s_barrier
	ds_read_b32 v72, v69 offset:112
	s_cmp_lt_i32 s22, 30
	v_mov_b32_e32 v70, 28
	s_cbranch_scc1 .LBB124_474
; %bb.472:
	v_add_u32_e32 v75, 0x74, v69
	v_mov_b32_e32 v70, 28
	s_mov_b32 s0, 29
.LBB124_473:                            ; =>This Inner Loop Header: Depth=1
	ds_read_b32 v76, v75
	v_mov_b32_e32 v77, s0
	s_add_i32 s0, s0, 1
	v_add_u32_e32 v75, 4, v75
	s_cmp_lg_u32 s22, s0
	s_waitcnt lgkmcnt(0)
	v_cmp_lt_f32_e64 vcc, |v72|, |v76|
	s_nop 1
	v_cndmask_b32_e32 v72, v72, v76, vcc
	v_cndmask_b32_e32 v70, v70, v77, vcc
	s_cbranch_scc1 .LBB124_473
.LBB124_474:
	s_waitcnt lgkmcnt(0)
	v_cmp_eq_f32_e32 vcc, 0, v72
	s_and_saveexec_b64 s[0:1], vcc
	s_xor_b64 s[0:1], exec, s[0:1]
; %bb.475:
	v_cmp_ne_u32_e32 vcc, 0, v74
	s_nop 1
	v_cndmask_b32_e32 v74, 29, v74, vcc
; %bb.476:
	s_andn2_saveexec_b64 s[0:1], s[0:1]
	s_cbranch_execz .LBB124_478
; %bb.477:
	v_div_scale_f32 v75, s[2:3], v72, v72, 1.0
	v_rcp_f32_e32 v76, v75
	v_div_scale_f32 v77, vcc, 1.0, v72, 1.0
	v_fma_f32 v78, -v75, v76, 1.0
	v_fmac_f32_e32 v76, v78, v76
	v_mul_f32_e32 v78, v77, v76
	v_fma_f32 v79, -v75, v78, v77
	v_fmac_f32_e32 v78, v79, v76
	v_fma_f32 v75, -v75, v78, v77
	v_div_fmas_f32 v75, v75, v76, v78
	v_div_fixup_f32 v72, v75, v72, 1.0
.LBB124_478:
	s_or_b64 exec, exec, s[0:1]
	v_cmp_ne_u32_e32 vcc, v73, v70
	s_and_saveexec_b64 s[0:1], vcc
	s_xor_b64 s[0:1], exec, s[0:1]
	s_cbranch_execz .LBB124_484
; %bb.479:
	v_cmp_eq_u32_e32 vcc, 28, v73
	s_and_saveexec_b64 s[2:3], vcc
	s_cbranch_execz .LBB124_483
; %bb.480:
	v_cmp_ne_u32_e32 vcc, 28, v70
	s_xor_b64 s[12:13], s[20:21], -1
	s_and_b64 s[14:15], s[12:13], vcc
	s_and_saveexec_b64 s[12:13], s[14:15]
	s_cbranch_execz .LBB124_482
; %bb.481:
	v_ashrrev_i32_e32 v71, 31, v70
	v_lshl_add_u64 v[76:77], v[70:71], 2, v[4:5]
	global_load_dword v71, v[76:77], off
	global_load_dword v73, v[4:5], off offset:112
	s_waitcnt vmcnt(1)
	global_store_dword v[4:5], v71, off offset:112
	s_waitcnt vmcnt(1)
	global_store_dword v[76:77], v73, off
.LBB124_482:
	s_or_b64 exec, exec, s[12:13]
	v_mov_b32_e32 v71, v70
	v_mov_b32_e32 v73, v70
.LBB124_483:
	s_or_b64 exec, exec, s[2:3]
.LBB124_484:
	s_andn2_saveexec_b64 s[0:1], s[0:1]
	s_cbranch_execz .LBB124_486
; %bb.485:
	v_mov_b32_e32 v73, 28
	ds_write2_b32 v69, v34, v35 offset0:29 offset1:30
	ds_write2_b32 v69, v24, v25 offset0:31 offset1:32
	;; [unrolled: 1-line block ×17, first 2 shown]
.LBB124_486:
	s_or_b64 exec, exec, s[0:1]
	v_cmp_lt_i32_e32 vcc, 28, v73
	s_waitcnt lgkmcnt(0)
	s_barrier
	s_and_saveexec_b64 s[0:1], vcc
	s_cbranch_execz .LBB124_488
; %bb.487:
	ds_read2_b32 v[76:77], v69 offset0:29 offset1:30
	ds_read2_b32 v[78:79], v69 offset0:31 offset1:32
	;; [unrolled: 1-line block ×3, first 2 shown]
	v_mul_f32_e32 v70, v72, v43
	ds_read2_b32 v[82:83], v69 offset0:35 offset1:36
	s_waitcnt lgkmcnt(3)
	v_pk_fma_f32 v[34:35], v[70:71], v[76:77], v[34:35] op_sel_hi:[0,1,1] neg_lo:[1,0,0] neg_hi:[1,0,0]
	s_waitcnt lgkmcnt(2)
	v_pk_fma_f32 v[24:25], v[70:71], v[78:79], v[24:25] op_sel_hi:[0,1,1] neg_lo:[1,0,0] neg_hi:[1,0,0]
	;; [unrolled: 2-line block ×3, first 2 shown]
	ds_read2_b32 v[76:77], v69 offset0:37 offset1:38
	ds_read2_b32 v[78:79], v69 offset0:39 offset1:40
	;; [unrolled: 1-line block ×3, first 2 shown]
	s_waitcnt lgkmcnt(3)
	v_pk_fma_f32 v[36:37], v[70:71], v[82:83], v[36:37] op_sel_hi:[0,1,1] neg_lo:[1,0,0] neg_hi:[1,0,0]
	ds_read2_b32 v[82:83], v69 offset0:43 offset1:44
	s_waitcnt lgkmcnt(3)
	v_pk_fma_f32 v[26:27], v[70:71], v[76:77], v[26:27] op_sel_hi:[0,1,1] neg_lo:[1,0,0] neg_hi:[1,0,0]
	s_waitcnt lgkmcnt(2)
	v_pk_fma_f32 v[18:19], v[70:71], v[78:79], v[18:19] op_sel_hi:[0,1,1] neg_lo:[1,0,0] neg_hi:[1,0,0]
	;; [unrolled: 2-line block ×3, first 2 shown]
	ds_read2_b32 v[76:77], v69 offset0:45 offset1:46
	ds_read2_b32 v[78:79], v69 offset0:47 offset1:48
	;; [unrolled: 1-line block ×4, first 2 shown]
	s_waitcnt lgkmcnt(4)
	v_pk_fma_f32 v[28:29], v[70:71], v[82:83], v[28:29] op_sel_hi:[0,1,1] neg_lo:[1,0,0] neg_hi:[1,0,0]
	s_waitcnt lgkmcnt(3)
	v_pk_fma_f32 v[20:21], v[70:71], v[76:77], v[20:21] op_sel_hi:[0,1,1] neg_lo:[1,0,0] neg_hi:[1,0,0]
	;; [unrolled: 2-line block ×5, first 2 shown]
	ds_read2_b32 v[76:77], v69 offset0:53 offset1:54
	ds_read2_b32 v[78:79], v69 offset0:55 offset1:56
	;; [unrolled: 1-line block ×5, first 2 shown]
	s_waitcnt lgkmcnt(4)
	v_pk_fma_f32 v[14:15], v[70:71], v[76:77], v[14:15] op_sel_hi:[0,1,1] neg_lo:[1,0,0] neg_hi:[1,0,0]
	s_waitcnt lgkmcnt(3)
	v_pk_fma_f32 v[8:9], v[70:71], v[78:79], v[8:9] op_sel_hi:[0,1,1] neg_lo:[1,0,0] neg_hi:[1,0,0]
	;; [unrolled: 2-line block ×5, first 2 shown]
	v_mov_b32_e32 v43, v70
.LBB124_488:
	s_or_b64 exec, exec, s[0:1]
	v_lshl_add_u32 v70, v73, 2, v69
	s_barrier
	ds_write_b32 v70, v34
	s_waitcnt lgkmcnt(0)
	s_barrier
	ds_read_b32 v72, v69 offset:116
	s_cmp_lt_i32 s22, 31
	v_mov_b32_e32 v70, 29
	s_cbranch_scc1 .LBB124_491
; %bb.489:
	v_add_u32_e32 v75, 0x78, v69
	v_mov_b32_e32 v70, 29
	s_mov_b32 s0, 30
.LBB124_490:                            ; =>This Inner Loop Header: Depth=1
	ds_read_b32 v76, v75
	v_mov_b32_e32 v77, s0
	s_add_i32 s0, s0, 1
	v_add_u32_e32 v75, 4, v75
	s_cmp_lg_u32 s22, s0
	s_waitcnt lgkmcnt(0)
	v_cmp_lt_f32_e64 vcc, |v72|, |v76|
	s_nop 1
	v_cndmask_b32_e32 v72, v72, v76, vcc
	v_cndmask_b32_e32 v70, v70, v77, vcc
	s_cbranch_scc1 .LBB124_490
.LBB124_491:
	s_waitcnt lgkmcnt(0)
	v_cmp_eq_f32_e32 vcc, 0, v72
	s_and_saveexec_b64 s[0:1], vcc
	s_xor_b64 s[0:1], exec, s[0:1]
; %bb.492:
	v_cmp_ne_u32_e32 vcc, 0, v74
	s_nop 1
	v_cndmask_b32_e32 v74, 30, v74, vcc
; %bb.493:
	s_andn2_saveexec_b64 s[0:1], s[0:1]
	s_cbranch_execz .LBB124_495
; %bb.494:
	v_div_scale_f32 v75, s[2:3], v72, v72, 1.0
	v_rcp_f32_e32 v76, v75
	v_div_scale_f32 v77, vcc, 1.0, v72, 1.0
	v_fma_f32 v78, -v75, v76, 1.0
	v_fmac_f32_e32 v76, v78, v76
	v_mul_f32_e32 v78, v77, v76
	v_fma_f32 v79, -v75, v78, v77
	v_fmac_f32_e32 v78, v79, v76
	v_fma_f32 v75, -v75, v78, v77
	v_div_fmas_f32 v75, v75, v76, v78
	v_div_fixup_f32 v72, v75, v72, 1.0
.LBB124_495:
	s_or_b64 exec, exec, s[0:1]
	v_cmp_ne_u32_e32 vcc, v73, v70
	s_and_saveexec_b64 s[0:1], vcc
	s_xor_b64 s[0:1], exec, s[0:1]
	s_cbranch_execz .LBB124_501
; %bb.496:
	v_cmp_eq_u32_e32 vcc, 29, v73
	s_and_saveexec_b64 s[2:3], vcc
	s_cbranch_execz .LBB124_500
; %bb.497:
	v_cmp_ne_u32_e32 vcc, 29, v70
	s_xor_b64 s[12:13], s[20:21], -1
	s_and_b64 s[14:15], s[12:13], vcc
	s_and_saveexec_b64 s[12:13], s[14:15]
	s_cbranch_execz .LBB124_499
; %bb.498:
	v_ashrrev_i32_e32 v71, 31, v70
	v_lshl_add_u64 v[76:77], v[70:71], 2, v[4:5]
	global_load_dword v71, v[76:77], off
	global_load_dword v73, v[4:5], off offset:116
	s_waitcnt vmcnt(1)
	global_store_dword v[4:5], v71, off offset:116
	s_waitcnt vmcnt(1)
	global_store_dword v[76:77], v73, off
.LBB124_499:
	s_or_b64 exec, exec, s[12:13]
	v_mov_b32_e32 v71, v70
	v_mov_b32_e32 v73, v70
.LBB124_500:
	s_or_b64 exec, exec, s[2:3]
.LBB124_501:
	s_andn2_saveexec_b64 s[0:1], s[0:1]
	s_cbranch_execz .LBB124_503
; %bb.502:
	v_pk_mov_b32 v[76:77], v[34:35], v[24:25] op_sel:[1,0]
	ds_write2_b32 v69, v76, v77 offset0:30 offset1:31
	v_pk_mov_b32 v[76:77], v[24:25], v[44:45] op_sel:[1,0]
	ds_write2_b32 v69, v76, v77 offset0:32 offset1:33
	;; [unrolled: 2-line block ×15, first 2 shown]
	v_pk_mov_b32 v[76:77], v[16:17], v[10:11] op_sel:[1,0]
	v_mov_b32_e32 v73, 29
	ds_write2_b32 v69, v76, v77 offset0:60 offset1:61
	ds_write_b32 v69, v11 offset:248
.LBB124_503:
	s_or_b64 exec, exec, s[0:1]
	v_cmp_lt_i32_e32 vcc, 29, v73
	s_waitcnt lgkmcnt(0)
	s_barrier
	s_and_saveexec_b64 s[0:1], vcc
	s_cbranch_execz .LBB124_505
; %bb.504:
	ds_read_b32 v70, v69 offset:120
	ds_read2_b32 v[76:77], v69 offset0:31 offset1:32
	ds_read2_b32 v[78:79], v69 offset0:33 offset1:34
	v_mul_f32_e32 v34, v72, v34
	ds_read2_b32 v[80:81], v69 offset0:35 offset1:36
	s_waitcnt lgkmcnt(3)
	v_fma_f32 v35, -v34, v70, v35
	s_waitcnt lgkmcnt(2)
	v_pk_fma_f32 v[24:25], v[34:35], v[76:77], v[24:25] op_sel_hi:[0,1,1] neg_lo:[1,0,0] neg_hi:[1,0,0]
	s_waitcnt lgkmcnt(1)
	v_pk_fma_f32 v[44:45], v[34:35], v[78:79], v[44:45] op_sel_hi:[0,1,1] neg_lo:[1,0,0] neg_hi:[1,0,0]
	ds_read2_b32 v[76:77], v69 offset0:37 offset1:38
	ds_read2_b32 v[78:79], v69 offset0:39 offset1:40
	ds_read2_b32 v[82:83], v69 offset0:41 offset1:42
	s_waitcnt lgkmcnt(3)
	v_pk_fma_f32 v[36:37], v[34:35], v[80:81], v[36:37] op_sel_hi:[0,1,1] neg_lo:[1,0,0] neg_hi:[1,0,0]
	ds_read2_b32 v[80:81], v69 offset0:43 offset1:44
	s_waitcnt lgkmcnt(3)
	v_pk_fma_f32 v[26:27], v[34:35], v[76:77], v[26:27] op_sel_hi:[0,1,1] neg_lo:[1,0,0] neg_hi:[1,0,0]
	s_waitcnt lgkmcnt(2)
	v_pk_fma_f32 v[18:19], v[34:35], v[78:79], v[18:19] op_sel_hi:[0,1,1] neg_lo:[1,0,0] neg_hi:[1,0,0]
	;; [unrolled: 2-line block ×3, first 2 shown]
	ds_read2_b32 v[76:77], v69 offset0:45 offset1:46
	ds_read2_b32 v[78:79], v69 offset0:47 offset1:48
	;; [unrolled: 1-line block ×4, first 2 shown]
	s_waitcnt lgkmcnt(4)
	v_pk_fma_f32 v[28:29], v[34:35], v[80:81], v[28:29] op_sel_hi:[0,1,1] neg_lo:[1,0,0] neg_hi:[1,0,0]
	s_waitcnt lgkmcnt(3)
	v_pk_fma_f32 v[20:21], v[34:35], v[76:77], v[20:21] op_sel_hi:[0,1,1] neg_lo:[1,0,0] neg_hi:[1,0,0]
	;; [unrolled: 2-line block ×5, first 2 shown]
	ds_read2_b32 v[76:77], v69 offset0:53 offset1:54
	ds_read2_b32 v[78:79], v69 offset0:55 offset1:56
	ds_read2_b32 v[80:81], v69 offset0:57 offset1:58
	ds_read2_b32 v[82:83], v69 offset0:59 offset1:60
	ds_read2_b32 v[84:85], v69 offset0:61 offset1:62
	s_waitcnt lgkmcnt(4)
	v_pk_fma_f32 v[14:15], v[34:35], v[76:77], v[14:15] op_sel_hi:[0,1,1] neg_lo:[1,0,0] neg_hi:[1,0,0]
	s_waitcnt lgkmcnt(3)
	v_pk_fma_f32 v[8:9], v[34:35], v[78:79], v[8:9] op_sel_hi:[0,1,1] neg_lo:[1,0,0] neg_hi:[1,0,0]
	;; [unrolled: 2-line block ×5, first 2 shown]
.LBB124_505:
	s_or_b64 exec, exec, s[0:1]
	v_lshl_add_u32 v70, v73, 2, v69
	s_barrier
	ds_write_b32 v70, v35
	s_waitcnt lgkmcnt(0)
	s_barrier
	ds_read_b32 v72, v69 offset:120
	s_cmp_lt_i32 s22, 32
	v_mov_b32_e32 v70, 30
	s_cbranch_scc1 .LBB124_508
; %bb.506:
	v_add_u32_e32 v75, 0x7c, v69
	v_mov_b32_e32 v70, 30
	s_mov_b32 s0, 31
.LBB124_507:                            ; =>This Inner Loop Header: Depth=1
	ds_read_b32 v76, v75
	v_mov_b32_e32 v77, s0
	s_add_i32 s0, s0, 1
	v_add_u32_e32 v75, 4, v75
	s_cmp_lg_u32 s22, s0
	s_waitcnt lgkmcnt(0)
	v_cmp_lt_f32_e64 vcc, |v72|, |v76|
	s_nop 1
	v_cndmask_b32_e32 v72, v72, v76, vcc
	v_cndmask_b32_e32 v70, v70, v77, vcc
	s_cbranch_scc1 .LBB124_507
.LBB124_508:
	s_waitcnt lgkmcnt(0)
	v_cmp_eq_f32_e32 vcc, 0, v72
	s_and_saveexec_b64 s[0:1], vcc
	s_xor_b64 s[0:1], exec, s[0:1]
; %bb.509:
	v_cmp_ne_u32_e32 vcc, 0, v74
	s_nop 1
	v_cndmask_b32_e32 v74, 31, v74, vcc
; %bb.510:
	s_andn2_saveexec_b64 s[0:1], s[0:1]
	s_cbranch_execz .LBB124_512
; %bb.511:
	v_div_scale_f32 v75, s[2:3], v72, v72, 1.0
	v_rcp_f32_e32 v76, v75
	v_div_scale_f32 v77, vcc, 1.0, v72, 1.0
	v_fma_f32 v78, -v75, v76, 1.0
	v_fmac_f32_e32 v76, v78, v76
	v_mul_f32_e32 v78, v77, v76
	v_fma_f32 v79, -v75, v78, v77
	v_fmac_f32_e32 v78, v79, v76
	v_fma_f32 v75, -v75, v78, v77
	v_div_fmas_f32 v75, v75, v76, v78
	v_div_fixup_f32 v72, v75, v72, 1.0
.LBB124_512:
	s_or_b64 exec, exec, s[0:1]
	v_cmp_ne_u32_e32 vcc, v73, v70
	s_and_saveexec_b64 s[0:1], vcc
	s_xor_b64 s[0:1], exec, s[0:1]
	s_cbranch_execz .LBB124_518
; %bb.513:
	v_cmp_eq_u32_e32 vcc, 30, v73
	s_and_saveexec_b64 s[2:3], vcc
	s_cbranch_execz .LBB124_517
; %bb.514:
	v_cmp_ne_u32_e32 vcc, 30, v70
	s_xor_b64 s[12:13], s[20:21], -1
	s_and_b64 s[14:15], s[12:13], vcc
	s_and_saveexec_b64 s[12:13], s[14:15]
	s_cbranch_execz .LBB124_516
; %bb.515:
	v_ashrrev_i32_e32 v71, 31, v70
	v_lshl_add_u64 v[76:77], v[70:71], 2, v[4:5]
	global_load_dword v71, v[76:77], off
	global_load_dword v73, v[4:5], off offset:120
	s_waitcnt vmcnt(1)
	global_store_dword v[4:5], v71, off offset:120
	s_waitcnt vmcnt(1)
	global_store_dword v[76:77], v73, off
.LBB124_516:
	s_or_b64 exec, exec, s[12:13]
	v_mov_b32_e32 v71, v70
	v_mov_b32_e32 v73, v70
.LBB124_517:
	s_or_b64 exec, exec, s[2:3]
.LBB124_518:
	s_andn2_saveexec_b64 s[0:1], s[0:1]
	s_cbranch_execz .LBB124_520
; %bb.519:
	v_mov_b32_e32 v73, 30
	ds_write2_b32 v69, v24, v25 offset0:31 offset1:32
	ds_write2_b32 v69, v44, v45 offset0:33 offset1:34
	;; [unrolled: 1-line block ×16, first 2 shown]
.LBB124_520:
	s_or_b64 exec, exec, s[0:1]
	v_cmp_lt_i32_e32 vcc, 30, v73
	s_waitcnt lgkmcnt(0)
	s_barrier
	s_and_saveexec_b64 s[0:1], vcc
	s_cbranch_execz .LBB124_522
; %bb.521:
	ds_read2_b32 v[76:77], v69 offset0:31 offset1:32
	ds_read2_b32 v[78:79], v69 offset0:33 offset1:34
	;; [unrolled: 1-line block ×3, first 2 shown]
	v_mul_f32_e32 v70, v72, v35
	ds_read2_b32 v[82:83], v69 offset0:37 offset1:38
	s_waitcnt lgkmcnt(3)
	v_pk_fma_f32 v[24:25], v[70:71], v[76:77], v[24:25] op_sel_hi:[0,1,1] neg_lo:[1,0,0] neg_hi:[1,0,0]
	s_waitcnt lgkmcnt(2)
	v_pk_fma_f32 v[44:45], v[70:71], v[78:79], v[44:45] op_sel_hi:[0,1,1] neg_lo:[1,0,0] neg_hi:[1,0,0]
	;; [unrolled: 2-line block ×3, first 2 shown]
	ds_read2_b32 v[76:77], v69 offset0:39 offset1:40
	ds_read2_b32 v[78:79], v69 offset0:41 offset1:42
	;; [unrolled: 1-line block ×3, first 2 shown]
	s_waitcnt lgkmcnt(3)
	v_pk_fma_f32 v[26:27], v[70:71], v[82:83], v[26:27] op_sel_hi:[0,1,1] neg_lo:[1,0,0] neg_hi:[1,0,0]
	ds_read2_b32 v[82:83], v69 offset0:45 offset1:46
	s_waitcnt lgkmcnt(3)
	v_pk_fma_f32 v[18:19], v[70:71], v[76:77], v[18:19] op_sel_hi:[0,1,1] neg_lo:[1,0,0] neg_hi:[1,0,0]
	s_waitcnt lgkmcnt(2)
	v_pk_fma_f32 v[38:39], v[70:71], v[78:79], v[38:39] op_sel_hi:[0,1,1] neg_lo:[1,0,0] neg_hi:[1,0,0]
	;; [unrolled: 2-line block ×3, first 2 shown]
	ds_read2_b32 v[76:77], v69 offset0:47 offset1:48
	ds_read2_b32 v[78:79], v69 offset0:49 offset1:50
	;; [unrolled: 1-line block ×3, first 2 shown]
	s_waitcnt lgkmcnt(3)
	v_pk_fma_f32 v[20:21], v[70:71], v[82:83], v[20:21] op_sel_hi:[0,1,1] neg_lo:[1,0,0] neg_hi:[1,0,0]
	ds_read2_b32 v[82:83], v69 offset0:53 offset1:54
	s_waitcnt lgkmcnt(3)
	v_pk_fma_f32 v[12:13], v[70:71], v[76:77], v[12:13] op_sel_hi:[0,1,1] neg_lo:[1,0,0] neg_hi:[1,0,0]
	s_waitcnt lgkmcnt(2)
	v_pk_fma_f32 v[30:31], v[70:71], v[78:79], v[30:31] op_sel_hi:[0,1,1] neg_lo:[1,0,0] neg_hi:[1,0,0]
	;; [unrolled: 2-line block ×3, first 2 shown]
	ds_read2_b32 v[76:77], v69 offset0:55 offset1:56
	ds_read2_b32 v[78:79], v69 offset0:57 offset1:58
	;; [unrolled: 1-line block ×4, first 2 shown]
	s_waitcnt lgkmcnt(4)
	v_pk_fma_f32 v[14:15], v[70:71], v[82:83], v[14:15] op_sel_hi:[0,1,1] neg_lo:[1,0,0] neg_hi:[1,0,0]
	s_waitcnt lgkmcnt(3)
	v_pk_fma_f32 v[8:9], v[70:71], v[76:77], v[8:9] op_sel_hi:[0,1,1] neg_lo:[1,0,0] neg_hi:[1,0,0]
	;; [unrolled: 2-line block ×5, first 2 shown]
	v_mov_b32_e32 v35, v70
.LBB124_522:
	s_or_b64 exec, exec, s[0:1]
	v_lshl_add_u32 v70, v73, 2, v69
	s_barrier
	ds_write_b32 v70, v24
	s_waitcnt lgkmcnt(0)
	s_barrier
	ds_read_b32 v72, v69 offset:124
	s_cmp_lt_i32 s22, 33
	v_mov_b32_e32 v70, 31
	s_cbranch_scc1 .LBB124_525
; %bb.523:
	v_add_u32_e32 v75, 0x80, v69
	v_mov_b32_e32 v70, 31
	s_mov_b32 s0, 32
.LBB124_524:                            ; =>This Inner Loop Header: Depth=1
	ds_read_b32 v76, v75
	v_mov_b32_e32 v77, s0
	s_add_i32 s0, s0, 1
	v_add_u32_e32 v75, 4, v75
	s_cmp_lg_u32 s22, s0
	s_waitcnt lgkmcnt(0)
	v_cmp_lt_f32_e64 vcc, |v72|, |v76|
	s_nop 1
	v_cndmask_b32_e32 v72, v72, v76, vcc
	v_cndmask_b32_e32 v70, v70, v77, vcc
	s_cbranch_scc1 .LBB124_524
.LBB124_525:
	s_waitcnt lgkmcnt(0)
	v_cmp_eq_f32_e32 vcc, 0, v72
	s_and_saveexec_b64 s[0:1], vcc
	s_xor_b64 s[0:1], exec, s[0:1]
; %bb.526:
	v_cmp_ne_u32_e32 vcc, 0, v74
	s_nop 1
	v_cndmask_b32_e32 v74, 32, v74, vcc
; %bb.527:
	s_andn2_saveexec_b64 s[0:1], s[0:1]
	s_cbranch_execz .LBB124_529
; %bb.528:
	v_div_scale_f32 v75, s[2:3], v72, v72, 1.0
	v_rcp_f32_e32 v76, v75
	v_div_scale_f32 v77, vcc, 1.0, v72, 1.0
	v_fma_f32 v78, -v75, v76, 1.0
	v_fmac_f32_e32 v76, v78, v76
	v_mul_f32_e32 v78, v77, v76
	v_fma_f32 v79, -v75, v78, v77
	v_fmac_f32_e32 v78, v79, v76
	v_fma_f32 v75, -v75, v78, v77
	v_div_fmas_f32 v75, v75, v76, v78
	v_div_fixup_f32 v72, v75, v72, 1.0
.LBB124_529:
	s_or_b64 exec, exec, s[0:1]
	v_cmp_ne_u32_e32 vcc, v73, v70
	s_and_saveexec_b64 s[0:1], vcc
	s_xor_b64 s[0:1], exec, s[0:1]
	s_cbranch_execz .LBB124_535
; %bb.530:
	v_cmp_eq_u32_e32 vcc, 31, v73
	s_and_saveexec_b64 s[2:3], vcc
	s_cbranch_execz .LBB124_534
; %bb.531:
	v_cmp_ne_u32_e32 vcc, 31, v70
	s_xor_b64 s[12:13], s[20:21], -1
	s_and_b64 s[14:15], s[12:13], vcc
	s_and_saveexec_b64 s[12:13], s[14:15]
	s_cbranch_execz .LBB124_533
; %bb.532:
	v_ashrrev_i32_e32 v71, 31, v70
	v_lshl_add_u64 v[76:77], v[70:71], 2, v[4:5]
	global_load_dword v71, v[76:77], off
	global_load_dword v73, v[4:5], off offset:124
	s_waitcnt vmcnt(1)
	global_store_dword v[4:5], v71, off offset:124
	s_waitcnt vmcnt(1)
	global_store_dword v[76:77], v73, off
.LBB124_533:
	s_or_b64 exec, exec, s[12:13]
	v_mov_b32_e32 v71, v70
	v_mov_b32_e32 v73, v70
.LBB124_534:
	s_or_b64 exec, exec, s[2:3]
.LBB124_535:
	s_andn2_saveexec_b64 s[0:1], s[0:1]
	s_cbranch_execz .LBB124_537
; %bb.536:
	v_pk_mov_b32 v[76:77], v[24:25], v[44:45] op_sel:[1,0]
	ds_write2_b32 v69, v76, v77 offset0:32 offset1:33
	v_pk_mov_b32 v[76:77], v[44:45], v[36:37] op_sel:[1,0]
	ds_write2_b32 v69, v76, v77 offset0:34 offset1:35
	;; [unrolled: 2-line block ×14, first 2 shown]
	v_pk_mov_b32 v[76:77], v[16:17], v[10:11] op_sel:[1,0]
	v_mov_b32_e32 v73, 31
	ds_write2_b32 v69, v76, v77 offset0:60 offset1:61
	ds_write_b32 v69, v11 offset:248
.LBB124_537:
	s_or_b64 exec, exec, s[0:1]
	v_cmp_lt_i32_e32 vcc, 31, v73
	s_waitcnt lgkmcnt(0)
	s_barrier
	s_and_saveexec_b64 s[0:1], vcc
	s_cbranch_execz .LBB124_539
; %bb.538:
	ds_read_b32 v70, v69 offset:128
	ds_read2_b32 v[76:77], v69 offset0:33 offset1:34
	ds_read2_b32 v[78:79], v69 offset0:35 offset1:36
	v_mul_f32_e32 v24, v72, v24
	ds_read2_b32 v[80:81], v69 offset0:37 offset1:38
	s_waitcnt lgkmcnt(3)
	v_fma_f32 v25, -v24, v70, v25
	s_waitcnt lgkmcnt(2)
	v_pk_fma_f32 v[44:45], v[24:25], v[76:77], v[44:45] op_sel_hi:[0,1,1] neg_lo:[1,0,0] neg_hi:[1,0,0]
	s_waitcnt lgkmcnt(1)
	v_pk_fma_f32 v[36:37], v[24:25], v[78:79], v[36:37] op_sel_hi:[0,1,1] neg_lo:[1,0,0] neg_hi:[1,0,0]
	ds_read2_b32 v[76:77], v69 offset0:39 offset1:40
	ds_read2_b32 v[78:79], v69 offset0:41 offset1:42
	;; [unrolled: 1-line block ×3, first 2 shown]
	s_waitcnt lgkmcnt(3)
	v_pk_fma_f32 v[26:27], v[24:25], v[80:81], v[26:27] op_sel_hi:[0,1,1] neg_lo:[1,0,0] neg_hi:[1,0,0]
	ds_read2_b32 v[80:81], v69 offset0:45 offset1:46
	s_waitcnt lgkmcnt(3)
	v_pk_fma_f32 v[18:19], v[24:25], v[76:77], v[18:19] op_sel_hi:[0,1,1] neg_lo:[1,0,0] neg_hi:[1,0,0]
	s_waitcnt lgkmcnt(2)
	v_pk_fma_f32 v[38:39], v[24:25], v[78:79], v[38:39] op_sel_hi:[0,1,1] neg_lo:[1,0,0] neg_hi:[1,0,0]
	;; [unrolled: 2-line block ×3, first 2 shown]
	ds_read2_b32 v[76:77], v69 offset0:47 offset1:48
	ds_read2_b32 v[78:79], v69 offset0:49 offset1:50
	;; [unrolled: 1-line block ×3, first 2 shown]
	s_waitcnt lgkmcnt(3)
	v_pk_fma_f32 v[20:21], v[24:25], v[80:81], v[20:21] op_sel_hi:[0,1,1] neg_lo:[1,0,0] neg_hi:[1,0,0]
	ds_read2_b32 v[80:81], v69 offset0:53 offset1:54
	s_waitcnt lgkmcnt(3)
	v_pk_fma_f32 v[12:13], v[24:25], v[76:77], v[12:13] op_sel_hi:[0,1,1] neg_lo:[1,0,0] neg_hi:[1,0,0]
	s_waitcnt lgkmcnt(2)
	v_pk_fma_f32 v[30:31], v[24:25], v[78:79], v[30:31] op_sel_hi:[0,1,1] neg_lo:[1,0,0] neg_hi:[1,0,0]
	;; [unrolled: 2-line block ×3, first 2 shown]
	ds_read2_b32 v[76:77], v69 offset0:55 offset1:56
	ds_read2_b32 v[78:79], v69 offset0:57 offset1:58
	;; [unrolled: 1-line block ×4, first 2 shown]
	s_waitcnt lgkmcnt(4)
	v_pk_fma_f32 v[14:15], v[24:25], v[80:81], v[14:15] op_sel_hi:[0,1,1] neg_lo:[1,0,0] neg_hi:[1,0,0]
	s_waitcnt lgkmcnt(3)
	v_pk_fma_f32 v[8:9], v[24:25], v[76:77], v[8:9] op_sel_hi:[0,1,1] neg_lo:[1,0,0] neg_hi:[1,0,0]
	;; [unrolled: 2-line block ×5, first 2 shown]
.LBB124_539:
	s_or_b64 exec, exec, s[0:1]
	v_lshl_add_u32 v70, v73, 2, v69
	s_barrier
	ds_write_b32 v70, v25
	s_waitcnt lgkmcnt(0)
	s_barrier
	ds_read_b32 v72, v69 offset:128
	s_cmp_lt_i32 s22, 34
	v_mov_b32_e32 v70, 32
	s_cbranch_scc1 .LBB124_542
; %bb.540:
	v_add_u32_e32 v75, 0x84, v69
	v_mov_b32_e32 v70, 32
	s_mov_b32 s0, 33
.LBB124_541:                            ; =>This Inner Loop Header: Depth=1
	ds_read_b32 v76, v75
	v_mov_b32_e32 v77, s0
	s_add_i32 s0, s0, 1
	v_add_u32_e32 v75, 4, v75
	s_cmp_lg_u32 s22, s0
	s_waitcnt lgkmcnt(0)
	v_cmp_lt_f32_e64 vcc, |v72|, |v76|
	s_nop 1
	v_cndmask_b32_e32 v72, v72, v76, vcc
	v_cndmask_b32_e32 v70, v70, v77, vcc
	s_cbranch_scc1 .LBB124_541
.LBB124_542:
	s_waitcnt lgkmcnt(0)
	v_cmp_eq_f32_e32 vcc, 0, v72
	s_and_saveexec_b64 s[0:1], vcc
	s_xor_b64 s[0:1], exec, s[0:1]
; %bb.543:
	v_cmp_ne_u32_e32 vcc, 0, v74
	s_nop 1
	v_cndmask_b32_e32 v74, 33, v74, vcc
; %bb.544:
	s_andn2_saveexec_b64 s[0:1], s[0:1]
	s_cbranch_execz .LBB124_546
; %bb.545:
	v_div_scale_f32 v75, s[2:3], v72, v72, 1.0
	v_rcp_f32_e32 v76, v75
	v_div_scale_f32 v77, vcc, 1.0, v72, 1.0
	v_fma_f32 v78, -v75, v76, 1.0
	v_fmac_f32_e32 v76, v78, v76
	v_mul_f32_e32 v78, v77, v76
	v_fma_f32 v79, -v75, v78, v77
	v_fmac_f32_e32 v78, v79, v76
	v_fma_f32 v75, -v75, v78, v77
	v_div_fmas_f32 v75, v75, v76, v78
	v_div_fixup_f32 v72, v75, v72, 1.0
.LBB124_546:
	s_or_b64 exec, exec, s[0:1]
	v_cmp_ne_u32_e32 vcc, v73, v70
	s_and_saveexec_b64 s[0:1], vcc
	s_xor_b64 s[0:1], exec, s[0:1]
	s_cbranch_execz .LBB124_552
; %bb.547:
	v_cmp_eq_u32_e32 vcc, 32, v73
	s_and_saveexec_b64 s[2:3], vcc
	s_cbranch_execz .LBB124_551
; %bb.548:
	v_cmp_ne_u32_e32 vcc, 32, v70
	s_xor_b64 s[12:13], s[20:21], -1
	s_and_b64 s[14:15], s[12:13], vcc
	s_and_saveexec_b64 s[12:13], s[14:15]
	s_cbranch_execz .LBB124_550
; %bb.549:
	v_ashrrev_i32_e32 v71, 31, v70
	v_lshl_add_u64 v[76:77], v[70:71], 2, v[4:5]
	global_load_dword v71, v[76:77], off
	global_load_dword v73, v[4:5], off offset:128
	s_waitcnt vmcnt(1)
	global_store_dword v[4:5], v71, off offset:128
	s_waitcnt vmcnt(1)
	global_store_dword v[76:77], v73, off
.LBB124_550:
	s_or_b64 exec, exec, s[12:13]
	v_mov_b32_e32 v71, v70
	v_mov_b32_e32 v73, v70
.LBB124_551:
	s_or_b64 exec, exec, s[2:3]
.LBB124_552:
	s_andn2_saveexec_b64 s[0:1], s[0:1]
	s_cbranch_execz .LBB124_554
; %bb.553:
	v_mov_b32_e32 v73, 32
	ds_write2_b32 v69, v44, v45 offset0:33 offset1:34
	ds_write2_b32 v69, v36, v37 offset0:35 offset1:36
	ds_write2_b32 v69, v26, v27 offset0:37 offset1:38
	ds_write2_b32 v69, v18, v19 offset0:39 offset1:40
	ds_write2_b32 v69, v38, v39 offset0:41 offset1:42
	ds_write2_b32 v69, v28, v29 offset0:43 offset1:44
	ds_write2_b32 v69, v20, v21 offset0:45 offset1:46
	ds_write2_b32 v69, v12, v13 offset0:47 offset1:48
	ds_write2_b32 v69, v30, v31 offset0:49 offset1:50
	ds_write2_b32 v69, v22, v23 offset0:51 offset1:52
	ds_write2_b32 v69, v14, v15 offset0:53 offset1:54
	ds_write2_b32 v69, v8, v9 offset0:55 offset1:56
	ds_write2_b32 v69, v0, v1 offset0:57 offset1:58
	ds_write2_b32 v69, v16, v17 offset0:59 offset1:60
	ds_write2_b32 v69, v10, v11 offset0:61 offset1:62
.LBB124_554:
	s_or_b64 exec, exec, s[0:1]
	v_cmp_lt_i32_e32 vcc, 32, v73
	s_waitcnt lgkmcnt(0)
	s_barrier
	s_and_saveexec_b64 s[0:1], vcc
	s_cbranch_execz .LBB124_556
; %bb.555:
	ds_read2_b32 v[76:77], v69 offset0:33 offset1:34
	ds_read2_b32 v[78:79], v69 offset0:35 offset1:36
	;; [unrolled: 1-line block ×3, first 2 shown]
	v_mul_f32_e32 v70, v72, v25
	ds_read2_b32 v[82:83], v69 offset0:39 offset1:40
	s_waitcnt lgkmcnt(3)
	v_pk_fma_f32 v[44:45], v[70:71], v[76:77], v[44:45] op_sel_hi:[0,1,1] neg_lo:[1,0,0] neg_hi:[1,0,0]
	s_waitcnt lgkmcnt(2)
	v_pk_fma_f32 v[36:37], v[70:71], v[78:79], v[36:37] op_sel_hi:[0,1,1] neg_lo:[1,0,0] neg_hi:[1,0,0]
	;; [unrolled: 2-line block ×3, first 2 shown]
	ds_read2_b32 v[76:77], v69 offset0:41 offset1:42
	ds_read2_b32 v[78:79], v69 offset0:43 offset1:44
	;; [unrolled: 1-line block ×3, first 2 shown]
	s_waitcnt lgkmcnt(3)
	v_pk_fma_f32 v[18:19], v[70:71], v[82:83], v[18:19] op_sel_hi:[0,1,1] neg_lo:[1,0,0] neg_hi:[1,0,0]
	ds_read2_b32 v[82:83], v69 offset0:47 offset1:48
	s_waitcnt lgkmcnt(3)
	v_pk_fma_f32 v[38:39], v[70:71], v[76:77], v[38:39] op_sel_hi:[0,1,1] neg_lo:[1,0,0] neg_hi:[1,0,0]
	s_waitcnt lgkmcnt(2)
	v_pk_fma_f32 v[28:29], v[70:71], v[78:79], v[28:29] op_sel_hi:[0,1,1] neg_lo:[1,0,0] neg_hi:[1,0,0]
	ds_read2_b32 v[76:77], v69 offset0:49 offset1:50
	ds_read2_b32 v[78:79], v69 offset0:51 offset1:52
	s_waitcnt lgkmcnt(3)
	v_pk_fma_f32 v[20:21], v[70:71], v[80:81], v[20:21] op_sel_hi:[0,1,1] neg_lo:[1,0,0] neg_hi:[1,0,0]
	s_waitcnt lgkmcnt(2)
	v_pk_fma_f32 v[12:13], v[70:71], v[82:83], v[12:13] op_sel_hi:[0,1,1] neg_lo:[1,0,0] neg_hi:[1,0,0]
	ds_read2_b32 v[80:81], v69 offset0:53 offset1:54
	;; [unrolled: 6-line block ×3, first 2 shown]
	ds_read2_b32 v[78:79], v69 offset0:59 offset1:60
	ds_read2_b32 v[84:85], v69 offset0:61 offset1:62
	s_waitcnt lgkmcnt(4)
	v_pk_fma_f32 v[14:15], v[70:71], v[80:81], v[14:15] op_sel_hi:[0,1,1] neg_lo:[1,0,0] neg_hi:[1,0,0]
	s_waitcnt lgkmcnt(3)
	v_pk_fma_f32 v[8:9], v[70:71], v[82:83], v[8:9] op_sel_hi:[0,1,1] neg_lo:[1,0,0] neg_hi:[1,0,0]
	;; [unrolled: 2-line block ×5, first 2 shown]
	v_mov_b32_e32 v25, v70
.LBB124_556:
	s_or_b64 exec, exec, s[0:1]
	v_lshl_add_u32 v70, v73, 2, v69
	s_barrier
	ds_write_b32 v70, v44
	s_waitcnt lgkmcnt(0)
	s_barrier
	ds_read_b32 v72, v69 offset:132
	s_cmp_lt_i32 s22, 35
	v_mov_b32_e32 v70, 33
	s_cbranch_scc1 .LBB124_559
; %bb.557:
	v_add_u32_e32 v75, 0x88, v69
	v_mov_b32_e32 v70, 33
	s_mov_b32 s0, 34
.LBB124_558:                            ; =>This Inner Loop Header: Depth=1
	ds_read_b32 v76, v75
	v_mov_b32_e32 v77, s0
	s_add_i32 s0, s0, 1
	v_add_u32_e32 v75, 4, v75
	s_cmp_lg_u32 s22, s0
	s_waitcnt lgkmcnt(0)
	v_cmp_lt_f32_e64 vcc, |v72|, |v76|
	s_nop 1
	v_cndmask_b32_e32 v72, v72, v76, vcc
	v_cndmask_b32_e32 v70, v70, v77, vcc
	s_cbranch_scc1 .LBB124_558
.LBB124_559:
	s_waitcnt lgkmcnt(0)
	v_cmp_eq_f32_e32 vcc, 0, v72
	s_and_saveexec_b64 s[0:1], vcc
	s_xor_b64 s[0:1], exec, s[0:1]
; %bb.560:
	v_cmp_ne_u32_e32 vcc, 0, v74
	s_nop 1
	v_cndmask_b32_e32 v74, 34, v74, vcc
; %bb.561:
	s_andn2_saveexec_b64 s[0:1], s[0:1]
	s_cbranch_execz .LBB124_563
; %bb.562:
	v_div_scale_f32 v75, s[2:3], v72, v72, 1.0
	v_rcp_f32_e32 v76, v75
	v_div_scale_f32 v77, vcc, 1.0, v72, 1.0
	v_fma_f32 v78, -v75, v76, 1.0
	v_fmac_f32_e32 v76, v78, v76
	v_mul_f32_e32 v78, v77, v76
	v_fma_f32 v79, -v75, v78, v77
	v_fmac_f32_e32 v78, v79, v76
	v_fma_f32 v75, -v75, v78, v77
	v_div_fmas_f32 v75, v75, v76, v78
	v_div_fixup_f32 v72, v75, v72, 1.0
.LBB124_563:
	s_or_b64 exec, exec, s[0:1]
	v_cmp_ne_u32_e32 vcc, v73, v70
	s_and_saveexec_b64 s[0:1], vcc
	s_xor_b64 s[0:1], exec, s[0:1]
	s_cbranch_execz .LBB124_569
; %bb.564:
	v_cmp_eq_u32_e32 vcc, 33, v73
	s_and_saveexec_b64 s[2:3], vcc
	s_cbranch_execz .LBB124_568
; %bb.565:
	v_cmp_ne_u32_e32 vcc, 33, v70
	s_xor_b64 s[12:13], s[20:21], -1
	s_and_b64 s[14:15], s[12:13], vcc
	s_and_saveexec_b64 s[12:13], s[14:15]
	s_cbranch_execz .LBB124_567
; %bb.566:
	v_ashrrev_i32_e32 v71, 31, v70
	v_lshl_add_u64 v[76:77], v[70:71], 2, v[4:5]
	global_load_dword v71, v[76:77], off
	global_load_dword v73, v[4:5], off offset:132
	s_waitcnt vmcnt(1)
	global_store_dword v[4:5], v71, off offset:132
	s_waitcnt vmcnt(1)
	global_store_dword v[76:77], v73, off
.LBB124_567:
	s_or_b64 exec, exec, s[12:13]
	v_mov_b32_e32 v71, v70
	v_mov_b32_e32 v73, v70
.LBB124_568:
	s_or_b64 exec, exec, s[2:3]
.LBB124_569:
	s_andn2_saveexec_b64 s[0:1], s[0:1]
	s_cbranch_execz .LBB124_571
; %bb.570:
	v_pk_mov_b32 v[76:77], v[44:45], v[36:37] op_sel:[1,0]
	ds_write2_b32 v69, v76, v77 offset0:34 offset1:35
	v_pk_mov_b32 v[76:77], v[36:37], v[26:27] op_sel:[1,0]
	ds_write2_b32 v69, v76, v77 offset0:36 offset1:37
	;; [unrolled: 2-line block ×13, first 2 shown]
	v_pk_mov_b32 v[76:77], v[16:17], v[10:11] op_sel:[1,0]
	v_mov_b32_e32 v73, 33
	ds_write2_b32 v69, v76, v77 offset0:60 offset1:61
	ds_write_b32 v69, v11 offset:248
.LBB124_571:
	s_or_b64 exec, exec, s[0:1]
	v_cmp_lt_i32_e32 vcc, 33, v73
	s_waitcnt lgkmcnt(0)
	s_barrier
	s_and_saveexec_b64 s[0:1], vcc
	s_cbranch_execz .LBB124_573
; %bb.572:
	ds_read_b32 v70, v69 offset:136
	ds_read2_b32 v[76:77], v69 offset0:35 offset1:36
	ds_read2_b32 v[78:79], v69 offset0:37 offset1:38
	v_mul_f32_e32 v44, v72, v44
	ds_read2_b32 v[80:81], v69 offset0:39 offset1:40
	s_waitcnt lgkmcnt(3)
	v_fma_f32 v45, -v44, v70, v45
	s_waitcnt lgkmcnt(2)
	v_pk_fma_f32 v[36:37], v[44:45], v[76:77], v[36:37] op_sel_hi:[0,1,1] neg_lo:[1,0,0] neg_hi:[1,0,0]
	s_waitcnt lgkmcnt(1)
	v_pk_fma_f32 v[26:27], v[44:45], v[78:79], v[26:27] op_sel_hi:[0,1,1] neg_lo:[1,0,0] neg_hi:[1,0,0]
	ds_read2_b32 v[76:77], v69 offset0:41 offset1:42
	ds_read2_b32 v[78:79], v69 offset0:43 offset1:44
	;; [unrolled: 1-line block ×3, first 2 shown]
	s_waitcnt lgkmcnt(3)
	v_pk_fma_f32 v[18:19], v[44:45], v[80:81], v[18:19] op_sel_hi:[0,1,1] neg_lo:[1,0,0] neg_hi:[1,0,0]
	ds_read2_b32 v[80:81], v69 offset0:47 offset1:48
	s_waitcnt lgkmcnt(3)
	v_pk_fma_f32 v[38:39], v[44:45], v[76:77], v[38:39] op_sel_hi:[0,1,1] neg_lo:[1,0,0] neg_hi:[1,0,0]
	s_waitcnt lgkmcnt(2)
	v_pk_fma_f32 v[28:29], v[44:45], v[78:79], v[28:29] op_sel_hi:[0,1,1] neg_lo:[1,0,0] neg_hi:[1,0,0]
	ds_read2_b32 v[76:77], v69 offset0:49 offset1:50
	ds_read2_b32 v[78:79], v69 offset0:51 offset1:52
	s_waitcnt lgkmcnt(3)
	v_pk_fma_f32 v[20:21], v[44:45], v[82:83], v[20:21] op_sel_hi:[0,1,1] neg_lo:[1,0,0] neg_hi:[1,0,0]
	s_waitcnt lgkmcnt(2)
	v_pk_fma_f32 v[12:13], v[44:45], v[80:81], v[12:13] op_sel_hi:[0,1,1] neg_lo:[1,0,0] neg_hi:[1,0,0]
	ds_read2_b32 v[80:81], v69 offset0:53 offset1:54
	;; [unrolled: 6-line block ×3, first 2 shown]
	ds_read2_b32 v[78:79], v69 offset0:59 offset1:60
	ds_read2_b32 v[84:85], v69 offset0:61 offset1:62
	s_waitcnt lgkmcnt(4)
	v_pk_fma_f32 v[14:15], v[44:45], v[80:81], v[14:15] op_sel_hi:[0,1,1] neg_lo:[1,0,0] neg_hi:[1,0,0]
	s_waitcnt lgkmcnt(3)
	v_pk_fma_f32 v[8:9], v[44:45], v[82:83], v[8:9] op_sel_hi:[0,1,1] neg_lo:[1,0,0] neg_hi:[1,0,0]
	;; [unrolled: 2-line block ×5, first 2 shown]
.LBB124_573:
	s_or_b64 exec, exec, s[0:1]
	v_lshl_add_u32 v70, v73, 2, v69
	s_barrier
	ds_write_b32 v70, v45
	s_waitcnt lgkmcnt(0)
	s_barrier
	ds_read_b32 v72, v69 offset:136
	s_cmp_lt_i32 s22, 36
	v_mov_b32_e32 v70, 34
	s_cbranch_scc1 .LBB124_576
; %bb.574:
	v_add_u32_e32 v75, 0x8c, v69
	v_mov_b32_e32 v70, 34
	s_mov_b32 s0, 35
.LBB124_575:                            ; =>This Inner Loop Header: Depth=1
	ds_read_b32 v76, v75
	v_mov_b32_e32 v77, s0
	s_add_i32 s0, s0, 1
	v_add_u32_e32 v75, 4, v75
	s_cmp_lg_u32 s22, s0
	s_waitcnt lgkmcnt(0)
	v_cmp_lt_f32_e64 vcc, |v72|, |v76|
	s_nop 1
	v_cndmask_b32_e32 v72, v72, v76, vcc
	v_cndmask_b32_e32 v70, v70, v77, vcc
	s_cbranch_scc1 .LBB124_575
.LBB124_576:
	s_waitcnt lgkmcnt(0)
	v_cmp_eq_f32_e32 vcc, 0, v72
	s_and_saveexec_b64 s[0:1], vcc
	s_xor_b64 s[0:1], exec, s[0:1]
; %bb.577:
	v_cmp_ne_u32_e32 vcc, 0, v74
	s_nop 1
	v_cndmask_b32_e32 v74, 35, v74, vcc
; %bb.578:
	s_andn2_saveexec_b64 s[0:1], s[0:1]
	s_cbranch_execz .LBB124_580
; %bb.579:
	v_div_scale_f32 v75, s[2:3], v72, v72, 1.0
	v_rcp_f32_e32 v76, v75
	v_div_scale_f32 v77, vcc, 1.0, v72, 1.0
	v_fma_f32 v78, -v75, v76, 1.0
	v_fmac_f32_e32 v76, v78, v76
	v_mul_f32_e32 v78, v77, v76
	v_fma_f32 v79, -v75, v78, v77
	v_fmac_f32_e32 v78, v79, v76
	v_fma_f32 v75, -v75, v78, v77
	v_div_fmas_f32 v75, v75, v76, v78
	v_div_fixup_f32 v72, v75, v72, 1.0
.LBB124_580:
	s_or_b64 exec, exec, s[0:1]
	v_cmp_ne_u32_e32 vcc, v73, v70
	s_and_saveexec_b64 s[0:1], vcc
	s_xor_b64 s[0:1], exec, s[0:1]
	s_cbranch_execz .LBB124_586
; %bb.581:
	v_cmp_eq_u32_e32 vcc, 34, v73
	s_and_saveexec_b64 s[2:3], vcc
	s_cbranch_execz .LBB124_585
; %bb.582:
	v_cmp_ne_u32_e32 vcc, 34, v70
	s_xor_b64 s[12:13], s[20:21], -1
	s_and_b64 s[14:15], s[12:13], vcc
	s_and_saveexec_b64 s[12:13], s[14:15]
	s_cbranch_execz .LBB124_584
; %bb.583:
	v_ashrrev_i32_e32 v71, 31, v70
	v_lshl_add_u64 v[76:77], v[70:71], 2, v[4:5]
	global_load_dword v71, v[76:77], off
	global_load_dword v73, v[4:5], off offset:136
	s_waitcnt vmcnt(1)
	global_store_dword v[4:5], v71, off offset:136
	s_waitcnt vmcnt(1)
	global_store_dword v[76:77], v73, off
.LBB124_584:
	s_or_b64 exec, exec, s[12:13]
	v_mov_b32_e32 v71, v70
	v_mov_b32_e32 v73, v70
.LBB124_585:
	s_or_b64 exec, exec, s[2:3]
.LBB124_586:
	s_andn2_saveexec_b64 s[0:1], s[0:1]
	s_cbranch_execz .LBB124_588
; %bb.587:
	v_mov_b32_e32 v73, 34
	ds_write2_b32 v69, v36, v37 offset0:35 offset1:36
	ds_write2_b32 v69, v26, v27 offset0:37 offset1:38
	;; [unrolled: 1-line block ×14, first 2 shown]
.LBB124_588:
	s_or_b64 exec, exec, s[0:1]
	v_cmp_lt_i32_e32 vcc, 34, v73
	s_waitcnt lgkmcnt(0)
	s_barrier
	s_and_saveexec_b64 s[0:1], vcc
	s_cbranch_execz .LBB124_590
; %bb.589:
	ds_read2_b32 v[76:77], v69 offset0:35 offset1:36
	ds_read2_b32 v[78:79], v69 offset0:37 offset1:38
	;; [unrolled: 1-line block ×4, first 2 shown]
	v_mul_f32_e32 v70, v72, v45
	s_waitcnt lgkmcnt(3)
	v_pk_fma_f32 v[36:37], v[70:71], v[76:77], v[36:37] op_sel_hi:[0,1,1] neg_lo:[1,0,0] neg_hi:[1,0,0]
	s_waitcnt lgkmcnt(2)
	v_pk_fma_f32 v[26:27], v[70:71], v[78:79], v[26:27] op_sel_hi:[0,1,1] neg_lo:[1,0,0] neg_hi:[1,0,0]
	;; [unrolled: 2-line block ×3, first 2 shown]
	ds_read2_b32 v[76:77], v69 offset0:43 offset1:44
	ds_read2_b32 v[78:79], v69 offset0:45 offset1:46
	;; [unrolled: 1-line block ×3, first 2 shown]
	s_waitcnt lgkmcnt(3)
	v_pk_fma_f32 v[38:39], v[70:71], v[82:83], v[38:39] op_sel_hi:[0,1,1] neg_lo:[1,0,0] neg_hi:[1,0,0]
	ds_read2_b32 v[82:83], v69 offset0:49 offset1:50
	s_waitcnt lgkmcnt(3)
	v_pk_fma_f32 v[28:29], v[70:71], v[76:77], v[28:29] op_sel_hi:[0,1,1] neg_lo:[1,0,0] neg_hi:[1,0,0]
	ds_read2_b32 v[76:77], v69 offset0:51 offset1:52
	s_waitcnt lgkmcnt(3)
	v_pk_fma_f32 v[20:21], v[70:71], v[78:79], v[20:21] op_sel_hi:[0,1,1] neg_lo:[1,0,0] neg_hi:[1,0,0]
	s_waitcnt lgkmcnt(2)
	v_pk_fma_f32 v[12:13], v[70:71], v[80:81], v[12:13] op_sel_hi:[0,1,1] neg_lo:[1,0,0] neg_hi:[1,0,0]
	;; [unrolled: 2-line block ×3, first 2 shown]
	ds_read2_b32 v[78:79], v69 offset0:53 offset1:54
	ds_read2_b32 v[80:81], v69 offset0:55 offset1:56
	;; [unrolled: 1-line block ×3, first 2 shown]
	s_waitcnt lgkmcnt(3)
	v_pk_fma_f32 v[22:23], v[70:71], v[76:77], v[22:23] op_sel_hi:[0,1,1] neg_lo:[1,0,0] neg_hi:[1,0,0]
	ds_read2_b32 v[76:77], v69 offset0:59 offset1:60
	ds_read2_b32 v[84:85], v69 offset0:61 offset1:62
	s_waitcnt lgkmcnt(4)
	v_pk_fma_f32 v[14:15], v[70:71], v[78:79], v[14:15] op_sel_hi:[0,1,1] neg_lo:[1,0,0] neg_hi:[1,0,0]
	s_waitcnt lgkmcnt(3)
	v_pk_fma_f32 v[8:9], v[70:71], v[80:81], v[8:9] op_sel_hi:[0,1,1] neg_lo:[1,0,0] neg_hi:[1,0,0]
	;; [unrolled: 2-line block ×5, first 2 shown]
	v_mov_b32_e32 v45, v70
.LBB124_590:
	s_or_b64 exec, exec, s[0:1]
	v_lshl_add_u32 v70, v73, 2, v69
	s_barrier
	ds_write_b32 v70, v36
	s_waitcnt lgkmcnt(0)
	s_barrier
	ds_read_b32 v72, v69 offset:140
	s_cmp_lt_i32 s22, 37
	v_mov_b32_e32 v70, 35
	s_cbranch_scc1 .LBB124_593
; %bb.591:
	v_add_u32_e32 v75, 0x90, v69
	v_mov_b32_e32 v70, 35
	s_mov_b32 s0, 36
.LBB124_592:                            ; =>This Inner Loop Header: Depth=1
	ds_read_b32 v76, v75
	v_mov_b32_e32 v77, s0
	s_add_i32 s0, s0, 1
	v_add_u32_e32 v75, 4, v75
	s_cmp_lg_u32 s22, s0
	s_waitcnt lgkmcnt(0)
	v_cmp_lt_f32_e64 vcc, |v72|, |v76|
	s_nop 1
	v_cndmask_b32_e32 v72, v72, v76, vcc
	v_cndmask_b32_e32 v70, v70, v77, vcc
	s_cbranch_scc1 .LBB124_592
.LBB124_593:
	s_waitcnt lgkmcnt(0)
	v_cmp_eq_f32_e32 vcc, 0, v72
	s_and_saveexec_b64 s[0:1], vcc
	s_xor_b64 s[0:1], exec, s[0:1]
; %bb.594:
	v_cmp_ne_u32_e32 vcc, 0, v74
	s_nop 1
	v_cndmask_b32_e32 v74, 36, v74, vcc
; %bb.595:
	s_andn2_saveexec_b64 s[0:1], s[0:1]
	s_cbranch_execz .LBB124_597
; %bb.596:
	v_div_scale_f32 v75, s[2:3], v72, v72, 1.0
	v_rcp_f32_e32 v76, v75
	v_div_scale_f32 v77, vcc, 1.0, v72, 1.0
	v_fma_f32 v78, -v75, v76, 1.0
	v_fmac_f32_e32 v76, v78, v76
	v_mul_f32_e32 v78, v77, v76
	v_fma_f32 v79, -v75, v78, v77
	v_fmac_f32_e32 v78, v79, v76
	v_fma_f32 v75, -v75, v78, v77
	v_div_fmas_f32 v75, v75, v76, v78
	v_div_fixup_f32 v72, v75, v72, 1.0
.LBB124_597:
	s_or_b64 exec, exec, s[0:1]
	v_cmp_ne_u32_e32 vcc, v73, v70
	s_and_saveexec_b64 s[0:1], vcc
	s_xor_b64 s[0:1], exec, s[0:1]
	s_cbranch_execz .LBB124_603
; %bb.598:
	v_cmp_eq_u32_e32 vcc, 35, v73
	s_and_saveexec_b64 s[2:3], vcc
	s_cbranch_execz .LBB124_602
; %bb.599:
	v_cmp_ne_u32_e32 vcc, 35, v70
	s_xor_b64 s[12:13], s[20:21], -1
	s_and_b64 s[14:15], s[12:13], vcc
	s_and_saveexec_b64 s[12:13], s[14:15]
	s_cbranch_execz .LBB124_601
; %bb.600:
	v_ashrrev_i32_e32 v71, 31, v70
	v_lshl_add_u64 v[76:77], v[70:71], 2, v[4:5]
	global_load_dword v71, v[76:77], off
	global_load_dword v73, v[4:5], off offset:140
	s_waitcnt vmcnt(1)
	global_store_dword v[4:5], v71, off offset:140
	s_waitcnt vmcnt(1)
	global_store_dword v[76:77], v73, off
.LBB124_601:
	s_or_b64 exec, exec, s[12:13]
	v_mov_b32_e32 v71, v70
	v_mov_b32_e32 v73, v70
.LBB124_602:
	s_or_b64 exec, exec, s[2:3]
.LBB124_603:
	s_andn2_saveexec_b64 s[0:1], s[0:1]
	s_cbranch_execz .LBB124_605
; %bb.604:
	v_pk_mov_b32 v[76:77], v[36:37], v[26:27] op_sel:[1,0]
	ds_write2_b32 v69, v76, v77 offset0:36 offset1:37
	v_pk_mov_b32 v[76:77], v[26:27], v[18:19] op_sel:[1,0]
	ds_write2_b32 v69, v76, v77 offset0:38 offset1:39
	;; [unrolled: 2-line block ×12, first 2 shown]
	v_pk_mov_b32 v[76:77], v[16:17], v[10:11] op_sel:[1,0]
	v_mov_b32_e32 v73, 35
	ds_write2_b32 v69, v76, v77 offset0:60 offset1:61
	ds_write_b32 v69, v11 offset:248
.LBB124_605:
	s_or_b64 exec, exec, s[0:1]
	v_cmp_lt_i32_e32 vcc, 35, v73
	s_waitcnt lgkmcnt(0)
	s_barrier
	s_and_saveexec_b64 s[0:1], vcc
	s_cbranch_execz .LBB124_607
; %bb.606:
	ds_read_b32 v70, v69 offset:144
	ds_read2_b32 v[76:77], v69 offset0:37 offset1:38
	ds_read2_b32 v[78:79], v69 offset0:39 offset1:40
	v_mul_f32_e32 v36, v72, v36
	ds_read2_b32 v[80:81], v69 offset0:41 offset1:42
	s_waitcnt lgkmcnt(3)
	v_fma_f32 v37, -v36, v70, v37
	s_waitcnt lgkmcnt(2)
	v_pk_fma_f32 v[26:27], v[36:37], v[76:77], v[26:27] op_sel_hi:[0,1,1] neg_lo:[1,0,0] neg_hi:[1,0,0]
	s_waitcnt lgkmcnt(1)
	v_pk_fma_f32 v[18:19], v[36:37], v[78:79], v[18:19] op_sel_hi:[0,1,1] neg_lo:[1,0,0] neg_hi:[1,0,0]
	ds_read2_b32 v[76:77], v69 offset0:43 offset1:44
	ds_read2_b32 v[78:79], v69 offset0:45 offset1:46
	;; [unrolled: 1-line block ×3, first 2 shown]
	s_waitcnt lgkmcnt(3)
	v_pk_fma_f32 v[38:39], v[36:37], v[80:81], v[38:39] op_sel_hi:[0,1,1] neg_lo:[1,0,0] neg_hi:[1,0,0]
	ds_read2_b32 v[80:81], v69 offset0:49 offset1:50
	s_waitcnt lgkmcnt(3)
	v_pk_fma_f32 v[28:29], v[36:37], v[76:77], v[28:29] op_sel_hi:[0,1,1] neg_lo:[1,0,0] neg_hi:[1,0,0]
	ds_read2_b32 v[76:77], v69 offset0:51 offset1:52
	s_waitcnt lgkmcnt(3)
	v_pk_fma_f32 v[20:21], v[36:37], v[78:79], v[20:21] op_sel_hi:[0,1,1] neg_lo:[1,0,0] neg_hi:[1,0,0]
	s_waitcnt lgkmcnt(2)
	v_pk_fma_f32 v[12:13], v[36:37], v[82:83], v[12:13] op_sel_hi:[0,1,1] neg_lo:[1,0,0] neg_hi:[1,0,0]
	;; [unrolled: 2-line block ×3, first 2 shown]
	ds_read2_b32 v[78:79], v69 offset0:53 offset1:54
	ds_read2_b32 v[80:81], v69 offset0:55 offset1:56
	;; [unrolled: 1-line block ×3, first 2 shown]
	s_waitcnt lgkmcnt(3)
	v_pk_fma_f32 v[22:23], v[36:37], v[76:77], v[22:23] op_sel_hi:[0,1,1] neg_lo:[1,0,0] neg_hi:[1,0,0]
	ds_read2_b32 v[76:77], v69 offset0:59 offset1:60
	ds_read2_b32 v[84:85], v69 offset0:61 offset1:62
	s_waitcnt lgkmcnt(4)
	v_pk_fma_f32 v[14:15], v[36:37], v[78:79], v[14:15] op_sel_hi:[0,1,1] neg_lo:[1,0,0] neg_hi:[1,0,0]
	s_waitcnt lgkmcnt(3)
	v_pk_fma_f32 v[8:9], v[36:37], v[80:81], v[8:9] op_sel_hi:[0,1,1] neg_lo:[1,0,0] neg_hi:[1,0,0]
	;; [unrolled: 2-line block ×5, first 2 shown]
.LBB124_607:
	s_or_b64 exec, exec, s[0:1]
	v_lshl_add_u32 v70, v73, 2, v69
	s_barrier
	ds_write_b32 v70, v37
	s_waitcnt lgkmcnt(0)
	s_barrier
	ds_read_b32 v72, v69 offset:144
	s_cmp_lt_i32 s22, 38
	v_mov_b32_e32 v70, 36
	s_cbranch_scc1 .LBB124_610
; %bb.608:
	v_add_u32_e32 v75, 0x94, v69
	v_mov_b32_e32 v70, 36
	s_mov_b32 s0, 37
.LBB124_609:                            ; =>This Inner Loop Header: Depth=1
	ds_read_b32 v76, v75
	v_mov_b32_e32 v77, s0
	s_add_i32 s0, s0, 1
	v_add_u32_e32 v75, 4, v75
	s_cmp_lg_u32 s22, s0
	s_waitcnt lgkmcnt(0)
	v_cmp_lt_f32_e64 vcc, |v72|, |v76|
	s_nop 1
	v_cndmask_b32_e32 v72, v72, v76, vcc
	v_cndmask_b32_e32 v70, v70, v77, vcc
	s_cbranch_scc1 .LBB124_609
.LBB124_610:
	s_waitcnt lgkmcnt(0)
	v_cmp_eq_f32_e32 vcc, 0, v72
	s_and_saveexec_b64 s[0:1], vcc
	s_xor_b64 s[0:1], exec, s[0:1]
; %bb.611:
	v_cmp_ne_u32_e32 vcc, 0, v74
	s_nop 1
	v_cndmask_b32_e32 v74, 37, v74, vcc
; %bb.612:
	s_andn2_saveexec_b64 s[0:1], s[0:1]
	s_cbranch_execz .LBB124_614
; %bb.613:
	v_div_scale_f32 v75, s[2:3], v72, v72, 1.0
	v_rcp_f32_e32 v76, v75
	v_div_scale_f32 v77, vcc, 1.0, v72, 1.0
	v_fma_f32 v78, -v75, v76, 1.0
	v_fmac_f32_e32 v76, v78, v76
	v_mul_f32_e32 v78, v77, v76
	v_fma_f32 v79, -v75, v78, v77
	v_fmac_f32_e32 v78, v79, v76
	v_fma_f32 v75, -v75, v78, v77
	v_div_fmas_f32 v75, v75, v76, v78
	v_div_fixup_f32 v72, v75, v72, 1.0
.LBB124_614:
	s_or_b64 exec, exec, s[0:1]
	v_cmp_ne_u32_e32 vcc, v73, v70
	s_and_saveexec_b64 s[0:1], vcc
	s_xor_b64 s[0:1], exec, s[0:1]
	s_cbranch_execz .LBB124_620
; %bb.615:
	v_cmp_eq_u32_e32 vcc, 36, v73
	s_and_saveexec_b64 s[2:3], vcc
	s_cbranch_execz .LBB124_619
; %bb.616:
	v_cmp_ne_u32_e32 vcc, 36, v70
	s_xor_b64 s[12:13], s[20:21], -1
	s_and_b64 s[14:15], s[12:13], vcc
	s_and_saveexec_b64 s[12:13], s[14:15]
	s_cbranch_execz .LBB124_618
; %bb.617:
	v_ashrrev_i32_e32 v71, 31, v70
	v_lshl_add_u64 v[76:77], v[70:71], 2, v[4:5]
	global_load_dword v71, v[76:77], off
	global_load_dword v73, v[4:5], off offset:144
	s_waitcnt vmcnt(1)
	global_store_dword v[4:5], v71, off offset:144
	s_waitcnt vmcnt(1)
	global_store_dword v[76:77], v73, off
.LBB124_618:
	s_or_b64 exec, exec, s[12:13]
	v_mov_b32_e32 v71, v70
	v_mov_b32_e32 v73, v70
.LBB124_619:
	s_or_b64 exec, exec, s[2:3]
.LBB124_620:
	s_andn2_saveexec_b64 s[0:1], s[0:1]
	s_cbranch_execz .LBB124_622
; %bb.621:
	v_mov_b32_e32 v73, 36
	ds_write2_b32 v69, v26, v27 offset0:37 offset1:38
	ds_write2_b32 v69, v18, v19 offset0:39 offset1:40
	;; [unrolled: 1-line block ×13, first 2 shown]
.LBB124_622:
	s_or_b64 exec, exec, s[0:1]
	v_cmp_lt_i32_e32 vcc, 36, v73
	s_waitcnt lgkmcnt(0)
	s_barrier
	s_and_saveexec_b64 s[0:1], vcc
	s_cbranch_execz .LBB124_624
; %bb.623:
	ds_read2_b32 v[76:77], v69 offset0:37 offset1:38
	ds_read2_b32 v[78:79], v69 offset0:39 offset1:40
	;; [unrolled: 1-line block ×3, first 2 shown]
	v_mul_f32_e32 v70, v72, v37
	ds_read2_b32 v[82:83], v69 offset0:43 offset1:44
	s_waitcnt lgkmcnt(3)
	v_pk_fma_f32 v[26:27], v[70:71], v[76:77], v[26:27] op_sel_hi:[0,1,1] neg_lo:[1,0,0] neg_hi:[1,0,0]
	s_waitcnt lgkmcnt(2)
	v_pk_fma_f32 v[18:19], v[70:71], v[78:79], v[18:19] op_sel_hi:[0,1,1] neg_lo:[1,0,0] neg_hi:[1,0,0]
	;; [unrolled: 2-line block ×3, first 2 shown]
	ds_read2_b32 v[76:77], v69 offset0:45 offset1:46
	ds_read2_b32 v[78:79], v69 offset0:47 offset1:48
	;; [unrolled: 1-line block ×4, first 2 shown]
	s_waitcnt lgkmcnt(4)
	v_pk_fma_f32 v[28:29], v[70:71], v[82:83], v[28:29] op_sel_hi:[0,1,1] neg_lo:[1,0,0] neg_hi:[1,0,0]
	s_waitcnt lgkmcnt(3)
	v_pk_fma_f32 v[20:21], v[70:71], v[76:77], v[20:21] op_sel_hi:[0,1,1] neg_lo:[1,0,0] neg_hi:[1,0,0]
	;; [unrolled: 2-line block ×5, first 2 shown]
	ds_read2_b32 v[76:77], v69 offset0:53 offset1:54
	ds_read2_b32 v[78:79], v69 offset0:55 offset1:56
	;; [unrolled: 1-line block ×5, first 2 shown]
	s_waitcnt lgkmcnt(4)
	v_pk_fma_f32 v[14:15], v[70:71], v[76:77], v[14:15] op_sel_hi:[0,1,1] neg_lo:[1,0,0] neg_hi:[1,0,0]
	s_waitcnt lgkmcnt(3)
	v_pk_fma_f32 v[8:9], v[70:71], v[78:79], v[8:9] op_sel_hi:[0,1,1] neg_lo:[1,0,0] neg_hi:[1,0,0]
	s_waitcnt lgkmcnt(2)
	v_pk_fma_f32 v[0:1], v[70:71], v[80:81], v[0:1] op_sel_hi:[0,1,1] neg_lo:[1,0,0] neg_hi:[1,0,0]
	s_waitcnt lgkmcnt(1)
	v_pk_fma_f32 v[16:17], v[70:71], v[82:83], v[16:17] op_sel_hi:[0,1,1] neg_lo:[1,0,0] neg_hi:[1,0,0]
	s_waitcnt lgkmcnt(0)
	v_pk_fma_f32 v[10:11], v[70:71], v[84:85], v[10:11] op_sel_hi:[0,1,1] neg_lo:[1,0,0] neg_hi:[1,0,0]
	v_mov_b32_e32 v37, v70
.LBB124_624:
	s_or_b64 exec, exec, s[0:1]
	v_lshl_add_u32 v70, v73, 2, v69
	s_barrier
	ds_write_b32 v70, v26
	s_waitcnt lgkmcnt(0)
	s_barrier
	ds_read_b32 v72, v69 offset:148
	s_cmp_lt_i32 s22, 39
	v_mov_b32_e32 v70, 37
	s_cbranch_scc1 .LBB124_627
; %bb.625:
	v_add_u32_e32 v75, 0x98, v69
	v_mov_b32_e32 v70, 37
	s_mov_b32 s0, 38
.LBB124_626:                            ; =>This Inner Loop Header: Depth=1
	ds_read_b32 v76, v75
	v_mov_b32_e32 v77, s0
	s_add_i32 s0, s0, 1
	v_add_u32_e32 v75, 4, v75
	s_cmp_lg_u32 s22, s0
	s_waitcnt lgkmcnt(0)
	v_cmp_lt_f32_e64 vcc, |v72|, |v76|
	s_nop 1
	v_cndmask_b32_e32 v72, v72, v76, vcc
	v_cndmask_b32_e32 v70, v70, v77, vcc
	s_cbranch_scc1 .LBB124_626
.LBB124_627:
	s_waitcnt lgkmcnt(0)
	v_cmp_eq_f32_e32 vcc, 0, v72
	s_and_saveexec_b64 s[0:1], vcc
	s_xor_b64 s[0:1], exec, s[0:1]
; %bb.628:
	v_cmp_ne_u32_e32 vcc, 0, v74
	s_nop 1
	v_cndmask_b32_e32 v74, 38, v74, vcc
; %bb.629:
	s_andn2_saveexec_b64 s[0:1], s[0:1]
	s_cbranch_execz .LBB124_631
; %bb.630:
	v_div_scale_f32 v75, s[2:3], v72, v72, 1.0
	v_rcp_f32_e32 v76, v75
	v_div_scale_f32 v77, vcc, 1.0, v72, 1.0
	v_fma_f32 v78, -v75, v76, 1.0
	v_fmac_f32_e32 v76, v78, v76
	v_mul_f32_e32 v78, v77, v76
	v_fma_f32 v79, -v75, v78, v77
	v_fmac_f32_e32 v78, v79, v76
	v_fma_f32 v75, -v75, v78, v77
	v_div_fmas_f32 v75, v75, v76, v78
	v_div_fixup_f32 v72, v75, v72, 1.0
.LBB124_631:
	s_or_b64 exec, exec, s[0:1]
	v_cmp_ne_u32_e32 vcc, v73, v70
	s_and_saveexec_b64 s[0:1], vcc
	s_xor_b64 s[0:1], exec, s[0:1]
	s_cbranch_execz .LBB124_637
; %bb.632:
	v_cmp_eq_u32_e32 vcc, 37, v73
	s_and_saveexec_b64 s[2:3], vcc
	s_cbranch_execz .LBB124_636
; %bb.633:
	v_cmp_ne_u32_e32 vcc, 37, v70
	s_xor_b64 s[12:13], s[20:21], -1
	s_and_b64 s[14:15], s[12:13], vcc
	s_and_saveexec_b64 s[12:13], s[14:15]
	s_cbranch_execz .LBB124_635
; %bb.634:
	v_ashrrev_i32_e32 v71, 31, v70
	v_lshl_add_u64 v[76:77], v[70:71], 2, v[4:5]
	global_load_dword v71, v[76:77], off
	global_load_dword v73, v[4:5], off offset:148
	s_waitcnt vmcnt(1)
	global_store_dword v[4:5], v71, off offset:148
	s_waitcnt vmcnt(1)
	global_store_dword v[76:77], v73, off
.LBB124_635:
	s_or_b64 exec, exec, s[12:13]
	v_mov_b32_e32 v71, v70
	v_mov_b32_e32 v73, v70
.LBB124_636:
	s_or_b64 exec, exec, s[2:3]
.LBB124_637:
	s_andn2_saveexec_b64 s[0:1], s[0:1]
	s_cbranch_execz .LBB124_639
; %bb.638:
	v_pk_mov_b32 v[76:77], v[26:27], v[18:19] op_sel:[1,0]
	ds_write2_b32 v69, v76, v77 offset0:38 offset1:39
	v_pk_mov_b32 v[76:77], v[18:19], v[38:39] op_sel:[1,0]
	ds_write2_b32 v69, v76, v77 offset0:40 offset1:41
	;; [unrolled: 2-line block ×11, first 2 shown]
	v_pk_mov_b32 v[76:77], v[16:17], v[10:11] op_sel:[1,0]
	v_mov_b32_e32 v73, 37
	ds_write2_b32 v69, v76, v77 offset0:60 offset1:61
	ds_write_b32 v69, v11 offset:248
.LBB124_639:
	s_or_b64 exec, exec, s[0:1]
	v_cmp_lt_i32_e32 vcc, 37, v73
	s_waitcnt lgkmcnt(0)
	s_barrier
	s_and_saveexec_b64 s[0:1], vcc
	s_cbranch_execz .LBB124_641
; %bb.640:
	ds_read_b32 v70, v69 offset:152
	ds_read2_b32 v[76:77], v69 offset0:39 offset1:40
	ds_read2_b32 v[78:79], v69 offset0:41 offset1:42
	v_mul_f32_e32 v26, v72, v26
	ds_read2_b32 v[80:81], v69 offset0:43 offset1:44
	s_waitcnt lgkmcnt(3)
	v_fma_f32 v27, -v26, v70, v27
	s_waitcnt lgkmcnt(2)
	v_pk_fma_f32 v[18:19], v[26:27], v[76:77], v[18:19] op_sel_hi:[0,1,1] neg_lo:[1,0,0] neg_hi:[1,0,0]
	s_waitcnt lgkmcnt(1)
	v_pk_fma_f32 v[38:39], v[26:27], v[78:79], v[38:39] op_sel_hi:[0,1,1] neg_lo:[1,0,0] neg_hi:[1,0,0]
	ds_read2_b32 v[76:77], v69 offset0:45 offset1:46
	ds_read2_b32 v[78:79], v69 offset0:47 offset1:48
	;; [unrolled: 1-line block ×4, first 2 shown]
	s_waitcnt lgkmcnt(4)
	v_pk_fma_f32 v[28:29], v[26:27], v[80:81], v[28:29] op_sel_hi:[0,1,1] neg_lo:[1,0,0] neg_hi:[1,0,0]
	s_waitcnt lgkmcnt(3)
	v_pk_fma_f32 v[20:21], v[26:27], v[76:77], v[20:21] op_sel_hi:[0,1,1] neg_lo:[1,0,0] neg_hi:[1,0,0]
	;; [unrolled: 2-line block ×5, first 2 shown]
	ds_read2_b32 v[76:77], v69 offset0:53 offset1:54
	ds_read2_b32 v[78:79], v69 offset0:55 offset1:56
	;; [unrolled: 1-line block ×5, first 2 shown]
	s_waitcnt lgkmcnt(4)
	v_pk_fma_f32 v[14:15], v[26:27], v[76:77], v[14:15] op_sel_hi:[0,1,1] neg_lo:[1,0,0] neg_hi:[1,0,0]
	s_waitcnt lgkmcnt(3)
	v_pk_fma_f32 v[8:9], v[26:27], v[78:79], v[8:9] op_sel_hi:[0,1,1] neg_lo:[1,0,0] neg_hi:[1,0,0]
	;; [unrolled: 2-line block ×5, first 2 shown]
.LBB124_641:
	s_or_b64 exec, exec, s[0:1]
	v_lshl_add_u32 v70, v73, 2, v69
	s_barrier
	ds_write_b32 v70, v27
	s_waitcnt lgkmcnt(0)
	s_barrier
	ds_read_b32 v72, v69 offset:152
	s_cmp_lt_i32 s22, 40
	v_mov_b32_e32 v70, 38
	s_cbranch_scc1 .LBB124_644
; %bb.642:
	v_add_u32_e32 v75, 0x9c, v69
	v_mov_b32_e32 v70, 38
	s_mov_b32 s0, 39
.LBB124_643:                            ; =>This Inner Loop Header: Depth=1
	ds_read_b32 v76, v75
	v_mov_b32_e32 v77, s0
	s_add_i32 s0, s0, 1
	v_add_u32_e32 v75, 4, v75
	s_cmp_lg_u32 s22, s0
	s_waitcnt lgkmcnt(0)
	v_cmp_lt_f32_e64 vcc, |v72|, |v76|
	s_nop 1
	v_cndmask_b32_e32 v72, v72, v76, vcc
	v_cndmask_b32_e32 v70, v70, v77, vcc
	s_cbranch_scc1 .LBB124_643
.LBB124_644:
	s_waitcnt lgkmcnt(0)
	v_cmp_eq_f32_e32 vcc, 0, v72
	s_and_saveexec_b64 s[0:1], vcc
	s_xor_b64 s[0:1], exec, s[0:1]
; %bb.645:
	v_cmp_ne_u32_e32 vcc, 0, v74
	s_nop 1
	v_cndmask_b32_e32 v74, 39, v74, vcc
; %bb.646:
	s_andn2_saveexec_b64 s[0:1], s[0:1]
	s_cbranch_execz .LBB124_648
; %bb.647:
	v_div_scale_f32 v75, s[2:3], v72, v72, 1.0
	v_rcp_f32_e32 v76, v75
	v_div_scale_f32 v77, vcc, 1.0, v72, 1.0
	v_fma_f32 v78, -v75, v76, 1.0
	v_fmac_f32_e32 v76, v78, v76
	v_mul_f32_e32 v78, v77, v76
	v_fma_f32 v79, -v75, v78, v77
	v_fmac_f32_e32 v78, v79, v76
	v_fma_f32 v75, -v75, v78, v77
	v_div_fmas_f32 v75, v75, v76, v78
	v_div_fixup_f32 v72, v75, v72, 1.0
.LBB124_648:
	s_or_b64 exec, exec, s[0:1]
	v_cmp_ne_u32_e32 vcc, v73, v70
	s_and_saveexec_b64 s[0:1], vcc
	s_xor_b64 s[0:1], exec, s[0:1]
	s_cbranch_execz .LBB124_654
; %bb.649:
	v_cmp_eq_u32_e32 vcc, 38, v73
	s_and_saveexec_b64 s[2:3], vcc
	s_cbranch_execz .LBB124_653
; %bb.650:
	v_cmp_ne_u32_e32 vcc, 38, v70
	s_xor_b64 s[12:13], s[20:21], -1
	s_and_b64 s[14:15], s[12:13], vcc
	s_and_saveexec_b64 s[12:13], s[14:15]
	s_cbranch_execz .LBB124_652
; %bb.651:
	v_ashrrev_i32_e32 v71, 31, v70
	v_lshl_add_u64 v[76:77], v[70:71], 2, v[4:5]
	global_load_dword v71, v[76:77], off
	global_load_dword v73, v[4:5], off offset:152
	s_waitcnt vmcnt(1)
	global_store_dword v[4:5], v71, off offset:152
	s_waitcnt vmcnt(1)
	global_store_dword v[76:77], v73, off
.LBB124_652:
	s_or_b64 exec, exec, s[12:13]
	v_mov_b32_e32 v71, v70
	v_mov_b32_e32 v73, v70
.LBB124_653:
	s_or_b64 exec, exec, s[2:3]
.LBB124_654:
	s_andn2_saveexec_b64 s[0:1], s[0:1]
	s_cbranch_execz .LBB124_656
; %bb.655:
	v_mov_b32_e32 v73, 38
	ds_write2_b32 v69, v18, v19 offset0:39 offset1:40
	ds_write2_b32 v69, v38, v39 offset0:41 offset1:42
	;; [unrolled: 1-line block ×12, first 2 shown]
.LBB124_656:
	s_or_b64 exec, exec, s[0:1]
	v_cmp_lt_i32_e32 vcc, 38, v73
	s_waitcnt lgkmcnt(0)
	s_barrier
	s_and_saveexec_b64 s[0:1], vcc
	s_cbranch_execz .LBB124_658
; %bb.657:
	ds_read2_b32 v[76:77], v69 offset0:39 offset1:40
	ds_read2_b32 v[78:79], v69 offset0:41 offset1:42
	ds_read2_b32 v[80:81], v69 offset0:43 offset1:44
	v_mul_f32_e32 v70, v72, v27
	ds_read2_b32 v[82:83], v69 offset0:45 offset1:46
	s_waitcnt lgkmcnt(3)
	v_pk_fma_f32 v[18:19], v[70:71], v[76:77], v[18:19] op_sel_hi:[0,1,1] neg_lo:[1,0,0] neg_hi:[1,0,0]
	s_waitcnt lgkmcnt(2)
	v_pk_fma_f32 v[38:39], v[70:71], v[78:79], v[38:39] op_sel_hi:[0,1,1] neg_lo:[1,0,0] neg_hi:[1,0,0]
	;; [unrolled: 2-line block ×3, first 2 shown]
	ds_read2_b32 v[76:77], v69 offset0:47 offset1:48
	ds_read2_b32 v[78:79], v69 offset0:49 offset1:50
	;; [unrolled: 1-line block ×3, first 2 shown]
	s_waitcnt lgkmcnt(3)
	v_pk_fma_f32 v[20:21], v[70:71], v[82:83], v[20:21] op_sel_hi:[0,1,1] neg_lo:[1,0,0] neg_hi:[1,0,0]
	ds_read2_b32 v[82:83], v69 offset0:53 offset1:54
	s_waitcnt lgkmcnt(3)
	v_pk_fma_f32 v[12:13], v[70:71], v[76:77], v[12:13] op_sel_hi:[0,1,1] neg_lo:[1,0,0] neg_hi:[1,0,0]
	s_waitcnt lgkmcnt(2)
	v_pk_fma_f32 v[30:31], v[70:71], v[78:79], v[30:31] op_sel_hi:[0,1,1] neg_lo:[1,0,0] neg_hi:[1,0,0]
	;; [unrolled: 2-line block ×3, first 2 shown]
	ds_read2_b32 v[76:77], v69 offset0:55 offset1:56
	ds_read2_b32 v[78:79], v69 offset0:57 offset1:58
	;; [unrolled: 1-line block ×4, first 2 shown]
	s_waitcnt lgkmcnt(4)
	v_pk_fma_f32 v[14:15], v[70:71], v[82:83], v[14:15] op_sel_hi:[0,1,1] neg_lo:[1,0,0] neg_hi:[1,0,0]
	s_waitcnt lgkmcnt(3)
	v_pk_fma_f32 v[8:9], v[70:71], v[76:77], v[8:9] op_sel_hi:[0,1,1] neg_lo:[1,0,0] neg_hi:[1,0,0]
	;; [unrolled: 2-line block ×5, first 2 shown]
	v_mov_b32_e32 v27, v70
.LBB124_658:
	s_or_b64 exec, exec, s[0:1]
	v_lshl_add_u32 v70, v73, 2, v69
	s_barrier
	ds_write_b32 v70, v18
	s_waitcnt lgkmcnt(0)
	s_barrier
	ds_read_b32 v72, v69 offset:156
	s_cmp_lt_i32 s22, 41
	v_mov_b32_e32 v70, 39
	s_cbranch_scc1 .LBB124_661
; %bb.659:
	v_add_u32_e32 v75, 0xa0, v69
	v_mov_b32_e32 v70, 39
	s_mov_b32 s0, 40
.LBB124_660:                            ; =>This Inner Loop Header: Depth=1
	ds_read_b32 v76, v75
	v_mov_b32_e32 v77, s0
	s_add_i32 s0, s0, 1
	v_add_u32_e32 v75, 4, v75
	s_cmp_lg_u32 s22, s0
	s_waitcnt lgkmcnt(0)
	v_cmp_lt_f32_e64 vcc, |v72|, |v76|
	s_nop 1
	v_cndmask_b32_e32 v72, v72, v76, vcc
	v_cndmask_b32_e32 v70, v70, v77, vcc
	s_cbranch_scc1 .LBB124_660
.LBB124_661:
	s_waitcnt lgkmcnt(0)
	v_cmp_eq_f32_e32 vcc, 0, v72
	s_and_saveexec_b64 s[0:1], vcc
	s_xor_b64 s[0:1], exec, s[0:1]
; %bb.662:
	v_cmp_ne_u32_e32 vcc, 0, v74
	s_nop 1
	v_cndmask_b32_e32 v74, 40, v74, vcc
; %bb.663:
	s_andn2_saveexec_b64 s[0:1], s[0:1]
	s_cbranch_execz .LBB124_665
; %bb.664:
	v_div_scale_f32 v75, s[2:3], v72, v72, 1.0
	v_rcp_f32_e32 v76, v75
	v_div_scale_f32 v77, vcc, 1.0, v72, 1.0
	v_fma_f32 v78, -v75, v76, 1.0
	v_fmac_f32_e32 v76, v78, v76
	v_mul_f32_e32 v78, v77, v76
	v_fma_f32 v79, -v75, v78, v77
	v_fmac_f32_e32 v78, v79, v76
	v_fma_f32 v75, -v75, v78, v77
	v_div_fmas_f32 v75, v75, v76, v78
	v_div_fixup_f32 v72, v75, v72, 1.0
.LBB124_665:
	s_or_b64 exec, exec, s[0:1]
	v_cmp_ne_u32_e32 vcc, v73, v70
	s_and_saveexec_b64 s[0:1], vcc
	s_xor_b64 s[0:1], exec, s[0:1]
	s_cbranch_execz .LBB124_671
; %bb.666:
	v_cmp_eq_u32_e32 vcc, 39, v73
	s_and_saveexec_b64 s[2:3], vcc
	s_cbranch_execz .LBB124_670
; %bb.667:
	v_cmp_ne_u32_e32 vcc, 39, v70
	s_xor_b64 s[12:13], s[20:21], -1
	s_and_b64 s[14:15], s[12:13], vcc
	s_and_saveexec_b64 s[12:13], s[14:15]
	s_cbranch_execz .LBB124_669
; %bb.668:
	v_ashrrev_i32_e32 v71, 31, v70
	v_lshl_add_u64 v[76:77], v[70:71], 2, v[4:5]
	global_load_dword v71, v[76:77], off
	global_load_dword v73, v[4:5], off offset:156
	s_waitcnt vmcnt(1)
	global_store_dword v[4:5], v71, off offset:156
	s_waitcnt vmcnt(1)
	global_store_dword v[76:77], v73, off
.LBB124_669:
	s_or_b64 exec, exec, s[12:13]
	v_mov_b32_e32 v71, v70
	v_mov_b32_e32 v73, v70
.LBB124_670:
	s_or_b64 exec, exec, s[2:3]
.LBB124_671:
	s_andn2_saveexec_b64 s[0:1], s[0:1]
	s_cbranch_execz .LBB124_673
; %bb.672:
	v_pk_mov_b32 v[76:77], v[18:19], v[38:39] op_sel:[1,0]
	ds_write2_b32 v69, v76, v77 offset0:40 offset1:41
	v_pk_mov_b32 v[76:77], v[38:39], v[28:29] op_sel:[1,0]
	ds_write2_b32 v69, v76, v77 offset0:42 offset1:43
	v_pk_mov_b32 v[76:77], v[28:29], v[20:21] op_sel:[1,0]
	ds_write2_b32 v69, v76, v77 offset0:44 offset1:45
	v_pk_mov_b32 v[76:77], v[20:21], v[12:13] op_sel:[1,0]
	ds_write2_b32 v69, v76, v77 offset0:46 offset1:47
	v_pk_mov_b32 v[76:77], v[12:13], v[30:31] op_sel:[1,0]
	ds_write2_b32 v69, v76, v77 offset0:48 offset1:49
	v_pk_mov_b32 v[76:77], v[30:31], v[22:23] op_sel:[1,0]
	ds_write2_b32 v69, v76, v77 offset0:50 offset1:51
	v_pk_mov_b32 v[76:77], v[22:23], v[14:15] op_sel:[1,0]
	ds_write2_b32 v69, v76, v77 offset0:52 offset1:53
	v_pk_mov_b32 v[76:77], v[14:15], v[8:9] op_sel:[1,0]
	ds_write2_b32 v69, v76, v77 offset0:54 offset1:55
	v_pk_mov_b32 v[76:77], v[8:9], v[0:1] op_sel:[1,0]
	ds_write2_b32 v69, v76, v77 offset0:56 offset1:57
	v_pk_mov_b32 v[76:77], v[0:1], v[16:17] op_sel:[1,0]
	ds_write2_b32 v69, v76, v77 offset0:58 offset1:59
	v_pk_mov_b32 v[76:77], v[16:17], v[10:11] op_sel:[1,0]
	v_mov_b32_e32 v73, 39
	ds_write2_b32 v69, v76, v77 offset0:60 offset1:61
	ds_write_b32 v69, v11 offset:248
.LBB124_673:
	s_or_b64 exec, exec, s[0:1]
	v_cmp_lt_i32_e32 vcc, 39, v73
	s_waitcnt lgkmcnt(0)
	s_barrier
	s_and_saveexec_b64 s[0:1], vcc
	s_cbranch_execz .LBB124_675
; %bb.674:
	ds_read_b32 v70, v69 offset:160
	ds_read2_b32 v[76:77], v69 offset0:41 offset1:42
	ds_read2_b32 v[78:79], v69 offset0:43 offset1:44
	v_mul_f32_e32 v18, v72, v18
	ds_read2_b32 v[80:81], v69 offset0:45 offset1:46
	s_waitcnt lgkmcnt(3)
	v_fma_f32 v19, -v18, v70, v19
	s_waitcnt lgkmcnt(2)
	v_pk_fma_f32 v[38:39], v[18:19], v[76:77], v[38:39] op_sel_hi:[0,1,1] neg_lo:[1,0,0] neg_hi:[1,0,0]
	s_waitcnt lgkmcnt(1)
	v_pk_fma_f32 v[28:29], v[18:19], v[78:79], v[28:29] op_sel_hi:[0,1,1] neg_lo:[1,0,0] neg_hi:[1,0,0]
	ds_read2_b32 v[76:77], v69 offset0:47 offset1:48
	ds_read2_b32 v[78:79], v69 offset0:49 offset1:50
	;; [unrolled: 1-line block ×3, first 2 shown]
	s_waitcnt lgkmcnt(3)
	v_pk_fma_f32 v[20:21], v[18:19], v[80:81], v[20:21] op_sel_hi:[0,1,1] neg_lo:[1,0,0] neg_hi:[1,0,0]
	ds_read2_b32 v[80:81], v69 offset0:53 offset1:54
	s_waitcnt lgkmcnt(3)
	v_pk_fma_f32 v[12:13], v[18:19], v[76:77], v[12:13] op_sel_hi:[0,1,1] neg_lo:[1,0,0] neg_hi:[1,0,0]
	s_waitcnt lgkmcnt(2)
	v_pk_fma_f32 v[30:31], v[18:19], v[78:79], v[30:31] op_sel_hi:[0,1,1] neg_lo:[1,0,0] neg_hi:[1,0,0]
	s_waitcnt lgkmcnt(1)
	v_pk_fma_f32 v[22:23], v[18:19], v[82:83], v[22:23] op_sel_hi:[0,1,1] neg_lo:[1,0,0] neg_hi:[1,0,0]
	ds_read2_b32 v[76:77], v69 offset0:55 offset1:56
	ds_read2_b32 v[78:79], v69 offset0:57 offset1:58
	;; [unrolled: 1-line block ×4, first 2 shown]
	s_waitcnt lgkmcnt(4)
	v_pk_fma_f32 v[14:15], v[18:19], v[80:81], v[14:15] op_sel_hi:[0,1,1] neg_lo:[1,0,0] neg_hi:[1,0,0]
	s_waitcnt lgkmcnt(3)
	v_pk_fma_f32 v[8:9], v[18:19], v[76:77], v[8:9] op_sel_hi:[0,1,1] neg_lo:[1,0,0] neg_hi:[1,0,0]
	;; [unrolled: 2-line block ×5, first 2 shown]
.LBB124_675:
	s_or_b64 exec, exec, s[0:1]
	v_lshl_add_u32 v70, v73, 2, v69
	s_barrier
	ds_write_b32 v70, v19
	s_waitcnt lgkmcnt(0)
	s_barrier
	ds_read_b32 v72, v69 offset:160
	s_cmp_lt_i32 s22, 42
	v_mov_b32_e32 v70, 40
	s_cbranch_scc1 .LBB124_678
; %bb.676:
	v_add_u32_e32 v75, 0xa4, v69
	v_mov_b32_e32 v70, 40
	s_mov_b32 s0, 41
.LBB124_677:                            ; =>This Inner Loop Header: Depth=1
	ds_read_b32 v76, v75
	v_mov_b32_e32 v77, s0
	s_add_i32 s0, s0, 1
	v_add_u32_e32 v75, 4, v75
	s_cmp_lg_u32 s22, s0
	s_waitcnt lgkmcnt(0)
	v_cmp_lt_f32_e64 vcc, |v72|, |v76|
	s_nop 1
	v_cndmask_b32_e32 v72, v72, v76, vcc
	v_cndmask_b32_e32 v70, v70, v77, vcc
	s_cbranch_scc1 .LBB124_677
.LBB124_678:
	s_waitcnt lgkmcnt(0)
	v_cmp_eq_f32_e32 vcc, 0, v72
	s_and_saveexec_b64 s[0:1], vcc
	s_xor_b64 s[0:1], exec, s[0:1]
; %bb.679:
	v_cmp_ne_u32_e32 vcc, 0, v74
	s_nop 1
	v_cndmask_b32_e32 v74, 41, v74, vcc
; %bb.680:
	s_andn2_saveexec_b64 s[0:1], s[0:1]
	s_cbranch_execz .LBB124_682
; %bb.681:
	v_div_scale_f32 v75, s[2:3], v72, v72, 1.0
	v_rcp_f32_e32 v76, v75
	v_div_scale_f32 v77, vcc, 1.0, v72, 1.0
	v_fma_f32 v78, -v75, v76, 1.0
	v_fmac_f32_e32 v76, v78, v76
	v_mul_f32_e32 v78, v77, v76
	v_fma_f32 v79, -v75, v78, v77
	v_fmac_f32_e32 v78, v79, v76
	v_fma_f32 v75, -v75, v78, v77
	v_div_fmas_f32 v75, v75, v76, v78
	v_div_fixup_f32 v72, v75, v72, 1.0
.LBB124_682:
	s_or_b64 exec, exec, s[0:1]
	v_cmp_ne_u32_e32 vcc, v73, v70
	s_and_saveexec_b64 s[0:1], vcc
	s_xor_b64 s[0:1], exec, s[0:1]
	s_cbranch_execz .LBB124_688
; %bb.683:
	v_cmp_eq_u32_e32 vcc, 40, v73
	s_and_saveexec_b64 s[2:3], vcc
	s_cbranch_execz .LBB124_687
; %bb.684:
	v_cmp_ne_u32_e32 vcc, 40, v70
	s_xor_b64 s[12:13], s[20:21], -1
	s_and_b64 s[14:15], s[12:13], vcc
	s_and_saveexec_b64 s[12:13], s[14:15]
	s_cbranch_execz .LBB124_686
; %bb.685:
	v_ashrrev_i32_e32 v71, 31, v70
	v_lshl_add_u64 v[76:77], v[70:71], 2, v[4:5]
	global_load_dword v71, v[76:77], off
	global_load_dword v73, v[4:5], off offset:160
	s_waitcnt vmcnt(1)
	global_store_dword v[4:5], v71, off offset:160
	s_waitcnt vmcnt(1)
	global_store_dword v[76:77], v73, off
.LBB124_686:
	s_or_b64 exec, exec, s[12:13]
	v_mov_b32_e32 v71, v70
	v_mov_b32_e32 v73, v70
.LBB124_687:
	s_or_b64 exec, exec, s[2:3]
.LBB124_688:
	s_andn2_saveexec_b64 s[0:1], s[0:1]
	s_cbranch_execz .LBB124_690
; %bb.689:
	v_mov_b32_e32 v73, 40
	ds_write2_b32 v69, v38, v39 offset0:41 offset1:42
	ds_write2_b32 v69, v28, v29 offset0:43 offset1:44
	;; [unrolled: 1-line block ×11, first 2 shown]
.LBB124_690:
	s_or_b64 exec, exec, s[0:1]
	v_cmp_lt_i32_e32 vcc, 40, v73
	s_waitcnt lgkmcnt(0)
	s_barrier
	s_and_saveexec_b64 s[0:1], vcc
	s_cbranch_execz .LBB124_692
; %bb.691:
	ds_read2_b32 v[76:77], v69 offset0:41 offset1:42
	ds_read2_b32 v[78:79], v69 offset0:43 offset1:44
	;; [unrolled: 1-line block ×3, first 2 shown]
	v_mul_f32_e32 v70, v72, v19
	ds_read2_b32 v[82:83], v69 offset0:47 offset1:48
	s_waitcnt lgkmcnt(3)
	v_pk_fma_f32 v[38:39], v[70:71], v[76:77], v[38:39] op_sel_hi:[0,1,1] neg_lo:[1,0,0] neg_hi:[1,0,0]
	s_waitcnt lgkmcnt(2)
	v_pk_fma_f32 v[28:29], v[70:71], v[78:79], v[28:29] op_sel_hi:[0,1,1] neg_lo:[1,0,0] neg_hi:[1,0,0]
	ds_read2_b32 v[76:77], v69 offset0:49 offset1:50
	ds_read2_b32 v[78:79], v69 offset0:51 offset1:52
	s_waitcnt lgkmcnt(3)
	v_pk_fma_f32 v[20:21], v[70:71], v[80:81], v[20:21] op_sel_hi:[0,1,1] neg_lo:[1,0,0] neg_hi:[1,0,0]
	s_waitcnt lgkmcnt(2)
	v_pk_fma_f32 v[12:13], v[70:71], v[82:83], v[12:13] op_sel_hi:[0,1,1] neg_lo:[1,0,0] neg_hi:[1,0,0]
	ds_read2_b32 v[80:81], v69 offset0:53 offset1:54
	;; [unrolled: 6-line block ×3, first 2 shown]
	ds_read2_b32 v[78:79], v69 offset0:59 offset1:60
	ds_read2_b32 v[84:85], v69 offset0:61 offset1:62
	s_waitcnt lgkmcnt(4)
	v_pk_fma_f32 v[14:15], v[70:71], v[80:81], v[14:15] op_sel_hi:[0,1,1] neg_lo:[1,0,0] neg_hi:[1,0,0]
	s_waitcnt lgkmcnt(3)
	v_pk_fma_f32 v[8:9], v[70:71], v[82:83], v[8:9] op_sel_hi:[0,1,1] neg_lo:[1,0,0] neg_hi:[1,0,0]
	;; [unrolled: 2-line block ×5, first 2 shown]
	v_mov_b32_e32 v19, v70
.LBB124_692:
	s_or_b64 exec, exec, s[0:1]
	v_lshl_add_u32 v70, v73, 2, v69
	s_barrier
	ds_write_b32 v70, v38
	s_waitcnt lgkmcnt(0)
	s_barrier
	ds_read_b32 v72, v69 offset:164
	s_cmp_lt_i32 s22, 43
	v_mov_b32_e32 v70, 41
	s_cbranch_scc1 .LBB124_695
; %bb.693:
	v_add_u32_e32 v75, 0xa8, v69
	v_mov_b32_e32 v70, 41
	s_mov_b32 s0, 42
.LBB124_694:                            ; =>This Inner Loop Header: Depth=1
	ds_read_b32 v76, v75
	v_mov_b32_e32 v77, s0
	s_add_i32 s0, s0, 1
	v_add_u32_e32 v75, 4, v75
	s_cmp_lg_u32 s22, s0
	s_waitcnt lgkmcnt(0)
	v_cmp_lt_f32_e64 vcc, |v72|, |v76|
	s_nop 1
	v_cndmask_b32_e32 v72, v72, v76, vcc
	v_cndmask_b32_e32 v70, v70, v77, vcc
	s_cbranch_scc1 .LBB124_694
.LBB124_695:
	s_waitcnt lgkmcnt(0)
	v_cmp_eq_f32_e32 vcc, 0, v72
	s_and_saveexec_b64 s[0:1], vcc
	s_xor_b64 s[0:1], exec, s[0:1]
; %bb.696:
	v_cmp_ne_u32_e32 vcc, 0, v74
	s_nop 1
	v_cndmask_b32_e32 v74, 42, v74, vcc
; %bb.697:
	s_andn2_saveexec_b64 s[0:1], s[0:1]
	s_cbranch_execz .LBB124_699
; %bb.698:
	v_div_scale_f32 v75, s[2:3], v72, v72, 1.0
	v_rcp_f32_e32 v76, v75
	v_div_scale_f32 v77, vcc, 1.0, v72, 1.0
	v_fma_f32 v78, -v75, v76, 1.0
	v_fmac_f32_e32 v76, v78, v76
	v_mul_f32_e32 v78, v77, v76
	v_fma_f32 v79, -v75, v78, v77
	v_fmac_f32_e32 v78, v79, v76
	v_fma_f32 v75, -v75, v78, v77
	v_div_fmas_f32 v75, v75, v76, v78
	v_div_fixup_f32 v72, v75, v72, 1.0
.LBB124_699:
	s_or_b64 exec, exec, s[0:1]
	v_cmp_ne_u32_e32 vcc, v73, v70
	s_and_saveexec_b64 s[0:1], vcc
	s_xor_b64 s[0:1], exec, s[0:1]
	s_cbranch_execz .LBB124_705
; %bb.700:
	v_cmp_eq_u32_e32 vcc, 41, v73
	s_and_saveexec_b64 s[2:3], vcc
	s_cbranch_execz .LBB124_704
; %bb.701:
	v_cmp_ne_u32_e32 vcc, 41, v70
	s_xor_b64 s[12:13], s[20:21], -1
	s_and_b64 s[14:15], s[12:13], vcc
	s_and_saveexec_b64 s[12:13], s[14:15]
	s_cbranch_execz .LBB124_703
; %bb.702:
	v_ashrrev_i32_e32 v71, 31, v70
	v_lshl_add_u64 v[76:77], v[70:71], 2, v[4:5]
	global_load_dword v71, v[76:77], off
	global_load_dword v73, v[4:5], off offset:164
	s_waitcnt vmcnt(1)
	global_store_dword v[4:5], v71, off offset:164
	s_waitcnt vmcnt(1)
	global_store_dword v[76:77], v73, off
.LBB124_703:
	s_or_b64 exec, exec, s[12:13]
	v_mov_b32_e32 v71, v70
	v_mov_b32_e32 v73, v70
.LBB124_704:
	s_or_b64 exec, exec, s[2:3]
.LBB124_705:
	s_andn2_saveexec_b64 s[0:1], s[0:1]
	s_cbranch_execz .LBB124_707
; %bb.706:
	v_pk_mov_b32 v[76:77], v[38:39], v[28:29] op_sel:[1,0]
	ds_write2_b32 v69, v76, v77 offset0:42 offset1:43
	v_pk_mov_b32 v[76:77], v[28:29], v[20:21] op_sel:[1,0]
	ds_write2_b32 v69, v76, v77 offset0:44 offset1:45
	v_pk_mov_b32 v[76:77], v[20:21], v[12:13] op_sel:[1,0]
	ds_write2_b32 v69, v76, v77 offset0:46 offset1:47
	v_pk_mov_b32 v[76:77], v[12:13], v[30:31] op_sel:[1,0]
	ds_write2_b32 v69, v76, v77 offset0:48 offset1:49
	v_pk_mov_b32 v[76:77], v[30:31], v[22:23] op_sel:[1,0]
	ds_write2_b32 v69, v76, v77 offset0:50 offset1:51
	v_pk_mov_b32 v[76:77], v[22:23], v[14:15] op_sel:[1,0]
	ds_write2_b32 v69, v76, v77 offset0:52 offset1:53
	v_pk_mov_b32 v[76:77], v[14:15], v[8:9] op_sel:[1,0]
	ds_write2_b32 v69, v76, v77 offset0:54 offset1:55
	v_pk_mov_b32 v[76:77], v[8:9], v[0:1] op_sel:[1,0]
	ds_write2_b32 v69, v76, v77 offset0:56 offset1:57
	v_pk_mov_b32 v[76:77], v[0:1], v[16:17] op_sel:[1,0]
	ds_write2_b32 v69, v76, v77 offset0:58 offset1:59
	v_pk_mov_b32 v[76:77], v[16:17], v[10:11] op_sel:[1,0]
	v_mov_b32_e32 v73, 41
	ds_write2_b32 v69, v76, v77 offset0:60 offset1:61
	ds_write_b32 v69, v11 offset:248
.LBB124_707:
	s_or_b64 exec, exec, s[0:1]
	v_cmp_lt_i32_e32 vcc, 41, v73
	s_waitcnt lgkmcnt(0)
	s_barrier
	s_and_saveexec_b64 s[0:1], vcc
	s_cbranch_execz .LBB124_709
; %bb.708:
	ds_read_b32 v70, v69 offset:168
	ds_read2_b32 v[76:77], v69 offset0:43 offset1:44
	ds_read2_b32 v[78:79], v69 offset0:45 offset1:46
	v_mul_f32_e32 v38, v72, v38
	ds_read2_b32 v[80:81], v69 offset0:47 offset1:48
	s_waitcnt lgkmcnt(3)
	v_fma_f32 v39, -v38, v70, v39
	s_waitcnt lgkmcnt(2)
	v_pk_fma_f32 v[28:29], v[38:39], v[76:77], v[28:29] op_sel_hi:[0,1,1] neg_lo:[1,0,0] neg_hi:[1,0,0]
	s_waitcnt lgkmcnt(1)
	v_pk_fma_f32 v[20:21], v[38:39], v[78:79], v[20:21] op_sel_hi:[0,1,1] neg_lo:[1,0,0] neg_hi:[1,0,0]
	ds_read2_b32 v[76:77], v69 offset0:49 offset1:50
	ds_read2_b32 v[78:79], v69 offset0:51 offset1:52
	s_waitcnt lgkmcnt(2)
	v_pk_fma_f32 v[12:13], v[38:39], v[80:81], v[12:13] op_sel_hi:[0,1,1] neg_lo:[1,0,0] neg_hi:[1,0,0]
	ds_read2_b32 v[80:81], v69 offset0:53 offset1:54
	ds_read2_b32 v[82:83], v69 offset0:55 offset1:56
	s_waitcnt lgkmcnt(3)
	v_pk_fma_f32 v[30:31], v[38:39], v[76:77], v[30:31] op_sel_hi:[0,1,1] neg_lo:[1,0,0] neg_hi:[1,0,0]
	s_waitcnt lgkmcnt(2)
	v_pk_fma_f32 v[22:23], v[38:39], v[78:79], v[22:23] op_sel_hi:[0,1,1] neg_lo:[1,0,0] neg_hi:[1,0,0]
	ds_read2_b32 v[76:77], v69 offset0:57 offset1:58
	ds_read2_b32 v[78:79], v69 offset0:59 offset1:60
	;; [unrolled: 1-line block ×3, first 2 shown]
	s_waitcnt lgkmcnt(4)
	v_pk_fma_f32 v[14:15], v[38:39], v[80:81], v[14:15] op_sel_hi:[0,1,1] neg_lo:[1,0,0] neg_hi:[1,0,0]
	s_waitcnt lgkmcnt(3)
	v_pk_fma_f32 v[8:9], v[38:39], v[82:83], v[8:9] op_sel_hi:[0,1,1] neg_lo:[1,0,0] neg_hi:[1,0,0]
	;; [unrolled: 2-line block ×5, first 2 shown]
.LBB124_709:
	s_or_b64 exec, exec, s[0:1]
	v_lshl_add_u32 v70, v73, 2, v69
	s_barrier
	ds_write_b32 v70, v39
	s_waitcnt lgkmcnt(0)
	s_barrier
	ds_read_b32 v72, v69 offset:168
	s_cmp_lt_i32 s22, 44
	v_mov_b32_e32 v70, 42
	s_cbranch_scc1 .LBB124_712
; %bb.710:
	v_add_u32_e32 v75, 0xac, v69
	v_mov_b32_e32 v70, 42
	s_mov_b32 s0, 43
.LBB124_711:                            ; =>This Inner Loop Header: Depth=1
	ds_read_b32 v76, v75
	v_mov_b32_e32 v77, s0
	s_add_i32 s0, s0, 1
	v_add_u32_e32 v75, 4, v75
	s_cmp_lg_u32 s22, s0
	s_waitcnt lgkmcnt(0)
	v_cmp_lt_f32_e64 vcc, |v72|, |v76|
	s_nop 1
	v_cndmask_b32_e32 v72, v72, v76, vcc
	v_cndmask_b32_e32 v70, v70, v77, vcc
	s_cbranch_scc1 .LBB124_711
.LBB124_712:
	s_waitcnt lgkmcnt(0)
	v_cmp_eq_f32_e32 vcc, 0, v72
	s_and_saveexec_b64 s[0:1], vcc
	s_xor_b64 s[0:1], exec, s[0:1]
; %bb.713:
	v_cmp_ne_u32_e32 vcc, 0, v74
	s_nop 1
	v_cndmask_b32_e32 v74, 43, v74, vcc
; %bb.714:
	s_andn2_saveexec_b64 s[0:1], s[0:1]
	s_cbranch_execz .LBB124_716
; %bb.715:
	v_div_scale_f32 v75, s[2:3], v72, v72, 1.0
	v_rcp_f32_e32 v76, v75
	v_div_scale_f32 v77, vcc, 1.0, v72, 1.0
	v_fma_f32 v78, -v75, v76, 1.0
	v_fmac_f32_e32 v76, v78, v76
	v_mul_f32_e32 v78, v77, v76
	v_fma_f32 v79, -v75, v78, v77
	v_fmac_f32_e32 v78, v79, v76
	v_fma_f32 v75, -v75, v78, v77
	v_div_fmas_f32 v75, v75, v76, v78
	v_div_fixup_f32 v72, v75, v72, 1.0
.LBB124_716:
	s_or_b64 exec, exec, s[0:1]
	v_cmp_ne_u32_e32 vcc, v73, v70
	s_and_saveexec_b64 s[0:1], vcc
	s_xor_b64 s[0:1], exec, s[0:1]
	s_cbranch_execz .LBB124_722
; %bb.717:
	v_cmp_eq_u32_e32 vcc, 42, v73
	s_and_saveexec_b64 s[2:3], vcc
	s_cbranch_execz .LBB124_721
; %bb.718:
	v_cmp_ne_u32_e32 vcc, 42, v70
	s_xor_b64 s[12:13], s[20:21], -1
	s_and_b64 s[14:15], s[12:13], vcc
	s_and_saveexec_b64 s[12:13], s[14:15]
	s_cbranch_execz .LBB124_720
; %bb.719:
	v_ashrrev_i32_e32 v71, 31, v70
	v_lshl_add_u64 v[76:77], v[70:71], 2, v[4:5]
	global_load_dword v71, v[76:77], off
	global_load_dword v73, v[4:5], off offset:168
	s_waitcnt vmcnt(1)
	global_store_dword v[4:5], v71, off offset:168
	s_waitcnt vmcnt(1)
	global_store_dword v[76:77], v73, off
.LBB124_720:
	s_or_b64 exec, exec, s[12:13]
	v_mov_b32_e32 v71, v70
	v_mov_b32_e32 v73, v70
.LBB124_721:
	s_or_b64 exec, exec, s[2:3]
.LBB124_722:
	s_andn2_saveexec_b64 s[0:1], s[0:1]
	s_cbranch_execz .LBB124_724
; %bb.723:
	v_mov_b32_e32 v73, 42
	ds_write2_b32 v69, v28, v29 offset0:43 offset1:44
	ds_write2_b32 v69, v20, v21 offset0:45 offset1:46
	;; [unrolled: 1-line block ×10, first 2 shown]
.LBB124_724:
	s_or_b64 exec, exec, s[0:1]
	v_cmp_lt_i32_e32 vcc, 42, v73
	s_waitcnt lgkmcnt(0)
	s_barrier
	s_and_saveexec_b64 s[0:1], vcc
	s_cbranch_execz .LBB124_726
; %bb.725:
	ds_read2_b32 v[76:77], v69 offset0:43 offset1:44
	ds_read2_b32 v[78:79], v69 offset0:45 offset1:46
	ds_read2_b32 v[80:81], v69 offset0:47 offset1:48
	v_mul_f32_e32 v70, v72, v39
	ds_read2_b32 v[82:83], v69 offset0:49 offset1:50
	s_waitcnt lgkmcnt(3)
	v_pk_fma_f32 v[28:29], v[70:71], v[76:77], v[28:29] op_sel_hi:[0,1,1] neg_lo:[1,0,0] neg_hi:[1,0,0]
	ds_read2_b32 v[76:77], v69 offset0:51 offset1:52
	s_waitcnt lgkmcnt(3)
	v_pk_fma_f32 v[20:21], v[70:71], v[78:79], v[20:21] op_sel_hi:[0,1,1] neg_lo:[1,0,0] neg_hi:[1,0,0]
	s_waitcnt lgkmcnt(2)
	v_pk_fma_f32 v[12:13], v[70:71], v[80:81], v[12:13] op_sel_hi:[0,1,1] neg_lo:[1,0,0] neg_hi:[1,0,0]
	;; [unrolled: 2-line block ×3, first 2 shown]
	ds_read2_b32 v[78:79], v69 offset0:53 offset1:54
	ds_read2_b32 v[80:81], v69 offset0:55 offset1:56
	;; [unrolled: 1-line block ×3, first 2 shown]
	s_waitcnt lgkmcnt(3)
	v_pk_fma_f32 v[22:23], v[70:71], v[76:77], v[22:23] op_sel_hi:[0,1,1] neg_lo:[1,0,0] neg_hi:[1,0,0]
	ds_read2_b32 v[76:77], v69 offset0:59 offset1:60
	ds_read2_b32 v[84:85], v69 offset0:61 offset1:62
	s_waitcnt lgkmcnt(4)
	v_pk_fma_f32 v[14:15], v[70:71], v[78:79], v[14:15] op_sel_hi:[0,1,1] neg_lo:[1,0,0] neg_hi:[1,0,0]
	s_waitcnt lgkmcnt(3)
	v_pk_fma_f32 v[8:9], v[70:71], v[80:81], v[8:9] op_sel_hi:[0,1,1] neg_lo:[1,0,0] neg_hi:[1,0,0]
	;; [unrolled: 2-line block ×5, first 2 shown]
	v_mov_b32_e32 v39, v70
.LBB124_726:
	s_or_b64 exec, exec, s[0:1]
	v_lshl_add_u32 v70, v73, 2, v69
	s_barrier
	ds_write_b32 v70, v28
	s_waitcnt lgkmcnt(0)
	s_barrier
	ds_read_b32 v72, v69 offset:172
	s_cmp_lt_i32 s22, 45
	v_mov_b32_e32 v70, 43
	s_cbranch_scc1 .LBB124_729
; %bb.727:
	v_add_u32_e32 v75, 0xb0, v69
	v_mov_b32_e32 v70, 43
	s_mov_b32 s0, 44
.LBB124_728:                            ; =>This Inner Loop Header: Depth=1
	ds_read_b32 v76, v75
	v_mov_b32_e32 v77, s0
	s_add_i32 s0, s0, 1
	v_add_u32_e32 v75, 4, v75
	s_cmp_lg_u32 s22, s0
	s_waitcnt lgkmcnt(0)
	v_cmp_lt_f32_e64 vcc, |v72|, |v76|
	s_nop 1
	v_cndmask_b32_e32 v72, v72, v76, vcc
	v_cndmask_b32_e32 v70, v70, v77, vcc
	s_cbranch_scc1 .LBB124_728
.LBB124_729:
	s_waitcnt lgkmcnt(0)
	v_cmp_eq_f32_e32 vcc, 0, v72
	s_and_saveexec_b64 s[0:1], vcc
	s_xor_b64 s[0:1], exec, s[0:1]
; %bb.730:
	v_cmp_ne_u32_e32 vcc, 0, v74
	s_nop 1
	v_cndmask_b32_e32 v74, 44, v74, vcc
; %bb.731:
	s_andn2_saveexec_b64 s[0:1], s[0:1]
	s_cbranch_execz .LBB124_733
; %bb.732:
	v_div_scale_f32 v75, s[2:3], v72, v72, 1.0
	v_rcp_f32_e32 v76, v75
	v_div_scale_f32 v77, vcc, 1.0, v72, 1.0
	v_fma_f32 v78, -v75, v76, 1.0
	v_fmac_f32_e32 v76, v78, v76
	v_mul_f32_e32 v78, v77, v76
	v_fma_f32 v79, -v75, v78, v77
	v_fmac_f32_e32 v78, v79, v76
	v_fma_f32 v75, -v75, v78, v77
	v_div_fmas_f32 v75, v75, v76, v78
	v_div_fixup_f32 v72, v75, v72, 1.0
.LBB124_733:
	s_or_b64 exec, exec, s[0:1]
	v_cmp_ne_u32_e32 vcc, v73, v70
	s_and_saveexec_b64 s[0:1], vcc
	s_xor_b64 s[0:1], exec, s[0:1]
	s_cbranch_execz .LBB124_739
; %bb.734:
	v_cmp_eq_u32_e32 vcc, 43, v73
	s_and_saveexec_b64 s[2:3], vcc
	s_cbranch_execz .LBB124_738
; %bb.735:
	v_cmp_ne_u32_e32 vcc, 43, v70
	s_xor_b64 s[12:13], s[20:21], -1
	s_and_b64 s[14:15], s[12:13], vcc
	s_and_saveexec_b64 s[12:13], s[14:15]
	s_cbranch_execz .LBB124_737
; %bb.736:
	v_ashrrev_i32_e32 v71, 31, v70
	v_lshl_add_u64 v[76:77], v[70:71], 2, v[4:5]
	global_load_dword v71, v[76:77], off
	global_load_dword v73, v[4:5], off offset:172
	s_waitcnt vmcnt(1)
	global_store_dword v[4:5], v71, off offset:172
	s_waitcnt vmcnt(1)
	global_store_dword v[76:77], v73, off
.LBB124_737:
	s_or_b64 exec, exec, s[12:13]
	v_mov_b32_e32 v71, v70
	v_mov_b32_e32 v73, v70
.LBB124_738:
	s_or_b64 exec, exec, s[2:3]
.LBB124_739:
	s_andn2_saveexec_b64 s[0:1], s[0:1]
	s_cbranch_execz .LBB124_741
; %bb.740:
	v_pk_mov_b32 v[76:77], v[28:29], v[20:21] op_sel:[1,0]
	ds_write2_b32 v69, v76, v77 offset0:44 offset1:45
	v_pk_mov_b32 v[76:77], v[20:21], v[12:13] op_sel:[1,0]
	ds_write2_b32 v69, v76, v77 offset0:46 offset1:47
	;; [unrolled: 2-line block ×8, first 2 shown]
	v_pk_mov_b32 v[76:77], v[16:17], v[10:11] op_sel:[1,0]
	v_mov_b32_e32 v73, 43
	ds_write2_b32 v69, v76, v77 offset0:60 offset1:61
	ds_write_b32 v69, v11 offset:248
.LBB124_741:
	s_or_b64 exec, exec, s[0:1]
	v_cmp_lt_i32_e32 vcc, 43, v73
	s_waitcnt lgkmcnt(0)
	s_barrier
	s_and_saveexec_b64 s[0:1], vcc
	s_cbranch_execz .LBB124_743
; %bb.742:
	ds_read_b32 v70, v69 offset:176
	ds_read2_b32 v[76:77], v69 offset0:45 offset1:46
	ds_read2_b32 v[78:79], v69 offset0:47 offset1:48
	v_mul_f32_e32 v28, v72, v28
	ds_read2_b32 v[80:81], v69 offset0:49 offset1:50
	s_waitcnt lgkmcnt(3)
	v_fma_f32 v29, -v28, v70, v29
	s_waitcnt lgkmcnt(2)
	v_pk_fma_f32 v[20:21], v[28:29], v[76:77], v[20:21] op_sel_hi:[0,1,1] neg_lo:[1,0,0] neg_hi:[1,0,0]
	ds_read2_b32 v[76:77], v69 offset0:51 offset1:52
	s_waitcnt lgkmcnt(2)
	v_pk_fma_f32 v[12:13], v[28:29], v[78:79], v[12:13] op_sel_hi:[0,1,1] neg_lo:[1,0,0] neg_hi:[1,0,0]
	s_waitcnt lgkmcnt(1)
	v_pk_fma_f32 v[30:31], v[28:29], v[80:81], v[30:31] op_sel_hi:[0,1,1] neg_lo:[1,0,0] neg_hi:[1,0,0]
	ds_read2_b32 v[78:79], v69 offset0:53 offset1:54
	ds_read2_b32 v[80:81], v69 offset0:55 offset1:56
	ds_read2_b32 v[82:83], v69 offset0:57 offset1:58
	s_waitcnt lgkmcnt(3)
	v_pk_fma_f32 v[22:23], v[28:29], v[76:77], v[22:23] op_sel_hi:[0,1,1] neg_lo:[1,0,0] neg_hi:[1,0,0]
	ds_read2_b32 v[76:77], v69 offset0:59 offset1:60
	ds_read2_b32 v[84:85], v69 offset0:61 offset1:62
	s_waitcnt lgkmcnt(4)
	v_pk_fma_f32 v[14:15], v[28:29], v[78:79], v[14:15] op_sel_hi:[0,1,1] neg_lo:[1,0,0] neg_hi:[1,0,0]
	s_waitcnt lgkmcnt(3)
	v_pk_fma_f32 v[8:9], v[28:29], v[80:81], v[8:9] op_sel_hi:[0,1,1] neg_lo:[1,0,0] neg_hi:[1,0,0]
	;; [unrolled: 2-line block ×5, first 2 shown]
.LBB124_743:
	s_or_b64 exec, exec, s[0:1]
	v_lshl_add_u32 v70, v73, 2, v69
	s_barrier
	ds_write_b32 v70, v29
	s_waitcnt lgkmcnt(0)
	s_barrier
	ds_read_b32 v72, v69 offset:176
	s_cmp_lt_i32 s22, 46
	v_mov_b32_e32 v70, 44
	s_cbranch_scc1 .LBB124_746
; %bb.744:
	v_add_u32_e32 v75, 0xb4, v69
	v_mov_b32_e32 v70, 44
	s_mov_b32 s0, 45
.LBB124_745:                            ; =>This Inner Loop Header: Depth=1
	ds_read_b32 v76, v75
	v_mov_b32_e32 v77, s0
	s_add_i32 s0, s0, 1
	v_add_u32_e32 v75, 4, v75
	s_cmp_lg_u32 s22, s0
	s_waitcnt lgkmcnt(0)
	v_cmp_lt_f32_e64 vcc, |v72|, |v76|
	s_nop 1
	v_cndmask_b32_e32 v72, v72, v76, vcc
	v_cndmask_b32_e32 v70, v70, v77, vcc
	s_cbranch_scc1 .LBB124_745
.LBB124_746:
	s_waitcnt lgkmcnt(0)
	v_cmp_eq_f32_e32 vcc, 0, v72
	s_and_saveexec_b64 s[0:1], vcc
	s_xor_b64 s[0:1], exec, s[0:1]
; %bb.747:
	v_cmp_ne_u32_e32 vcc, 0, v74
	s_nop 1
	v_cndmask_b32_e32 v74, 45, v74, vcc
; %bb.748:
	s_andn2_saveexec_b64 s[0:1], s[0:1]
	s_cbranch_execz .LBB124_750
; %bb.749:
	v_div_scale_f32 v75, s[2:3], v72, v72, 1.0
	v_rcp_f32_e32 v76, v75
	v_div_scale_f32 v77, vcc, 1.0, v72, 1.0
	v_fma_f32 v78, -v75, v76, 1.0
	v_fmac_f32_e32 v76, v78, v76
	v_mul_f32_e32 v78, v77, v76
	v_fma_f32 v79, -v75, v78, v77
	v_fmac_f32_e32 v78, v79, v76
	v_fma_f32 v75, -v75, v78, v77
	v_div_fmas_f32 v75, v75, v76, v78
	v_div_fixup_f32 v72, v75, v72, 1.0
.LBB124_750:
	s_or_b64 exec, exec, s[0:1]
	v_cmp_ne_u32_e32 vcc, v73, v70
	s_and_saveexec_b64 s[0:1], vcc
	s_xor_b64 s[0:1], exec, s[0:1]
	s_cbranch_execz .LBB124_756
; %bb.751:
	v_cmp_eq_u32_e32 vcc, 44, v73
	s_and_saveexec_b64 s[2:3], vcc
	s_cbranch_execz .LBB124_755
; %bb.752:
	v_cmp_ne_u32_e32 vcc, 44, v70
	s_xor_b64 s[12:13], s[20:21], -1
	s_and_b64 s[14:15], s[12:13], vcc
	s_and_saveexec_b64 s[12:13], s[14:15]
	s_cbranch_execz .LBB124_754
; %bb.753:
	v_ashrrev_i32_e32 v71, 31, v70
	v_lshl_add_u64 v[76:77], v[70:71], 2, v[4:5]
	global_load_dword v71, v[76:77], off
	global_load_dword v73, v[4:5], off offset:176
	s_waitcnt vmcnt(1)
	global_store_dword v[4:5], v71, off offset:176
	s_waitcnt vmcnt(1)
	global_store_dword v[76:77], v73, off
.LBB124_754:
	s_or_b64 exec, exec, s[12:13]
	v_mov_b32_e32 v71, v70
	v_mov_b32_e32 v73, v70
.LBB124_755:
	s_or_b64 exec, exec, s[2:3]
.LBB124_756:
	s_andn2_saveexec_b64 s[0:1], s[0:1]
	s_cbranch_execz .LBB124_758
; %bb.757:
	v_mov_b32_e32 v73, 44
	ds_write2_b32 v69, v20, v21 offset0:45 offset1:46
	ds_write2_b32 v69, v12, v13 offset0:47 offset1:48
	;; [unrolled: 1-line block ×9, first 2 shown]
.LBB124_758:
	s_or_b64 exec, exec, s[0:1]
	v_cmp_lt_i32_e32 vcc, 44, v73
	s_waitcnt lgkmcnt(0)
	s_barrier
	s_and_saveexec_b64 s[0:1], vcc
	s_cbranch_execz .LBB124_760
; %bb.759:
	ds_read2_b32 v[76:77], v69 offset0:45 offset1:46
	ds_read2_b32 v[78:79], v69 offset0:47 offset1:48
	;; [unrolled: 1-line block ×4, first 2 shown]
	v_mul_f32_e32 v70, v72, v29
	s_waitcnt lgkmcnt(3)
	v_pk_fma_f32 v[20:21], v[70:71], v[76:77], v[20:21] op_sel_hi:[0,1,1] neg_lo:[1,0,0] neg_hi:[1,0,0]
	s_waitcnt lgkmcnt(2)
	v_pk_fma_f32 v[12:13], v[70:71], v[78:79], v[12:13] op_sel_hi:[0,1,1] neg_lo:[1,0,0] neg_hi:[1,0,0]
	;; [unrolled: 2-line block ×4, first 2 shown]
	ds_read2_b32 v[76:77], v69 offset0:53 offset1:54
	ds_read2_b32 v[78:79], v69 offset0:55 offset1:56
	;; [unrolled: 1-line block ×5, first 2 shown]
	s_waitcnt lgkmcnt(4)
	v_pk_fma_f32 v[14:15], v[70:71], v[76:77], v[14:15] op_sel_hi:[0,1,1] neg_lo:[1,0,0] neg_hi:[1,0,0]
	s_waitcnt lgkmcnt(3)
	v_pk_fma_f32 v[8:9], v[70:71], v[78:79], v[8:9] op_sel_hi:[0,1,1] neg_lo:[1,0,0] neg_hi:[1,0,0]
	;; [unrolled: 2-line block ×5, first 2 shown]
	v_mov_b32_e32 v29, v70
.LBB124_760:
	s_or_b64 exec, exec, s[0:1]
	v_lshl_add_u32 v70, v73, 2, v69
	s_barrier
	ds_write_b32 v70, v20
	s_waitcnt lgkmcnt(0)
	s_barrier
	ds_read_b32 v72, v69 offset:180
	s_cmp_lt_i32 s22, 47
	v_mov_b32_e32 v70, 45
	s_cbranch_scc1 .LBB124_763
; %bb.761:
	v_add_u32_e32 v75, 0xb8, v69
	v_mov_b32_e32 v70, 45
	s_mov_b32 s0, 46
.LBB124_762:                            ; =>This Inner Loop Header: Depth=1
	ds_read_b32 v76, v75
	v_mov_b32_e32 v77, s0
	s_add_i32 s0, s0, 1
	v_add_u32_e32 v75, 4, v75
	s_cmp_lg_u32 s22, s0
	s_waitcnt lgkmcnt(0)
	v_cmp_lt_f32_e64 vcc, |v72|, |v76|
	s_nop 1
	v_cndmask_b32_e32 v72, v72, v76, vcc
	v_cndmask_b32_e32 v70, v70, v77, vcc
	s_cbranch_scc1 .LBB124_762
.LBB124_763:
	s_waitcnt lgkmcnt(0)
	v_cmp_eq_f32_e32 vcc, 0, v72
	s_and_saveexec_b64 s[0:1], vcc
	s_xor_b64 s[0:1], exec, s[0:1]
; %bb.764:
	v_cmp_ne_u32_e32 vcc, 0, v74
	s_nop 1
	v_cndmask_b32_e32 v74, 46, v74, vcc
; %bb.765:
	s_andn2_saveexec_b64 s[0:1], s[0:1]
	s_cbranch_execz .LBB124_767
; %bb.766:
	v_div_scale_f32 v75, s[2:3], v72, v72, 1.0
	v_rcp_f32_e32 v76, v75
	v_div_scale_f32 v77, vcc, 1.0, v72, 1.0
	v_fma_f32 v78, -v75, v76, 1.0
	v_fmac_f32_e32 v76, v78, v76
	v_mul_f32_e32 v78, v77, v76
	v_fma_f32 v79, -v75, v78, v77
	v_fmac_f32_e32 v78, v79, v76
	v_fma_f32 v75, -v75, v78, v77
	v_div_fmas_f32 v75, v75, v76, v78
	v_div_fixup_f32 v72, v75, v72, 1.0
.LBB124_767:
	s_or_b64 exec, exec, s[0:1]
	v_cmp_ne_u32_e32 vcc, v73, v70
	s_and_saveexec_b64 s[0:1], vcc
	s_xor_b64 s[0:1], exec, s[0:1]
	s_cbranch_execz .LBB124_773
; %bb.768:
	v_cmp_eq_u32_e32 vcc, 45, v73
	s_and_saveexec_b64 s[2:3], vcc
	s_cbranch_execz .LBB124_772
; %bb.769:
	v_cmp_ne_u32_e32 vcc, 45, v70
	s_xor_b64 s[12:13], s[20:21], -1
	s_and_b64 s[14:15], s[12:13], vcc
	s_and_saveexec_b64 s[12:13], s[14:15]
	s_cbranch_execz .LBB124_771
; %bb.770:
	v_ashrrev_i32_e32 v71, 31, v70
	v_lshl_add_u64 v[76:77], v[70:71], 2, v[4:5]
	global_load_dword v71, v[76:77], off
	global_load_dword v73, v[4:5], off offset:180
	s_waitcnt vmcnt(1)
	global_store_dword v[4:5], v71, off offset:180
	s_waitcnt vmcnt(1)
	global_store_dword v[76:77], v73, off
.LBB124_771:
	s_or_b64 exec, exec, s[12:13]
	v_mov_b32_e32 v71, v70
	v_mov_b32_e32 v73, v70
.LBB124_772:
	s_or_b64 exec, exec, s[2:3]
.LBB124_773:
	s_andn2_saveexec_b64 s[0:1], s[0:1]
	s_cbranch_execz .LBB124_775
; %bb.774:
	v_pk_mov_b32 v[76:77], v[20:21], v[12:13] op_sel:[1,0]
	ds_write2_b32 v69, v76, v77 offset0:46 offset1:47
	v_pk_mov_b32 v[76:77], v[12:13], v[30:31] op_sel:[1,0]
	ds_write2_b32 v69, v76, v77 offset0:48 offset1:49
	;; [unrolled: 2-line block ×7, first 2 shown]
	v_pk_mov_b32 v[76:77], v[16:17], v[10:11] op_sel:[1,0]
	v_mov_b32_e32 v73, 45
	ds_write2_b32 v69, v76, v77 offset0:60 offset1:61
	ds_write_b32 v69, v11 offset:248
.LBB124_775:
	s_or_b64 exec, exec, s[0:1]
	v_cmp_lt_i32_e32 vcc, 45, v73
	s_waitcnt lgkmcnt(0)
	s_barrier
	s_and_saveexec_b64 s[0:1], vcc
	s_cbranch_execz .LBB124_777
; %bb.776:
	ds_read_b32 v70, v69 offset:184
	ds_read2_b32 v[76:77], v69 offset0:47 offset1:48
	ds_read2_b32 v[78:79], v69 offset0:49 offset1:50
	;; [unrolled: 1-line block ×3, first 2 shown]
	v_mul_f32_e32 v20, v72, v20
	s_waitcnt lgkmcnt(3)
	v_fma_f32 v21, -v20, v70, v21
	s_waitcnt lgkmcnt(2)
	v_pk_fma_f32 v[12:13], v[20:21], v[76:77], v[12:13] op_sel_hi:[0,1,1] neg_lo:[1,0,0] neg_hi:[1,0,0]
	s_waitcnt lgkmcnt(1)
	v_pk_fma_f32 v[30:31], v[20:21], v[78:79], v[30:31] op_sel_hi:[0,1,1] neg_lo:[1,0,0] neg_hi:[1,0,0]
	;; [unrolled: 2-line block ×3, first 2 shown]
	ds_read2_b32 v[76:77], v69 offset0:53 offset1:54
	ds_read2_b32 v[78:79], v69 offset0:55 offset1:56
	;; [unrolled: 1-line block ×5, first 2 shown]
	s_waitcnt lgkmcnt(4)
	v_pk_fma_f32 v[14:15], v[20:21], v[76:77], v[14:15] op_sel_hi:[0,1,1] neg_lo:[1,0,0] neg_hi:[1,0,0]
	s_waitcnt lgkmcnt(3)
	v_pk_fma_f32 v[8:9], v[20:21], v[78:79], v[8:9] op_sel_hi:[0,1,1] neg_lo:[1,0,0] neg_hi:[1,0,0]
	;; [unrolled: 2-line block ×5, first 2 shown]
.LBB124_777:
	s_or_b64 exec, exec, s[0:1]
	v_lshl_add_u32 v70, v73, 2, v69
	s_barrier
	ds_write_b32 v70, v21
	s_waitcnt lgkmcnt(0)
	s_barrier
	ds_read_b32 v72, v69 offset:184
	s_cmp_lt_i32 s22, 48
	v_mov_b32_e32 v70, 46
	s_cbranch_scc1 .LBB124_780
; %bb.778:
	v_add_u32_e32 v75, 0xbc, v69
	v_mov_b32_e32 v70, 46
	s_mov_b32 s0, 47
.LBB124_779:                            ; =>This Inner Loop Header: Depth=1
	ds_read_b32 v76, v75
	v_mov_b32_e32 v77, s0
	s_add_i32 s0, s0, 1
	v_add_u32_e32 v75, 4, v75
	s_cmp_lg_u32 s22, s0
	s_waitcnt lgkmcnt(0)
	v_cmp_lt_f32_e64 vcc, |v72|, |v76|
	s_nop 1
	v_cndmask_b32_e32 v72, v72, v76, vcc
	v_cndmask_b32_e32 v70, v70, v77, vcc
	s_cbranch_scc1 .LBB124_779
.LBB124_780:
	s_waitcnt lgkmcnt(0)
	v_cmp_eq_f32_e32 vcc, 0, v72
	s_and_saveexec_b64 s[0:1], vcc
	s_xor_b64 s[0:1], exec, s[0:1]
; %bb.781:
	v_cmp_ne_u32_e32 vcc, 0, v74
	s_nop 1
	v_cndmask_b32_e32 v74, 47, v74, vcc
; %bb.782:
	s_andn2_saveexec_b64 s[0:1], s[0:1]
	s_cbranch_execz .LBB124_784
; %bb.783:
	v_div_scale_f32 v75, s[2:3], v72, v72, 1.0
	v_rcp_f32_e32 v76, v75
	v_div_scale_f32 v77, vcc, 1.0, v72, 1.0
	v_fma_f32 v78, -v75, v76, 1.0
	v_fmac_f32_e32 v76, v78, v76
	v_mul_f32_e32 v78, v77, v76
	v_fma_f32 v79, -v75, v78, v77
	v_fmac_f32_e32 v78, v79, v76
	v_fma_f32 v75, -v75, v78, v77
	v_div_fmas_f32 v75, v75, v76, v78
	v_div_fixup_f32 v72, v75, v72, 1.0
.LBB124_784:
	s_or_b64 exec, exec, s[0:1]
	v_cmp_ne_u32_e32 vcc, v73, v70
	s_and_saveexec_b64 s[0:1], vcc
	s_xor_b64 s[0:1], exec, s[0:1]
	s_cbranch_execz .LBB124_790
; %bb.785:
	v_cmp_eq_u32_e32 vcc, 46, v73
	s_and_saveexec_b64 s[2:3], vcc
	s_cbranch_execz .LBB124_789
; %bb.786:
	v_cmp_ne_u32_e32 vcc, 46, v70
	s_xor_b64 s[12:13], s[20:21], -1
	s_and_b64 s[14:15], s[12:13], vcc
	s_and_saveexec_b64 s[12:13], s[14:15]
	s_cbranch_execz .LBB124_788
; %bb.787:
	v_ashrrev_i32_e32 v71, 31, v70
	v_lshl_add_u64 v[76:77], v[70:71], 2, v[4:5]
	global_load_dword v71, v[76:77], off
	global_load_dword v73, v[4:5], off offset:184
	s_waitcnt vmcnt(1)
	global_store_dword v[4:5], v71, off offset:184
	s_waitcnt vmcnt(1)
	global_store_dword v[76:77], v73, off
.LBB124_788:
	s_or_b64 exec, exec, s[12:13]
	v_mov_b32_e32 v71, v70
	v_mov_b32_e32 v73, v70
.LBB124_789:
	s_or_b64 exec, exec, s[2:3]
.LBB124_790:
	s_andn2_saveexec_b64 s[0:1], s[0:1]
	s_cbranch_execz .LBB124_792
; %bb.791:
	v_mov_b32_e32 v73, 46
	ds_write2_b32 v69, v12, v13 offset0:47 offset1:48
	ds_write2_b32 v69, v30, v31 offset0:49 offset1:50
	;; [unrolled: 1-line block ×8, first 2 shown]
.LBB124_792:
	s_or_b64 exec, exec, s[0:1]
	v_cmp_lt_i32_e32 vcc, 46, v73
	s_waitcnt lgkmcnt(0)
	s_barrier
	s_and_saveexec_b64 s[0:1], vcc
	s_cbranch_execz .LBB124_794
; %bb.793:
	ds_read2_b32 v[76:77], v69 offset0:47 offset1:48
	ds_read2_b32 v[78:79], v69 offset0:49 offset1:50
	;; [unrolled: 1-line block ×3, first 2 shown]
	v_mul_f32_e32 v70, v72, v21
	ds_read2_b32 v[82:83], v69 offset0:53 offset1:54
	s_waitcnt lgkmcnt(3)
	v_pk_fma_f32 v[12:13], v[70:71], v[76:77], v[12:13] op_sel_hi:[0,1,1] neg_lo:[1,0,0] neg_hi:[1,0,0]
	s_waitcnt lgkmcnt(2)
	v_pk_fma_f32 v[30:31], v[70:71], v[78:79], v[30:31] op_sel_hi:[0,1,1] neg_lo:[1,0,0] neg_hi:[1,0,0]
	;; [unrolled: 2-line block ×3, first 2 shown]
	ds_read2_b32 v[76:77], v69 offset0:55 offset1:56
	ds_read2_b32 v[78:79], v69 offset0:57 offset1:58
	;; [unrolled: 1-line block ×4, first 2 shown]
	s_waitcnt lgkmcnt(4)
	v_pk_fma_f32 v[14:15], v[70:71], v[82:83], v[14:15] op_sel_hi:[0,1,1] neg_lo:[1,0,0] neg_hi:[1,0,0]
	s_waitcnt lgkmcnt(3)
	v_pk_fma_f32 v[8:9], v[70:71], v[76:77], v[8:9] op_sel_hi:[0,1,1] neg_lo:[1,0,0] neg_hi:[1,0,0]
	;; [unrolled: 2-line block ×5, first 2 shown]
	v_mov_b32_e32 v21, v70
.LBB124_794:
	s_or_b64 exec, exec, s[0:1]
	v_lshl_add_u32 v70, v73, 2, v69
	s_barrier
	ds_write_b32 v70, v12
	s_waitcnt lgkmcnt(0)
	s_barrier
	ds_read_b32 v72, v69 offset:188
	s_cmp_lt_i32 s22, 49
	v_mov_b32_e32 v70, 47
	s_cbranch_scc1 .LBB124_797
; %bb.795:
	v_add_u32_e32 v75, 0xc0, v69
	v_mov_b32_e32 v70, 47
	s_mov_b32 s0, 48
.LBB124_796:                            ; =>This Inner Loop Header: Depth=1
	ds_read_b32 v76, v75
	v_mov_b32_e32 v77, s0
	s_add_i32 s0, s0, 1
	v_add_u32_e32 v75, 4, v75
	s_cmp_lg_u32 s22, s0
	s_waitcnt lgkmcnt(0)
	v_cmp_lt_f32_e64 vcc, |v72|, |v76|
	s_nop 1
	v_cndmask_b32_e32 v72, v72, v76, vcc
	v_cndmask_b32_e32 v70, v70, v77, vcc
	s_cbranch_scc1 .LBB124_796
.LBB124_797:
	s_waitcnt lgkmcnt(0)
	v_cmp_eq_f32_e32 vcc, 0, v72
	s_and_saveexec_b64 s[0:1], vcc
	s_xor_b64 s[0:1], exec, s[0:1]
; %bb.798:
	v_cmp_ne_u32_e32 vcc, 0, v74
	s_nop 1
	v_cndmask_b32_e32 v74, 48, v74, vcc
; %bb.799:
	s_andn2_saveexec_b64 s[0:1], s[0:1]
	s_cbranch_execz .LBB124_801
; %bb.800:
	v_div_scale_f32 v75, s[2:3], v72, v72, 1.0
	v_rcp_f32_e32 v76, v75
	v_div_scale_f32 v77, vcc, 1.0, v72, 1.0
	v_fma_f32 v78, -v75, v76, 1.0
	v_fmac_f32_e32 v76, v78, v76
	v_mul_f32_e32 v78, v77, v76
	v_fma_f32 v79, -v75, v78, v77
	v_fmac_f32_e32 v78, v79, v76
	v_fma_f32 v75, -v75, v78, v77
	v_div_fmas_f32 v75, v75, v76, v78
	v_div_fixup_f32 v72, v75, v72, 1.0
.LBB124_801:
	s_or_b64 exec, exec, s[0:1]
	v_cmp_ne_u32_e32 vcc, v73, v70
	s_and_saveexec_b64 s[0:1], vcc
	s_xor_b64 s[0:1], exec, s[0:1]
	s_cbranch_execz .LBB124_807
; %bb.802:
	v_cmp_eq_u32_e32 vcc, 47, v73
	s_and_saveexec_b64 s[2:3], vcc
	s_cbranch_execz .LBB124_806
; %bb.803:
	v_cmp_ne_u32_e32 vcc, 47, v70
	s_xor_b64 s[12:13], s[20:21], -1
	s_and_b64 s[14:15], s[12:13], vcc
	s_and_saveexec_b64 s[12:13], s[14:15]
	s_cbranch_execz .LBB124_805
; %bb.804:
	v_ashrrev_i32_e32 v71, 31, v70
	v_lshl_add_u64 v[76:77], v[70:71], 2, v[4:5]
	global_load_dword v71, v[76:77], off
	global_load_dword v73, v[4:5], off offset:188
	s_waitcnt vmcnt(1)
	global_store_dword v[4:5], v71, off offset:188
	s_waitcnt vmcnt(1)
	global_store_dword v[76:77], v73, off
.LBB124_805:
	s_or_b64 exec, exec, s[12:13]
	v_mov_b32_e32 v71, v70
	v_mov_b32_e32 v73, v70
.LBB124_806:
	s_or_b64 exec, exec, s[2:3]
.LBB124_807:
	s_andn2_saveexec_b64 s[0:1], s[0:1]
	s_cbranch_execz .LBB124_809
; %bb.808:
	v_pk_mov_b32 v[76:77], v[12:13], v[30:31] op_sel:[1,0]
	ds_write2_b32 v69, v76, v77 offset0:48 offset1:49
	v_pk_mov_b32 v[76:77], v[30:31], v[22:23] op_sel:[1,0]
	ds_write2_b32 v69, v76, v77 offset0:50 offset1:51
	v_pk_mov_b32 v[76:77], v[22:23], v[14:15] op_sel:[1,0]
	ds_write2_b32 v69, v76, v77 offset0:52 offset1:53
	v_pk_mov_b32 v[76:77], v[14:15], v[8:9] op_sel:[1,0]
	ds_write2_b32 v69, v76, v77 offset0:54 offset1:55
	v_pk_mov_b32 v[76:77], v[8:9], v[0:1] op_sel:[1,0]
	ds_write2_b32 v69, v76, v77 offset0:56 offset1:57
	v_pk_mov_b32 v[76:77], v[0:1], v[16:17] op_sel:[1,0]
	ds_write2_b32 v69, v76, v77 offset0:58 offset1:59
	v_pk_mov_b32 v[76:77], v[16:17], v[10:11] op_sel:[1,0]
	v_mov_b32_e32 v73, 47
	ds_write2_b32 v69, v76, v77 offset0:60 offset1:61
	ds_write_b32 v69, v11 offset:248
.LBB124_809:
	s_or_b64 exec, exec, s[0:1]
	v_cmp_lt_i32_e32 vcc, 47, v73
	s_waitcnt lgkmcnt(0)
	s_barrier
	s_and_saveexec_b64 s[0:1], vcc
	s_cbranch_execz .LBB124_811
; %bb.810:
	ds_read_b32 v70, v69 offset:192
	ds_read2_b32 v[76:77], v69 offset0:49 offset1:50
	ds_read2_b32 v[78:79], v69 offset0:51 offset1:52
	v_mul_f32_e32 v12, v72, v12
	ds_read2_b32 v[80:81], v69 offset0:53 offset1:54
	s_waitcnt lgkmcnt(3)
	v_fma_f32 v13, -v12, v70, v13
	s_waitcnt lgkmcnt(2)
	v_pk_fma_f32 v[30:31], v[12:13], v[76:77], v[30:31] op_sel_hi:[0,1,1] neg_lo:[1,0,0] neg_hi:[1,0,0]
	s_waitcnt lgkmcnt(1)
	v_pk_fma_f32 v[22:23], v[12:13], v[78:79], v[22:23] op_sel_hi:[0,1,1] neg_lo:[1,0,0] neg_hi:[1,0,0]
	ds_read2_b32 v[76:77], v69 offset0:55 offset1:56
	ds_read2_b32 v[78:79], v69 offset0:57 offset1:58
	;; [unrolled: 1-line block ×4, first 2 shown]
	s_waitcnt lgkmcnt(4)
	v_pk_fma_f32 v[14:15], v[12:13], v[80:81], v[14:15] op_sel_hi:[0,1,1] neg_lo:[1,0,0] neg_hi:[1,0,0]
	s_waitcnt lgkmcnt(3)
	v_pk_fma_f32 v[8:9], v[12:13], v[76:77], v[8:9] op_sel_hi:[0,1,1] neg_lo:[1,0,0] neg_hi:[1,0,0]
	;; [unrolled: 2-line block ×5, first 2 shown]
.LBB124_811:
	s_or_b64 exec, exec, s[0:1]
	v_lshl_add_u32 v70, v73, 2, v69
	s_barrier
	ds_write_b32 v70, v13
	s_waitcnt lgkmcnt(0)
	s_barrier
	ds_read_b32 v72, v69 offset:192
	s_cmp_lt_i32 s22, 50
	v_mov_b32_e32 v70, 48
	s_cbranch_scc1 .LBB124_814
; %bb.812:
	v_add_u32_e32 v75, 0xc4, v69
	v_mov_b32_e32 v70, 48
	s_mov_b32 s0, 49
.LBB124_813:                            ; =>This Inner Loop Header: Depth=1
	ds_read_b32 v76, v75
	v_mov_b32_e32 v77, s0
	s_add_i32 s0, s0, 1
	v_add_u32_e32 v75, 4, v75
	s_cmp_lg_u32 s22, s0
	s_waitcnt lgkmcnt(0)
	v_cmp_lt_f32_e64 vcc, |v72|, |v76|
	s_nop 1
	v_cndmask_b32_e32 v72, v72, v76, vcc
	v_cndmask_b32_e32 v70, v70, v77, vcc
	s_cbranch_scc1 .LBB124_813
.LBB124_814:
	s_waitcnt lgkmcnt(0)
	v_cmp_eq_f32_e32 vcc, 0, v72
	s_and_saveexec_b64 s[0:1], vcc
	s_xor_b64 s[0:1], exec, s[0:1]
; %bb.815:
	v_cmp_ne_u32_e32 vcc, 0, v74
	s_nop 1
	v_cndmask_b32_e32 v74, 49, v74, vcc
; %bb.816:
	s_andn2_saveexec_b64 s[0:1], s[0:1]
	s_cbranch_execz .LBB124_818
; %bb.817:
	v_div_scale_f32 v75, s[2:3], v72, v72, 1.0
	v_rcp_f32_e32 v76, v75
	v_div_scale_f32 v77, vcc, 1.0, v72, 1.0
	v_fma_f32 v78, -v75, v76, 1.0
	v_fmac_f32_e32 v76, v78, v76
	v_mul_f32_e32 v78, v77, v76
	v_fma_f32 v79, -v75, v78, v77
	v_fmac_f32_e32 v78, v79, v76
	v_fma_f32 v75, -v75, v78, v77
	v_div_fmas_f32 v75, v75, v76, v78
	v_div_fixup_f32 v72, v75, v72, 1.0
.LBB124_818:
	s_or_b64 exec, exec, s[0:1]
	v_cmp_ne_u32_e32 vcc, v73, v70
	s_and_saveexec_b64 s[0:1], vcc
	s_xor_b64 s[0:1], exec, s[0:1]
	s_cbranch_execz .LBB124_824
; %bb.819:
	v_cmp_eq_u32_e32 vcc, 48, v73
	s_and_saveexec_b64 s[2:3], vcc
	s_cbranch_execz .LBB124_823
; %bb.820:
	v_cmp_ne_u32_e32 vcc, 48, v70
	s_xor_b64 s[12:13], s[20:21], -1
	s_and_b64 s[14:15], s[12:13], vcc
	s_and_saveexec_b64 s[12:13], s[14:15]
	s_cbranch_execz .LBB124_822
; %bb.821:
	v_ashrrev_i32_e32 v71, 31, v70
	v_lshl_add_u64 v[76:77], v[70:71], 2, v[4:5]
	global_load_dword v71, v[76:77], off
	global_load_dword v73, v[4:5], off offset:192
	s_waitcnt vmcnt(1)
	global_store_dword v[4:5], v71, off offset:192
	s_waitcnt vmcnt(1)
	global_store_dword v[76:77], v73, off
.LBB124_822:
	s_or_b64 exec, exec, s[12:13]
	v_mov_b32_e32 v71, v70
	v_mov_b32_e32 v73, v70
.LBB124_823:
	s_or_b64 exec, exec, s[2:3]
.LBB124_824:
	s_andn2_saveexec_b64 s[0:1], s[0:1]
	s_cbranch_execz .LBB124_826
; %bb.825:
	v_mov_b32_e32 v73, 48
	ds_write2_b32 v69, v30, v31 offset0:49 offset1:50
	ds_write2_b32 v69, v22, v23 offset0:51 offset1:52
	;; [unrolled: 1-line block ×7, first 2 shown]
.LBB124_826:
	s_or_b64 exec, exec, s[0:1]
	v_cmp_lt_i32_e32 vcc, 48, v73
	s_waitcnt lgkmcnt(0)
	s_barrier
	s_and_saveexec_b64 s[0:1], vcc
	s_cbranch_execz .LBB124_828
; %bb.827:
	ds_read2_b32 v[76:77], v69 offset0:49 offset1:50
	ds_read2_b32 v[78:79], v69 offset0:51 offset1:52
	v_mul_f32_e32 v70, v72, v13
	ds_read2_b32 v[80:81], v69 offset0:53 offset1:54
	ds_read2_b32 v[82:83], v69 offset0:55 offset1:56
	v_mov_b32_e32 v13, v70
	s_waitcnt lgkmcnt(3)
	v_pk_fma_f32 v[30:31], v[70:71], v[76:77], v[30:31] op_sel_hi:[0,1,1] neg_lo:[1,0,0] neg_hi:[1,0,0]
	s_waitcnt lgkmcnt(2)
	v_pk_fma_f32 v[22:23], v[70:71], v[78:79], v[22:23] op_sel_hi:[0,1,1] neg_lo:[1,0,0] neg_hi:[1,0,0]
	ds_read2_b32 v[76:77], v69 offset0:57 offset1:58
	ds_read2_b32 v[78:79], v69 offset0:59 offset1:60
	;; [unrolled: 1-line block ×3, first 2 shown]
	s_waitcnt lgkmcnt(4)
	v_pk_fma_f32 v[14:15], v[70:71], v[80:81], v[14:15] op_sel_hi:[0,1,1] neg_lo:[1,0,0] neg_hi:[1,0,0]
	s_waitcnt lgkmcnt(3)
	v_pk_fma_f32 v[8:9], v[70:71], v[82:83], v[8:9] op_sel_hi:[0,1,1] neg_lo:[1,0,0] neg_hi:[1,0,0]
	;; [unrolled: 2-line block ×5, first 2 shown]
.LBB124_828:
	s_or_b64 exec, exec, s[0:1]
	v_lshl_add_u32 v70, v73, 2, v69
	s_barrier
	ds_write_b32 v70, v30
	s_waitcnt lgkmcnt(0)
	s_barrier
	ds_read_b32 v72, v69 offset:196
	s_cmp_lt_i32 s22, 51
	v_mov_b32_e32 v70, 49
	s_cbranch_scc1 .LBB124_831
; %bb.829:
	v_add_u32_e32 v75, 0xc8, v69
	v_mov_b32_e32 v70, 49
	s_mov_b32 s0, 50
.LBB124_830:                            ; =>This Inner Loop Header: Depth=1
	ds_read_b32 v76, v75
	v_mov_b32_e32 v77, s0
	s_add_i32 s0, s0, 1
	v_add_u32_e32 v75, 4, v75
	s_cmp_lg_u32 s22, s0
	s_waitcnt lgkmcnt(0)
	v_cmp_lt_f32_e64 vcc, |v72|, |v76|
	s_nop 1
	v_cndmask_b32_e32 v72, v72, v76, vcc
	v_cndmask_b32_e32 v70, v70, v77, vcc
	s_cbranch_scc1 .LBB124_830
.LBB124_831:
	s_waitcnt lgkmcnt(0)
	v_cmp_eq_f32_e32 vcc, 0, v72
	s_and_saveexec_b64 s[0:1], vcc
	s_xor_b64 s[0:1], exec, s[0:1]
; %bb.832:
	v_cmp_ne_u32_e32 vcc, 0, v74
	s_nop 1
	v_cndmask_b32_e32 v74, 50, v74, vcc
; %bb.833:
	s_andn2_saveexec_b64 s[0:1], s[0:1]
	s_cbranch_execz .LBB124_835
; %bb.834:
	v_div_scale_f32 v75, s[2:3], v72, v72, 1.0
	v_rcp_f32_e32 v76, v75
	v_div_scale_f32 v77, vcc, 1.0, v72, 1.0
	v_fma_f32 v78, -v75, v76, 1.0
	v_fmac_f32_e32 v76, v78, v76
	v_mul_f32_e32 v78, v77, v76
	v_fma_f32 v79, -v75, v78, v77
	v_fmac_f32_e32 v78, v79, v76
	v_fma_f32 v75, -v75, v78, v77
	v_div_fmas_f32 v75, v75, v76, v78
	v_div_fixup_f32 v72, v75, v72, 1.0
.LBB124_835:
	s_or_b64 exec, exec, s[0:1]
	v_cmp_ne_u32_e32 vcc, v73, v70
	s_and_saveexec_b64 s[0:1], vcc
	s_xor_b64 s[0:1], exec, s[0:1]
	s_cbranch_execz .LBB124_841
; %bb.836:
	v_cmp_eq_u32_e32 vcc, 49, v73
	s_and_saveexec_b64 s[2:3], vcc
	s_cbranch_execz .LBB124_840
; %bb.837:
	v_cmp_ne_u32_e32 vcc, 49, v70
	s_xor_b64 s[12:13], s[20:21], -1
	s_and_b64 s[14:15], s[12:13], vcc
	s_and_saveexec_b64 s[12:13], s[14:15]
	s_cbranch_execz .LBB124_839
; %bb.838:
	v_ashrrev_i32_e32 v71, 31, v70
	v_lshl_add_u64 v[76:77], v[70:71], 2, v[4:5]
	global_load_dword v71, v[76:77], off
	global_load_dword v73, v[4:5], off offset:196
	s_waitcnt vmcnt(1)
	global_store_dword v[4:5], v71, off offset:196
	s_waitcnt vmcnt(1)
	global_store_dword v[76:77], v73, off
.LBB124_839:
	s_or_b64 exec, exec, s[12:13]
	v_mov_b32_e32 v71, v70
	v_mov_b32_e32 v73, v70
.LBB124_840:
	s_or_b64 exec, exec, s[2:3]
.LBB124_841:
	s_andn2_saveexec_b64 s[0:1], s[0:1]
	s_cbranch_execz .LBB124_843
; %bb.842:
	v_pk_mov_b32 v[76:77], v[30:31], v[22:23] op_sel:[1,0]
	ds_write2_b32 v69, v76, v77 offset0:50 offset1:51
	v_pk_mov_b32 v[76:77], v[22:23], v[14:15] op_sel:[1,0]
	ds_write2_b32 v69, v76, v77 offset0:52 offset1:53
	;; [unrolled: 2-line block ×5, first 2 shown]
	v_pk_mov_b32 v[76:77], v[16:17], v[10:11] op_sel:[1,0]
	v_mov_b32_e32 v73, 49
	ds_write2_b32 v69, v76, v77 offset0:60 offset1:61
	ds_write_b32 v69, v11 offset:248
.LBB124_843:
	s_or_b64 exec, exec, s[0:1]
	v_cmp_lt_i32_e32 vcc, 49, v73
	s_waitcnt lgkmcnt(0)
	s_barrier
	s_and_saveexec_b64 s[0:1], vcc
	s_cbranch_execz .LBB124_845
; %bb.844:
	ds_read_b32 v70, v69 offset:200
	ds_read2_b32 v[76:77], v69 offset0:51 offset1:52
	v_mul_f32_e32 v30, v72, v30
	ds_read2_b32 v[78:79], v69 offset0:53 offset1:54
	ds_read2_b32 v[80:81], v69 offset0:55 offset1:56
	s_waitcnt lgkmcnt(3)
	v_fma_f32 v31, -v30, v70, v31
	s_waitcnt lgkmcnt(2)
	v_pk_fma_f32 v[22:23], v[30:31], v[76:77], v[22:23] op_sel_hi:[0,1,1] neg_lo:[1,0,0] neg_hi:[1,0,0]
	ds_read2_b32 v[76:77], v69 offset0:57 offset1:58
	ds_read2_b32 v[82:83], v69 offset0:59 offset1:60
	;; [unrolled: 1-line block ×3, first 2 shown]
	s_waitcnt lgkmcnt(4)
	v_pk_fma_f32 v[14:15], v[30:31], v[78:79], v[14:15] op_sel_hi:[0,1,1] neg_lo:[1,0,0] neg_hi:[1,0,0]
	s_waitcnt lgkmcnt(3)
	v_pk_fma_f32 v[8:9], v[30:31], v[80:81], v[8:9] op_sel_hi:[0,1,1] neg_lo:[1,0,0] neg_hi:[1,0,0]
	;; [unrolled: 2-line block ×5, first 2 shown]
.LBB124_845:
	s_or_b64 exec, exec, s[0:1]
	v_lshl_add_u32 v70, v73, 2, v69
	s_barrier
	ds_write_b32 v70, v31
	s_waitcnt lgkmcnt(0)
	s_barrier
	ds_read_b32 v72, v69 offset:200
	s_cmp_lt_i32 s22, 52
	v_mov_b32_e32 v70, 50
	s_cbranch_scc1 .LBB124_848
; %bb.846:
	v_add_u32_e32 v75, 0xcc, v69
	v_mov_b32_e32 v70, 50
	s_mov_b32 s0, 51
.LBB124_847:                            ; =>This Inner Loop Header: Depth=1
	ds_read_b32 v76, v75
	v_mov_b32_e32 v77, s0
	s_add_i32 s0, s0, 1
	v_add_u32_e32 v75, 4, v75
	s_cmp_lg_u32 s22, s0
	s_waitcnt lgkmcnt(0)
	v_cmp_lt_f32_e64 vcc, |v72|, |v76|
	s_nop 1
	v_cndmask_b32_e32 v72, v72, v76, vcc
	v_cndmask_b32_e32 v70, v70, v77, vcc
	s_cbranch_scc1 .LBB124_847
.LBB124_848:
	s_waitcnt lgkmcnt(0)
	v_cmp_eq_f32_e32 vcc, 0, v72
	s_and_saveexec_b64 s[0:1], vcc
	s_xor_b64 s[0:1], exec, s[0:1]
; %bb.849:
	v_cmp_ne_u32_e32 vcc, 0, v74
	s_nop 1
	v_cndmask_b32_e32 v74, 51, v74, vcc
; %bb.850:
	s_andn2_saveexec_b64 s[0:1], s[0:1]
	s_cbranch_execz .LBB124_852
; %bb.851:
	v_div_scale_f32 v75, s[2:3], v72, v72, 1.0
	v_rcp_f32_e32 v76, v75
	v_div_scale_f32 v77, vcc, 1.0, v72, 1.0
	v_fma_f32 v78, -v75, v76, 1.0
	v_fmac_f32_e32 v76, v78, v76
	v_mul_f32_e32 v78, v77, v76
	v_fma_f32 v79, -v75, v78, v77
	v_fmac_f32_e32 v78, v79, v76
	v_fma_f32 v75, -v75, v78, v77
	v_div_fmas_f32 v75, v75, v76, v78
	v_div_fixup_f32 v72, v75, v72, 1.0
.LBB124_852:
	s_or_b64 exec, exec, s[0:1]
	v_cmp_ne_u32_e32 vcc, v73, v70
	s_and_saveexec_b64 s[0:1], vcc
	s_xor_b64 s[0:1], exec, s[0:1]
	s_cbranch_execz .LBB124_858
; %bb.853:
	v_cmp_eq_u32_e32 vcc, 50, v73
	s_and_saveexec_b64 s[2:3], vcc
	s_cbranch_execz .LBB124_857
; %bb.854:
	v_cmp_ne_u32_e32 vcc, 50, v70
	s_xor_b64 s[12:13], s[20:21], -1
	s_and_b64 s[14:15], s[12:13], vcc
	s_and_saveexec_b64 s[12:13], s[14:15]
	s_cbranch_execz .LBB124_856
; %bb.855:
	v_ashrrev_i32_e32 v71, 31, v70
	v_lshl_add_u64 v[76:77], v[70:71], 2, v[4:5]
	global_load_dword v71, v[76:77], off
	global_load_dword v73, v[4:5], off offset:200
	s_waitcnt vmcnt(1)
	global_store_dword v[4:5], v71, off offset:200
	s_waitcnt vmcnt(1)
	global_store_dword v[76:77], v73, off
.LBB124_856:
	s_or_b64 exec, exec, s[12:13]
	v_mov_b32_e32 v71, v70
	v_mov_b32_e32 v73, v70
.LBB124_857:
	s_or_b64 exec, exec, s[2:3]
.LBB124_858:
	s_andn2_saveexec_b64 s[0:1], s[0:1]
	s_cbranch_execz .LBB124_860
; %bb.859:
	v_mov_b32_e32 v73, 50
	ds_write2_b32 v69, v22, v23 offset0:51 offset1:52
	ds_write2_b32 v69, v14, v15 offset0:53 offset1:54
	;; [unrolled: 1-line block ×6, first 2 shown]
.LBB124_860:
	s_or_b64 exec, exec, s[0:1]
	v_cmp_lt_i32_e32 vcc, 50, v73
	s_waitcnt lgkmcnt(0)
	s_barrier
	s_and_saveexec_b64 s[0:1], vcc
	s_cbranch_execz .LBB124_862
; %bb.861:
	ds_read2_b32 v[76:77], v69 offset0:51 offset1:52
	v_mul_f32_e32 v70, v72, v31
	ds_read2_b32 v[78:79], v69 offset0:53 offset1:54
	ds_read2_b32 v[80:81], v69 offset0:55 offset1:56
	;; [unrolled: 1-line block ×3, first 2 shown]
	v_mov_b32_e32 v31, v70
	s_waitcnt lgkmcnt(2)
	v_pk_fma_f32 v[14:15], v[70:71], v[78:79], v[14:15] op_sel_hi:[0,1,1] neg_lo:[1,0,0] neg_hi:[1,0,0]
	v_pk_fma_f32 v[22:23], v[70:71], v[76:77], v[22:23] op_sel_hi:[0,1,1] neg_lo:[1,0,0] neg_hi:[1,0,0]
	ds_read2_b32 v[76:77], v69 offset0:59 offset1:60
	ds_read2_b32 v[84:85], v69 offset0:61 offset1:62
	s_waitcnt lgkmcnt(3)
	v_pk_fma_f32 v[8:9], v[70:71], v[80:81], v[8:9] op_sel_hi:[0,1,1] neg_lo:[1,0,0] neg_hi:[1,0,0]
	s_waitcnt lgkmcnt(2)
	v_pk_fma_f32 v[0:1], v[70:71], v[82:83], v[0:1] op_sel_hi:[0,1,1] neg_lo:[1,0,0] neg_hi:[1,0,0]
	;; [unrolled: 2-line block ×4, first 2 shown]
.LBB124_862:
	s_or_b64 exec, exec, s[0:1]
	v_lshl_add_u32 v70, v73, 2, v69
	s_barrier
	ds_write_b32 v70, v22
	s_waitcnt lgkmcnt(0)
	s_barrier
	ds_read_b32 v72, v69 offset:204
	s_cmp_lt_i32 s22, 53
	v_mov_b32_e32 v70, 51
	s_cbranch_scc1 .LBB124_865
; %bb.863:
	v_add_u32_e32 v75, 0xd0, v69
	v_mov_b32_e32 v70, 51
	s_mov_b32 s0, 52
.LBB124_864:                            ; =>This Inner Loop Header: Depth=1
	ds_read_b32 v76, v75
	v_mov_b32_e32 v77, s0
	s_add_i32 s0, s0, 1
	v_add_u32_e32 v75, 4, v75
	s_cmp_lg_u32 s22, s0
	s_waitcnt lgkmcnt(0)
	v_cmp_lt_f32_e64 vcc, |v72|, |v76|
	s_nop 1
	v_cndmask_b32_e32 v72, v72, v76, vcc
	v_cndmask_b32_e32 v70, v70, v77, vcc
	s_cbranch_scc1 .LBB124_864
.LBB124_865:
	s_waitcnt lgkmcnt(0)
	v_cmp_eq_f32_e32 vcc, 0, v72
	s_and_saveexec_b64 s[0:1], vcc
	s_xor_b64 s[0:1], exec, s[0:1]
; %bb.866:
	v_cmp_ne_u32_e32 vcc, 0, v74
	s_nop 1
	v_cndmask_b32_e32 v74, 52, v74, vcc
; %bb.867:
	s_andn2_saveexec_b64 s[0:1], s[0:1]
	s_cbranch_execz .LBB124_869
; %bb.868:
	v_div_scale_f32 v75, s[2:3], v72, v72, 1.0
	v_rcp_f32_e32 v76, v75
	v_div_scale_f32 v77, vcc, 1.0, v72, 1.0
	v_fma_f32 v78, -v75, v76, 1.0
	v_fmac_f32_e32 v76, v78, v76
	v_mul_f32_e32 v78, v77, v76
	v_fma_f32 v79, -v75, v78, v77
	v_fmac_f32_e32 v78, v79, v76
	v_fma_f32 v75, -v75, v78, v77
	v_div_fmas_f32 v75, v75, v76, v78
	v_div_fixup_f32 v72, v75, v72, 1.0
.LBB124_869:
	s_or_b64 exec, exec, s[0:1]
	v_cmp_ne_u32_e32 vcc, v73, v70
	s_and_saveexec_b64 s[0:1], vcc
	s_xor_b64 s[0:1], exec, s[0:1]
	s_cbranch_execz .LBB124_875
; %bb.870:
	v_cmp_eq_u32_e32 vcc, 51, v73
	s_and_saveexec_b64 s[2:3], vcc
	s_cbranch_execz .LBB124_874
; %bb.871:
	v_cmp_ne_u32_e32 vcc, 51, v70
	s_xor_b64 s[12:13], s[20:21], -1
	s_and_b64 s[14:15], s[12:13], vcc
	s_and_saveexec_b64 s[12:13], s[14:15]
	s_cbranch_execz .LBB124_873
; %bb.872:
	v_ashrrev_i32_e32 v71, 31, v70
	v_lshl_add_u64 v[76:77], v[70:71], 2, v[4:5]
	global_load_dword v71, v[76:77], off
	global_load_dword v73, v[4:5], off offset:204
	s_waitcnt vmcnt(1)
	global_store_dword v[4:5], v71, off offset:204
	s_waitcnt vmcnt(1)
	global_store_dword v[76:77], v73, off
.LBB124_873:
	s_or_b64 exec, exec, s[12:13]
	v_mov_b32_e32 v71, v70
	v_mov_b32_e32 v73, v70
.LBB124_874:
	s_or_b64 exec, exec, s[2:3]
.LBB124_875:
	s_andn2_saveexec_b64 s[0:1], s[0:1]
	s_cbranch_execz .LBB124_877
; %bb.876:
	v_pk_mov_b32 v[76:77], v[22:23], v[14:15] op_sel:[1,0]
	ds_write2_b32 v69, v76, v77 offset0:52 offset1:53
	v_pk_mov_b32 v[76:77], v[14:15], v[8:9] op_sel:[1,0]
	ds_write2_b32 v69, v76, v77 offset0:54 offset1:55
	;; [unrolled: 2-line block ×4, first 2 shown]
	v_pk_mov_b32 v[76:77], v[16:17], v[10:11] op_sel:[1,0]
	v_mov_b32_e32 v73, 51
	ds_write2_b32 v69, v76, v77 offset0:60 offset1:61
	ds_write_b32 v69, v11 offset:248
.LBB124_877:
	s_or_b64 exec, exec, s[0:1]
	v_cmp_lt_i32_e32 vcc, 51, v73
	s_waitcnt lgkmcnt(0)
	s_barrier
	s_and_saveexec_b64 s[0:1], vcc
	s_cbranch_execz .LBB124_879
; %bb.878:
	ds_read_b32 v70, v69 offset:208
	ds_read2_b32 v[76:77], v69 offset0:53 offset1:54
	ds_read2_b32 v[78:79], v69 offset0:55 offset1:56
	;; [unrolled: 1-line block ×5, first 2 shown]
	v_mul_f32_e32 v22, v72, v22
	s_waitcnt lgkmcnt(5)
	v_fma_f32 v23, -v22, v70, v23
	s_waitcnt lgkmcnt(4)
	v_pk_fma_f32 v[14:15], v[22:23], v[76:77], v[14:15] op_sel_hi:[0,1,1] neg_lo:[1,0,0] neg_hi:[1,0,0]
	s_waitcnt lgkmcnt(3)
	v_pk_fma_f32 v[8:9], v[22:23], v[78:79], v[8:9] op_sel_hi:[0,1,1] neg_lo:[1,0,0] neg_hi:[1,0,0]
	;; [unrolled: 2-line block ×5, first 2 shown]
.LBB124_879:
	s_or_b64 exec, exec, s[0:1]
	v_lshl_add_u32 v70, v73, 2, v69
	s_barrier
	ds_write_b32 v70, v23
	s_waitcnt lgkmcnt(0)
	s_barrier
	ds_read_b32 v72, v69 offset:208
	s_cmp_lt_i32 s22, 54
	v_mov_b32_e32 v70, 52
	s_cbranch_scc1 .LBB124_882
; %bb.880:
	v_add_u32_e32 v75, 0xd4, v69
	v_mov_b32_e32 v70, 52
	s_mov_b32 s0, 53
.LBB124_881:                            ; =>This Inner Loop Header: Depth=1
	ds_read_b32 v76, v75
	v_mov_b32_e32 v77, s0
	s_add_i32 s0, s0, 1
	v_add_u32_e32 v75, 4, v75
	s_cmp_lg_u32 s22, s0
	s_waitcnt lgkmcnt(0)
	v_cmp_lt_f32_e64 vcc, |v72|, |v76|
	s_nop 1
	v_cndmask_b32_e32 v72, v72, v76, vcc
	v_cndmask_b32_e32 v70, v70, v77, vcc
	s_cbranch_scc1 .LBB124_881
.LBB124_882:
	s_waitcnt lgkmcnt(0)
	v_cmp_eq_f32_e32 vcc, 0, v72
	s_and_saveexec_b64 s[0:1], vcc
	s_xor_b64 s[0:1], exec, s[0:1]
; %bb.883:
	v_cmp_ne_u32_e32 vcc, 0, v74
	s_nop 1
	v_cndmask_b32_e32 v74, 53, v74, vcc
; %bb.884:
	s_andn2_saveexec_b64 s[0:1], s[0:1]
	s_cbranch_execz .LBB124_886
; %bb.885:
	v_div_scale_f32 v75, s[2:3], v72, v72, 1.0
	v_rcp_f32_e32 v76, v75
	v_div_scale_f32 v77, vcc, 1.0, v72, 1.0
	v_fma_f32 v78, -v75, v76, 1.0
	v_fmac_f32_e32 v76, v78, v76
	v_mul_f32_e32 v78, v77, v76
	v_fma_f32 v79, -v75, v78, v77
	v_fmac_f32_e32 v78, v79, v76
	v_fma_f32 v75, -v75, v78, v77
	v_div_fmas_f32 v75, v75, v76, v78
	v_div_fixup_f32 v72, v75, v72, 1.0
.LBB124_886:
	s_or_b64 exec, exec, s[0:1]
	v_cmp_ne_u32_e32 vcc, v73, v70
	s_and_saveexec_b64 s[0:1], vcc
	s_xor_b64 s[0:1], exec, s[0:1]
	s_cbranch_execz .LBB124_892
; %bb.887:
	v_cmp_eq_u32_e32 vcc, 52, v73
	s_and_saveexec_b64 s[2:3], vcc
	s_cbranch_execz .LBB124_891
; %bb.888:
	v_cmp_ne_u32_e32 vcc, 52, v70
	s_xor_b64 s[12:13], s[20:21], -1
	s_and_b64 s[14:15], s[12:13], vcc
	s_and_saveexec_b64 s[12:13], s[14:15]
	s_cbranch_execz .LBB124_890
; %bb.889:
	v_ashrrev_i32_e32 v71, 31, v70
	v_lshl_add_u64 v[76:77], v[70:71], 2, v[4:5]
	global_load_dword v71, v[76:77], off
	global_load_dword v73, v[4:5], off offset:208
	s_waitcnt vmcnt(1)
	global_store_dword v[4:5], v71, off offset:208
	s_waitcnt vmcnt(1)
	global_store_dword v[76:77], v73, off
.LBB124_890:
	s_or_b64 exec, exec, s[12:13]
	v_mov_b32_e32 v71, v70
	v_mov_b32_e32 v73, v70
.LBB124_891:
	s_or_b64 exec, exec, s[2:3]
.LBB124_892:
	s_andn2_saveexec_b64 s[0:1], s[0:1]
	s_cbranch_execz .LBB124_894
; %bb.893:
	v_mov_b32_e32 v73, 52
	ds_write2_b32 v69, v14, v15 offset0:53 offset1:54
	ds_write2_b32 v69, v8, v9 offset0:55 offset1:56
	;; [unrolled: 1-line block ×5, first 2 shown]
.LBB124_894:
	s_or_b64 exec, exec, s[0:1]
	v_cmp_lt_i32_e32 vcc, 52, v73
	s_waitcnt lgkmcnt(0)
	s_barrier
	s_and_saveexec_b64 s[0:1], vcc
	s_cbranch_execz .LBB124_896
; %bb.895:
	ds_read2_b32 v[76:77], v69 offset0:53 offset1:54
	ds_read2_b32 v[78:79], v69 offset0:55 offset1:56
	;; [unrolled: 1-line block ×5, first 2 shown]
	v_mul_f32_e32 v70, v72, v23
	s_waitcnt lgkmcnt(4)
	v_pk_fma_f32 v[14:15], v[70:71], v[76:77], v[14:15] op_sel_hi:[0,1,1] neg_lo:[1,0,0] neg_hi:[1,0,0]
	s_waitcnt lgkmcnt(3)
	v_pk_fma_f32 v[8:9], v[70:71], v[78:79], v[8:9] op_sel_hi:[0,1,1] neg_lo:[1,0,0] neg_hi:[1,0,0]
	;; [unrolled: 2-line block ×5, first 2 shown]
	v_mov_b32_e32 v23, v70
.LBB124_896:
	s_or_b64 exec, exec, s[0:1]
	v_lshl_add_u32 v70, v73, 2, v69
	s_barrier
	ds_write_b32 v70, v14
	s_waitcnt lgkmcnt(0)
	s_barrier
	ds_read_b32 v72, v69 offset:212
	s_cmp_lt_i32 s22, 55
	v_mov_b32_e32 v70, 53
	s_cbranch_scc1 .LBB124_899
; %bb.897:
	v_add_u32_e32 v75, 0xd8, v69
	v_mov_b32_e32 v70, 53
	s_mov_b32 s0, 54
.LBB124_898:                            ; =>This Inner Loop Header: Depth=1
	ds_read_b32 v76, v75
	v_mov_b32_e32 v77, s0
	s_add_i32 s0, s0, 1
	v_add_u32_e32 v75, 4, v75
	s_cmp_lg_u32 s22, s0
	s_waitcnt lgkmcnt(0)
	v_cmp_lt_f32_e64 vcc, |v72|, |v76|
	s_nop 1
	v_cndmask_b32_e32 v72, v72, v76, vcc
	v_cndmask_b32_e32 v70, v70, v77, vcc
	s_cbranch_scc1 .LBB124_898
.LBB124_899:
	s_waitcnt lgkmcnt(0)
	v_cmp_eq_f32_e32 vcc, 0, v72
	s_and_saveexec_b64 s[0:1], vcc
	s_xor_b64 s[0:1], exec, s[0:1]
; %bb.900:
	v_cmp_ne_u32_e32 vcc, 0, v74
	s_nop 1
	v_cndmask_b32_e32 v74, 54, v74, vcc
; %bb.901:
	s_andn2_saveexec_b64 s[0:1], s[0:1]
	s_cbranch_execz .LBB124_903
; %bb.902:
	v_div_scale_f32 v75, s[2:3], v72, v72, 1.0
	v_rcp_f32_e32 v76, v75
	v_div_scale_f32 v77, vcc, 1.0, v72, 1.0
	v_fma_f32 v78, -v75, v76, 1.0
	v_fmac_f32_e32 v76, v78, v76
	v_mul_f32_e32 v78, v77, v76
	v_fma_f32 v79, -v75, v78, v77
	v_fmac_f32_e32 v78, v79, v76
	v_fma_f32 v75, -v75, v78, v77
	v_div_fmas_f32 v75, v75, v76, v78
	v_div_fixup_f32 v72, v75, v72, 1.0
.LBB124_903:
	s_or_b64 exec, exec, s[0:1]
	v_cmp_ne_u32_e32 vcc, v73, v70
	s_and_saveexec_b64 s[0:1], vcc
	s_xor_b64 s[0:1], exec, s[0:1]
	s_cbranch_execz .LBB124_909
; %bb.904:
	v_cmp_eq_u32_e32 vcc, 53, v73
	s_and_saveexec_b64 s[2:3], vcc
	s_cbranch_execz .LBB124_908
; %bb.905:
	v_cmp_ne_u32_e32 vcc, 53, v70
	s_xor_b64 s[12:13], s[20:21], -1
	s_and_b64 s[14:15], s[12:13], vcc
	s_and_saveexec_b64 s[12:13], s[14:15]
	s_cbranch_execz .LBB124_907
; %bb.906:
	v_ashrrev_i32_e32 v71, 31, v70
	v_lshl_add_u64 v[76:77], v[70:71], 2, v[4:5]
	global_load_dword v71, v[76:77], off
	global_load_dword v73, v[4:5], off offset:212
	s_waitcnt vmcnt(1)
	global_store_dword v[4:5], v71, off offset:212
	s_waitcnt vmcnt(1)
	global_store_dword v[76:77], v73, off
.LBB124_907:
	s_or_b64 exec, exec, s[12:13]
	v_mov_b32_e32 v71, v70
	v_mov_b32_e32 v73, v70
.LBB124_908:
	s_or_b64 exec, exec, s[2:3]
.LBB124_909:
	s_andn2_saveexec_b64 s[0:1], s[0:1]
	s_cbranch_execz .LBB124_911
; %bb.910:
	v_pk_mov_b32 v[76:77], v[14:15], v[8:9] op_sel:[1,0]
	ds_write2_b32 v69, v76, v77 offset0:54 offset1:55
	v_pk_mov_b32 v[76:77], v[8:9], v[0:1] op_sel:[1,0]
	ds_write2_b32 v69, v76, v77 offset0:56 offset1:57
	;; [unrolled: 2-line block ×3, first 2 shown]
	v_pk_mov_b32 v[76:77], v[16:17], v[10:11] op_sel:[1,0]
	v_mov_b32_e32 v73, 53
	ds_write2_b32 v69, v76, v77 offset0:60 offset1:61
	ds_write_b32 v69, v11 offset:248
.LBB124_911:
	s_or_b64 exec, exec, s[0:1]
	v_cmp_lt_i32_e32 vcc, 53, v73
	s_waitcnt lgkmcnt(0)
	s_barrier
	s_and_saveexec_b64 s[0:1], vcc
	s_cbranch_execz .LBB124_913
; %bb.912:
	ds_read_b32 v70, v69 offset:216
	ds_read2_b32 v[76:77], v69 offset0:55 offset1:56
	ds_read2_b32 v[78:79], v69 offset0:57 offset1:58
	;; [unrolled: 1-line block ×4, first 2 shown]
	v_mul_f32_e32 v14, v72, v14
	s_waitcnt lgkmcnt(4)
	v_fma_f32 v15, -v14, v70, v15
	s_waitcnt lgkmcnt(3)
	v_pk_fma_f32 v[8:9], v[14:15], v[76:77], v[8:9] op_sel_hi:[0,1,1] neg_lo:[1,0,0] neg_hi:[1,0,0]
	s_waitcnt lgkmcnt(2)
	v_pk_fma_f32 v[0:1], v[14:15], v[78:79], v[0:1] op_sel_hi:[0,1,1] neg_lo:[1,0,0] neg_hi:[1,0,0]
	;; [unrolled: 2-line block ×4, first 2 shown]
.LBB124_913:
	s_or_b64 exec, exec, s[0:1]
	v_lshl_add_u32 v70, v73, 2, v69
	s_barrier
	ds_write_b32 v70, v15
	s_waitcnt lgkmcnt(0)
	s_barrier
	ds_read_b32 v72, v69 offset:216
	s_cmp_lt_i32 s22, 56
	v_mov_b32_e32 v70, 54
	s_cbranch_scc1 .LBB124_916
; %bb.914:
	v_add_u32_e32 v75, 0xdc, v69
	v_mov_b32_e32 v70, 54
	s_mov_b32 s0, 55
.LBB124_915:                            ; =>This Inner Loop Header: Depth=1
	ds_read_b32 v76, v75
	v_mov_b32_e32 v77, s0
	s_add_i32 s0, s0, 1
	v_add_u32_e32 v75, 4, v75
	s_cmp_lg_u32 s22, s0
	s_waitcnt lgkmcnt(0)
	v_cmp_lt_f32_e64 vcc, |v72|, |v76|
	s_nop 1
	v_cndmask_b32_e32 v72, v72, v76, vcc
	v_cndmask_b32_e32 v70, v70, v77, vcc
	s_cbranch_scc1 .LBB124_915
.LBB124_916:
	s_waitcnt lgkmcnt(0)
	v_cmp_eq_f32_e32 vcc, 0, v72
	s_and_saveexec_b64 s[0:1], vcc
	s_xor_b64 s[0:1], exec, s[0:1]
; %bb.917:
	v_cmp_ne_u32_e32 vcc, 0, v74
	s_nop 1
	v_cndmask_b32_e32 v74, 55, v74, vcc
; %bb.918:
	s_andn2_saveexec_b64 s[0:1], s[0:1]
	s_cbranch_execz .LBB124_920
; %bb.919:
	v_div_scale_f32 v75, s[2:3], v72, v72, 1.0
	v_rcp_f32_e32 v76, v75
	v_div_scale_f32 v77, vcc, 1.0, v72, 1.0
	v_fma_f32 v78, -v75, v76, 1.0
	v_fmac_f32_e32 v76, v78, v76
	v_mul_f32_e32 v78, v77, v76
	v_fma_f32 v79, -v75, v78, v77
	v_fmac_f32_e32 v78, v79, v76
	v_fma_f32 v75, -v75, v78, v77
	v_div_fmas_f32 v75, v75, v76, v78
	v_div_fixup_f32 v72, v75, v72, 1.0
.LBB124_920:
	s_or_b64 exec, exec, s[0:1]
	v_cmp_ne_u32_e32 vcc, v73, v70
	s_and_saveexec_b64 s[0:1], vcc
	s_xor_b64 s[0:1], exec, s[0:1]
	s_cbranch_execz .LBB124_926
; %bb.921:
	v_cmp_eq_u32_e32 vcc, 54, v73
	s_and_saveexec_b64 s[2:3], vcc
	s_cbranch_execz .LBB124_925
; %bb.922:
	v_cmp_ne_u32_e32 vcc, 54, v70
	s_xor_b64 s[12:13], s[20:21], -1
	s_and_b64 s[14:15], s[12:13], vcc
	s_and_saveexec_b64 s[12:13], s[14:15]
	s_cbranch_execz .LBB124_924
; %bb.923:
	v_ashrrev_i32_e32 v71, 31, v70
	v_lshl_add_u64 v[76:77], v[70:71], 2, v[4:5]
	global_load_dword v71, v[76:77], off
	global_load_dword v73, v[4:5], off offset:216
	s_waitcnt vmcnt(1)
	global_store_dword v[4:5], v71, off offset:216
	s_waitcnt vmcnt(1)
	global_store_dword v[76:77], v73, off
.LBB124_924:
	s_or_b64 exec, exec, s[12:13]
	v_mov_b32_e32 v71, v70
	v_mov_b32_e32 v73, v70
.LBB124_925:
	s_or_b64 exec, exec, s[2:3]
.LBB124_926:
	s_andn2_saveexec_b64 s[0:1], s[0:1]
	s_cbranch_execz .LBB124_928
; %bb.927:
	v_mov_b32_e32 v73, 54
	ds_write2_b32 v69, v8, v9 offset0:55 offset1:56
	ds_write2_b32 v69, v0, v1 offset0:57 offset1:58
	;; [unrolled: 1-line block ×4, first 2 shown]
.LBB124_928:
	s_or_b64 exec, exec, s[0:1]
	v_cmp_lt_i32_e32 vcc, 54, v73
	s_waitcnt lgkmcnt(0)
	s_barrier
	s_and_saveexec_b64 s[0:1], vcc
	s_cbranch_execz .LBB124_930
; %bb.929:
	ds_read2_b32 v[76:77], v69 offset0:55 offset1:56
	ds_read2_b32 v[78:79], v69 offset0:57 offset1:58
	;; [unrolled: 1-line block ×4, first 2 shown]
	v_mul_f32_e32 v70, v72, v15
	s_waitcnt lgkmcnt(3)
	v_pk_fma_f32 v[8:9], v[70:71], v[76:77], v[8:9] op_sel_hi:[0,1,1] neg_lo:[1,0,0] neg_hi:[1,0,0]
	s_waitcnt lgkmcnt(2)
	v_pk_fma_f32 v[0:1], v[70:71], v[78:79], v[0:1] op_sel_hi:[0,1,1] neg_lo:[1,0,0] neg_hi:[1,0,0]
	;; [unrolled: 2-line block ×4, first 2 shown]
	v_mov_b32_e32 v15, v70
.LBB124_930:
	s_or_b64 exec, exec, s[0:1]
	v_lshl_add_u32 v70, v73, 2, v69
	s_barrier
	ds_write_b32 v70, v8
	s_waitcnt lgkmcnt(0)
	s_barrier
	ds_read_b32 v72, v69 offset:220
	s_cmp_lt_i32 s22, 57
	v_mov_b32_e32 v70, 55
	s_cbranch_scc1 .LBB124_933
; %bb.931:
	v_add_u32_e32 v75, 0xe0, v69
	v_mov_b32_e32 v70, 55
	s_mov_b32 s0, 56
.LBB124_932:                            ; =>This Inner Loop Header: Depth=1
	ds_read_b32 v76, v75
	v_mov_b32_e32 v77, s0
	s_add_i32 s0, s0, 1
	v_add_u32_e32 v75, 4, v75
	s_cmp_lg_u32 s22, s0
	s_waitcnt lgkmcnt(0)
	v_cmp_lt_f32_e64 vcc, |v72|, |v76|
	s_nop 1
	v_cndmask_b32_e32 v72, v72, v76, vcc
	v_cndmask_b32_e32 v70, v70, v77, vcc
	s_cbranch_scc1 .LBB124_932
.LBB124_933:
	s_waitcnt lgkmcnt(0)
	v_cmp_eq_f32_e32 vcc, 0, v72
	s_and_saveexec_b64 s[0:1], vcc
	s_xor_b64 s[0:1], exec, s[0:1]
; %bb.934:
	v_cmp_ne_u32_e32 vcc, 0, v74
	s_nop 1
	v_cndmask_b32_e32 v74, 56, v74, vcc
; %bb.935:
	s_andn2_saveexec_b64 s[0:1], s[0:1]
	s_cbranch_execz .LBB124_937
; %bb.936:
	v_div_scale_f32 v75, s[2:3], v72, v72, 1.0
	v_rcp_f32_e32 v76, v75
	v_div_scale_f32 v77, vcc, 1.0, v72, 1.0
	v_fma_f32 v78, -v75, v76, 1.0
	v_fmac_f32_e32 v76, v78, v76
	v_mul_f32_e32 v78, v77, v76
	v_fma_f32 v79, -v75, v78, v77
	v_fmac_f32_e32 v78, v79, v76
	v_fma_f32 v75, -v75, v78, v77
	v_div_fmas_f32 v75, v75, v76, v78
	v_div_fixup_f32 v72, v75, v72, 1.0
.LBB124_937:
	s_or_b64 exec, exec, s[0:1]
	v_cmp_ne_u32_e32 vcc, v73, v70
	s_and_saveexec_b64 s[0:1], vcc
	s_xor_b64 s[0:1], exec, s[0:1]
	s_cbranch_execz .LBB124_943
; %bb.938:
	v_cmp_eq_u32_e32 vcc, 55, v73
	s_and_saveexec_b64 s[2:3], vcc
	s_cbranch_execz .LBB124_942
; %bb.939:
	v_cmp_ne_u32_e32 vcc, 55, v70
	s_xor_b64 s[12:13], s[20:21], -1
	s_and_b64 s[14:15], s[12:13], vcc
	s_and_saveexec_b64 s[12:13], s[14:15]
	s_cbranch_execz .LBB124_941
; %bb.940:
	v_ashrrev_i32_e32 v71, 31, v70
	v_lshl_add_u64 v[76:77], v[70:71], 2, v[4:5]
	global_load_dword v71, v[76:77], off
	global_load_dword v73, v[4:5], off offset:220
	s_waitcnt vmcnt(1)
	global_store_dword v[4:5], v71, off offset:220
	s_waitcnt vmcnt(1)
	global_store_dword v[76:77], v73, off
.LBB124_941:
	s_or_b64 exec, exec, s[12:13]
	v_mov_b32_e32 v71, v70
	v_mov_b32_e32 v73, v70
.LBB124_942:
	s_or_b64 exec, exec, s[2:3]
.LBB124_943:
	s_andn2_saveexec_b64 s[0:1], s[0:1]
	s_cbranch_execz .LBB124_945
; %bb.944:
	v_pk_mov_b32 v[76:77], v[8:9], v[0:1] op_sel:[1,0]
	ds_write2_b32 v69, v76, v77 offset0:56 offset1:57
	v_pk_mov_b32 v[76:77], v[0:1], v[16:17] op_sel:[1,0]
	ds_write2_b32 v69, v76, v77 offset0:58 offset1:59
	v_pk_mov_b32 v[76:77], v[16:17], v[10:11] op_sel:[1,0]
	v_mov_b32_e32 v73, 55
	ds_write2_b32 v69, v76, v77 offset0:60 offset1:61
	ds_write_b32 v69, v11 offset:248
.LBB124_945:
	s_or_b64 exec, exec, s[0:1]
	v_cmp_lt_i32_e32 vcc, 55, v73
	s_waitcnt lgkmcnt(0)
	s_barrier
	s_and_saveexec_b64 s[0:1], vcc
	s_cbranch_execz .LBB124_947
; %bb.946:
	ds_read_b32 v70, v69 offset:224
	ds_read2_b32 v[76:77], v69 offset0:57 offset1:58
	ds_read2_b32 v[78:79], v69 offset0:59 offset1:60
	;; [unrolled: 1-line block ×3, first 2 shown]
	v_mul_f32_e32 v8, v72, v8
	s_waitcnt lgkmcnt(3)
	v_fma_f32 v9, -v8, v70, v9
	s_waitcnt lgkmcnt(2)
	v_pk_fma_f32 v[0:1], v[8:9], v[76:77], v[0:1] op_sel_hi:[0,1,1] neg_lo:[1,0,0] neg_hi:[1,0,0]
	s_waitcnt lgkmcnt(1)
	v_pk_fma_f32 v[16:17], v[8:9], v[78:79], v[16:17] op_sel_hi:[0,1,1] neg_lo:[1,0,0] neg_hi:[1,0,0]
	;; [unrolled: 2-line block ×3, first 2 shown]
.LBB124_947:
	s_or_b64 exec, exec, s[0:1]
	v_lshl_add_u32 v70, v73, 2, v69
	s_barrier
	ds_write_b32 v70, v9
	s_waitcnt lgkmcnt(0)
	s_barrier
	ds_read_b32 v72, v69 offset:224
	s_cmp_lt_i32 s22, 58
	v_mov_b32_e32 v70, 56
	s_cbranch_scc1 .LBB124_950
; %bb.948:
	v_add_u32_e32 v75, 0xe4, v69
	v_mov_b32_e32 v70, 56
	s_mov_b32 s0, 57
.LBB124_949:                            ; =>This Inner Loop Header: Depth=1
	ds_read_b32 v76, v75
	v_mov_b32_e32 v77, s0
	s_add_i32 s0, s0, 1
	v_add_u32_e32 v75, 4, v75
	s_cmp_lg_u32 s22, s0
	s_waitcnt lgkmcnt(0)
	v_cmp_lt_f32_e64 vcc, |v72|, |v76|
	s_nop 1
	v_cndmask_b32_e32 v72, v72, v76, vcc
	v_cndmask_b32_e32 v70, v70, v77, vcc
	s_cbranch_scc1 .LBB124_949
.LBB124_950:
	s_waitcnt lgkmcnt(0)
	v_cmp_eq_f32_e32 vcc, 0, v72
	s_and_saveexec_b64 s[0:1], vcc
	s_xor_b64 s[0:1], exec, s[0:1]
; %bb.951:
	v_cmp_ne_u32_e32 vcc, 0, v74
	s_nop 1
	v_cndmask_b32_e32 v74, 57, v74, vcc
; %bb.952:
	s_andn2_saveexec_b64 s[0:1], s[0:1]
	s_cbranch_execz .LBB124_954
; %bb.953:
	v_div_scale_f32 v75, s[2:3], v72, v72, 1.0
	v_rcp_f32_e32 v76, v75
	v_div_scale_f32 v77, vcc, 1.0, v72, 1.0
	v_fma_f32 v78, -v75, v76, 1.0
	v_fmac_f32_e32 v76, v78, v76
	v_mul_f32_e32 v78, v77, v76
	v_fma_f32 v79, -v75, v78, v77
	v_fmac_f32_e32 v78, v79, v76
	v_fma_f32 v75, -v75, v78, v77
	v_div_fmas_f32 v75, v75, v76, v78
	v_div_fixup_f32 v72, v75, v72, 1.0
.LBB124_954:
	s_or_b64 exec, exec, s[0:1]
	v_cmp_ne_u32_e32 vcc, v73, v70
	s_and_saveexec_b64 s[0:1], vcc
	s_xor_b64 s[0:1], exec, s[0:1]
	s_cbranch_execz .LBB124_960
; %bb.955:
	v_cmp_eq_u32_e32 vcc, 56, v73
	s_and_saveexec_b64 s[2:3], vcc
	s_cbranch_execz .LBB124_959
; %bb.956:
	v_cmp_ne_u32_e32 vcc, 56, v70
	s_xor_b64 s[12:13], s[20:21], -1
	s_and_b64 s[14:15], s[12:13], vcc
	s_and_saveexec_b64 s[12:13], s[14:15]
	s_cbranch_execz .LBB124_958
; %bb.957:
	v_ashrrev_i32_e32 v71, 31, v70
	v_lshl_add_u64 v[76:77], v[70:71], 2, v[4:5]
	global_load_dword v71, v[76:77], off
	global_load_dword v73, v[4:5], off offset:224
	s_waitcnt vmcnt(1)
	global_store_dword v[4:5], v71, off offset:224
	s_waitcnt vmcnt(1)
	global_store_dword v[76:77], v73, off
.LBB124_958:
	s_or_b64 exec, exec, s[12:13]
	v_mov_b32_e32 v71, v70
	v_mov_b32_e32 v73, v70
.LBB124_959:
	s_or_b64 exec, exec, s[2:3]
.LBB124_960:
	s_andn2_saveexec_b64 s[0:1], s[0:1]
	s_cbranch_execz .LBB124_962
; %bb.961:
	v_mov_b32_e32 v73, 56
	ds_write2_b32 v69, v0, v1 offset0:57 offset1:58
	ds_write2_b32 v69, v16, v17 offset0:59 offset1:60
	;; [unrolled: 1-line block ×3, first 2 shown]
.LBB124_962:
	s_or_b64 exec, exec, s[0:1]
	v_cmp_lt_i32_e32 vcc, 56, v73
	s_waitcnt lgkmcnt(0)
	s_barrier
	s_and_saveexec_b64 s[0:1], vcc
	s_cbranch_execz .LBB124_964
; %bb.963:
	ds_read2_b32 v[76:77], v69 offset0:57 offset1:58
	ds_read2_b32 v[78:79], v69 offset0:59 offset1:60
	ds_read2_b32 v[80:81], v69 offset0:61 offset1:62
	v_mul_f32_e32 v70, v72, v9
	v_mov_b32_e32 v9, v70
	s_waitcnt lgkmcnt(2)
	v_pk_fma_f32 v[0:1], v[70:71], v[76:77], v[0:1] op_sel_hi:[0,1,1] neg_lo:[1,0,0] neg_hi:[1,0,0]
	s_waitcnt lgkmcnt(1)
	v_pk_fma_f32 v[16:17], v[70:71], v[78:79], v[16:17] op_sel_hi:[0,1,1] neg_lo:[1,0,0] neg_hi:[1,0,0]
	s_waitcnt lgkmcnt(0)
	v_pk_fma_f32 v[10:11], v[70:71], v[80:81], v[10:11] op_sel_hi:[0,1,1] neg_lo:[1,0,0] neg_hi:[1,0,0]
.LBB124_964:
	s_or_b64 exec, exec, s[0:1]
	v_lshl_add_u32 v70, v73, 2, v69
	s_barrier
	ds_write_b32 v70, v0
	s_waitcnt lgkmcnt(0)
	s_barrier
	ds_read_b32 v72, v69 offset:228
	s_cmp_lt_i32 s22, 59
	v_mov_b32_e32 v70, 57
	s_cbranch_scc1 .LBB124_967
; %bb.965:
	v_add_u32_e32 v75, 0xe8, v69
	v_mov_b32_e32 v70, 57
	s_mov_b32 s0, 58
.LBB124_966:                            ; =>This Inner Loop Header: Depth=1
	ds_read_b32 v76, v75
	v_mov_b32_e32 v77, s0
	s_add_i32 s0, s0, 1
	v_add_u32_e32 v75, 4, v75
	s_cmp_lg_u32 s22, s0
	s_waitcnt lgkmcnt(0)
	v_cmp_lt_f32_e64 vcc, |v72|, |v76|
	s_nop 1
	v_cndmask_b32_e32 v72, v72, v76, vcc
	v_cndmask_b32_e32 v70, v70, v77, vcc
	s_cbranch_scc1 .LBB124_966
.LBB124_967:
	s_waitcnt lgkmcnt(0)
	v_cmp_eq_f32_e32 vcc, 0, v72
	s_and_saveexec_b64 s[0:1], vcc
	s_xor_b64 s[0:1], exec, s[0:1]
; %bb.968:
	v_cmp_ne_u32_e32 vcc, 0, v74
	s_nop 1
	v_cndmask_b32_e32 v74, 58, v74, vcc
; %bb.969:
	s_andn2_saveexec_b64 s[0:1], s[0:1]
	s_cbranch_execz .LBB124_971
; %bb.970:
	v_div_scale_f32 v75, s[2:3], v72, v72, 1.0
	v_rcp_f32_e32 v76, v75
	v_div_scale_f32 v77, vcc, 1.0, v72, 1.0
	v_fma_f32 v78, -v75, v76, 1.0
	v_fmac_f32_e32 v76, v78, v76
	v_mul_f32_e32 v78, v77, v76
	v_fma_f32 v79, -v75, v78, v77
	v_fmac_f32_e32 v78, v79, v76
	v_fma_f32 v75, -v75, v78, v77
	v_div_fmas_f32 v75, v75, v76, v78
	v_div_fixup_f32 v72, v75, v72, 1.0
.LBB124_971:
	s_or_b64 exec, exec, s[0:1]
	v_cmp_ne_u32_e32 vcc, v73, v70
	s_and_saveexec_b64 s[0:1], vcc
	s_xor_b64 s[0:1], exec, s[0:1]
	s_cbranch_execz .LBB124_977
; %bb.972:
	v_cmp_eq_u32_e32 vcc, 57, v73
	s_and_saveexec_b64 s[2:3], vcc
	s_cbranch_execz .LBB124_976
; %bb.973:
	v_cmp_ne_u32_e32 vcc, 57, v70
	s_xor_b64 s[12:13], s[20:21], -1
	s_and_b64 s[14:15], s[12:13], vcc
	s_and_saveexec_b64 s[12:13], s[14:15]
	s_cbranch_execz .LBB124_975
; %bb.974:
	v_ashrrev_i32_e32 v71, 31, v70
	v_lshl_add_u64 v[76:77], v[70:71], 2, v[4:5]
	global_load_dword v71, v[76:77], off
	global_load_dword v73, v[4:5], off offset:228
	s_waitcnt vmcnt(1)
	global_store_dword v[4:5], v71, off offset:228
	s_waitcnt vmcnt(1)
	global_store_dword v[76:77], v73, off
.LBB124_975:
	s_or_b64 exec, exec, s[12:13]
	v_mov_b32_e32 v71, v70
	v_mov_b32_e32 v73, v70
.LBB124_976:
	s_or_b64 exec, exec, s[2:3]
.LBB124_977:
	s_andn2_saveexec_b64 s[0:1], s[0:1]
	s_cbranch_execz .LBB124_979
; %bb.978:
	v_pk_mov_b32 v[76:77], v[0:1], v[16:17] op_sel:[1,0]
	ds_write2_b32 v69, v76, v77 offset0:58 offset1:59
	v_pk_mov_b32 v[76:77], v[16:17], v[10:11] op_sel:[1,0]
	v_mov_b32_e32 v73, 57
	ds_write2_b32 v69, v76, v77 offset0:60 offset1:61
	ds_write_b32 v69, v11 offset:248
.LBB124_979:
	s_or_b64 exec, exec, s[0:1]
	v_cmp_lt_i32_e32 vcc, 57, v73
	s_waitcnt lgkmcnt(0)
	s_barrier
	s_and_saveexec_b64 s[0:1], vcc
	s_cbranch_execz .LBB124_981
; %bb.980:
	ds_read_b32 v70, v69 offset:232
	ds_read2_b32 v[76:77], v69 offset0:59 offset1:60
	ds_read2_b32 v[78:79], v69 offset0:61 offset1:62
	v_mul_f32_e32 v0, v72, v0
	s_waitcnt lgkmcnt(2)
	v_fma_f32 v1, -v0, v70, v1
	s_waitcnt lgkmcnt(1)
	v_pk_fma_f32 v[16:17], v[0:1], v[76:77], v[16:17] op_sel_hi:[0,1,1] neg_lo:[1,0,0] neg_hi:[1,0,0]
	s_waitcnt lgkmcnt(0)
	v_pk_fma_f32 v[10:11], v[0:1], v[78:79], v[10:11] op_sel_hi:[0,1,1] neg_lo:[1,0,0] neg_hi:[1,0,0]
.LBB124_981:
	s_or_b64 exec, exec, s[0:1]
	v_lshl_add_u32 v70, v73, 2, v69
	s_barrier
	ds_write_b32 v70, v1
	s_waitcnt lgkmcnt(0)
	s_barrier
	ds_read_b32 v72, v69 offset:232
	s_cmp_lt_i32 s22, 60
	v_mov_b32_e32 v70, 58
	s_cbranch_scc1 .LBB124_984
; %bb.982:
	v_add_u32_e32 v75, 0xec, v69
	v_mov_b32_e32 v70, 58
	s_mov_b32 s0, 59
.LBB124_983:                            ; =>This Inner Loop Header: Depth=1
	ds_read_b32 v76, v75
	v_mov_b32_e32 v77, s0
	s_add_i32 s0, s0, 1
	v_add_u32_e32 v75, 4, v75
	s_cmp_lg_u32 s22, s0
	s_waitcnt lgkmcnt(0)
	v_cmp_lt_f32_e64 vcc, |v72|, |v76|
	s_nop 1
	v_cndmask_b32_e32 v72, v72, v76, vcc
	v_cndmask_b32_e32 v70, v70, v77, vcc
	s_cbranch_scc1 .LBB124_983
.LBB124_984:
	s_waitcnt lgkmcnt(0)
	v_cmp_eq_f32_e32 vcc, 0, v72
	s_and_saveexec_b64 s[0:1], vcc
	s_xor_b64 s[0:1], exec, s[0:1]
; %bb.985:
	v_cmp_ne_u32_e32 vcc, 0, v74
	s_nop 1
	v_cndmask_b32_e32 v74, 59, v74, vcc
; %bb.986:
	s_andn2_saveexec_b64 s[0:1], s[0:1]
	s_cbranch_execz .LBB124_988
; %bb.987:
	v_div_scale_f32 v75, s[2:3], v72, v72, 1.0
	v_rcp_f32_e32 v76, v75
	v_div_scale_f32 v77, vcc, 1.0, v72, 1.0
	v_fma_f32 v78, -v75, v76, 1.0
	v_fmac_f32_e32 v76, v78, v76
	v_mul_f32_e32 v78, v77, v76
	v_fma_f32 v79, -v75, v78, v77
	v_fmac_f32_e32 v78, v79, v76
	v_fma_f32 v75, -v75, v78, v77
	v_div_fmas_f32 v75, v75, v76, v78
	v_div_fixup_f32 v72, v75, v72, 1.0
.LBB124_988:
	s_or_b64 exec, exec, s[0:1]
	v_cmp_ne_u32_e32 vcc, v73, v70
	s_and_saveexec_b64 s[0:1], vcc
	s_xor_b64 s[0:1], exec, s[0:1]
	s_cbranch_execz .LBB124_994
; %bb.989:
	v_cmp_eq_u32_e32 vcc, 58, v73
	s_and_saveexec_b64 s[2:3], vcc
	s_cbranch_execz .LBB124_993
; %bb.990:
	v_cmp_ne_u32_e32 vcc, 58, v70
	s_xor_b64 s[12:13], s[20:21], -1
	s_and_b64 s[14:15], s[12:13], vcc
	s_and_saveexec_b64 s[12:13], s[14:15]
	s_cbranch_execz .LBB124_992
; %bb.991:
	v_ashrrev_i32_e32 v71, 31, v70
	v_lshl_add_u64 v[76:77], v[70:71], 2, v[4:5]
	global_load_dword v71, v[76:77], off
	global_load_dword v73, v[4:5], off offset:232
	s_waitcnt vmcnt(1)
	global_store_dword v[4:5], v71, off offset:232
	s_waitcnt vmcnt(1)
	global_store_dword v[76:77], v73, off
.LBB124_992:
	s_or_b64 exec, exec, s[12:13]
	v_mov_b32_e32 v71, v70
	v_mov_b32_e32 v73, v70
.LBB124_993:
	s_or_b64 exec, exec, s[2:3]
.LBB124_994:
	s_andn2_saveexec_b64 s[0:1], s[0:1]
	s_cbranch_execz .LBB124_996
; %bb.995:
	v_mov_b32_e32 v73, 58
	ds_write2_b32 v69, v16, v17 offset0:59 offset1:60
	ds_write2_b32 v69, v10, v11 offset0:61 offset1:62
.LBB124_996:
	s_or_b64 exec, exec, s[0:1]
	v_cmp_lt_i32_e32 vcc, 58, v73
	s_waitcnt lgkmcnt(0)
	s_barrier
	s_and_saveexec_b64 s[0:1], vcc
	s_cbranch_execz .LBB124_998
; %bb.997:
	ds_read2_b32 v[76:77], v69 offset0:59 offset1:60
	ds_read2_b32 v[78:79], v69 offset0:61 offset1:62
	v_mul_f32_e32 v70, v72, v1
	v_mov_b32_e32 v1, v70
	s_waitcnt lgkmcnt(1)
	v_pk_fma_f32 v[16:17], v[70:71], v[76:77], v[16:17] op_sel_hi:[0,1,1] neg_lo:[1,0,0] neg_hi:[1,0,0]
	s_waitcnt lgkmcnt(0)
	v_pk_fma_f32 v[10:11], v[70:71], v[78:79], v[10:11] op_sel_hi:[0,1,1] neg_lo:[1,0,0] neg_hi:[1,0,0]
.LBB124_998:
	s_or_b64 exec, exec, s[0:1]
	v_lshl_add_u32 v70, v73, 2, v69
	s_barrier
	ds_write_b32 v70, v16
	s_waitcnt lgkmcnt(0)
	s_barrier
	ds_read_b32 v72, v69 offset:236
	s_cmp_lt_i32 s22, 61
	v_mov_b32_e32 v70, 59
	s_cbranch_scc1 .LBB124_1001
; %bb.999:
	v_add_u32_e32 v75, 0xf0, v69
	v_mov_b32_e32 v70, 59
	s_mov_b32 s0, 60
.LBB124_1000:                           ; =>This Inner Loop Header: Depth=1
	ds_read_b32 v76, v75
	v_mov_b32_e32 v77, s0
	s_add_i32 s0, s0, 1
	v_add_u32_e32 v75, 4, v75
	s_cmp_lg_u32 s22, s0
	s_waitcnt lgkmcnt(0)
	v_cmp_lt_f32_e64 vcc, |v72|, |v76|
	s_nop 1
	v_cndmask_b32_e32 v72, v72, v76, vcc
	v_cndmask_b32_e32 v70, v70, v77, vcc
	s_cbranch_scc1 .LBB124_1000
.LBB124_1001:
	s_waitcnt lgkmcnt(0)
	v_cmp_eq_f32_e32 vcc, 0, v72
	s_and_saveexec_b64 s[0:1], vcc
	s_xor_b64 s[0:1], exec, s[0:1]
; %bb.1002:
	v_cmp_ne_u32_e32 vcc, 0, v74
	s_nop 1
	v_cndmask_b32_e32 v74, 60, v74, vcc
; %bb.1003:
	s_andn2_saveexec_b64 s[0:1], s[0:1]
	s_cbranch_execz .LBB124_1005
; %bb.1004:
	v_div_scale_f32 v75, s[2:3], v72, v72, 1.0
	v_rcp_f32_e32 v76, v75
	v_div_scale_f32 v77, vcc, 1.0, v72, 1.0
	v_fma_f32 v78, -v75, v76, 1.0
	v_fmac_f32_e32 v76, v78, v76
	v_mul_f32_e32 v78, v77, v76
	v_fma_f32 v79, -v75, v78, v77
	v_fmac_f32_e32 v78, v79, v76
	v_fma_f32 v75, -v75, v78, v77
	v_div_fmas_f32 v75, v75, v76, v78
	v_div_fixup_f32 v72, v75, v72, 1.0
.LBB124_1005:
	s_or_b64 exec, exec, s[0:1]
	v_cmp_ne_u32_e32 vcc, v73, v70
	s_and_saveexec_b64 s[0:1], vcc
	s_xor_b64 s[0:1], exec, s[0:1]
	s_cbranch_execz .LBB124_1011
; %bb.1006:
	v_cmp_eq_u32_e32 vcc, 59, v73
	s_and_saveexec_b64 s[2:3], vcc
	s_cbranch_execz .LBB124_1010
; %bb.1007:
	v_cmp_ne_u32_e32 vcc, 59, v70
	s_xor_b64 s[12:13], s[20:21], -1
	s_and_b64 s[14:15], s[12:13], vcc
	s_and_saveexec_b64 s[12:13], s[14:15]
	s_cbranch_execz .LBB124_1009
; %bb.1008:
	v_ashrrev_i32_e32 v71, 31, v70
	v_lshl_add_u64 v[76:77], v[70:71], 2, v[4:5]
	global_load_dword v71, v[76:77], off
	global_load_dword v73, v[4:5], off offset:236
	s_waitcnt vmcnt(1)
	global_store_dword v[4:5], v71, off offset:236
	s_waitcnt vmcnt(1)
	global_store_dword v[76:77], v73, off
.LBB124_1009:
	s_or_b64 exec, exec, s[12:13]
	v_mov_b32_e32 v71, v70
	v_mov_b32_e32 v73, v70
.LBB124_1010:
	s_or_b64 exec, exec, s[2:3]
.LBB124_1011:
	s_andn2_saveexec_b64 s[0:1], s[0:1]
	s_cbranch_execz .LBB124_1013
; %bb.1012:
	v_pk_mov_b32 v[76:77], v[16:17], v[10:11] op_sel:[1,0]
	v_mov_b32_e32 v73, 59
	ds_write2_b32 v69, v76, v77 offset0:60 offset1:61
	ds_write_b32 v69, v11 offset:248
.LBB124_1013:
	s_or_b64 exec, exec, s[0:1]
	v_cmp_lt_i32_e32 vcc, 59, v73
	s_waitcnt lgkmcnt(0)
	s_barrier
	s_and_saveexec_b64 s[0:1], vcc
	s_cbranch_execz .LBB124_1015
; %bb.1014:
	ds_read_b32 v70, v69 offset:240
	ds_read2_b32 v[76:77], v69 offset0:61 offset1:62
	v_mul_f32_e32 v16, v72, v16
	s_waitcnt lgkmcnt(1)
	v_fma_f32 v17, -v16, v70, v17
	s_waitcnt lgkmcnt(0)
	v_pk_fma_f32 v[10:11], v[16:17], v[76:77], v[10:11] op_sel_hi:[0,1,1] neg_lo:[1,0,0] neg_hi:[1,0,0]
.LBB124_1015:
	s_or_b64 exec, exec, s[0:1]
	v_lshl_add_u32 v70, v73, 2, v69
	s_barrier
	ds_write_b32 v70, v17
	s_waitcnt lgkmcnt(0)
	s_barrier
	ds_read_b32 v72, v69 offset:240
	s_cmp_lt_i32 s22, 62
	v_mov_b32_e32 v70, 60
	s_cbranch_scc1 .LBB124_1018
; %bb.1016:
	v_add_u32_e32 v75, 0xf4, v69
	v_mov_b32_e32 v70, 60
	s_mov_b32 s0, 61
.LBB124_1017:                           ; =>This Inner Loop Header: Depth=1
	ds_read_b32 v76, v75
	v_mov_b32_e32 v77, s0
	s_add_i32 s0, s0, 1
	v_add_u32_e32 v75, 4, v75
	s_cmp_lg_u32 s22, s0
	s_waitcnt lgkmcnt(0)
	v_cmp_lt_f32_e64 vcc, |v72|, |v76|
	s_nop 1
	v_cndmask_b32_e32 v72, v72, v76, vcc
	v_cndmask_b32_e32 v70, v70, v77, vcc
	s_cbranch_scc1 .LBB124_1017
.LBB124_1018:
	s_waitcnt lgkmcnt(0)
	v_cmp_eq_f32_e32 vcc, 0, v72
	s_and_saveexec_b64 s[0:1], vcc
	s_xor_b64 s[0:1], exec, s[0:1]
; %bb.1019:
	v_cmp_ne_u32_e32 vcc, 0, v74
	s_nop 1
	v_cndmask_b32_e32 v74, 61, v74, vcc
; %bb.1020:
	s_andn2_saveexec_b64 s[0:1], s[0:1]
	s_cbranch_execz .LBB124_1022
; %bb.1021:
	v_div_scale_f32 v75, s[2:3], v72, v72, 1.0
	v_rcp_f32_e32 v76, v75
	v_div_scale_f32 v77, vcc, 1.0, v72, 1.0
	v_fma_f32 v78, -v75, v76, 1.0
	v_fmac_f32_e32 v76, v78, v76
	v_mul_f32_e32 v78, v77, v76
	v_fma_f32 v79, -v75, v78, v77
	v_fmac_f32_e32 v78, v79, v76
	v_fma_f32 v75, -v75, v78, v77
	v_div_fmas_f32 v75, v75, v76, v78
	v_div_fixup_f32 v72, v75, v72, 1.0
.LBB124_1022:
	s_or_b64 exec, exec, s[0:1]
	v_cmp_ne_u32_e32 vcc, v73, v70
	s_and_saveexec_b64 s[0:1], vcc
	s_xor_b64 s[0:1], exec, s[0:1]
	s_cbranch_execz .LBB124_1028
; %bb.1023:
	v_cmp_eq_u32_e32 vcc, 60, v73
	s_and_saveexec_b64 s[2:3], vcc
	s_cbranch_execz .LBB124_1027
; %bb.1024:
	v_cmp_ne_u32_e32 vcc, 60, v70
	s_xor_b64 s[12:13], s[20:21], -1
	s_and_b64 s[14:15], s[12:13], vcc
	s_and_saveexec_b64 s[12:13], s[14:15]
	s_cbranch_execz .LBB124_1026
; %bb.1025:
	v_ashrrev_i32_e32 v71, 31, v70
	v_lshl_add_u64 v[76:77], v[70:71], 2, v[4:5]
	global_load_dword v71, v[76:77], off
	global_load_dword v73, v[4:5], off offset:240
	s_waitcnt vmcnt(1)
	global_store_dword v[4:5], v71, off offset:240
	s_waitcnt vmcnt(1)
	global_store_dword v[76:77], v73, off
.LBB124_1026:
	s_or_b64 exec, exec, s[12:13]
	v_mov_b32_e32 v71, v70
	v_mov_b32_e32 v73, v70
.LBB124_1027:
	s_or_b64 exec, exec, s[2:3]
.LBB124_1028:
	s_andn2_saveexec_b64 s[0:1], s[0:1]
; %bb.1029:
	v_mov_b32_e32 v73, 60
	ds_write2_b32 v69, v10, v11 offset0:61 offset1:62
; %bb.1030:
	s_or_b64 exec, exec, s[0:1]
	v_cmp_lt_i32_e32 vcc, 60, v73
	s_waitcnt lgkmcnt(0)
	s_barrier
	s_and_saveexec_b64 s[0:1], vcc
	s_cbranch_execz .LBB124_1032
; %bb.1031:
	ds_read2_b32 v[76:77], v69 offset0:61 offset1:62
	v_mul_f32_e32 v70, v72, v17
	v_mov_b32_e32 v17, v70
	s_waitcnt lgkmcnt(0)
	v_pk_fma_f32 v[10:11], v[70:71], v[76:77], v[10:11] op_sel_hi:[0,1,1] neg_lo:[1,0,0] neg_hi:[1,0,0]
.LBB124_1032:
	s_or_b64 exec, exec, s[0:1]
	v_lshl_add_u32 v70, v73, 2, v69
	s_barrier
	ds_write_b32 v70, v10
	s_waitcnt lgkmcnt(0)
	s_barrier
	ds_read_b32 v72, v69 offset:244
	s_cmp_lt_i32 s22, 63
	v_mov_b32_e32 v70, 61
	s_cbranch_scc1 .LBB124_1035
; %bb.1033:
	v_add_u32_e32 v75, 0xf8, v69
	v_mov_b32_e32 v70, 61
	s_mov_b32 s0, 62
.LBB124_1034:                           ; =>This Inner Loop Header: Depth=1
	ds_read_b32 v76, v75
	v_mov_b32_e32 v77, s0
	s_add_i32 s0, s0, 1
	v_add_u32_e32 v75, 4, v75
	s_cmp_lg_u32 s22, s0
	s_waitcnt lgkmcnt(0)
	v_cmp_lt_f32_e64 vcc, |v72|, |v76|
	s_nop 1
	v_cndmask_b32_e32 v72, v72, v76, vcc
	v_cndmask_b32_e32 v70, v70, v77, vcc
	s_cbranch_scc1 .LBB124_1034
.LBB124_1035:
	s_waitcnt lgkmcnt(0)
	v_cmp_eq_f32_e32 vcc, 0, v72
	s_and_saveexec_b64 s[0:1], vcc
	s_xor_b64 s[0:1], exec, s[0:1]
; %bb.1036:
	v_cmp_ne_u32_e32 vcc, 0, v74
	s_nop 1
	v_cndmask_b32_e32 v74, 62, v74, vcc
; %bb.1037:
	s_andn2_saveexec_b64 s[0:1], s[0:1]
	s_cbranch_execz .LBB124_1039
; %bb.1038:
	v_div_scale_f32 v75, s[2:3], v72, v72, 1.0
	v_rcp_f32_e32 v76, v75
	v_div_scale_f32 v77, vcc, 1.0, v72, 1.0
	v_fma_f32 v78, -v75, v76, 1.0
	v_fmac_f32_e32 v76, v78, v76
	v_mul_f32_e32 v78, v77, v76
	v_fma_f32 v79, -v75, v78, v77
	v_fmac_f32_e32 v78, v79, v76
	v_fma_f32 v75, -v75, v78, v77
	v_div_fmas_f32 v75, v75, v76, v78
	v_div_fixup_f32 v72, v75, v72, 1.0
.LBB124_1039:
	s_or_b64 exec, exec, s[0:1]
	v_cmp_ne_u32_e32 vcc, v73, v70
	s_and_saveexec_b64 s[0:1], vcc
	s_xor_b64 s[0:1], exec, s[0:1]
	s_cbranch_execz .LBB124_1045
; %bb.1040:
	v_cmp_eq_u32_e32 vcc, 61, v73
	s_and_saveexec_b64 s[2:3], vcc
	s_cbranch_execz .LBB124_1044
; %bb.1041:
	v_cmp_ne_u32_e32 vcc, 61, v70
	s_xor_b64 s[12:13], s[20:21], -1
	s_and_b64 s[14:15], s[12:13], vcc
	s_and_saveexec_b64 s[12:13], s[14:15]
	s_cbranch_execz .LBB124_1043
; %bb.1042:
	v_ashrrev_i32_e32 v71, 31, v70
	v_lshl_add_u64 v[76:77], v[70:71], 2, v[4:5]
	global_load_dword v71, v[76:77], off
	global_load_dword v73, v[4:5], off offset:244
	s_waitcnt vmcnt(1)
	global_store_dword v[4:5], v71, off offset:244
	s_waitcnt vmcnt(1)
	global_store_dword v[76:77], v73, off
.LBB124_1043:
	s_or_b64 exec, exec, s[12:13]
	v_mov_b32_e32 v71, v70
	v_mov_b32_e32 v73, v70
.LBB124_1044:
	s_or_b64 exec, exec, s[2:3]
.LBB124_1045:
	s_andn2_saveexec_b64 s[0:1], s[0:1]
; %bb.1046:
	v_mov_b32_e32 v73, 61
	ds_write_b32 v69, v11 offset:248
; %bb.1047:
	s_or_b64 exec, exec, s[0:1]
	v_cmp_lt_i32_e32 vcc, 61, v73
	s_waitcnt lgkmcnt(0)
	s_barrier
	s_and_saveexec_b64 s[0:1], vcc
	s_cbranch_execz .LBB124_1049
; %bb.1048:
	ds_read_b32 v70, v69 offset:248
	v_mul_f32_e32 v10, v72, v10
	s_waitcnt lgkmcnt(0)
	v_fma_f32 v11, -v10, v70, v11
.LBB124_1049:
	s_or_b64 exec, exec, s[0:1]
	v_lshl_add_u32 v70, v73, 2, v69
	s_barrier
	ds_write_b32 v70, v11
	s_waitcnt lgkmcnt(0)
	s_barrier
	ds_read_b32 v75, v69 offset:248
	s_cmp_lt_i32 s22, 64
	v_mov_b32_e32 v70, 62
	s_cbranch_scc1 .LBB124_1052
; %bb.1050:
	v_add_u32_e32 v69, 0xfc, v69
	v_mov_b32_e32 v70, 62
	s_mov_b32 s0, 63
.LBB124_1051:                           ; =>This Inner Loop Header: Depth=1
	ds_read_b32 v72, v69
	v_mov_b32_e32 v76, s0
	s_add_i32 s0, s0, 1
	v_add_u32_e32 v69, 4, v69
	s_cmp_lg_u32 s22, s0
	s_waitcnt lgkmcnt(0)
	v_cmp_lt_f32_e64 vcc, |v75|, |v72|
	s_nop 1
	v_cndmask_b32_e32 v75, v75, v72, vcc
	v_cndmask_b32_e32 v70, v70, v76, vcc
	s_cbranch_scc1 .LBB124_1051
.LBB124_1052:
	s_waitcnt lgkmcnt(0)
	v_cmp_eq_f32_e32 vcc, 0, v75
	s_and_saveexec_b64 s[0:1], vcc
	s_xor_b64 s[0:1], exec, s[0:1]
; %bb.1053:
	v_cmp_ne_u32_e32 vcc, 0, v74
	s_nop 1
	v_cndmask_b32_e32 v74, 63, v74, vcc
; %bb.1054:
	s_andn2_saveexec_b64 s[0:1], s[0:1]
	s_cbranch_execz .LBB124_1056
; %bb.1055:
	v_div_scale_f32 v69, s[2:3], v75, v75, 1.0
	v_rcp_f32_e32 v72, v69
	v_div_scale_f32 v76, vcc, 1.0, v75, 1.0
	v_fma_f32 v77, -v69, v72, 1.0
	v_fmac_f32_e32 v72, v77, v72
	v_mul_f32_e32 v77, v76, v72
	v_fma_f32 v78, -v69, v77, v76
	v_fmac_f32_e32 v77, v78, v72
	v_fma_f32 v69, -v69, v77, v76
	v_div_fmas_f32 v69, v69, v72, v77
	v_div_fixup_f32 v75, v69, v75, 1.0
.LBB124_1056:
	s_or_b64 exec, exec, s[0:1]
	v_cmp_ne_u32_e32 vcc, v73, v70
	v_mov_b32_e32 v72, 62
	s_and_saveexec_b64 s[0:1], vcc
	s_cbranch_execz .LBB124_1062
; %bb.1057:
	v_cmp_eq_u32_e32 vcc, 62, v73
	s_and_saveexec_b64 s[2:3], vcc
	s_cbranch_execz .LBB124_1061
; %bb.1058:
	v_cmp_ne_u32_e32 vcc, 62, v70
	s_xor_b64 s[12:13], s[20:21], -1
	s_and_b64 s[14:15], s[12:13], vcc
	s_and_saveexec_b64 s[12:13], s[14:15]
	s_cbranch_execz .LBB124_1060
; %bb.1059:
	v_ashrrev_i32_e32 v71, 31, v70
	v_lshl_add_u64 v[72:73], v[70:71], 2, v[4:5]
	global_load_dword v69, v[72:73], off
	global_load_dword v71, v[4:5], off offset:248
	s_waitcnt vmcnt(1)
	global_store_dword v[4:5], v69, off offset:248
	s_waitcnt vmcnt(1)
	global_store_dword v[72:73], v71, off
.LBB124_1060:
	s_or_b64 exec, exec, s[12:13]
	v_mov_b32_e32 v71, v70
	v_mov_b32_e32 v73, v70
.LBB124_1061:
	s_or_b64 exec, exec, s[2:3]
	v_mov_b32_e32 v72, v73
.LBB124_1062:
	s_or_b64 exec, exec, s[0:1]
	v_cmp_gt_i32_e32 vcc, 63, v72
	v_ashrrev_i32_e32 v73, 31, v72
	s_barrier
	s_barrier
	s_and_saveexec_b64 s[0:1], vcc
	s_cbranch_execz .LBB124_1064
; %bb.1063:
	v_mul_lo_u32 v69, s11, v2
	v_mul_lo_u32 v70, s10, v3
	v_mad_u64_u32 v[76:77], s[2:3], s10, v2, 0
	v_mov_b32_e32 v4, s6
	v_mov_b32_e32 v5, s7
	v_add3_u32 v77, v77, v70, v69
	v_lshl_add_u64 v[4:5], v[76:77], 2, v[4:5]
	v_lshl_add_u64 v[4:5], s[8:9], 2, v[4:5]
	v_lshl_add_u64 v[4:5], v[72:73], 2, v[4:5]
	v_add3_u32 v69, v71, s19, 1
	global_store_dword v[4:5], v69, off
.LBB124_1064:
	s_or_b64 exec, exec, s[0:1]
	v_cmp_eq_u32_e32 vcc, 0, v72
	s_and_saveexec_b64 s[2:3], vcc
	s_cbranch_execz .LBB124_1067
; %bb.1065:
	v_mov_b32_e32 v4, s4
	v_mov_b32_e32 v5, s5
	v_lshl_add_u64 v[2:3], v[2:3], 2, v[4:5]
	global_load_dword v4, v[2:3], off
	v_cmp_ne_u32_e64 s[0:1], 0, v74
	s_waitcnt vmcnt(0)
	v_cmp_eq_u32_e32 vcc, 0, v4
	s_and_b64 s[0:1], vcc, s[0:1]
	s_and_b64 exec, exec, s[0:1]
	s_cbranch_execz .LBB124_1067
; %bb.1066:
	v_add_u32_e32 v4, s19, v74
	global_store_dword v[2:3], v4, off
.LBB124_1067:
	s_or_b64 exec, exec, s[2:3]
	v_mul_f32_e32 v2, v75, v11
	v_cmp_lt_i32_e32 vcc, 62, v72
	s_nop 1
	v_cndmask_b32_e32 v11, v11, v2, vcc
	v_lshl_add_u64 v[2:3], v[72:73], 2, v[6:7]
	global_store_dword v[2:3], v68, off
	v_lshl_add_u64 v[2:3], s[16:17], 2, v[2:3]
	global_store_dword v[2:3], v66, off
	v_add_u32_e32 v2, s18, v72
	v_ashrrev_i32_e32 v3, 31, v2
	v_lshl_add_u64 v[4:5], v[2:3], 2, v[6:7]
	v_add_u32_e32 v2, s16, v2
	v_ashrrev_i32_e32 v3, 31, v2
	global_store_dword v[4:5], v67, off
	v_lshl_add_u64 v[4:5], v[2:3], 2, v[6:7]
	v_add_u32_e32 v2, s16, v2
	v_ashrrev_i32_e32 v3, 31, v2
	global_store_dword v[4:5], v64, off
	v_lshl_add_u64 v[4:5], v[2:3], 2, v[6:7]
	v_add_u32_e32 v2, s16, v2
	v_ashrrev_i32_e32 v3, 31, v2
	global_store_dword v[4:5], v65, off
	v_lshl_add_u64 v[4:5], v[2:3], 2, v[6:7]
	v_add_u32_e32 v2, s16, v2
	v_ashrrev_i32_e32 v3, 31, v2
	global_store_dword v[4:5], v62, off
	v_lshl_add_u64 v[4:5], v[2:3], 2, v[6:7]
	v_add_u32_e32 v2, s16, v2
	v_ashrrev_i32_e32 v3, 31, v2
	global_store_dword v[4:5], v63, off
	v_lshl_add_u64 v[4:5], v[2:3], 2, v[6:7]
	v_add_u32_e32 v2, s16, v2
	v_ashrrev_i32_e32 v3, 31, v2
	global_store_dword v[4:5], v58, off
	v_lshl_add_u64 v[4:5], v[2:3], 2, v[6:7]
	v_add_u32_e32 v2, s16, v2
	v_ashrrev_i32_e32 v3, 31, v2
	global_store_dword v[4:5], v59, off
	v_lshl_add_u64 v[4:5], v[2:3], 2, v[6:7]
	v_add_u32_e32 v2, s16, v2
	v_ashrrev_i32_e32 v3, 31, v2
	global_store_dword v[4:5], v60, off
	v_lshl_add_u64 v[4:5], v[2:3], 2, v[6:7]
	v_add_u32_e32 v2, s16, v2
	v_ashrrev_i32_e32 v3, 31, v2
	global_store_dword v[4:5], v61, off
	v_lshl_add_u64 v[4:5], v[2:3], 2, v[6:7]
	v_add_u32_e32 v2, s16, v2
	v_ashrrev_i32_e32 v3, 31, v2
	global_store_dword v[4:5], v56, off
	v_lshl_add_u64 v[4:5], v[2:3], 2, v[6:7]
	v_add_u32_e32 v2, s16, v2
	v_ashrrev_i32_e32 v3, 31, v2
	global_store_dword v[4:5], v57, off
	v_lshl_add_u64 v[4:5], v[2:3], 2, v[6:7]
	v_add_u32_e32 v2, s16, v2
	v_ashrrev_i32_e32 v3, 31, v2
	global_store_dword v[4:5], v54, off
	v_lshl_add_u64 v[4:5], v[2:3], 2, v[6:7]
	v_add_u32_e32 v2, s16, v2
	v_ashrrev_i32_e32 v3, 31, v2
	global_store_dword v[4:5], v55, off
	v_lshl_add_u64 v[4:5], v[2:3], 2, v[6:7]
	v_add_u32_e32 v2, s16, v2
	v_ashrrev_i32_e32 v3, 31, v2
	global_store_dword v[4:5], v52, off
	v_lshl_add_u64 v[4:5], v[2:3], 2, v[6:7]
	v_add_u32_e32 v2, s16, v2
	v_ashrrev_i32_e32 v3, 31, v2
	global_store_dword v[4:5], v53, off
	v_lshl_add_u64 v[4:5], v[2:3], 2, v[6:7]
	v_add_u32_e32 v2, s16, v2
	v_ashrrev_i32_e32 v3, 31, v2
	global_store_dword v[4:5], v50, off
	v_lshl_add_u64 v[4:5], v[2:3], 2, v[6:7]
	v_add_u32_e32 v2, s16, v2
	v_ashrrev_i32_e32 v3, 31, v2
	global_store_dword v[4:5], v51, off
	v_lshl_add_u64 v[4:5], v[2:3], 2, v[6:7]
	v_add_u32_e32 v2, s16, v2
	v_ashrrev_i32_e32 v3, 31, v2
	global_store_dword v[4:5], v46, off
	v_lshl_add_u64 v[4:5], v[2:3], 2, v[6:7]
	v_add_u32_e32 v2, s16, v2
	v_ashrrev_i32_e32 v3, 31, v2
	global_store_dword v[4:5], v47, off
	v_lshl_add_u64 v[4:5], v[2:3], 2, v[6:7]
	v_add_u32_e32 v2, s16, v2
	v_ashrrev_i32_e32 v3, 31, v2
	global_store_dword v[4:5], v40, off
	v_lshl_add_u64 v[4:5], v[2:3], 2, v[6:7]
	v_add_u32_e32 v2, s16, v2
	v_ashrrev_i32_e32 v3, 31, v2
	global_store_dword v[4:5], v41, off
	v_lshl_add_u64 v[4:5], v[2:3], 2, v[6:7]
	v_add_u32_e32 v2, s16, v2
	v_ashrrev_i32_e32 v3, 31, v2
	global_store_dword v[4:5], v32, off
	v_lshl_add_u64 v[4:5], v[2:3], 2, v[6:7]
	v_add_u32_e32 v2, s16, v2
	v_ashrrev_i32_e32 v3, 31, v2
	global_store_dword v[4:5], v33, off
	v_lshl_add_u64 v[4:5], v[2:3], 2, v[6:7]
	v_add_u32_e32 v2, s16, v2
	v_ashrrev_i32_e32 v3, 31, v2
	global_store_dword v[4:5], v48, off
	v_lshl_add_u64 v[4:5], v[2:3], 2, v[6:7]
	v_add_u32_e32 v2, s16, v2
	v_ashrrev_i32_e32 v3, 31, v2
	global_store_dword v[4:5], v49, off
	v_lshl_add_u64 v[4:5], v[2:3], 2, v[6:7]
	v_add_u32_e32 v2, s16, v2
	v_ashrrev_i32_e32 v3, 31, v2
	global_store_dword v[4:5], v42, off
	v_lshl_add_u64 v[4:5], v[2:3], 2, v[6:7]
	v_add_u32_e32 v2, s16, v2
	v_ashrrev_i32_e32 v3, 31, v2
	global_store_dword v[4:5], v43, off
	v_lshl_add_u64 v[4:5], v[2:3], 2, v[6:7]
	v_add_u32_e32 v2, s16, v2
	v_ashrrev_i32_e32 v3, 31, v2
	global_store_dword v[4:5], v34, off
	v_lshl_add_u64 v[4:5], v[2:3], 2, v[6:7]
	v_add_u32_e32 v2, s16, v2
	v_ashrrev_i32_e32 v3, 31, v2
	global_store_dword v[4:5], v35, off
	v_lshl_add_u64 v[4:5], v[2:3], 2, v[6:7]
	v_add_u32_e32 v2, s16, v2
	v_ashrrev_i32_e32 v3, 31, v2
	global_store_dword v[4:5], v24, off
	v_lshl_add_u64 v[4:5], v[2:3], 2, v[6:7]
	v_add_u32_e32 v2, s16, v2
	v_ashrrev_i32_e32 v3, 31, v2
	global_store_dword v[4:5], v25, off
	v_lshl_add_u64 v[4:5], v[2:3], 2, v[6:7]
	v_add_u32_e32 v2, s16, v2
	v_ashrrev_i32_e32 v3, 31, v2
	global_store_dword v[4:5], v44, off
	v_lshl_add_u64 v[4:5], v[2:3], 2, v[6:7]
	v_add_u32_e32 v2, s16, v2
	v_ashrrev_i32_e32 v3, 31, v2
	global_store_dword v[4:5], v45, off
	v_lshl_add_u64 v[4:5], v[2:3], 2, v[6:7]
	v_add_u32_e32 v2, s16, v2
	v_ashrrev_i32_e32 v3, 31, v2
	global_store_dword v[4:5], v36, off
	v_lshl_add_u64 v[4:5], v[2:3], 2, v[6:7]
	v_add_u32_e32 v2, s16, v2
	v_ashrrev_i32_e32 v3, 31, v2
	global_store_dword v[4:5], v37, off
	v_lshl_add_u64 v[4:5], v[2:3], 2, v[6:7]
	v_add_u32_e32 v2, s16, v2
	v_ashrrev_i32_e32 v3, 31, v2
	global_store_dword v[4:5], v26, off
	v_lshl_add_u64 v[4:5], v[2:3], 2, v[6:7]
	v_add_u32_e32 v2, s16, v2
	v_ashrrev_i32_e32 v3, 31, v2
	global_store_dword v[4:5], v27, off
	v_lshl_add_u64 v[4:5], v[2:3], 2, v[6:7]
	v_add_u32_e32 v2, s16, v2
	v_ashrrev_i32_e32 v3, 31, v2
	global_store_dword v[4:5], v18, off
	v_lshl_add_u64 v[4:5], v[2:3], 2, v[6:7]
	v_add_u32_e32 v2, s16, v2
	v_ashrrev_i32_e32 v3, 31, v2
	global_store_dword v[4:5], v19, off
	v_lshl_add_u64 v[4:5], v[2:3], 2, v[6:7]
	v_add_u32_e32 v2, s16, v2
	v_ashrrev_i32_e32 v3, 31, v2
	global_store_dword v[4:5], v38, off
	v_lshl_add_u64 v[4:5], v[2:3], 2, v[6:7]
	v_add_u32_e32 v2, s16, v2
	v_ashrrev_i32_e32 v3, 31, v2
	global_store_dword v[4:5], v39, off
	v_lshl_add_u64 v[4:5], v[2:3], 2, v[6:7]
	v_add_u32_e32 v2, s16, v2
	v_ashrrev_i32_e32 v3, 31, v2
	global_store_dword v[4:5], v28, off
	v_lshl_add_u64 v[4:5], v[2:3], 2, v[6:7]
	v_add_u32_e32 v2, s16, v2
	v_ashrrev_i32_e32 v3, 31, v2
	global_store_dword v[4:5], v29, off
	v_lshl_add_u64 v[4:5], v[2:3], 2, v[6:7]
	v_add_u32_e32 v2, s16, v2
	v_ashrrev_i32_e32 v3, 31, v2
	global_store_dword v[4:5], v20, off
	v_lshl_add_u64 v[4:5], v[2:3], 2, v[6:7]
	v_add_u32_e32 v2, s16, v2
	v_ashrrev_i32_e32 v3, 31, v2
	global_store_dword v[4:5], v21, off
	v_lshl_add_u64 v[4:5], v[2:3], 2, v[6:7]
	v_add_u32_e32 v2, s16, v2
	v_ashrrev_i32_e32 v3, 31, v2
	global_store_dword v[4:5], v12, off
	v_lshl_add_u64 v[4:5], v[2:3], 2, v[6:7]
	v_add_u32_e32 v2, s16, v2
	v_ashrrev_i32_e32 v3, 31, v2
	global_store_dword v[4:5], v13, off
	v_lshl_add_u64 v[4:5], v[2:3], 2, v[6:7]
	v_add_u32_e32 v2, s16, v2
	v_ashrrev_i32_e32 v3, 31, v2
	global_store_dword v[4:5], v30, off
	v_lshl_add_u64 v[4:5], v[2:3], 2, v[6:7]
	v_add_u32_e32 v2, s16, v2
	v_ashrrev_i32_e32 v3, 31, v2
	global_store_dword v[4:5], v31, off
	v_lshl_add_u64 v[4:5], v[2:3], 2, v[6:7]
	v_add_u32_e32 v2, s16, v2
	v_ashrrev_i32_e32 v3, 31, v2
	global_store_dword v[4:5], v22, off
	v_lshl_add_u64 v[4:5], v[2:3], 2, v[6:7]
	v_add_u32_e32 v2, s16, v2
	v_ashrrev_i32_e32 v3, 31, v2
	global_store_dword v[4:5], v23, off
	v_lshl_add_u64 v[4:5], v[2:3], 2, v[6:7]
	v_add_u32_e32 v2, s16, v2
	v_ashrrev_i32_e32 v3, 31, v2
	global_store_dword v[4:5], v14, off
	v_lshl_add_u64 v[4:5], v[2:3], 2, v[6:7]
	v_add_u32_e32 v2, s16, v2
	v_ashrrev_i32_e32 v3, 31, v2
	global_store_dword v[4:5], v15, off
	v_lshl_add_u64 v[4:5], v[2:3], 2, v[6:7]
	v_add_u32_e32 v2, s16, v2
	v_ashrrev_i32_e32 v3, 31, v2
	global_store_dword v[4:5], v8, off
	v_lshl_add_u64 v[4:5], v[2:3], 2, v[6:7]
	v_add_u32_e32 v2, s16, v2
	v_ashrrev_i32_e32 v3, 31, v2
	global_store_dword v[4:5], v9, off
	v_lshl_add_u64 v[4:5], v[2:3], 2, v[6:7]
	v_add_u32_e32 v2, s16, v2
	v_ashrrev_i32_e32 v3, 31, v2
	global_store_dword v[4:5], v0, off
	v_lshl_add_u64 v[4:5], v[2:3], 2, v[6:7]
	v_add_u32_e32 v0, s16, v2
	global_store_dword v[4:5], v1, off
	v_ashrrev_i32_e32 v1, 31, v0
	v_lshl_add_u64 v[2:3], v[0:1], 2, v[6:7]
	v_add_u32_e32 v0, s16, v0
	v_ashrrev_i32_e32 v1, 31, v0
	global_store_dword v[2:3], v16, off
	v_lshl_add_u64 v[2:3], v[0:1], 2, v[6:7]
	v_add_u32_e32 v0, s16, v0
	v_ashrrev_i32_e32 v1, 31, v0
	global_store_dword v[2:3], v17, off
	v_lshl_add_u64 v[2:3], v[0:1], 2, v[6:7]
	v_add_u32_e32 v0, s16, v0
	v_ashrrev_i32_e32 v1, 31, v0
	v_lshl_add_u64 v[0:1], v[0:1], 2, v[6:7]
	global_store_dword v[2:3], v10, off
	global_store_dword v[0:1], v11, off
.LBB124_1068:
	s_endpgm
	.section	.rodata,"a",@progbits
	.p2align	6, 0x0
	.amdhsa_kernel _ZN9rocsolver6v33100L18getf2_small_kernelILi63EfiiPfEEvT1_T3_lS3_lPS3_llPT2_S3_S3_S5_l
		.amdhsa_group_segment_fixed_size 0
		.amdhsa_private_segment_fixed_size 0
		.amdhsa_kernarg_size 352
		.amdhsa_user_sgpr_count 2
		.amdhsa_user_sgpr_dispatch_ptr 0
		.amdhsa_user_sgpr_queue_ptr 0
		.amdhsa_user_sgpr_kernarg_segment_ptr 1
		.amdhsa_user_sgpr_dispatch_id 0
		.amdhsa_user_sgpr_kernarg_preload_length 0
		.amdhsa_user_sgpr_kernarg_preload_offset 0
		.amdhsa_user_sgpr_private_segment_size 0
		.amdhsa_uses_dynamic_stack 0
		.amdhsa_enable_private_segment 0
		.amdhsa_system_sgpr_workgroup_id_x 1
		.amdhsa_system_sgpr_workgroup_id_y 1
		.amdhsa_system_sgpr_workgroup_id_z 0
		.amdhsa_system_sgpr_workgroup_info 0
		.amdhsa_system_vgpr_workitem_id 1
		.amdhsa_next_free_vgpr 102
		.amdhsa_next_free_sgpr 26
		.amdhsa_accum_offset 104
		.amdhsa_reserve_vcc 1
		.amdhsa_float_round_mode_32 0
		.amdhsa_float_round_mode_16_64 0
		.amdhsa_float_denorm_mode_32 3
		.amdhsa_float_denorm_mode_16_64 3
		.amdhsa_dx10_clamp 1
		.amdhsa_ieee_mode 1
		.amdhsa_fp16_overflow 0
		.amdhsa_tg_split 0
		.amdhsa_exception_fp_ieee_invalid_op 0
		.amdhsa_exception_fp_denorm_src 0
		.amdhsa_exception_fp_ieee_div_zero 0
		.amdhsa_exception_fp_ieee_overflow 0
		.amdhsa_exception_fp_ieee_underflow 0
		.amdhsa_exception_fp_ieee_inexact 0
		.amdhsa_exception_int_div_zero 0
	.end_amdhsa_kernel
	.section	.text._ZN9rocsolver6v33100L18getf2_small_kernelILi63EfiiPfEEvT1_T3_lS3_lPS3_llPT2_S3_S3_S5_l,"axG",@progbits,_ZN9rocsolver6v33100L18getf2_small_kernelILi63EfiiPfEEvT1_T3_lS3_lPS3_llPT2_S3_S3_S5_l,comdat
.Lfunc_end124:
	.size	_ZN9rocsolver6v33100L18getf2_small_kernelILi63EfiiPfEEvT1_T3_lS3_lPS3_llPT2_S3_S3_S5_l, .Lfunc_end124-_ZN9rocsolver6v33100L18getf2_small_kernelILi63EfiiPfEEvT1_T3_lS3_lPS3_llPT2_S3_S3_S5_l
                                        ; -- End function
	.set _ZN9rocsolver6v33100L18getf2_small_kernelILi63EfiiPfEEvT1_T3_lS3_lPS3_llPT2_S3_S3_S5_l.num_vgpr, 102
	.set _ZN9rocsolver6v33100L18getf2_small_kernelILi63EfiiPfEEvT1_T3_lS3_lPS3_llPT2_S3_S3_S5_l.num_agpr, 0
	.set _ZN9rocsolver6v33100L18getf2_small_kernelILi63EfiiPfEEvT1_T3_lS3_lPS3_llPT2_S3_S3_S5_l.numbered_sgpr, 26
	.set _ZN9rocsolver6v33100L18getf2_small_kernelILi63EfiiPfEEvT1_T3_lS3_lPS3_llPT2_S3_S3_S5_l.num_named_barrier, 0
	.set _ZN9rocsolver6v33100L18getf2_small_kernelILi63EfiiPfEEvT1_T3_lS3_lPS3_llPT2_S3_S3_S5_l.private_seg_size, 0
	.set _ZN9rocsolver6v33100L18getf2_small_kernelILi63EfiiPfEEvT1_T3_lS3_lPS3_llPT2_S3_S3_S5_l.uses_vcc, 1
	.set _ZN9rocsolver6v33100L18getf2_small_kernelILi63EfiiPfEEvT1_T3_lS3_lPS3_llPT2_S3_S3_S5_l.uses_flat_scratch, 0
	.set _ZN9rocsolver6v33100L18getf2_small_kernelILi63EfiiPfEEvT1_T3_lS3_lPS3_llPT2_S3_S3_S5_l.has_dyn_sized_stack, 0
	.set _ZN9rocsolver6v33100L18getf2_small_kernelILi63EfiiPfEEvT1_T3_lS3_lPS3_llPT2_S3_S3_S5_l.has_recursion, 0
	.set _ZN9rocsolver6v33100L18getf2_small_kernelILi63EfiiPfEEvT1_T3_lS3_lPS3_llPT2_S3_S3_S5_l.has_indirect_call, 0
	.section	.AMDGPU.csdata,"",@progbits
; Kernel info:
; codeLenInByte = 59512
; TotalNumSgprs: 32
; NumVgprs: 102
; NumAgprs: 0
; TotalNumVgprs: 102
; ScratchSize: 0
; MemoryBound: 0
; FloatMode: 240
; IeeeMode: 1
; LDSByteSize: 0 bytes/workgroup (compile time only)
; SGPRBlocks: 3
; VGPRBlocks: 12
; NumSGPRsForWavesPerEU: 32
; NumVGPRsForWavesPerEU: 102
; AccumOffset: 104
; Occupancy: 4
; WaveLimiterHint : 0
; COMPUTE_PGM_RSRC2:SCRATCH_EN: 0
; COMPUTE_PGM_RSRC2:USER_SGPR: 2
; COMPUTE_PGM_RSRC2:TRAP_HANDLER: 0
; COMPUTE_PGM_RSRC2:TGID_X_EN: 1
; COMPUTE_PGM_RSRC2:TGID_Y_EN: 1
; COMPUTE_PGM_RSRC2:TGID_Z_EN: 0
; COMPUTE_PGM_RSRC2:TIDIG_COMP_CNT: 1
; COMPUTE_PGM_RSRC3_GFX90A:ACCUM_OFFSET: 25
; COMPUTE_PGM_RSRC3_GFX90A:TG_SPLIT: 0
	.section	.text._ZN9rocsolver6v33100L23getf2_npvt_small_kernelILi63EfiiPfEEvT1_T3_lS3_lPT2_S3_S3_,"axG",@progbits,_ZN9rocsolver6v33100L23getf2_npvt_small_kernelILi63EfiiPfEEvT1_T3_lS3_lPT2_S3_S3_,comdat
	.globl	_ZN9rocsolver6v33100L23getf2_npvt_small_kernelILi63EfiiPfEEvT1_T3_lS3_lPT2_S3_S3_ ; -- Begin function _ZN9rocsolver6v33100L23getf2_npvt_small_kernelILi63EfiiPfEEvT1_T3_lS3_lPT2_S3_S3_
	.p2align	8
	.type	_ZN9rocsolver6v33100L23getf2_npvt_small_kernelILi63EfiiPfEEvT1_T3_lS3_lPT2_S3_S3_,@function
_ZN9rocsolver6v33100L23getf2_npvt_small_kernelILi63EfiiPfEEvT1_T3_lS3_lPT2_S3_S3_: ; @_ZN9rocsolver6v33100L23getf2_npvt_small_kernelILi63EfiiPfEEvT1_T3_lS3_lPT2_S3_S3_
; %bb.0:
	s_load_dword s2, s[0:1], 0x44
	s_load_dwordx2 s[8:9], s[0:1], 0x30
	v_bfe_u32 v192, v0, 10, 10
	s_waitcnt lgkmcnt(0)
	s_lshr_b32 s10, s2, 16
	s_mul_i32 s3, s3, s10
	v_add_u32_e32 v34, s3, v192
	v_cmp_gt_i32_e32 vcc, s8, v34
	s_and_saveexec_b64 s[2:3], vcc
	s_cbranch_execz .LBB125_349
; %bb.1:
	s_load_dwordx4 s[12:15], s[0:1], 0x8
	s_load_dword s2, s[0:1], 0x18
	s_load_dwordx4 s[4:7], s[0:1], 0x20
	v_and_b32_e32 v25, 0x3ff, v0
	v_ashrrev_i32_e32 v35, 31, v34
	s_waitcnt lgkmcnt(0)
	v_mov_b32_e32 v2, s12
	v_mov_b32_e32 v3, s13
	v_mad_u64_u32 v[0:1], s[0:1], s4, v34, 0
	s_add_i32 s0, s2, s2
	s_nop 0
	v_add_u32_e32 v6, s0, v25
	v_add_u32_e32 v8, s2, v6
	v_add_u32_e32 v10, s2, v8
	v_add_u32_e32 v12, s2, v10
	v_add_u32_e32 v14, s2, v12
	v_add_u32_e32 v26, s2, v14
	v_add_u32_e32 v28, s2, v26
	v_add_u32_e32 v30, s2, v28
	v_add_u32_e32 v32, s2, v30
	v_add_u32_e32 v36, s2, v32
	v_add_u32_e32 v38, s2, v36
	v_add_u32_e32 v40, s2, v38
	v_add_u32_e32 v42, s2, v40
	v_add_u32_e32 v52, s2, v42
	v_add_u32_e32 v54, s2, v52
	v_add_u32_e32 v56, s2, v54
	v_add_u32_e32 v58, s2, v56
	v_add_u32_e32 v60, s2, v58
	v_add_u32_e32 v62, s2, v60
	v_add_u32_e32 v64, s2, v62
	v_add_u32_e32 v66, s2, v64
	v_add_u32_e32 v76, s2, v66
	v_add_u32_e32 v78, s2, v76
	v_add_u32_e32 v80, s2, v78
	v_add_u32_e32 v82, s2, v80
	v_add_u32_e32 v84, s2, v82
	v_add_u32_e32 v86, s2, v84
	v_add_u32_e32 v88, s2, v86
	v_add_u32_e32 v90, s2, v88
	v_add_u32_e32 v100, s2, v90
	v_add_u32_e32 v102, s2, v100
	v_add_u32_e32 v104, s2, v102
	v_add_u32_e32 v106, s2, v104
	v_add_u32_e32 v108, s2, v106
	v_add_u32_e32 v110, s2, v108
	v_add_u32_e32 v112, s2, v110
	v_add_u32_e32 v114, s2, v112
	v_add_u32_e32 v124, s2, v114
	v_add_u32_e32 v126, s2, v124
	v_add_u32_e32 v128, s2, v126
	v_add_u32_e32 v130, s2, v128
	v_add_u32_e32 v132, s2, v130
	v_add_u32_e32 v134, s2, v132
	v_add_u32_e32 v136, s2, v134
	v_add_u32_e32 v138, s2, v136
	v_add_u32_e32 v148, s2, v138
	v_add_u32_e32 v150, s2, v148
	v_add_u32_e32 v152, s2, v150
	v_add_u32_e32 v154, s2, v152
	v_add_u32_e32 v156, s2, v154
	v_add_u32_e32 v158, s2, v156
	v_add_u32_e32 v160, s2, v158
	v_add_u32_e32 v162, s2, v160
	v_add_u32_e32 v172, s2, v162
	v_add_u32_e32 v174, s2, v172
	v_mul_lo_u32 v4, s5, v34
	v_mul_lo_u32 v5, s4, v35
	v_add_u32_e32 v176, s2, v174
	v_add3_u32 v1, v1, v5, v4
	v_add_u32_e32 v178, s2, v176
	v_lshl_add_u64 v[0:1], v[0:1], 2, v[2:3]
	v_add_u32_e32 v180, s2, v178
	v_lshl_add_u64 v[184:185], s[14:15], 2, v[0:1]
	v_lshlrev_b32_e32 v0, 2, v25
	v_mov_b32_e32 v1, 0
	v_add_u32_e32 v182, s2, v180
	s_ashr_i32 s3, s2, 31
	v_lshl_add_u64 v[0:1], v[184:185], 0, v[0:1]
	v_add_u32_e32 v186, s2, v182
	v_lshl_add_u64 v[2:3], s[2:3], 2, v[0:1]
	v_ashrrev_i32_e32 v7, 31, v6
	v_ashrrev_i32_e32 v9, 31, v8
	;; [unrolled: 1-line block ×60, first 2 shown]
	v_lshl_add_u64 v[4:5], v[6:7], 2, v[184:185]
	v_lshl_add_u64 v[6:7], v[8:9], 2, v[184:185]
	;; [unrolled: 1-line block ×6, first 2 shown]
	scratch_store_dwordx2 off, v[2:3], off offset:20 ; 8-byte Folded Spill
	v_lshl_add_u64 v[26:27], v[28:29], 2, v[184:185]
	v_lshl_add_u64 v[28:29], v[30:31], 2, v[184:185]
	;; [unrolled: 1-line block ×54, first 2 shown]
	v_add_u32_e32 v186, s2, v186
	global_load_dword v24, v[0:1], off
	global_load_dword v18, v[2:3], off
	;; [unrolled: 1-line block ×56, first 2 shown]
	v_ashrrev_i32_e32 v187, 31, v186
	v_lshl_add_u64 v[184:185], v[186:187], 2, v[184:185]
	global_load_dword v165, v[172:173], off
	global_load_dword v186, v[174:175], off
	;; [unrolled: 1-line block ×7, first 2 shown]
	s_mulk_i32 s10, 0xfc
	v_cmp_eq_u32_e64 s[0:1], 0, v25
	v_cmp_ne_u32_e64 s[2:3], 0, v25
	s_movk_i32 s11, 0xfc
	s_add_i32 s8, s10, 0
	s_and_saveexec_b64 s[4:5], s[2:3]
	s_xor_b64 s[4:5], exec, s[4:5]
	s_or_saveexec_b64 s[4:5], s[4:5]
	v_mad_u32_u24 v193, v192, s11, 0
	v_lshl_add_u32 v192, v192, 2, s8
	s_xor_b64 exec, exec, s[4:5]
	s_cbranch_execz .LBB125_5
; %bb.2:
	s_waitcnt vmcnt(62)
	ds_write_b32 v192, v24
	s_waitcnt vmcnt(60)
	ds_write2_b32 v193, v18, v19 offset0:1 offset1:2
	s_waitcnt vmcnt(58)
	ds_write2_b32 v193, v20, v21 offset0:3 offset1:4
	;; [unrolled: 2-line block ×31, first 2 shown]
	ds_read_b32 v194, v192
	s_waitcnt lgkmcnt(0)
	v_cmp_neq_f32_e32 vcc, 0, v194
	s_and_saveexec_b64 s[10:11], vcc
	s_cbranch_execz .LBB125_4
; %bb.3:
	v_div_scale_f32 v195, s[12:13], v194, v194, 1.0
	v_rcp_f32_e32 v196, v195
	v_div_scale_f32 v197, vcc, 1.0, v194, 1.0
	v_fma_f32 v198, -v195, v196, 1.0
	v_fmac_f32_e32 v196, v198, v196
	v_mul_f32_e32 v198, v197, v196
	v_fma_f32 v199, -v195, v198, v197
	v_fmac_f32_e32 v198, v199, v196
	v_fma_f32 v195, -v195, v198, v197
	v_div_fmas_f32 v195, v195, v196, v198
	v_div_fixup_f32 v194, v195, v194, 1.0
	ds_write_b32 v192, v194
.LBB125_4:
	s_or_b64 exec, exec, s[10:11]
.LBB125_5:
	s_or_b64 exec, exec, s[4:5]
	s_waitcnt lgkmcnt(0)
	s_barrier
	ds_read_b32 v194, v192
	s_waitcnt lgkmcnt(0)
	scratch_store_dword off, v194, off      ; 4-byte Folded Spill
	s_and_saveexec_b64 s[4:5], s[2:3]
	s_cbranch_execz .LBB125_7
; %bb.6:
	ds_read2_b32 v[196:197], v193 offset0:1 offset1:2
	ds_read2_b32 v[198:199], v193 offset0:3 offset1:4
	;; [unrolled: 1-line block ×3, first 2 shown]
	scratch_load_dword v194, off, off       ; 4-byte Folded Reload
	ds_read2_b32 v[202:203], v193 offset0:7 offset1:8
	s_waitcnt vmcnt(0)
	v_mul_f32_e32 v24, v194, v24
	s_waitcnt lgkmcnt(3)
	v_pk_fma_f32 v[18:19], v[24:25], v[196:197], v[18:19] op_sel_hi:[0,1,1] neg_lo:[1,0,0] neg_hi:[1,0,0]
	s_waitcnt lgkmcnt(2)
	v_pk_fma_f32 v[20:21], v[24:25], v[198:199], v[20:21] op_sel_hi:[0,1,1] neg_lo:[1,0,0] neg_hi:[1,0,0]
	s_waitcnt lgkmcnt(1)
	v_pk_fma_f32 v[22:23], v[24:25], v[200:201], v[22:23] op_sel_hi:[0,1,1] neg_lo:[1,0,0] neg_hi:[1,0,0]
	ds_read2_b32 v[196:197], v193 offset0:9 offset1:10
	ds_read2_b32 v[198:199], v193 offset0:11 offset1:12
	ds_read2_b32 v[200:201], v193 offset0:13 offset1:14
	s_waitcnt lgkmcnt(3)
	v_pk_fma_f32 v[16:17], v[24:25], v[202:203], v[16:17] op_sel_hi:[0,1,1] neg_lo:[1,0,0] neg_hi:[1,0,0]
	ds_read2_b32 v[202:203], v193 offset0:15 offset1:16
	s_waitcnt lgkmcnt(3)
	v_pk_fma_f32 v[46:47], v[24:25], v[196:197], v[46:47] op_sel_hi:[0,1,1] neg_lo:[1,0,0] neg_hi:[1,0,0]
	s_waitcnt lgkmcnt(2)
	v_pk_fma_f32 v[50:51], v[24:25], v[198:199], v[50:51] op_sel_hi:[0,1,1] neg_lo:[1,0,0] neg_hi:[1,0,0]
	s_waitcnt lgkmcnt(1)
	v_pk_fma_f32 v[44:45], v[24:25], v[200:201], v[44:45] op_sel_hi:[0,1,1] neg_lo:[1,0,0] neg_hi:[1,0,0]
	ds_read2_b32 v[196:197], v193 offset0:17 offset1:18
	ds_read2_b32 v[198:199], v193 offset0:19 offset1:20
	ds_read2_b32 v[200:201], v193 offset0:21 offset1:22
	s_waitcnt lgkmcnt(3)
	v_pk_fma_f32 v[48:49], v[24:25], v[202:203], v[48:49] op_sel_hi:[0,1,1] neg_lo:[1,0,0] neg_hi:[1,0,0]
	ds_read2_b32 v[202:203], v193 offset0:23 offset1:24
	;; [unrolled: 12-line block ×5, first 2 shown]
	s_waitcnt lgkmcnt(3)
	v_pk_fma_f32 v[146:147], v[24:25], v[196:197], v[146:147] op_sel_hi:[0,1,1] neg_lo:[1,0,0] neg_hi:[1,0,0]
	s_waitcnt lgkmcnt(2)
	v_pk_fma_f32 v[140:141], v[24:25], v[198:199], v[140:141] op_sel_hi:[0,1,1] neg_lo:[1,0,0] neg_hi:[1,0,0]
	ds_read2_b32 v[196:197], v193 offset0:49 offset1:50
	ds_read2_b32 v[198:199], v193 offset0:51 offset1:52
	s_waitcnt lgkmcnt(3)
	v_pk_fma_f32 v[142:143], v[24:25], v[200:201], v[142:143] op_sel_hi:[0,1,1] neg_lo:[1,0,0] neg_hi:[1,0,0]
	s_waitcnt lgkmcnt(2)
	v_pk_fma_f32 v[144:145], v[24:25], v[202:203], v[144:145] op_sel_hi:[0,1,1] neg_lo:[1,0,0] neg_hi:[1,0,0]
	ds_read2_b32 v[200:201], v193 offset0:53 offset1:54
	ds_read2_b32 v[202:203], v193 offset0:55 offset1:56
	;; [unrolled: 6-line block ×3, first 2 shown]
	ds_read2_b32 v[204:205], v193 offset0:61 offset1:62
	s_waitcnt lgkmcnt(4)
	v_pk_fma_f32 v[170:171], v[24:25], v[200:201], v[170:171] op_sel_hi:[0,1,1] neg_lo:[1,0,0] neg_hi:[1,0,0]
	s_waitcnt lgkmcnt(3)
	v_pk_fma_f32 v[164:165], v[24:25], v[202:203], v[164:165] op_sel_hi:[0,1,1] neg_lo:[1,0,0] neg_hi:[1,0,0]
	s_waitcnt lgkmcnt(2)
	v_pk_fma_f32 v[186:187], v[24:25], v[196:197], v[186:187] op_sel_hi:[0,1,1] neg_lo:[1,0,0] neg_hi:[1,0,0]
	s_waitcnt lgkmcnt(1)
	v_pk_fma_f32 v[188:189], v[24:25], v[198:199], v[188:189] op_sel_hi:[0,1,1] neg_lo:[1,0,0] neg_hi:[1,0,0]
	s_waitcnt lgkmcnt(0)
	v_pk_fma_f32 v[190:191], v[24:25], v[204:205], v[190:191] op_sel_hi:[0,1,1] neg_lo:[1,0,0] neg_hi:[1,0,0]
.LBB125_7:
	s_or_b64 exec, exec, s[4:5]
	v_cmp_eq_u32_e32 vcc, 1, v25
	s_waitcnt vmcnt(63) expcnt(7) lgkmcnt(15)
	s_barrier
	s_and_saveexec_b64 s[2:3], vcc
	s_cbranch_execz .LBB125_10
; %bb.8:
	s_waitcnt vmcnt(59)
	v_pk_mov_b32 v[196:197], v[18:19], v[20:21] op_sel:[1,0]
	ds_write_b32 v192, v18
	ds_write2_b32 v193, v196, v197 offset0:2 offset1:3
	s_waitcnt vmcnt(57)
	v_pk_mov_b32 v[196:197], v[20:21], v[22:23] op_sel:[1,0]
	ds_write2_b32 v193, v196, v197 offset0:4 offset1:5
	s_waitcnt vmcnt(55)
	v_pk_mov_b32 v[196:197], v[22:23], v[16:17] op_sel:[1,0]
	;; [unrolled: 3-line block ×29, first 2 shown]
	ds_write2_b32 v193, v196, v197 offset0:60 offset1:61
	ds_write_b32 v193, v191 offset:248
	ds_read_b32 v195, v192
	s_waitcnt lgkmcnt(0)
	v_cmp_neq_f32_e32 vcc, 0, v195
	s_and_b64 exec, exec, vcc
	s_cbranch_execz .LBB125_10
; %bb.9:
	v_div_scale_f32 v194, s[4:5], v195, v195, 1.0
	v_rcp_f32_e32 v196, v194
	v_div_scale_f32 v197, vcc, 1.0, v195, 1.0
	v_fma_f32 v198, -v194, v196, 1.0
	v_fmac_f32_e32 v196, v198, v196
	v_mul_f32_e32 v198, v197, v196
	v_fma_f32 v199, -v194, v198, v197
	v_fmac_f32_e32 v198, v199, v196
	v_fma_f32 v194, -v194, v198, v197
	v_div_fmas_f32 v194, v194, v196, v198
	v_div_fixup_f32 v194, v194, v195, 1.0
	ds_write_b32 v192, v194
.LBB125_10:
	s_or_b64 exec, exec, s[2:3]
	s_waitcnt lgkmcnt(0)
	s_barrier
	ds_read_b32 v194, v192
	v_cmp_lt_u32_e32 vcc, 1, v25
	s_waitcnt lgkmcnt(0)
	scratch_store_dword off, v194, off offset:4 ; 4-byte Folded Spill
	s_and_saveexec_b64 s[2:3], vcc
	s_cbranch_execz .LBB125_12
; %bb.11:
	ds_read_b32 v194, v193 offset:8
	ds_read2_b32 v[196:197], v193 offset0:3 offset1:4
	ds_read2_b32 v[198:199], v193 offset0:5 offset1:6
	scratch_load_dword v195, off, off offset:4 ; 4-byte Folded Reload
	ds_read2_b32 v[200:201], v193 offset0:7 offset1:8
	s_waitcnt vmcnt(0)
	v_mul_f32_e32 v18, v195, v18
	s_waitcnt lgkmcnt(3)
	v_fma_f32 v19, -v18, v194, v19
	s_waitcnt lgkmcnt(2)
	v_pk_fma_f32 v[20:21], v[18:19], v[196:197], v[20:21] op_sel_hi:[0,1,1] neg_lo:[1,0,0] neg_hi:[1,0,0]
	s_waitcnt lgkmcnt(1)
	v_pk_fma_f32 v[22:23], v[18:19], v[198:199], v[22:23] op_sel_hi:[0,1,1] neg_lo:[1,0,0] neg_hi:[1,0,0]
	ds_read2_b32 v[196:197], v193 offset0:9 offset1:10
	ds_read2_b32 v[198:199], v193 offset0:11 offset1:12
	ds_read2_b32 v[202:203], v193 offset0:13 offset1:14
	s_waitcnt lgkmcnt(3)
	v_pk_fma_f32 v[16:17], v[18:19], v[200:201], v[16:17] op_sel_hi:[0,1,1] neg_lo:[1,0,0] neg_hi:[1,0,0]
	ds_read2_b32 v[200:201], v193 offset0:15 offset1:16
	s_waitcnt lgkmcnt(3)
	v_pk_fma_f32 v[46:47], v[18:19], v[196:197], v[46:47] op_sel_hi:[0,1,1] neg_lo:[1,0,0] neg_hi:[1,0,0]
	s_waitcnt lgkmcnt(2)
	v_pk_fma_f32 v[50:51], v[18:19], v[198:199], v[50:51] op_sel_hi:[0,1,1] neg_lo:[1,0,0] neg_hi:[1,0,0]
	s_waitcnt lgkmcnt(1)
	v_pk_fma_f32 v[44:45], v[18:19], v[202:203], v[44:45] op_sel_hi:[0,1,1] neg_lo:[1,0,0] neg_hi:[1,0,0]
	ds_read2_b32 v[196:197], v193 offset0:17 offset1:18
	ds_read2_b32 v[198:199], v193 offset0:19 offset1:20
	ds_read2_b32 v[202:203], v193 offset0:21 offset1:22
	s_waitcnt lgkmcnt(3)
	v_pk_fma_f32 v[48:49], v[18:19], v[200:201], v[48:49] op_sel_hi:[0,1,1] neg_lo:[1,0,0] neg_hi:[1,0,0]
	ds_read2_b32 v[200:201], v193 offset0:23 offset1:24
	s_waitcnt lgkmcnt(3)
	v_pk_fma_f32 v[74:75], v[18:19], v[196:197], v[74:75] op_sel_hi:[0,1,1] neg_lo:[1,0,0] neg_hi:[1,0,0]
	;; [unrolled: 12-line block ×5, first 2 shown]
	s_waitcnt lgkmcnt(2)
	v_pk_fma_f32 v[140:141], v[18:19], v[198:199], v[140:141] op_sel_hi:[0,1,1] neg_lo:[1,0,0] neg_hi:[1,0,0]
	ds_read2_b32 v[196:197], v193 offset0:49 offset1:50
	ds_read2_b32 v[198:199], v193 offset0:51 offset1:52
	s_waitcnt lgkmcnt(3)
	v_pk_fma_f32 v[142:143], v[18:19], v[202:203], v[142:143] op_sel_hi:[0,1,1] neg_lo:[1,0,0] neg_hi:[1,0,0]
	s_waitcnt lgkmcnt(2)
	v_pk_fma_f32 v[144:145], v[18:19], v[200:201], v[144:145] op_sel_hi:[0,1,1] neg_lo:[1,0,0] neg_hi:[1,0,0]
	ds_read2_b32 v[200:201], v193 offset0:53 offset1:54
	ds_read2_b32 v[202:203], v193 offset0:55 offset1:56
	s_waitcnt lgkmcnt(3)
	v_pk_fma_f32 v[166:167], v[18:19], v[196:197], v[166:167] op_sel_hi:[0,1,1] neg_lo:[1,0,0] neg_hi:[1,0,0]
	s_waitcnt lgkmcnt(2)
	v_pk_fma_f32 v[168:169], v[18:19], v[198:199], v[168:169] op_sel_hi:[0,1,1] neg_lo:[1,0,0] neg_hi:[1,0,0]
	ds_read2_b32 v[196:197], v193 offset0:57 offset1:58
	ds_read2_b32 v[198:199], v193 offset0:59 offset1:60
	;; [unrolled: 1-line block ×3, first 2 shown]
	s_waitcnt lgkmcnt(4)
	v_pk_fma_f32 v[170:171], v[18:19], v[200:201], v[170:171] op_sel_hi:[0,1,1] neg_lo:[1,0,0] neg_hi:[1,0,0]
	s_waitcnt lgkmcnt(3)
	v_pk_fma_f32 v[164:165], v[18:19], v[202:203], v[164:165] op_sel_hi:[0,1,1] neg_lo:[1,0,0] neg_hi:[1,0,0]
	s_waitcnt lgkmcnt(2)
	v_pk_fma_f32 v[186:187], v[18:19], v[196:197], v[186:187] op_sel_hi:[0,1,1] neg_lo:[1,0,0] neg_hi:[1,0,0]
	s_waitcnt lgkmcnt(1)
	v_pk_fma_f32 v[188:189], v[18:19], v[198:199], v[188:189] op_sel_hi:[0,1,1] neg_lo:[1,0,0] neg_hi:[1,0,0]
	s_waitcnt lgkmcnt(0)
	v_pk_fma_f32 v[190:191], v[18:19], v[204:205], v[190:191] op_sel_hi:[0,1,1] neg_lo:[1,0,0] neg_hi:[1,0,0]
.LBB125_12:
	s_or_b64 exec, exec, s[2:3]
	v_cmp_eq_u32_e32 vcc, 2, v25
	s_waitcnt vmcnt(63) expcnt(7) lgkmcnt(15)
	s_barrier
	s_and_saveexec_b64 s[2:3], vcc
	s_cbranch_execz .LBB125_15
; %bb.13:
	s_waitcnt vmcnt(62)
	ds_write_b32 v192, v19
	s_waitcnt vmcnt(60)
	ds_write2_b32 v193, v20, v21 offset0:3 offset1:4
	s_waitcnt vmcnt(58)
	ds_write2_b32 v193, v22, v23 offset0:5 offset1:6
	;; [unrolled: 2-line block ×30, first 2 shown]
	ds_read_b32 v196, v192
	s_waitcnt lgkmcnt(0)
	v_cmp_neq_f32_e32 vcc, 0, v196
	s_and_b64 exec, exec, vcc
	s_cbranch_execz .LBB125_15
; %bb.14:
	v_div_scale_f32 v194, s[4:5], v196, v196, 1.0
	v_rcp_f32_e32 v195, v194
	v_div_scale_f32 v197, vcc, 1.0, v196, 1.0
	v_fma_f32 v198, -v194, v195, 1.0
	v_fmac_f32_e32 v195, v198, v195
	v_mul_f32_e32 v198, v197, v195
	v_fma_f32 v199, -v194, v198, v197
	v_fmac_f32_e32 v198, v199, v195
	v_fma_f32 v194, -v194, v198, v197
	v_div_fmas_f32 v194, v194, v195, v198
	v_div_fixup_f32 v194, v194, v196, 1.0
	ds_write_b32 v192, v194
.LBB125_15:
	s_or_b64 exec, exec, s[2:3]
	s_waitcnt lgkmcnt(0)
	s_barrier
	ds_read_b32 v194, v192
	v_cmp_lt_u32_e32 vcc, 2, v25
	s_waitcnt lgkmcnt(0)
	scratch_store_dword off, v194, off offset:8 ; 4-byte Folded Spill
	s_and_saveexec_b64 s[2:3], vcc
	s_cbranch_execz .LBB125_17
; %bb.16:
	ds_read2_b32 v[198:199], v193 offset0:3 offset1:4
	ds_read2_b32 v[200:201], v193 offset0:5 offset1:6
	;; [unrolled: 1-line block ×3, first 2 shown]
	scratch_load_dword v194, off, off offset:8 ; 4-byte Folded Reload
	ds_read2_b32 v[206:207], v193 offset0:9 offset1:10
	s_waitcnt vmcnt(0)
	v_mul_f32_e32 v204, v194, v19
	s_waitcnt lgkmcnt(3)
	v_pk_fma_f32 v[20:21], v[204:205], v[198:199], v[20:21] op_sel_hi:[0,1,1] neg_lo:[1,0,0] neg_hi:[1,0,0]
	s_waitcnt lgkmcnt(2)
	v_pk_fma_f32 v[22:23], v[204:205], v[200:201], v[22:23] op_sel_hi:[0,1,1] neg_lo:[1,0,0] neg_hi:[1,0,0]
	s_waitcnt lgkmcnt(1)
	v_pk_fma_f32 v[16:17], v[204:205], v[202:203], v[16:17] op_sel_hi:[0,1,1] neg_lo:[1,0,0] neg_hi:[1,0,0]
	ds_read2_b32 v[198:199], v193 offset0:11 offset1:12
	ds_read2_b32 v[200:201], v193 offset0:13 offset1:14
	ds_read2_b32 v[202:203], v193 offset0:15 offset1:16
	s_waitcnt lgkmcnt(3)
	v_pk_fma_f32 v[46:47], v[204:205], v[206:207], v[46:47] op_sel_hi:[0,1,1] neg_lo:[1,0,0] neg_hi:[1,0,0]
	ds_read2_b32 v[206:207], v193 offset0:17 offset1:18
	s_waitcnt lgkmcnt(3)
	v_pk_fma_f32 v[50:51], v[204:205], v[198:199], v[50:51] op_sel_hi:[0,1,1] neg_lo:[1,0,0] neg_hi:[1,0,0]
	s_waitcnt lgkmcnt(2)
	v_pk_fma_f32 v[44:45], v[204:205], v[200:201], v[44:45] op_sel_hi:[0,1,1] neg_lo:[1,0,0] neg_hi:[1,0,0]
	s_waitcnt lgkmcnt(1)
	v_pk_fma_f32 v[48:49], v[204:205], v[202:203], v[48:49] op_sel_hi:[0,1,1] neg_lo:[1,0,0] neg_hi:[1,0,0]
	ds_read2_b32 v[198:199], v193 offset0:19 offset1:20
	ds_read2_b32 v[200:201], v193 offset0:21 offset1:22
	ds_read2_b32 v[202:203], v193 offset0:23 offset1:24
	s_waitcnt lgkmcnt(3)
	v_pk_fma_f32 v[74:75], v[204:205], v[206:207], v[74:75] op_sel_hi:[0,1,1] neg_lo:[1,0,0] neg_hi:[1,0,0]
	ds_read2_b32 v[206:207], v193 offset0:25 offset1:26
	;; [unrolled: 12-line block ×5, first 2 shown]
	s_waitcnt lgkmcnt(3)
	v_pk_fma_f32 v[140:141], v[204:205], v[198:199], v[140:141] op_sel_hi:[0,1,1] neg_lo:[1,0,0] neg_hi:[1,0,0]
	ds_read2_b32 v[198:199], v193 offset0:51 offset1:52
	s_waitcnt lgkmcnt(3)
	v_pk_fma_f32 v[142:143], v[204:205], v[200:201], v[142:143] op_sel_hi:[0,1,1] neg_lo:[1,0,0] neg_hi:[1,0,0]
	s_waitcnt lgkmcnt(2)
	v_pk_fma_f32 v[144:145], v[204:205], v[202:203], v[144:145] op_sel_hi:[0,1,1] neg_lo:[1,0,0] neg_hi:[1,0,0]
	;; [unrolled: 2-line block ×3, first 2 shown]
	ds_read2_b32 v[200:201], v193 offset0:53 offset1:54
	ds_read2_b32 v[202:203], v193 offset0:55 offset1:56
	;; [unrolled: 1-line block ×3, first 2 shown]
	s_waitcnt lgkmcnt(3)
	v_pk_fma_f32 v[168:169], v[204:205], v[198:199], v[168:169] op_sel_hi:[0,1,1] neg_lo:[1,0,0] neg_hi:[1,0,0]
	ds_read2_b32 v[198:199], v193 offset0:59 offset1:60
	ds_read2_b32 v[208:209], v193 offset0:61 offset1:62
	s_waitcnt lgkmcnt(4)
	v_pk_fma_f32 v[170:171], v[204:205], v[200:201], v[170:171] op_sel_hi:[0,1,1] neg_lo:[1,0,0] neg_hi:[1,0,0]
	s_waitcnt lgkmcnt(3)
	v_pk_fma_f32 v[164:165], v[204:205], v[202:203], v[164:165] op_sel_hi:[0,1,1] neg_lo:[1,0,0] neg_hi:[1,0,0]
	s_waitcnt lgkmcnt(2)
	v_pk_fma_f32 v[186:187], v[204:205], v[206:207], v[186:187] op_sel_hi:[0,1,1] neg_lo:[1,0,0] neg_hi:[1,0,0]
	s_waitcnt lgkmcnt(1)
	v_pk_fma_f32 v[188:189], v[204:205], v[198:199], v[188:189] op_sel_hi:[0,1,1] neg_lo:[1,0,0] neg_hi:[1,0,0]
	s_waitcnt lgkmcnt(0)
	v_pk_fma_f32 v[190:191], v[204:205], v[208:209], v[190:191] op_sel_hi:[0,1,1] neg_lo:[1,0,0] neg_hi:[1,0,0]
	v_mov_b32_e32 v19, v204
.LBB125_17:
	s_or_b64 exec, exec, s[2:3]
	v_cmp_eq_u32_e32 vcc, 3, v25
	s_waitcnt vmcnt(63) expcnt(7) lgkmcnt(15)
	s_barrier
	s_and_saveexec_b64 s[2:3], vcc
	s_cbranch_execz .LBB125_20
; %bb.18:
	s_waitcnt vmcnt(59)
	v_pk_mov_b32 v[198:199], v[20:21], v[22:23] op_sel:[1,0]
	ds_write_b32 v192, v20
	ds_write2_b32 v193, v198, v199 offset0:4 offset1:5
	s_waitcnt vmcnt(57)
	v_pk_mov_b32 v[198:199], v[22:23], v[16:17] op_sel:[1,0]
	ds_write2_b32 v193, v198, v199 offset0:6 offset1:7
	s_waitcnt vmcnt(55)
	v_pk_mov_b32 v[198:199], v[16:17], v[46:47] op_sel:[1,0]
	;; [unrolled: 3-line block ×28, first 2 shown]
	ds_write2_b32 v193, v198, v199 offset0:60 offset1:61
	ds_write_b32 v193, v191 offset:248
	ds_read_b32 v197, v192
	s_waitcnt lgkmcnt(0)
	v_cmp_neq_f32_e32 vcc, 0, v197
	s_and_b64 exec, exec, vcc
	s_cbranch_execz .LBB125_20
; %bb.19:
	v_div_scale_f32 v194, s[4:5], v197, v197, 1.0
	v_rcp_f32_e32 v195, v194
	v_div_scale_f32 v196, vcc, 1.0, v197, 1.0
	v_fma_f32 v198, -v194, v195, 1.0
	v_fmac_f32_e32 v195, v198, v195
	v_mul_f32_e32 v198, v196, v195
	v_fma_f32 v199, -v194, v198, v196
	v_fmac_f32_e32 v198, v199, v195
	v_fma_f32 v194, -v194, v198, v196
	v_div_fmas_f32 v194, v194, v195, v198
	v_div_fixup_f32 v194, v194, v197, 1.0
	ds_write_b32 v192, v194
.LBB125_20:
	s_or_b64 exec, exec, s[2:3]
	s_waitcnt lgkmcnt(0)
	s_barrier
	ds_read_b32 v194, v192
	v_cmp_lt_u32_e32 vcc, 3, v25
	s_waitcnt lgkmcnt(0)
	scratch_store_dword off, v194, off offset:12 ; 4-byte Folded Spill
	s_and_saveexec_b64 s[2:3], vcc
	s_cbranch_execz .LBB125_22
; %bb.21:
	ds_read_b32 v194, v193 offset:16
	ds_read2_b32 v[198:199], v193 offset0:5 offset1:6
	ds_read2_b32 v[200:201], v193 offset0:7 offset1:8
	scratch_load_dword v195, off, off offset:12 ; 4-byte Folded Reload
	ds_read2_b32 v[202:203], v193 offset0:9 offset1:10
	s_waitcnt vmcnt(0)
	v_mul_f32_e32 v20, v195, v20
	s_waitcnt lgkmcnt(3)
	v_fma_f32 v21, -v20, v194, v21
	s_waitcnt lgkmcnt(2)
	v_pk_fma_f32 v[22:23], v[20:21], v[198:199], v[22:23] op_sel_hi:[0,1,1] neg_lo:[1,0,0] neg_hi:[1,0,0]
	s_waitcnt lgkmcnt(1)
	v_pk_fma_f32 v[16:17], v[20:21], v[200:201], v[16:17] op_sel_hi:[0,1,1] neg_lo:[1,0,0] neg_hi:[1,0,0]
	ds_read2_b32 v[198:199], v193 offset0:11 offset1:12
	ds_read2_b32 v[200:201], v193 offset0:13 offset1:14
	ds_read2_b32 v[204:205], v193 offset0:15 offset1:16
	s_waitcnt lgkmcnt(3)
	v_pk_fma_f32 v[46:47], v[20:21], v[202:203], v[46:47] op_sel_hi:[0,1,1] neg_lo:[1,0,0] neg_hi:[1,0,0]
	ds_read2_b32 v[202:203], v193 offset0:17 offset1:18
	s_waitcnt lgkmcnt(3)
	v_pk_fma_f32 v[50:51], v[20:21], v[198:199], v[50:51] op_sel_hi:[0,1,1] neg_lo:[1,0,0] neg_hi:[1,0,0]
	s_waitcnt lgkmcnt(2)
	v_pk_fma_f32 v[44:45], v[20:21], v[200:201], v[44:45] op_sel_hi:[0,1,1] neg_lo:[1,0,0] neg_hi:[1,0,0]
	s_waitcnt lgkmcnt(1)
	v_pk_fma_f32 v[48:49], v[20:21], v[204:205], v[48:49] op_sel_hi:[0,1,1] neg_lo:[1,0,0] neg_hi:[1,0,0]
	ds_read2_b32 v[198:199], v193 offset0:19 offset1:20
	ds_read2_b32 v[200:201], v193 offset0:21 offset1:22
	ds_read2_b32 v[204:205], v193 offset0:23 offset1:24
	s_waitcnt lgkmcnt(3)
	v_pk_fma_f32 v[74:75], v[20:21], v[202:203], v[74:75] op_sel_hi:[0,1,1] neg_lo:[1,0,0] neg_hi:[1,0,0]
	ds_read2_b32 v[202:203], v193 offset0:25 offset1:26
	s_waitcnt lgkmcnt(3)
	v_pk_fma_f32 v[68:69], v[20:21], v[198:199], v[68:69] op_sel_hi:[0,1,1] neg_lo:[1,0,0] neg_hi:[1,0,0]
	;; [unrolled: 12-line block ×5, first 2 shown]
	ds_read2_b32 v[198:199], v193 offset0:51 offset1:52
	s_waitcnt lgkmcnt(3)
	v_pk_fma_f32 v[142:143], v[20:21], v[200:201], v[142:143] op_sel_hi:[0,1,1] neg_lo:[1,0,0] neg_hi:[1,0,0]
	s_waitcnt lgkmcnt(2)
	v_pk_fma_f32 v[144:145], v[20:21], v[204:205], v[144:145] op_sel_hi:[0,1,1] neg_lo:[1,0,0] neg_hi:[1,0,0]
	;; [unrolled: 2-line block ×3, first 2 shown]
	ds_read2_b32 v[200:201], v193 offset0:53 offset1:54
	ds_read2_b32 v[202:203], v193 offset0:55 offset1:56
	;; [unrolled: 1-line block ×3, first 2 shown]
	s_waitcnt lgkmcnt(3)
	v_pk_fma_f32 v[168:169], v[20:21], v[198:199], v[168:169] op_sel_hi:[0,1,1] neg_lo:[1,0,0] neg_hi:[1,0,0]
	ds_read2_b32 v[198:199], v193 offset0:59 offset1:60
	ds_read2_b32 v[206:207], v193 offset0:61 offset1:62
	s_waitcnt lgkmcnt(4)
	v_pk_fma_f32 v[170:171], v[20:21], v[200:201], v[170:171] op_sel_hi:[0,1,1] neg_lo:[1,0,0] neg_hi:[1,0,0]
	s_waitcnt lgkmcnt(3)
	v_pk_fma_f32 v[164:165], v[20:21], v[202:203], v[164:165] op_sel_hi:[0,1,1] neg_lo:[1,0,0] neg_hi:[1,0,0]
	;; [unrolled: 2-line block ×5, first 2 shown]
.LBB125_22:
	s_or_b64 exec, exec, s[2:3]
	v_cmp_ne_u32_e32 vcc, 4, v25
	s_waitcnt vmcnt(63) expcnt(7) lgkmcnt(15)
	s_barrier
	s_and_saveexec_b64 s[2:3], vcc
	s_xor_b64 s[2:3], exec, s[2:3]
	s_andn2_saveexec_b64 s[2:3], s[2:3]
	s_cbranch_execz .LBB125_26
; %bb.23:
	s_waitcnt vmcnt(62)
	ds_write_b32 v192, v21
	s_waitcnt vmcnt(60)
	ds_write2_b32 v193, v22, v23 offset0:5 offset1:6
	s_waitcnt vmcnt(58)
	ds_write2_b32 v193, v16, v17 offset0:7 offset1:8
	;; [unrolled: 2-line block ×29, first 2 shown]
	ds_read_b32 v198, v192
	s_waitcnt lgkmcnt(0)
	v_cmp_neq_f32_e32 vcc, 0, v198
	s_and_saveexec_b64 s[4:5], vcc
	s_cbranch_execz .LBB125_25
; %bb.24:
	v_div_scale_f32 v194, s[10:11], v198, v198, 1.0
	v_rcp_f32_e32 v195, v194
	v_div_scale_f32 v196, vcc, 1.0, v198, 1.0
	v_fma_f32 v197, -v194, v195, 1.0
	v_fmac_f32_e32 v195, v197, v195
	v_mul_f32_e32 v197, v196, v195
	v_fma_f32 v199, -v194, v197, v196
	v_fmac_f32_e32 v197, v199, v195
	v_fma_f32 v194, -v194, v197, v196
	v_div_fmas_f32 v194, v194, v195, v197
	v_div_fixup_f32 v194, v194, v198, 1.0
	ds_write_b32 v192, v194
.LBB125_25:
	s_or_b64 exec, exec, s[4:5]
.LBB125_26:
	s_or_b64 exec, exec, s[2:3]
	s_waitcnt lgkmcnt(0)
	s_barrier
	ds_read_b32 v198, v192
	v_cmp_lt_u32_e32 vcc, 4, v25
	s_and_saveexec_b64 s[2:3], vcc
	s_cbranch_execz .LBB125_28
; %bb.27:
	ds_read2_b32 v[200:201], v193 offset0:5 offset1:6
	ds_read2_b32 v[202:203], v193 offset0:7 offset1:8
	;; [unrolled: 1-line block ×3, first 2 shown]
	s_waitcnt vmcnt(62) lgkmcnt(3)
	v_mul_f32_e32 v206, v198, v21
	ds_read2_b32 v[208:209], v193 offset0:11 offset1:12
	s_waitcnt vmcnt(60) lgkmcnt(3)
	v_pk_fma_f32 v[22:23], v[206:207], v[200:201], v[22:23] op_sel_hi:[0,1,1] neg_lo:[1,0,0] neg_hi:[1,0,0]
	s_waitcnt vmcnt(58) lgkmcnt(2)
	v_pk_fma_f32 v[16:17], v[206:207], v[202:203], v[16:17] op_sel_hi:[0,1,1] neg_lo:[1,0,0] neg_hi:[1,0,0]
	s_waitcnt vmcnt(56) lgkmcnt(1)
	v_pk_fma_f32 v[46:47], v[206:207], v[204:205], v[46:47] op_sel_hi:[0,1,1] neg_lo:[1,0,0] neg_hi:[1,0,0]
	ds_read2_b32 v[200:201], v193 offset0:13 offset1:14
	ds_read2_b32 v[202:203], v193 offset0:15 offset1:16
	ds_read2_b32 v[204:205], v193 offset0:17 offset1:18
	s_waitcnt vmcnt(54) lgkmcnt(3)
	v_pk_fma_f32 v[50:51], v[206:207], v[208:209], v[50:51] op_sel_hi:[0,1,1] neg_lo:[1,0,0] neg_hi:[1,0,0]
	ds_read2_b32 v[208:209], v193 offset0:19 offset1:20
	s_waitcnt vmcnt(52) lgkmcnt(3)
	v_pk_fma_f32 v[44:45], v[206:207], v[200:201], v[44:45] op_sel_hi:[0,1,1] neg_lo:[1,0,0] neg_hi:[1,0,0]
	s_waitcnt vmcnt(50) lgkmcnt(2)
	v_pk_fma_f32 v[48:49], v[206:207], v[202:203], v[48:49] op_sel_hi:[0,1,1] neg_lo:[1,0,0] neg_hi:[1,0,0]
	s_waitcnt vmcnt(48) lgkmcnt(1)
	v_pk_fma_f32 v[74:75], v[206:207], v[204:205], v[74:75] op_sel_hi:[0,1,1] neg_lo:[1,0,0] neg_hi:[1,0,0]
	ds_read2_b32 v[200:201], v193 offset0:21 offset1:22
	ds_read2_b32 v[202:203], v193 offset0:23 offset1:24
	ds_read2_b32 v[204:205], v193 offset0:25 offset1:26
	s_waitcnt vmcnt(46) lgkmcnt(3)
	v_pk_fma_f32 v[68:69], v[206:207], v[208:209], v[68:69] op_sel_hi:[0,1,1] neg_lo:[1,0,0] neg_hi:[1,0,0]
	;; [unrolled: 12-line block ×4, first 2 shown]
	ds_read2_b32 v[208:209], v193 offset0:43 offset1:44
	s_waitcnt vmcnt(28) lgkmcnt(3)
	v_pk_fma_f32 v[116:117], v[206:207], v[200:201], v[116:117] op_sel_hi:[0,1,1] neg_lo:[1,0,0] neg_hi:[1,0,0]
	s_waitcnt vmcnt(26) lgkmcnt(2)
	v_pk_fma_f32 v[120:121], v[206:207], v[202:203], v[120:121] op_sel_hi:[0,1,1] neg_lo:[1,0,0] neg_hi:[1,0,0]
	;; [unrolled: 2-line block ×3, first 2 shown]
	ds_read2_b32 v[200:201], v193 offset0:45 offset1:46
	ds_read2_b32 v[202:203], v193 offset0:47 offset1:48
	ds_read2_b32 v[204:205], v193 offset0:49 offset1:50
	ds_read2_b32 v[210:211], v193 offset0:51 offset1:52
	s_waitcnt vmcnt(22) lgkmcnt(4)
	v_pk_fma_f32 v[140:141], v[206:207], v[208:209], v[140:141] op_sel_hi:[0,1,1] neg_lo:[1,0,0] neg_hi:[1,0,0]
	s_waitcnt vmcnt(20) lgkmcnt(3)
	v_pk_fma_f32 v[142:143], v[206:207], v[200:201], v[142:143] op_sel_hi:[0,1,1] neg_lo:[1,0,0] neg_hi:[1,0,0]
	;; [unrolled: 2-line block ×5, first 2 shown]
	ds_read2_b32 v[200:201], v193 offset0:53 offset1:54
	ds_read2_b32 v[202:203], v193 offset0:55 offset1:56
	;; [unrolled: 1-line block ×5, first 2 shown]
	s_waitcnt vmcnt(12) lgkmcnt(4)
	v_pk_fma_f32 v[170:171], v[206:207], v[200:201], v[170:171] op_sel_hi:[0,1,1] neg_lo:[1,0,0] neg_hi:[1,0,0]
	s_waitcnt vmcnt(10) lgkmcnt(3)
	v_pk_fma_f32 v[164:165], v[206:207], v[202:203], v[164:165] op_sel_hi:[0,1,1] neg_lo:[1,0,0] neg_hi:[1,0,0]
	s_waitcnt vmcnt(8) lgkmcnt(2)
	v_pk_fma_f32 v[186:187], v[206:207], v[204:205], v[186:187] op_sel_hi:[0,1,1] neg_lo:[1,0,0] neg_hi:[1,0,0]
	s_waitcnt vmcnt(6) lgkmcnt(1)
	v_pk_fma_f32 v[188:189], v[206:207], v[208:209], v[188:189] op_sel_hi:[0,1,1] neg_lo:[1,0,0] neg_hi:[1,0,0]
	s_waitcnt vmcnt(4) lgkmcnt(0)
	v_pk_fma_f32 v[190:191], v[206:207], v[210:211], v[190:191] op_sel_hi:[0,1,1] neg_lo:[1,0,0] neg_hi:[1,0,0]
	v_mov_b32_e32 v21, v206
.LBB125_28:
	s_or_b64 exec, exec, s[2:3]
	v_cmp_eq_u32_e32 vcc, 5, v25
	s_waitcnt lgkmcnt(0)
	s_barrier
	s_and_saveexec_b64 s[2:3], vcc
	s_cbranch_execz .LBB125_31
; %bb.29:
	s_waitcnt vmcnt(58)
	v_pk_mov_b32 v[200:201], v[22:23], v[16:17] op_sel:[1,0]
	ds_write_b32 v192, v22
	ds_write2_b32 v193, v200, v201 offset0:6 offset1:7
	s_waitcnt vmcnt(56)
	v_pk_mov_b32 v[200:201], v[16:17], v[46:47] op_sel:[1,0]
	ds_write2_b32 v193, v200, v201 offset0:8 offset1:9
	s_waitcnt vmcnt(54)
	v_pk_mov_b32 v[200:201], v[46:47], v[50:51] op_sel:[1,0]
	;; [unrolled: 3-line block ×27, first 2 shown]
	ds_write2_b32 v193, v200, v201 offset0:60 offset1:61
	ds_write_b32 v193, v191 offset:248
	ds_read_b32 v199, v192
	s_waitcnt lgkmcnt(0)
	v_cmp_neq_f32_e32 vcc, 0, v199
	s_and_b64 exec, exec, vcc
	s_cbranch_execz .LBB125_31
; %bb.30:
	v_div_scale_f32 v194, s[4:5], v199, v199, 1.0
	v_rcp_f32_e32 v195, v194
	v_div_scale_f32 v196, vcc, 1.0, v199, 1.0
	v_fma_f32 v197, -v194, v195, 1.0
	v_fmac_f32_e32 v195, v197, v195
	v_mul_f32_e32 v197, v196, v195
	v_fma_f32 v200, -v194, v197, v196
	v_fmac_f32_e32 v197, v200, v195
	v_fma_f32 v194, -v194, v197, v196
	v_div_fmas_f32 v194, v194, v195, v197
	v_div_fixup_f32 v194, v194, v199, 1.0
	ds_write_b32 v192, v194
.LBB125_31:
	s_or_b64 exec, exec, s[2:3]
	s_waitcnt lgkmcnt(0)
	s_barrier
	ds_read_b32 v199, v192
	v_cmp_lt_u32_e32 vcc, 5, v25
	s_and_saveexec_b64 s[2:3], vcc
	s_cbranch_execz .LBB125_33
; %bb.32:
	ds_read_b32 v194, v193 offset:24
	ds_read2_b32 v[200:201], v193 offset0:7 offset1:8
	ds_read2_b32 v[202:203], v193 offset0:9 offset1:10
	s_waitcnt vmcnt(61) lgkmcnt(3)
	v_mul_f32_e32 v22, v199, v22
	ds_read2_b32 v[204:205], v193 offset0:11 offset1:12
	s_waitcnt vmcnt(60) lgkmcnt(3)
	v_fma_f32 v23, -v22, v194, v23
	s_waitcnt vmcnt(58) lgkmcnt(2)
	v_pk_fma_f32 v[16:17], v[22:23], v[200:201], v[16:17] op_sel_hi:[0,1,1] neg_lo:[1,0,0] neg_hi:[1,0,0]
	s_waitcnt vmcnt(56) lgkmcnt(1)
	v_pk_fma_f32 v[46:47], v[22:23], v[202:203], v[46:47] op_sel_hi:[0,1,1] neg_lo:[1,0,0] neg_hi:[1,0,0]
	ds_read2_b32 v[200:201], v193 offset0:13 offset1:14
	ds_read2_b32 v[202:203], v193 offset0:15 offset1:16
	ds_read2_b32 v[206:207], v193 offset0:17 offset1:18
	s_waitcnt vmcnt(54) lgkmcnt(3)
	v_pk_fma_f32 v[50:51], v[22:23], v[204:205], v[50:51] op_sel_hi:[0,1,1] neg_lo:[1,0,0] neg_hi:[1,0,0]
	ds_read2_b32 v[204:205], v193 offset0:19 offset1:20
	s_waitcnt vmcnt(52) lgkmcnt(3)
	v_pk_fma_f32 v[44:45], v[22:23], v[200:201], v[44:45] op_sel_hi:[0,1,1] neg_lo:[1,0,0] neg_hi:[1,0,0]
	s_waitcnt vmcnt(50) lgkmcnt(2)
	v_pk_fma_f32 v[48:49], v[22:23], v[202:203], v[48:49] op_sel_hi:[0,1,1] neg_lo:[1,0,0] neg_hi:[1,0,0]
	s_waitcnt vmcnt(48) lgkmcnt(1)
	v_pk_fma_f32 v[74:75], v[22:23], v[206:207], v[74:75] op_sel_hi:[0,1,1] neg_lo:[1,0,0] neg_hi:[1,0,0]
	ds_read2_b32 v[200:201], v193 offset0:21 offset1:22
	ds_read2_b32 v[202:203], v193 offset0:23 offset1:24
	ds_read2_b32 v[206:207], v193 offset0:25 offset1:26
	s_waitcnt vmcnt(46) lgkmcnt(3)
	v_pk_fma_f32 v[68:69], v[22:23], v[204:205], v[68:69] op_sel_hi:[0,1,1] neg_lo:[1,0,0] neg_hi:[1,0,0]
	ds_read2_b32 v[204:205], v193 offset0:27 offset1:28
	s_waitcnt vmcnt(44) lgkmcnt(3)
	v_pk_fma_f32 v[70:71], v[22:23], v[200:201], v[70:71] op_sel_hi:[0,1,1] neg_lo:[1,0,0] neg_hi:[1,0,0]
	;; [unrolled: 12-line block ×4, first 2 shown]
	s_waitcnt vmcnt(26) lgkmcnt(2)
	v_pk_fma_f32 v[120:121], v[22:23], v[202:203], v[120:121] op_sel_hi:[0,1,1] neg_lo:[1,0,0] neg_hi:[1,0,0]
	s_waitcnt vmcnt(24) lgkmcnt(1)
	v_pk_fma_f32 v[146:147], v[22:23], v[206:207], v[146:147] op_sel_hi:[0,1,1] neg_lo:[1,0,0] neg_hi:[1,0,0]
	ds_read2_b32 v[200:201], v193 offset0:45 offset1:46
	ds_read2_b32 v[202:203], v193 offset0:47 offset1:48
	;; [unrolled: 1-line block ×4, first 2 shown]
	s_waitcnt vmcnt(22) lgkmcnt(4)
	v_pk_fma_f32 v[140:141], v[22:23], v[204:205], v[140:141] op_sel_hi:[0,1,1] neg_lo:[1,0,0] neg_hi:[1,0,0]
	s_waitcnt vmcnt(20) lgkmcnt(3)
	v_pk_fma_f32 v[142:143], v[22:23], v[200:201], v[142:143] op_sel_hi:[0,1,1] neg_lo:[1,0,0] neg_hi:[1,0,0]
	;; [unrolled: 2-line block ×5, first 2 shown]
	ds_read2_b32 v[200:201], v193 offset0:53 offset1:54
	ds_read2_b32 v[202:203], v193 offset0:55 offset1:56
	;; [unrolled: 1-line block ×5, first 2 shown]
	s_waitcnt vmcnt(12) lgkmcnt(4)
	v_pk_fma_f32 v[170:171], v[22:23], v[200:201], v[170:171] op_sel_hi:[0,1,1] neg_lo:[1,0,0] neg_hi:[1,0,0]
	s_waitcnt vmcnt(10) lgkmcnt(3)
	v_pk_fma_f32 v[164:165], v[22:23], v[202:203], v[164:165] op_sel_hi:[0,1,1] neg_lo:[1,0,0] neg_hi:[1,0,0]
	;; [unrolled: 2-line block ×5, first 2 shown]
.LBB125_33:
	s_or_b64 exec, exec, s[2:3]
	v_cmp_ne_u32_e32 vcc, 6, v25
	s_waitcnt lgkmcnt(0)
	s_barrier
	s_and_saveexec_b64 s[2:3], vcc
	s_xor_b64 s[2:3], exec, s[2:3]
	s_andn2_saveexec_b64 s[2:3], s[2:3]
	s_cbranch_execz .LBB125_37
; %bb.34:
	s_waitcnt vmcnt(60)
	ds_write_b32 v192, v23
	s_waitcnt vmcnt(58)
	ds_write2_b32 v193, v16, v17 offset0:7 offset1:8
	s_waitcnt vmcnt(56)
	ds_write2_b32 v193, v46, v47 offset0:9 offset1:10
	;; [unrolled: 2-line block ×28, first 2 shown]
	ds_read_b32 v200, v192
	s_waitcnt lgkmcnt(0)
	v_cmp_neq_f32_e32 vcc, 0, v200
	s_and_saveexec_b64 s[4:5], vcc
	s_cbranch_execz .LBB125_36
; %bb.35:
	v_div_scale_f32 v194, s[10:11], v200, v200, 1.0
	v_rcp_f32_e32 v195, v194
	v_div_scale_f32 v196, vcc, 1.0, v200, 1.0
	v_fma_f32 v197, -v194, v195, 1.0
	v_fmac_f32_e32 v195, v197, v195
	v_mul_f32_e32 v197, v196, v195
	v_fma_f32 v201, -v194, v197, v196
	v_fmac_f32_e32 v197, v201, v195
	v_fma_f32 v194, -v194, v197, v196
	v_div_fmas_f32 v194, v194, v195, v197
	v_div_fixup_f32 v194, v194, v200, 1.0
	ds_write_b32 v192, v194
.LBB125_36:
	s_or_b64 exec, exec, s[4:5]
.LBB125_37:
	s_or_b64 exec, exec, s[2:3]
	s_waitcnt lgkmcnt(0)
	s_barrier
	ds_read_b32 v200, v192
	v_cmp_lt_u32_e32 vcc, 6, v25
	s_and_saveexec_b64 s[2:3], vcc
	s_cbranch_execz .LBB125_39
; %bb.38:
	ds_read2_b32 v[202:203], v193 offset0:7 offset1:8
	ds_read2_b32 v[204:205], v193 offset0:9 offset1:10
	;; [unrolled: 1-line block ×3, first 2 shown]
	s_waitcnt vmcnt(60) lgkmcnt(3)
	v_mul_f32_e32 v208, v200, v23
	ds_read2_b32 v[210:211], v193 offset0:13 offset1:14
	s_waitcnt vmcnt(58) lgkmcnt(3)
	v_pk_fma_f32 v[16:17], v[208:209], v[202:203], v[16:17] op_sel_hi:[0,1,1] neg_lo:[1,0,0] neg_hi:[1,0,0]
	s_waitcnt vmcnt(56) lgkmcnt(2)
	v_pk_fma_f32 v[46:47], v[208:209], v[204:205], v[46:47] op_sel_hi:[0,1,1] neg_lo:[1,0,0] neg_hi:[1,0,0]
	s_waitcnt vmcnt(54) lgkmcnt(1)
	v_pk_fma_f32 v[50:51], v[208:209], v[206:207], v[50:51] op_sel_hi:[0,1,1] neg_lo:[1,0,0] neg_hi:[1,0,0]
	ds_read2_b32 v[202:203], v193 offset0:15 offset1:16
	ds_read2_b32 v[204:205], v193 offset0:17 offset1:18
	ds_read2_b32 v[206:207], v193 offset0:19 offset1:20
	s_waitcnt vmcnt(52) lgkmcnt(3)
	v_pk_fma_f32 v[44:45], v[208:209], v[210:211], v[44:45] op_sel_hi:[0,1,1] neg_lo:[1,0,0] neg_hi:[1,0,0]
	ds_read2_b32 v[210:211], v193 offset0:21 offset1:22
	s_waitcnt vmcnt(50) lgkmcnt(3)
	v_pk_fma_f32 v[48:49], v[208:209], v[202:203], v[48:49] op_sel_hi:[0,1,1] neg_lo:[1,0,0] neg_hi:[1,0,0]
	s_waitcnt vmcnt(48) lgkmcnt(2)
	v_pk_fma_f32 v[74:75], v[208:209], v[204:205], v[74:75] op_sel_hi:[0,1,1] neg_lo:[1,0,0] neg_hi:[1,0,0]
	s_waitcnt vmcnt(46) lgkmcnt(1)
	v_pk_fma_f32 v[68:69], v[208:209], v[206:207], v[68:69] op_sel_hi:[0,1,1] neg_lo:[1,0,0] neg_hi:[1,0,0]
	ds_read2_b32 v[202:203], v193 offset0:23 offset1:24
	ds_read2_b32 v[204:205], v193 offset0:25 offset1:26
	ds_read2_b32 v[206:207], v193 offset0:27 offset1:28
	s_waitcnt vmcnt(44) lgkmcnt(3)
	v_pk_fma_f32 v[70:71], v[208:209], v[210:211], v[70:71] op_sel_hi:[0,1,1] neg_lo:[1,0,0] neg_hi:[1,0,0]
	;; [unrolled: 12-line block ×5, first 2 shown]
	ds_read2_b32 v[210:211], v193 offset0:53 offset1:54
	s_waitcnt vmcnt(18) lgkmcnt(3)
	v_pk_fma_f32 v[144:145], v[208:209], v[202:203], v[144:145] op_sel_hi:[0,1,1] neg_lo:[1,0,0] neg_hi:[1,0,0]
	s_waitcnt vmcnt(16) lgkmcnt(2)
	v_pk_fma_f32 v[166:167], v[208:209], v[204:205], v[166:167] op_sel_hi:[0,1,1] neg_lo:[1,0,0] neg_hi:[1,0,0]
	;; [unrolled: 2-line block ×3, first 2 shown]
	ds_read2_b32 v[202:203], v193 offset0:55 offset1:56
	ds_read2_b32 v[204:205], v193 offset0:57 offset1:58
	ds_read2_b32 v[206:207], v193 offset0:59 offset1:60
	ds_read2_b32 v[212:213], v193 offset0:61 offset1:62
	s_waitcnt vmcnt(12) lgkmcnt(4)
	v_pk_fma_f32 v[170:171], v[208:209], v[210:211], v[170:171] op_sel_hi:[0,1,1] neg_lo:[1,0,0] neg_hi:[1,0,0]
	s_waitcnt vmcnt(10) lgkmcnt(3)
	v_pk_fma_f32 v[164:165], v[208:209], v[202:203], v[164:165] op_sel_hi:[0,1,1] neg_lo:[1,0,0] neg_hi:[1,0,0]
	;; [unrolled: 2-line block ×5, first 2 shown]
	v_mov_b32_e32 v23, v208
.LBB125_39:
	s_or_b64 exec, exec, s[2:3]
	v_cmp_eq_u32_e32 vcc, 7, v25
	s_waitcnt lgkmcnt(0)
	s_barrier
	s_and_saveexec_b64 s[2:3], vcc
	s_cbranch_execz .LBB125_42
; %bb.40:
	s_waitcnt vmcnt(56)
	v_pk_mov_b32 v[202:203], v[16:17], v[46:47] op_sel:[1,0]
	ds_write_b32 v192, v16
	ds_write2_b32 v193, v202, v203 offset0:8 offset1:9
	s_waitcnt vmcnt(54)
	v_pk_mov_b32 v[202:203], v[46:47], v[50:51] op_sel:[1,0]
	ds_write2_b32 v193, v202, v203 offset0:10 offset1:11
	s_waitcnt vmcnt(52)
	v_pk_mov_b32 v[202:203], v[50:51], v[44:45] op_sel:[1,0]
	;; [unrolled: 3-line block ×26, first 2 shown]
	ds_write2_b32 v193, v202, v203 offset0:60 offset1:61
	ds_write_b32 v193, v191 offset:248
	ds_read_b32 v201, v192
	s_waitcnt lgkmcnt(0)
	v_cmp_neq_f32_e32 vcc, 0, v201
	s_and_b64 exec, exec, vcc
	s_cbranch_execz .LBB125_42
; %bb.41:
	v_div_scale_f32 v194, s[4:5], v201, v201, 1.0
	v_rcp_f32_e32 v195, v194
	v_div_scale_f32 v196, vcc, 1.0, v201, 1.0
	v_fma_f32 v197, -v194, v195, 1.0
	v_fmac_f32_e32 v195, v197, v195
	v_mul_f32_e32 v197, v196, v195
	v_fma_f32 v202, -v194, v197, v196
	v_fmac_f32_e32 v197, v202, v195
	v_fma_f32 v194, -v194, v197, v196
	v_div_fmas_f32 v194, v194, v195, v197
	v_div_fixup_f32 v194, v194, v201, 1.0
	ds_write_b32 v192, v194
.LBB125_42:
	s_or_b64 exec, exec, s[2:3]
	s_waitcnt lgkmcnt(0)
	s_barrier
	ds_read_b32 v201, v192
	v_cmp_lt_u32_e32 vcc, 7, v25
	s_and_saveexec_b64 s[2:3], vcc
	s_cbranch_execz .LBB125_44
; %bb.43:
	ds_read_b32 v194, v193 offset:32
	ds_read2_b32 v[202:203], v193 offset0:9 offset1:10
	ds_read2_b32 v[204:205], v193 offset0:11 offset1:12
	s_waitcnt vmcnt(59) lgkmcnt(3)
	v_mul_f32_e32 v16, v201, v16
	ds_read2_b32 v[206:207], v193 offset0:13 offset1:14
	s_waitcnt vmcnt(58) lgkmcnt(3)
	v_fma_f32 v17, -v16, v194, v17
	s_waitcnt vmcnt(56) lgkmcnt(2)
	v_pk_fma_f32 v[46:47], v[16:17], v[202:203], v[46:47] op_sel_hi:[0,1,1] neg_lo:[1,0,0] neg_hi:[1,0,0]
	s_waitcnt vmcnt(54) lgkmcnt(1)
	v_pk_fma_f32 v[50:51], v[16:17], v[204:205], v[50:51] op_sel_hi:[0,1,1] neg_lo:[1,0,0] neg_hi:[1,0,0]
	ds_read2_b32 v[202:203], v193 offset0:15 offset1:16
	ds_read2_b32 v[204:205], v193 offset0:17 offset1:18
	ds_read2_b32 v[208:209], v193 offset0:19 offset1:20
	s_waitcnt vmcnt(52) lgkmcnt(3)
	v_pk_fma_f32 v[44:45], v[16:17], v[206:207], v[44:45] op_sel_hi:[0,1,1] neg_lo:[1,0,0] neg_hi:[1,0,0]
	ds_read2_b32 v[206:207], v193 offset0:21 offset1:22
	s_waitcnt vmcnt(50) lgkmcnt(3)
	v_pk_fma_f32 v[48:49], v[16:17], v[202:203], v[48:49] op_sel_hi:[0,1,1] neg_lo:[1,0,0] neg_hi:[1,0,0]
	s_waitcnt vmcnt(48) lgkmcnt(2)
	v_pk_fma_f32 v[74:75], v[16:17], v[204:205], v[74:75] op_sel_hi:[0,1,1] neg_lo:[1,0,0] neg_hi:[1,0,0]
	s_waitcnt vmcnt(46) lgkmcnt(1)
	v_pk_fma_f32 v[68:69], v[16:17], v[208:209], v[68:69] op_sel_hi:[0,1,1] neg_lo:[1,0,0] neg_hi:[1,0,0]
	ds_read2_b32 v[202:203], v193 offset0:23 offset1:24
	ds_read2_b32 v[204:205], v193 offset0:25 offset1:26
	ds_read2_b32 v[208:209], v193 offset0:27 offset1:28
	s_waitcnt vmcnt(44) lgkmcnt(3)
	v_pk_fma_f32 v[70:71], v[16:17], v[206:207], v[70:71] op_sel_hi:[0,1,1] neg_lo:[1,0,0] neg_hi:[1,0,0]
	ds_read2_b32 v[206:207], v193 offset0:29 offset1:30
	s_waitcnt vmcnt(42) lgkmcnt(3)
	v_pk_fma_f32 v[72:73], v[16:17], v[202:203], v[72:73] op_sel_hi:[0,1,1] neg_lo:[1,0,0] neg_hi:[1,0,0]
	;; [unrolled: 12-line block ×5, first 2 shown]
	s_waitcnt vmcnt(16) lgkmcnt(2)
	v_pk_fma_f32 v[166:167], v[16:17], v[204:205], v[166:167] op_sel_hi:[0,1,1] neg_lo:[1,0,0] neg_hi:[1,0,0]
	s_waitcnt vmcnt(14) lgkmcnt(1)
	v_pk_fma_f32 v[168:169], v[16:17], v[208:209], v[168:169] op_sel_hi:[0,1,1] neg_lo:[1,0,0] neg_hi:[1,0,0]
	ds_read2_b32 v[202:203], v193 offset0:55 offset1:56
	ds_read2_b32 v[204:205], v193 offset0:57 offset1:58
	;; [unrolled: 1-line block ×4, first 2 shown]
	s_waitcnt vmcnt(12) lgkmcnt(4)
	v_pk_fma_f32 v[170:171], v[16:17], v[206:207], v[170:171] op_sel_hi:[0,1,1] neg_lo:[1,0,0] neg_hi:[1,0,0]
	s_waitcnt vmcnt(10) lgkmcnt(3)
	v_pk_fma_f32 v[164:165], v[16:17], v[202:203], v[164:165] op_sel_hi:[0,1,1] neg_lo:[1,0,0] neg_hi:[1,0,0]
	;; [unrolled: 2-line block ×5, first 2 shown]
.LBB125_44:
	s_or_b64 exec, exec, s[2:3]
	v_cmp_ne_u32_e32 vcc, 8, v25
	s_waitcnt lgkmcnt(0)
	s_barrier
	s_and_saveexec_b64 s[2:3], vcc
	s_xor_b64 s[2:3], exec, s[2:3]
	s_andn2_saveexec_b64 s[2:3], s[2:3]
	s_cbranch_execz .LBB125_48
; %bb.45:
	s_waitcnt vmcnt(58)
	ds_write_b32 v192, v17
	s_waitcnt vmcnt(56)
	ds_write2_b32 v193, v46, v47 offset0:9 offset1:10
	s_waitcnt vmcnt(54)
	ds_write2_b32 v193, v50, v51 offset0:11 offset1:12
	;; [unrolled: 2-line block ×27, first 2 shown]
	ds_read_b32 v202, v192
	s_waitcnt lgkmcnt(0)
	v_cmp_neq_f32_e32 vcc, 0, v202
	s_and_saveexec_b64 s[4:5], vcc
	s_cbranch_execz .LBB125_47
; %bb.46:
	v_div_scale_f32 v194, s[10:11], v202, v202, 1.0
	v_rcp_f32_e32 v195, v194
	v_div_scale_f32 v196, vcc, 1.0, v202, 1.0
	v_fma_f32 v197, -v194, v195, 1.0
	v_fmac_f32_e32 v195, v197, v195
	v_mul_f32_e32 v197, v196, v195
	v_fma_f32 v203, -v194, v197, v196
	v_fmac_f32_e32 v197, v203, v195
	v_fma_f32 v194, -v194, v197, v196
	v_div_fmas_f32 v194, v194, v195, v197
	v_div_fixup_f32 v194, v194, v202, 1.0
	ds_write_b32 v192, v194
.LBB125_47:
	s_or_b64 exec, exec, s[4:5]
.LBB125_48:
	s_or_b64 exec, exec, s[2:3]
	s_waitcnt lgkmcnt(0)
	s_barrier
	ds_read_b32 v202, v192
	v_cmp_lt_u32_e32 vcc, 8, v25
	s_and_saveexec_b64 s[2:3], vcc
	s_cbranch_execz .LBB125_50
; %bb.49:
	ds_read2_b32 v[204:205], v193 offset0:9 offset1:10
	ds_read2_b32 v[206:207], v193 offset0:11 offset1:12
	;; [unrolled: 1-line block ×3, first 2 shown]
	s_waitcnt vmcnt(58) lgkmcnt(3)
	v_mul_f32_e32 v210, v202, v17
	ds_read2_b32 v[212:213], v193 offset0:15 offset1:16
	s_waitcnt vmcnt(56) lgkmcnt(3)
	v_pk_fma_f32 v[46:47], v[210:211], v[204:205], v[46:47] op_sel_hi:[0,1,1] neg_lo:[1,0,0] neg_hi:[1,0,0]
	s_waitcnt vmcnt(54) lgkmcnt(2)
	v_pk_fma_f32 v[50:51], v[210:211], v[206:207], v[50:51] op_sel_hi:[0,1,1] neg_lo:[1,0,0] neg_hi:[1,0,0]
	s_waitcnt vmcnt(52) lgkmcnt(1)
	v_pk_fma_f32 v[44:45], v[210:211], v[208:209], v[44:45] op_sel_hi:[0,1,1] neg_lo:[1,0,0] neg_hi:[1,0,0]
	ds_read2_b32 v[204:205], v193 offset0:17 offset1:18
	ds_read2_b32 v[206:207], v193 offset0:19 offset1:20
	ds_read2_b32 v[208:209], v193 offset0:21 offset1:22
	s_waitcnt vmcnt(50) lgkmcnt(3)
	v_pk_fma_f32 v[48:49], v[210:211], v[212:213], v[48:49] op_sel_hi:[0,1,1] neg_lo:[1,0,0] neg_hi:[1,0,0]
	ds_read2_b32 v[212:213], v193 offset0:23 offset1:24
	s_waitcnt vmcnt(48) lgkmcnt(3)
	v_pk_fma_f32 v[74:75], v[210:211], v[204:205], v[74:75] op_sel_hi:[0,1,1] neg_lo:[1,0,0] neg_hi:[1,0,0]
	s_waitcnt vmcnt(46) lgkmcnt(2)
	v_pk_fma_f32 v[68:69], v[210:211], v[206:207], v[68:69] op_sel_hi:[0,1,1] neg_lo:[1,0,0] neg_hi:[1,0,0]
	s_waitcnt vmcnt(44) lgkmcnt(1)
	v_pk_fma_f32 v[70:71], v[210:211], v[208:209], v[70:71] op_sel_hi:[0,1,1] neg_lo:[1,0,0] neg_hi:[1,0,0]
	ds_read2_b32 v[204:205], v193 offset0:25 offset1:26
	ds_read2_b32 v[206:207], v193 offset0:27 offset1:28
	ds_read2_b32 v[208:209], v193 offset0:29 offset1:30
	s_waitcnt vmcnt(42) lgkmcnt(3)
	v_pk_fma_f32 v[72:73], v[210:211], v[212:213], v[72:73] op_sel_hi:[0,1,1] neg_lo:[1,0,0] neg_hi:[1,0,0]
	;; [unrolled: 12-line block ×4, first 2 shown]
	ds_read2_b32 v[212:213], v193 offset0:47 offset1:48
	s_waitcnt vmcnt(24) lgkmcnt(3)
	v_pk_fma_f32 v[146:147], v[210:211], v[204:205], v[146:147] op_sel_hi:[0,1,1] neg_lo:[1,0,0] neg_hi:[1,0,0]
	s_waitcnt vmcnt(22) lgkmcnt(2)
	v_pk_fma_f32 v[140:141], v[210:211], v[206:207], v[140:141] op_sel_hi:[0,1,1] neg_lo:[1,0,0] neg_hi:[1,0,0]
	ds_read2_b32 v[204:205], v193 offset0:49 offset1:50
	ds_read2_b32 v[206:207], v193 offset0:51 offset1:52
	s_waitcnt vmcnt(20) lgkmcnt(3)
	v_pk_fma_f32 v[142:143], v[210:211], v[208:209], v[142:143] op_sel_hi:[0,1,1] neg_lo:[1,0,0] neg_hi:[1,0,0]
	s_waitcnt vmcnt(18) lgkmcnt(2)
	v_pk_fma_f32 v[144:145], v[210:211], v[212:213], v[144:145] op_sel_hi:[0,1,1] neg_lo:[1,0,0] neg_hi:[1,0,0]
	ds_read2_b32 v[208:209], v193 offset0:53 offset1:54
	;; [unrolled: 6-line block ×3, first 2 shown]
	ds_read2_b32 v[206:207], v193 offset0:59 offset1:60
	ds_read2_b32 v[214:215], v193 offset0:61 offset1:62
	s_waitcnt vmcnt(12) lgkmcnt(4)
	v_pk_fma_f32 v[170:171], v[210:211], v[208:209], v[170:171] op_sel_hi:[0,1,1] neg_lo:[1,0,0] neg_hi:[1,0,0]
	s_waitcnt vmcnt(10) lgkmcnt(3)
	v_pk_fma_f32 v[164:165], v[210:211], v[212:213], v[164:165] op_sel_hi:[0,1,1] neg_lo:[1,0,0] neg_hi:[1,0,0]
	s_waitcnt vmcnt(8) lgkmcnt(2)
	v_pk_fma_f32 v[186:187], v[210:211], v[204:205], v[186:187] op_sel_hi:[0,1,1] neg_lo:[1,0,0] neg_hi:[1,0,0]
	s_waitcnt vmcnt(6) lgkmcnt(1)
	v_pk_fma_f32 v[188:189], v[210:211], v[206:207], v[188:189] op_sel_hi:[0,1,1] neg_lo:[1,0,0] neg_hi:[1,0,0]
	s_waitcnt vmcnt(4) lgkmcnt(0)
	v_pk_fma_f32 v[190:191], v[210:211], v[214:215], v[190:191] op_sel_hi:[0,1,1] neg_lo:[1,0,0] neg_hi:[1,0,0]
	v_mov_b32_e32 v17, v210
.LBB125_50:
	s_or_b64 exec, exec, s[2:3]
	v_cmp_eq_u32_e32 vcc, 9, v25
	s_waitcnt lgkmcnt(0)
	s_barrier
	s_and_saveexec_b64 s[2:3], vcc
	s_cbranch_execz .LBB125_53
; %bb.51:
	s_waitcnt vmcnt(54)
	v_pk_mov_b32 v[204:205], v[46:47], v[50:51] op_sel:[1,0]
	ds_write_b32 v192, v46
	ds_write2_b32 v193, v204, v205 offset0:10 offset1:11
	s_waitcnt vmcnt(52)
	v_pk_mov_b32 v[204:205], v[50:51], v[44:45] op_sel:[1,0]
	ds_write2_b32 v193, v204, v205 offset0:12 offset1:13
	s_waitcnt vmcnt(50)
	v_pk_mov_b32 v[204:205], v[44:45], v[48:49] op_sel:[1,0]
	;; [unrolled: 3-line block ×25, first 2 shown]
	ds_write2_b32 v193, v204, v205 offset0:60 offset1:61
	ds_write_b32 v193, v191 offset:248
	ds_read_b32 v203, v192
	s_waitcnt lgkmcnt(0)
	v_cmp_neq_f32_e32 vcc, 0, v203
	s_and_b64 exec, exec, vcc
	s_cbranch_execz .LBB125_53
; %bb.52:
	v_div_scale_f32 v194, s[4:5], v203, v203, 1.0
	v_rcp_f32_e32 v195, v194
	v_div_scale_f32 v196, vcc, 1.0, v203, 1.0
	v_fma_f32 v197, -v194, v195, 1.0
	v_fmac_f32_e32 v195, v197, v195
	v_mul_f32_e32 v197, v196, v195
	v_fma_f32 v204, -v194, v197, v196
	v_fmac_f32_e32 v197, v204, v195
	v_fma_f32 v194, -v194, v197, v196
	v_div_fmas_f32 v194, v194, v195, v197
	v_div_fixup_f32 v194, v194, v203, 1.0
	ds_write_b32 v192, v194
.LBB125_53:
	s_or_b64 exec, exec, s[2:3]
	s_waitcnt lgkmcnt(0)
	s_barrier
	ds_read_b32 v203, v192
	v_cmp_lt_u32_e32 vcc, 9, v25
	s_and_saveexec_b64 s[2:3], vcc
	s_cbranch_execz .LBB125_55
; %bb.54:
	ds_read_b32 v194, v193 offset:40
	ds_read2_b32 v[204:205], v193 offset0:11 offset1:12
	ds_read2_b32 v[206:207], v193 offset0:13 offset1:14
	s_waitcnt vmcnt(57) lgkmcnt(3)
	v_mul_f32_e32 v46, v203, v46
	ds_read2_b32 v[208:209], v193 offset0:15 offset1:16
	s_waitcnt vmcnt(56) lgkmcnt(3)
	v_fma_f32 v47, -v46, v194, v47
	s_waitcnt vmcnt(54) lgkmcnt(2)
	v_pk_fma_f32 v[50:51], v[46:47], v[204:205], v[50:51] op_sel_hi:[0,1,1] neg_lo:[1,0,0] neg_hi:[1,0,0]
	s_waitcnt vmcnt(52) lgkmcnt(1)
	v_pk_fma_f32 v[44:45], v[46:47], v[206:207], v[44:45] op_sel_hi:[0,1,1] neg_lo:[1,0,0] neg_hi:[1,0,0]
	ds_read2_b32 v[204:205], v193 offset0:17 offset1:18
	ds_read2_b32 v[206:207], v193 offset0:19 offset1:20
	ds_read2_b32 v[210:211], v193 offset0:21 offset1:22
	s_waitcnt vmcnt(50) lgkmcnt(3)
	v_pk_fma_f32 v[48:49], v[46:47], v[208:209], v[48:49] op_sel_hi:[0,1,1] neg_lo:[1,0,0] neg_hi:[1,0,0]
	ds_read2_b32 v[208:209], v193 offset0:23 offset1:24
	s_waitcnt vmcnt(48) lgkmcnt(3)
	v_pk_fma_f32 v[74:75], v[46:47], v[204:205], v[74:75] op_sel_hi:[0,1,1] neg_lo:[1,0,0] neg_hi:[1,0,0]
	s_waitcnt vmcnt(46) lgkmcnt(2)
	v_pk_fma_f32 v[68:69], v[46:47], v[206:207], v[68:69] op_sel_hi:[0,1,1] neg_lo:[1,0,0] neg_hi:[1,0,0]
	s_waitcnt vmcnt(44) lgkmcnt(1)
	v_pk_fma_f32 v[70:71], v[46:47], v[210:211], v[70:71] op_sel_hi:[0,1,1] neg_lo:[1,0,0] neg_hi:[1,0,0]
	ds_read2_b32 v[204:205], v193 offset0:25 offset1:26
	ds_read2_b32 v[206:207], v193 offset0:27 offset1:28
	ds_read2_b32 v[210:211], v193 offset0:29 offset1:30
	s_waitcnt vmcnt(42) lgkmcnt(3)
	v_pk_fma_f32 v[72:73], v[46:47], v[208:209], v[72:73] op_sel_hi:[0,1,1] neg_lo:[1,0,0] neg_hi:[1,0,0]
	ds_read2_b32 v[208:209], v193 offset0:31 offset1:32
	s_waitcnt vmcnt(40) lgkmcnt(3)
	v_pk_fma_f32 v[94:95], v[46:47], v[204:205], v[94:95] op_sel_hi:[0,1,1] neg_lo:[1,0,0] neg_hi:[1,0,0]
	;; [unrolled: 12-line block ×4, first 2 shown]
	s_waitcnt vmcnt(22) lgkmcnt(2)
	v_pk_fma_f32 v[140:141], v[46:47], v[206:207], v[140:141] op_sel_hi:[0,1,1] neg_lo:[1,0,0] neg_hi:[1,0,0]
	ds_read2_b32 v[204:205], v193 offset0:49 offset1:50
	ds_read2_b32 v[206:207], v193 offset0:51 offset1:52
	s_waitcnt vmcnt(20) lgkmcnt(3)
	v_pk_fma_f32 v[142:143], v[46:47], v[210:211], v[142:143] op_sel_hi:[0,1,1] neg_lo:[1,0,0] neg_hi:[1,0,0]
	s_waitcnt vmcnt(18) lgkmcnt(2)
	v_pk_fma_f32 v[144:145], v[46:47], v[208:209], v[144:145] op_sel_hi:[0,1,1] neg_lo:[1,0,0] neg_hi:[1,0,0]
	ds_read2_b32 v[208:209], v193 offset0:53 offset1:54
	ds_read2_b32 v[210:211], v193 offset0:55 offset1:56
	s_waitcnt vmcnt(16) lgkmcnt(3)
	v_pk_fma_f32 v[166:167], v[46:47], v[204:205], v[166:167] op_sel_hi:[0,1,1] neg_lo:[1,0,0] neg_hi:[1,0,0]
	s_waitcnt vmcnt(14) lgkmcnt(2)
	v_pk_fma_f32 v[168:169], v[46:47], v[206:207], v[168:169] op_sel_hi:[0,1,1] neg_lo:[1,0,0] neg_hi:[1,0,0]
	ds_read2_b32 v[204:205], v193 offset0:57 offset1:58
	ds_read2_b32 v[206:207], v193 offset0:59 offset1:60
	ds_read2_b32 v[212:213], v193 offset0:61 offset1:62
	s_waitcnt vmcnt(12) lgkmcnt(4)
	v_pk_fma_f32 v[170:171], v[46:47], v[208:209], v[170:171] op_sel_hi:[0,1,1] neg_lo:[1,0,0] neg_hi:[1,0,0]
	s_waitcnt vmcnt(10) lgkmcnt(3)
	v_pk_fma_f32 v[164:165], v[46:47], v[210:211], v[164:165] op_sel_hi:[0,1,1] neg_lo:[1,0,0] neg_hi:[1,0,0]
	;; [unrolled: 2-line block ×5, first 2 shown]
.LBB125_55:
	s_or_b64 exec, exec, s[2:3]
	v_cmp_ne_u32_e32 vcc, 10, v25
	s_waitcnt lgkmcnt(0)
	s_barrier
	s_and_saveexec_b64 s[2:3], vcc
	s_xor_b64 s[2:3], exec, s[2:3]
	s_andn2_saveexec_b64 s[2:3], s[2:3]
	s_cbranch_execz .LBB125_59
; %bb.56:
	s_waitcnt vmcnt(56)
	ds_write_b32 v192, v47
	s_waitcnt vmcnt(54)
	ds_write2_b32 v193, v50, v51 offset0:11 offset1:12
	s_waitcnt vmcnt(52)
	ds_write2_b32 v193, v44, v45 offset0:13 offset1:14
	;; [unrolled: 2-line block ×26, first 2 shown]
	ds_read_b32 v204, v192
	s_waitcnt lgkmcnt(0)
	v_cmp_neq_f32_e32 vcc, 0, v204
	s_and_saveexec_b64 s[4:5], vcc
	s_cbranch_execz .LBB125_58
; %bb.57:
	v_div_scale_f32 v194, s[10:11], v204, v204, 1.0
	v_rcp_f32_e32 v195, v194
	v_div_scale_f32 v196, vcc, 1.0, v204, 1.0
	v_fma_f32 v197, -v194, v195, 1.0
	v_fmac_f32_e32 v195, v197, v195
	v_mul_f32_e32 v197, v196, v195
	v_fma_f32 v205, -v194, v197, v196
	v_fmac_f32_e32 v197, v205, v195
	v_fma_f32 v194, -v194, v197, v196
	v_div_fmas_f32 v194, v194, v195, v197
	v_div_fixup_f32 v194, v194, v204, 1.0
	ds_write_b32 v192, v194
.LBB125_58:
	s_or_b64 exec, exec, s[4:5]
.LBB125_59:
	s_or_b64 exec, exec, s[2:3]
	s_waitcnt lgkmcnt(0)
	s_barrier
	ds_read_b32 v2, v192
	v_cmp_lt_u32_e32 vcc, 10, v25
	s_and_saveexec_b64 s[2:3], vcc
	s_cbranch_execz .LBB125_61
; %bb.60:
	ds_read2_b32 v[206:207], v193 offset0:11 offset1:12
	ds_read2_b32 v[208:209], v193 offset0:13 offset1:14
	;; [unrolled: 1-line block ×4, first 2 shown]
	s_waitcnt vmcnt(56) lgkmcnt(4)
	v_mul_f32_e32 v212, v2, v47
	s_waitcnt vmcnt(54) lgkmcnt(3)
	v_pk_fma_f32 v[50:51], v[212:213], v[206:207], v[50:51] op_sel_hi:[0,1,1] neg_lo:[1,0,0] neg_hi:[1,0,0]
	s_waitcnt vmcnt(52) lgkmcnt(2)
	v_pk_fma_f32 v[44:45], v[212:213], v[208:209], v[44:45] op_sel_hi:[0,1,1] neg_lo:[1,0,0] neg_hi:[1,0,0]
	s_waitcnt vmcnt(50) lgkmcnt(1)
	v_pk_fma_f32 v[48:49], v[212:213], v[210:211], v[48:49] op_sel_hi:[0,1,1] neg_lo:[1,0,0] neg_hi:[1,0,0]
	ds_read2_b32 v[206:207], v193 offset0:19 offset1:20
	ds_read2_b32 v[208:209], v193 offset0:21 offset1:22
	ds_read2_b32 v[210:211], v193 offset0:23 offset1:24
	s_waitcnt vmcnt(48) lgkmcnt(3)
	v_pk_fma_f32 v[74:75], v[212:213], v[214:215], v[74:75] op_sel_hi:[0,1,1] neg_lo:[1,0,0] neg_hi:[1,0,0]
	ds_read2_b32 v[214:215], v193 offset0:25 offset1:26
	s_waitcnt vmcnt(46) lgkmcnt(3)
	v_pk_fma_f32 v[68:69], v[212:213], v[206:207], v[68:69] op_sel_hi:[0,1,1] neg_lo:[1,0,0] neg_hi:[1,0,0]
	s_waitcnt vmcnt(44) lgkmcnt(2)
	v_pk_fma_f32 v[70:71], v[212:213], v[208:209], v[70:71] op_sel_hi:[0,1,1] neg_lo:[1,0,0] neg_hi:[1,0,0]
	s_waitcnt vmcnt(42) lgkmcnt(1)
	v_pk_fma_f32 v[72:73], v[212:213], v[210:211], v[72:73] op_sel_hi:[0,1,1] neg_lo:[1,0,0] neg_hi:[1,0,0]
	ds_read2_b32 v[206:207], v193 offset0:27 offset1:28
	ds_read2_b32 v[208:209], v193 offset0:29 offset1:30
	ds_read2_b32 v[210:211], v193 offset0:31 offset1:32
	s_waitcnt vmcnt(40) lgkmcnt(3)
	v_pk_fma_f32 v[94:95], v[212:213], v[214:215], v[94:95] op_sel_hi:[0,1,1] neg_lo:[1,0,0] neg_hi:[1,0,0]
	ds_read2_b32 v[214:215], v193 offset0:33 offset1:34
	;; [unrolled: 12-line block ×4, first 2 shown]
	s_waitcnt vmcnt(22) lgkmcnt(3)
	v_pk_fma_f32 v[140:141], v[212:213], v[206:207], v[140:141] op_sel_hi:[0,1,1] neg_lo:[1,0,0] neg_hi:[1,0,0]
	ds_read2_b32 v[206:207], v193 offset0:51 offset1:52
	s_waitcnt vmcnt(20) lgkmcnt(3)
	v_pk_fma_f32 v[142:143], v[212:213], v[208:209], v[142:143] op_sel_hi:[0,1,1] neg_lo:[1,0,0] neg_hi:[1,0,0]
	s_waitcnt vmcnt(18) lgkmcnt(2)
	v_pk_fma_f32 v[144:145], v[212:213], v[210:211], v[144:145] op_sel_hi:[0,1,1] neg_lo:[1,0,0] neg_hi:[1,0,0]
	;; [unrolled: 2-line block ×3, first 2 shown]
	ds_read2_b32 v[208:209], v193 offset0:53 offset1:54
	ds_read2_b32 v[210:211], v193 offset0:55 offset1:56
	;; [unrolled: 1-line block ×3, first 2 shown]
	s_waitcnt vmcnt(14) lgkmcnt(3)
	v_pk_fma_f32 v[168:169], v[212:213], v[206:207], v[168:169] op_sel_hi:[0,1,1] neg_lo:[1,0,0] neg_hi:[1,0,0]
	ds_read2_b32 v[206:207], v193 offset0:59 offset1:60
	ds_read2_b32 v[216:217], v193 offset0:61 offset1:62
	s_waitcnt vmcnt(12) lgkmcnt(4)
	v_pk_fma_f32 v[170:171], v[212:213], v[208:209], v[170:171] op_sel_hi:[0,1,1] neg_lo:[1,0,0] neg_hi:[1,0,0]
	s_waitcnt vmcnt(10) lgkmcnt(3)
	v_pk_fma_f32 v[164:165], v[212:213], v[210:211], v[164:165] op_sel_hi:[0,1,1] neg_lo:[1,0,0] neg_hi:[1,0,0]
	;; [unrolled: 2-line block ×5, first 2 shown]
	v_mov_b32_e32 v47, v212
.LBB125_61:
	s_or_b64 exec, exec, s[2:3]
	v_cmp_eq_u32_e32 vcc, 11, v25
	s_waitcnt lgkmcnt(0)
	s_barrier
	s_and_saveexec_b64 s[2:3], vcc
	s_cbranch_execz .LBB125_64
; %bb.62:
	s_waitcnt vmcnt(52)
	v_pk_mov_b32 v[206:207], v[50:51], v[44:45] op_sel:[1,0]
	ds_write_b32 v192, v50
	ds_write2_b32 v193, v206, v207 offset0:12 offset1:13
	s_waitcnt vmcnt(50)
	v_pk_mov_b32 v[206:207], v[44:45], v[48:49] op_sel:[1,0]
	ds_write2_b32 v193, v206, v207 offset0:14 offset1:15
	s_waitcnt vmcnt(48)
	v_pk_mov_b32 v[206:207], v[48:49], v[74:75] op_sel:[1,0]
	;; [unrolled: 3-line block ×24, first 2 shown]
	ds_write2_b32 v193, v206, v207 offset0:60 offset1:61
	ds_write_b32 v193, v191 offset:248
	ds_read_b32 v205, v192
	s_waitcnt lgkmcnt(0)
	v_cmp_neq_f32_e32 vcc, 0, v205
	s_and_b64 exec, exec, vcc
	s_cbranch_execz .LBB125_64
; %bb.63:
	v_div_scale_f32 v194, s[4:5], v205, v205, 1.0
	v_rcp_f32_e32 v195, v194
	v_div_scale_f32 v196, vcc, 1.0, v205, 1.0
	v_fma_f32 v197, -v194, v195, 1.0
	v_fmac_f32_e32 v195, v197, v195
	v_mul_f32_e32 v197, v196, v195
	v_fma_f32 v206, -v194, v197, v196
	v_fmac_f32_e32 v197, v206, v195
	v_fma_f32 v194, -v194, v197, v196
	v_div_fmas_f32 v194, v194, v195, v197
	v_div_fixup_f32 v194, v194, v205, 1.0
	ds_write_b32 v192, v194
.LBB125_64:
	s_or_b64 exec, exec, s[2:3]
	s_waitcnt lgkmcnt(0)
	s_barrier
	ds_read_b32 v194, v192
	v_cmp_lt_u32_e32 vcc, 11, v25
	s_waitcnt lgkmcnt(0)
	scratch_store_dword off, v194, off offset:16 ; 4-byte Folded Spill
	s_and_saveexec_b64 s[2:3], vcc
	s_cbranch_execz .LBB125_66
; %bb.65:
	ds_read_b32 v194, v193 offset:48
	ds_read2_b32 v[206:207], v193 offset0:13 offset1:14
	ds_read2_b32 v[208:209], v193 offset0:15 offset1:16
	scratch_load_dword v195, off, off offset:16 ; 4-byte Folded Reload
	ds_read2_b32 v[210:211], v193 offset0:17 offset1:18
	s_waitcnt vmcnt(0)
	v_mul_f32_e32 v50, v195, v50
	s_waitcnt lgkmcnt(3)
	v_fma_f32 v51, -v50, v194, v51
	s_waitcnt lgkmcnt(2)
	v_pk_fma_f32 v[44:45], v[50:51], v[206:207], v[44:45] op_sel_hi:[0,1,1] neg_lo:[1,0,0] neg_hi:[1,0,0]
	s_waitcnt lgkmcnt(1)
	v_pk_fma_f32 v[48:49], v[50:51], v[208:209], v[48:49] op_sel_hi:[0,1,1] neg_lo:[1,0,0] neg_hi:[1,0,0]
	ds_read2_b32 v[206:207], v193 offset0:19 offset1:20
	ds_read2_b32 v[208:209], v193 offset0:21 offset1:22
	ds_read2_b32 v[212:213], v193 offset0:23 offset1:24
	s_waitcnt lgkmcnt(3)
	v_pk_fma_f32 v[74:75], v[50:51], v[210:211], v[74:75] op_sel_hi:[0,1,1] neg_lo:[1,0,0] neg_hi:[1,0,0]
	ds_read2_b32 v[210:211], v193 offset0:25 offset1:26
	s_waitcnt lgkmcnt(3)
	v_pk_fma_f32 v[68:69], v[50:51], v[206:207], v[68:69] op_sel_hi:[0,1,1] neg_lo:[1,0,0] neg_hi:[1,0,0]
	s_waitcnt lgkmcnt(2)
	v_pk_fma_f32 v[70:71], v[50:51], v[208:209], v[70:71] op_sel_hi:[0,1,1] neg_lo:[1,0,0] neg_hi:[1,0,0]
	s_waitcnt lgkmcnt(1)
	v_pk_fma_f32 v[72:73], v[50:51], v[212:213], v[72:73] op_sel_hi:[0,1,1] neg_lo:[1,0,0] neg_hi:[1,0,0]
	ds_read2_b32 v[206:207], v193 offset0:27 offset1:28
	ds_read2_b32 v[208:209], v193 offset0:29 offset1:30
	ds_read2_b32 v[212:213], v193 offset0:31 offset1:32
	s_waitcnt lgkmcnt(3)
	v_pk_fma_f32 v[94:95], v[50:51], v[210:211], v[94:95] op_sel_hi:[0,1,1] neg_lo:[1,0,0] neg_hi:[1,0,0]
	ds_read2_b32 v[210:211], v193 offset0:33 offset1:34
	s_waitcnt lgkmcnt(3)
	v_pk_fma_f32 v[96:97], v[50:51], v[206:207], v[96:97] op_sel_hi:[0,1,1] neg_lo:[1,0,0] neg_hi:[1,0,0]
	;; [unrolled: 12-line block ×4, first 2 shown]
	ds_read2_b32 v[206:207], v193 offset0:51 offset1:52
	s_waitcnt lgkmcnt(3)
	v_pk_fma_f32 v[142:143], v[50:51], v[208:209], v[142:143] op_sel_hi:[0,1,1] neg_lo:[1,0,0] neg_hi:[1,0,0]
	s_waitcnt lgkmcnt(2)
	v_pk_fma_f32 v[144:145], v[50:51], v[212:213], v[144:145] op_sel_hi:[0,1,1] neg_lo:[1,0,0] neg_hi:[1,0,0]
	s_waitcnt lgkmcnt(1)
	v_pk_fma_f32 v[166:167], v[50:51], v[210:211], v[166:167] op_sel_hi:[0,1,1] neg_lo:[1,0,0] neg_hi:[1,0,0]
	ds_read2_b32 v[208:209], v193 offset0:53 offset1:54
	ds_read2_b32 v[210:211], v193 offset0:55 offset1:56
	;; [unrolled: 1-line block ×3, first 2 shown]
	s_waitcnt lgkmcnt(3)
	v_pk_fma_f32 v[168:169], v[50:51], v[206:207], v[168:169] op_sel_hi:[0,1,1] neg_lo:[1,0,0] neg_hi:[1,0,0]
	ds_read2_b32 v[206:207], v193 offset0:59 offset1:60
	ds_read2_b32 v[214:215], v193 offset0:61 offset1:62
	s_waitcnt lgkmcnt(4)
	v_pk_fma_f32 v[170:171], v[50:51], v[208:209], v[170:171] op_sel_hi:[0,1,1] neg_lo:[1,0,0] neg_hi:[1,0,0]
	s_waitcnt lgkmcnt(3)
	v_pk_fma_f32 v[164:165], v[50:51], v[210:211], v[164:165] op_sel_hi:[0,1,1] neg_lo:[1,0,0] neg_hi:[1,0,0]
	;; [unrolled: 2-line block ×5, first 2 shown]
.LBB125_66:
	s_or_b64 exec, exec, s[2:3]
	v_cmp_ne_u32_e32 vcc, 12, v25
	s_waitcnt vmcnt(63) expcnt(7) lgkmcnt(15)
	s_barrier
	s_and_saveexec_b64 s[2:3], vcc
	s_xor_b64 s[2:3], exec, s[2:3]
	s_andn2_saveexec_b64 s[2:3], s[2:3]
	s_cbranch_execz .LBB125_70
; %bb.67:
	s_waitcnt vmcnt(55)
	ds_write_b32 v192, v51
	s_waitcnt vmcnt(53)
	ds_write2_b32 v193, v44, v45 offset0:13 offset1:14
	s_waitcnt vmcnt(51)
	ds_write2_b32 v193, v48, v49 offset0:15 offset1:16
	s_waitcnt vmcnt(49)
	ds_write2_b32 v193, v74, v75 offset0:17 offset1:18
	s_waitcnt vmcnt(47)
	ds_write2_b32 v193, v68, v69 offset0:19 offset1:20
	s_waitcnt vmcnt(45)
	ds_write2_b32 v193, v70, v71 offset0:21 offset1:22
	s_waitcnt vmcnt(43)
	ds_write2_b32 v193, v72, v73 offset0:23 offset1:24
	s_waitcnt vmcnt(41)
	ds_write2_b32 v193, v94, v95 offset0:25 offset1:26
	s_waitcnt vmcnt(39)
	ds_write2_b32 v193, v96, v97 offset0:27 offset1:28
	s_waitcnt vmcnt(37)
	ds_write2_b32 v193, v98, v99 offset0:29 offset1:30
	s_waitcnt vmcnt(35)
	ds_write2_b32 v193, v92, v93 offset0:31 offset1:32
	s_waitcnt vmcnt(33)
	ds_write2_b32 v193, v118, v119 offset0:33 offset1:34
	s_waitcnt vmcnt(31)
	ds_write2_b32 v193, v122, v123 offset0:35 offset1:36
	s_waitcnt vmcnt(29)
	ds_write2_b32 v193, v116, v117 offset0:37 offset1:38
	s_waitcnt vmcnt(27)
	ds_write2_b32 v193, v120, v121 offset0:39 offset1:40
	s_waitcnt vmcnt(25)
	ds_write2_b32 v193, v146, v147 offset0:41 offset1:42
	s_waitcnt vmcnt(23)
	ds_write2_b32 v193, v140, v141 offset0:43 offset1:44
	s_waitcnt vmcnt(21)
	ds_write2_b32 v193, v142, v143 offset0:45 offset1:46
	s_waitcnt vmcnt(19)
	ds_write2_b32 v193, v144, v145 offset0:47 offset1:48
	s_waitcnt vmcnt(17)
	ds_write2_b32 v193, v166, v167 offset0:49 offset1:50
	s_waitcnt vmcnt(15)
	ds_write2_b32 v193, v168, v169 offset0:51 offset1:52
	s_waitcnt vmcnt(13)
	ds_write2_b32 v193, v170, v171 offset0:53 offset1:54
	s_waitcnt vmcnt(11)
	ds_write2_b32 v193, v164, v165 offset0:55 offset1:56
	s_waitcnt vmcnt(9)
	ds_write2_b32 v193, v186, v187 offset0:57 offset1:58
	s_waitcnt vmcnt(7)
	ds_write2_b32 v193, v188, v189 offset0:59 offset1:60
	s_waitcnt vmcnt(5)
	ds_write2_b32 v193, v190, v191 offset0:61 offset1:62
	ds_read_b32 v206, v192
	s_waitcnt lgkmcnt(0)
	v_cmp_neq_f32_e32 vcc, 0, v206
	s_and_saveexec_b64 s[4:5], vcc
	s_cbranch_execz .LBB125_69
; %bb.68:
	v_div_scale_f32 v194, s[10:11], v206, v206, 1.0
	v_rcp_f32_e32 v195, v194
	v_div_scale_f32 v196, vcc, 1.0, v206, 1.0
	v_fma_f32 v197, -v194, v195, 1.0
	v_fmac_f32_e32 v195, v197, v195
	v_mul_f32_e32 v197, v196, v195
	v_fma_f32 v207, -v194, v197, v196
	v_fmac_f32_e32 v197, v207, v195
	v_fma_f32 v194, -v194, v197, v196
	v_div_fmas_f32 v194, v194, v195, v197
	v_div_fixup_f32 v194, v194, v206, 1.0
	ds_write_b32 v192, v194
.LBB125_69:
	s_or_b64 exec, exec, s[4:5]
.LBB125_70:
	s_or_b64 exec, exec, s[2:3]
	s_waitcnt lgkmcnt(0)
	s_barrier
	ds_read_b32 v205, v192
	v_cmp_lt_u32_e32 vcc, 12, v25
	s_and_saveexec_b64 s[2:3], vcc
	s_cbranch_execz .LBB125_72
; %bb.71:
	ds_read2_b32 v[208:209], v193 offset0:13 offset1:14
	ds_read2_b32 v[210:211], v193 offset0:15 offset1:16
	;; [unrolled: 1-line block ×3, first 2 shown]
	s_waitcnt vmcnt(55) lgkmcnt(3)
	v_mul_f32_e32 v214, v205, v51
	ds_read2_b32 v[216:217], v193 offset0:19 offset1:20
	s_waitcnt vmcnt(53) lgkmcnt(3)
	v_pk_fma_f32 v[44:45], v[214:215], v[208:209], v[44:45] op_sel_hi:[0,1,1] neg_lo:[1,0,0] neg_hi:[1,0,0]
	s_waitcnt vmcnt(51) lgkmcnt(2)
	v_pk_fma_f32 v[48:49], v[214:215], v[210:211], v[48:49] op_sel_hi:[0,1,1] neg_lo:[1,0,0] neg_hi:[1,0,0]
	s_waitcnt vmcnt(49) lgkmcnt(1)
	v_pk_fma_f32 v[74:75], v[214:215], v[212:213], v[74:75] op_sel_hi:[0,1,1] neg_lo:[1,0,0] neg_hi:[1,0,0]
	ds_read2_b32 v[208:209], v193 offset0:21 offset1:22
	ds_read2_b32 v[210:211], v193 offset0:23 offset1:24
	ds_read2_b32 v[212:213], v193 offset0:25 offset1:26
	s_waitcnt vmcnt(47) lgkmcnt(3)
	v_pk_fma_f32 v[68:69], v[214:215], v[216:217], v[68:69] op_sel_hi:[0,1,1] neg_lo:[1,0,0] neg_hi:[1,0,0]
	ds_read2_b32 v[216:217], v193 offset0:27 offset1:28
	s_waitcnt vmcnt(45) lgkmcnt(3)
	v_pk_fma_f32 v[70:71], v[214:215], v[208:209], v[70:71] op_sel_hi:[0,1,1] neg_lo:[1,0,0] neg_hi:[1,0,0]
	s_waitcnt vmcnt(43) lgkmcnt(2)
	v_pk_fma_f32 v[72:73], v[214:215], v[210:211], v[72:73] op_sel_hi:[0,1,1] neg_lo:[1,0,0] neg_hi:[1,0,0]
	s_waitcnt vmcnt(41) lgkmcnt(1)
	v_pk_fma_f32 v[94:95], v[214:215], v[212:213], v[94:95] op_sel_hi:[0,1,1] neg_lo:[1,0,0] neg_hi:[1,0,0]
	ds_read2_b32 v[208:209], v193 offset0:29 offset1:30
	ds_read2_b32 v[210:211], v193 offset0:31 offset1:32
	ds_read2_b32 v[212:213], v193 offset0:33 offset1:34
	s_waitcnt vmcnt(39) lgkmcnt(3)
	v_pk_fma_f32 v[96:97], v[214:215], v[216:217], v[96:97] op_sel_hi:[0,1,1] neg_lo:[1,0,0] neg_hi:[1,0,0]
	;; [unrolled: 12-line block ×3, first 2 shown]
	ds_read2_b32 v[216:217], v193 offset0:43 offset1:44
	s_waitcnt vmcnt(29) lgkmcnt(3)
	v_pk_fma_f32 v[116:117], v[214:215], v[208:209], v[116:117] op_sel_hi:[0,1,1] neg_lo:[1,0,0] neg_hi:[1,0,0]
	s_waitcnt vmcnt(27) lgkmcnt(2)
	v_pk_fma_f32 v[120:121], v[214:215], v[210:211], v[120:121] op_sel_hi:[0,1,1] neg_lo:[1,0,0] neg_hi:[1,0,0]
	;; [unrolled: 2-line block ×3, first 2 shown]
	ds_read2_b32 v[208:209], v193 offset0:45 offset1:46
	ds_read2_b32 v[210:211], v193 offset0:47 offset1:48
	;; [unrolled: 1-line block ×4, first 2 shown]
	s_waitcnt vmcnt(23) lgkmcnt(4)
	v_pk_fma_f32 v[140:141], v[214:215], v[216:217], v[140:141] op_sel_hi:[0,1,1] neg_lo:[1,0,0] neg_hi:[1,0,0]
	s_waitcnt vmcnt(21) lgkmcnt(3)
	v_pk_fma_f32 v[142:143], v[214:215], v[208:209], v[142:143] op_sel_hi:[0,1,1] neg_lo:[1,0,0] neg_hi:[1,0,0]
	;; [unrolled: 2-line block ×5, first 2 shown]
	ds_read2_b32 v[208:209], v193 offset0:53 offset1:54
	ds_read2_b32 v[210:211], v193 offset0:55 offset1:56
	;; [unrolled: 1-line block ×5, first 2 shown]
	s_waitcnt vmcnt(13) lgkmcnt(4)
	v_pk_fma_f32 v[170:171], v[214:215], v[208:209], v[170:171] op_sel_hi:[0,1,1] neg_lo:[1,0,0] neg_hi:[1,0,0]
	s_waitcnt vmcnt(11) lgkmcnt(3)
	v_pk_fma_f32 v[164:165], v[214:215], v[210:211], v[164:165] op_sel_hi:[0,1,1] neg_lo:[1,0,0] neg_hi:[1,0,0]
	;; [unrolled: 2-line block ×5, first 2 shown]
	v_mov_b32_e32 v51, v214
.LBB125_72:
	s_or_b64 exec, exec, s[2:3]
	v_cmp_eq_u32_e32 vcc, 13, v25
	s_waitcnt lgkmcnt(0)
	s_barrier
	s_and_saveexec_b64 s[2:3], vcc
	s_cbranch_execz .LBB125_75
; %bb.73:
	s_waitcnt vmcnt(51)
	v_pk_mov_b32 v[208:209], v[44:45], v[48:49] op_sel:[1,0]
	ds_write_b32 v192, v44
	ds_write2_b32 v193, v208, v209 offset0:14 offset1:15
	s_waitcnt vmcnt(49)
	v_pk_mov_b32 v[208:209], v[48:49], v[74:75] op_sel:[1,0]
	ds_write2_b32 v193, v208, v209 offset0:16 offset1:17
	s_waitcnt vmcnt(47)
	v_pk_mov_b32 v[208:209], v[74:75], v[68:69] op_sel:[1,0]
	;; [unrolled: 3-line block ×23, first 2 shown]
	ds_write2_b32 v193, v208, v209 offset0:60 offset1:61
	ds_write_b32 v193, v191 offset:248
	ds_read_b32 v207, v192
	s_waitcnt lgkmcnt(0)
	v_cmp_neq_f32_e32 vcc, 0, v207
	s_and_b64 exec, exec, vcc
	s_cbranch_execz .LBB125_75
; %bb.74:
	v_div_scale_f32 v194, s[4:5], v207, v207, 1.0
	v_rcp_f32_e32 v195, v194
	v_div_scale_f32 v196, vcc, 1.0, v207, 1.0
	v_fma_f32 v197, -v194, v195, 1.0
	v_fmac_f32_e32 v195, v197, v195
	v_mul_f32_e32 v197, v196, v195
	v_fma_f32 v208, -v194, v197, v196
	v_fmac_f32_e32 v197, v208, v195
	v_fma_f32 v194, -v194, v197, v196
	v_div_fmas_f32 v194, v194, v195, v197
	v_div_fixup_f32 v194, v194, v207, 1.0
	ds_write_b32 v192, v194
.LBB125_75:
	s_or_b64 exec, exec, s[2:3]
	s_waitcnt lgkmcnt(0)
	s_barrier
	ds_read_b32 v206, v192
	v_cmp_lt_u32_e32 vcc, 13, v25
	s_and_saveexec_b64 s[2:3], vcc
	s_cbranch_execz .LBB125_77
; %bb.76:
	ds_read_b32 v194, v193 offset:56
	ds_read2_b32 v[208:209], v193 offset0:15 offset1:16
	ds_read2_b32 v[210:211], v193 offset0:17 offset1:18
	s_waitcnt vmcnt(54) lgkmcnt(3)
	v_mul_f32_e32 v44, v206, v44
	ds_read2_b32 v[212:213], v193 offset0:19 offset1:20
	s_waitcnt vmcnt(53) lgkmcnt(3)
	v_fma_f32 v45, -v44, v194, v45
	s_waitcnt vmcnt(51) lgkmcnt(2)
	v_pk_fma_f32 v[48:49], v[44:45], v[208:209], v[48:49] op_sel_hi:[0,1,1] neg_lo:[1,0,0] neg_hi:[1,0,0]
	s_waitcnt vmcnt(49) lgkmcnt(1)
	v_pk_fma_f32 v[74:75], v[44:45], v[210:211], v[74:75] op_sel_hi:[0,1,1] neg_lo:[1,0,0] neg_hi:[1,0,0]
	ds_read2_b32 v[208:209], v193 offset0:21 offset1:22
	ds_read2_b32 v[210:211], v193 offset0:23 offset1:24
	ds_read2_b32 v[214:215], v193 offset0:25 offset1:26
	s_waitcnt vmcnt(47) lgkmcnt(3)
	v_pk_fma_f32 v[68:69], v[44:45], v[212:213], v[68:69] op_sel_hi:[0,1,1] neg_lo:[1,0,0] neg_hi:[1,0,0]
	ds_read2_b32 v[212:213], v193 offset0:27 offset1:28
	s_waitcnt vmcnt(45) lgkmcnt(3)
	v_pk_fma_f32 v[70:71], v[44:45], v[208:209], v[70:71] op_sel_hi:[0,1,1] neg_lo:[1,0,0] neg_hi:[1,0,0]
	s_waitcnt vmcnt(43) lgkmcnt(2)
	v_pk_fma_f32 v[72:73], v[44:45], v[210:211], v[72:73] op_sel_hi:[0,1,1] neg_lo:[1,0,0] neg_hi:[1,0,0]
	s_waitcnt vmcnt(41) lgkmcnt(1)
	v_pk_fma_f32 v[94:95], v[44:45], v[214:215], v[94:95] op_sel_hi:[0,1,1] neg_lo:[1,0,0] neg_hi:[1,0,0]
	ds_read2_b32 v[208:209], v193 offset0:29 offset1:30
	ds_read2_b32 v[210:211], v193 offset0:31 offset1:32
	ds_read2_b32 v[214:215], v193 offset0:33 offset1:34
	s_waitcnt vmcnt(39) lgkmcnt(3)
	v_pk_fma_f32 v[96:97], v[44:45], v[212:213], v[96:97] op_sel_hi:[0,1,1] neg_lo:[1,0,0] neg_hi:[1,0,0]
	ds_read2_b32 v[212:213], v193 offset0:35 offset1:36
	s_waitcnt vmcnt(37) lgkmcnt(3)
	v_pk_fma_f32 v[98:99], v[44:45], v[208:209], v[98:99] op_sel_hi:[0,1,1] neg_lo:[1,0,0] neg_hi:[1,0,0]
	;; [unrolled: 12-line block ×3, first 2 shown]
	s_waitcnt vmcnt(27) lgkmcnt(2)
	v_pk_fma_f32 v[120:121], v[44:45], v[210:211], v[120:121] op_sel_hi:[0,1,1] neg_lo:[1,0,0] neg_hi:[1,0,0]
	s_waitcnt vmcnt(25) lgkmcnt(1)
	v_pk_fma_f32 v[146:147], v[44:45], v[214:215], v[146:147] op_sel_hi:[0,1,1] neg_lo:[1,0,0] neg_hi:[1,0,0]
	ds_read2_b32 v[208:209], v193 offset0:45 offset1:46
	ds_read2_b32 v[210:211], v193 offset0:47 offset1:48
	;; [unrolled: 1-line block ×4, first 2 shown]
	s_waitcnt vmcnt(23) lgkmcnt(4)
	v_pk_fma_f32 v[140:141], v[44:45], v[212:213], v[140:141] op_sel_hi:[0,1,1] neg_lo:[1,0,0] neg_hi:[1,0,0]
	s_waitcnt vmcnt(21) lgkmcnt(3)
	v_pk_fma_f32 v[142:143], v[44:45], v[208:209], v[142:143] op_sel_hi:[0,1,1] neg_lo:[1,0,0] neg_hi:[1,0,0]
	;; [unrolled: 2-line block ×5, first 2 shown]
	ds_read2_b32 v[208:209], v193 offset0:53 offset1:54
	ds_read2_b32 v[210:211], v193 offset0:55 offset1:56
	;; [unrolled: 1-line block ×5, first 2 shown]
	s_waitcnt vmcnt(13) lgkmcnt(4)
	v_pk_fma_f32 v[170:171], v[44:45], v[208:209], v[170:171] op_sel_hi:[0,1,1] neg_lo:[1,0,0] neg_hi:[1,0,0]
	s_waitcnt vmcnt(11) lgkmcnt(3)
	v_pk_fma_f32 v[164:165], v[44:45], v[210:211], v[164:165] op_sel_hi:[0,1,1] neg_lo:[1,0,0] neg_hi:[1,0,0]
	;; [unrolled: 2-line block ×5, first 2 shown]
.LBB125_77:
	s_or_b64 exec, exec, s[2:3]
	v_cmp_ne_u32_e32 vcc, 14, v25
	s_waitcnt lgkmcnt(0)
	s_barrier
	s_and_saveexec_b64 s[2:3], vcc
	s_xor_b64 s[2:3], exec, s[2:3]
	s_andn2_saveexec_b64 s[2:3], s[2:3]
	s_cbranch_execz .LBB125_81
; %bb.78:
	s_waitcnt vmcnt(53)
	ds_write_b32 v192, v45
	s_waitcnt vmcnt(51)
	ds_write2_b32 v193, v48, v49 offset0:15 offset1:16
	s_waitcnt vmcnt(49)
	ds_write2_b32 v193, v74, v75 offset0:17 offset1:18
	;; [unrolled: 2-line block ×24, first 2 shown]
	ds_read_b32 v208, v192
	s_waitcnt lgkmcnt(0)
	v_cmp_neq_f32_e32 vcc, 0, v208
	s_and_saveexec_b64 s[4:5], vcc
	s_cbranch_execz .LBB125_80
; %bb.79:
	v_div_scale_f32 v194, s[10:11], v208, v208, 1.0
	v_rcp_f32_e32 v195, v194
	v_div_scale_f32 v196, vcc, 1.0, v208, 1.0
	v_fma_f32 v197, -v194, v195, 1.0
	v_fmac_f32_e32 v195, v197, v195
	v_mul_f32_e32 v197, v196, v195
	v_fma_f32 v209, -v194, v197, v196
	v_fmac_f32_e32 v197, v209, v195
	v_fma_f32 v194, -v194, v197, v196
	v_div_fmas_f32 v194, v194, v195, v197
	v_div_fixup_f32 v194, v194, v208, 1.0
	ds_write_b32 v192, v194
.LBB125_80:
	s_or_b64 exec, exec, s[4:5]
.LBB125_81:
	s_or_b64 exec, exec, s[2:3]
	s_waitcnt lgkmcnt(0)
	s_barrier
	ds_read_b32 v207, v192
	v_cmp_lt_u32_e32 vcc, 14, v25
	s_and_saveexec_b64 s[2:3], vcc
	s_cbranch_execz .LBB125_83
; %bb.82:
	ds_read2_b32 v[210:211], v193 offset0:15 offset1:16
	ds_read2_b32 v[212:213], v193 offset0:17 offset1:18
	;; [unrolled: 1-line block ×3, first 2 shown]
	s_waitcnt vmcnt(53) lgkmcnt(3)
	v_mul_f32_e32 v216, v207, v45
	ds_read2_b32 v[218:219], v193 offset0:21 offset1:22
	s_waitcnt vmcnt(51) lgkmcnt(3)
	v_pk_fma_f32 v[48:49], v[216:217], v[210:211], v[48:49] op_sel_hi:[0,1,1] neg_lo:[1,0,0] neg_hi:[1,0,0]
	s_waitcnt vmcnt(49) lgkmcnt(2)
	v_pk_fma_f32 v[74:75], v[216:217], v[212:213], v[74:75] op_sel_hi:[0,1,1] neg_lo:[1,0,0] neg_hi:[1,0,0]
	s_waitcnt vmcnt(47) lgkmcnt(1)
	v_pk_fma_f32 v[68:69], v[216:217], v[214:215], v[68:69] op_sel_hi:[0,1,1] neg_lo:[1,0,0] neg_hi:[1,0,0]
	ds_read2_b32 v[210:211], v193 offset0:23 offset1:24
	ds_read2_b32 v[212:213], v193 offset0:25 offset1:26
	ds_read2_b32 v[214:215], v193 offset0:27 offset1:28
	s_waitcnt vmcnt(45) lgkmcnt(3)
	v_pk_fma_f32 v[70:71], v[216:217], v[218:219], v[70:71] op_sel_hi:[0,1,1] neg_lo:[1,0,0] neg_hi:[1,0,0]
	ds_read2_b32 v[218:219], v193 offset0:29 offset1:30
	s_waitcnt vmcnt(43) lgkmcnt(3)
	v_pk_fma_f32 v[72:73], v[216:217], v[210:211], v[72:73] op_sel_hi:[0,1,1] neg_lo:[1,0,0] neg_hi:[1,0,0]
	s_waitcnt vmcnt(41) lgkmcnt(2)
	v_pk_fma_f32 v[94:95], v[216:217], v[212:213], v[94:95] op_sel_hi:[0,1,1] neg_lo:[1,0,0] neg_hi:[1,0,0]
	s_waitcnt vmcnt(39) lgkmcnt(1)
	v_pk_fma_f32 v[96:97], v[216:217], v[214:215], v[96:97] op_sel_hi:[0,1,1] neg_lo:[1,0,0] neg_hi:[1,0,0]
	ds_read2_b32 v[210:211], v193 offset0:31 offset1:32
	ds_read2_b32 v[212:213], v193 offset0:33 offset1:34
	ds_read2_b32 v[214:215], v193 offset0:35 offset1:36
	s_waitcnt vmcnt(37) lgkmcnt(3)
	v_pk_fma_f32 v[98:99], v[216:217], v[218:219], v[98:99] op_sel_hi:[0,1,1] neg_lo:[1,0,0] neg_hi:[1,0,0]
	;; [unrolled: 12-line block ×4, first 2 shown]
	ds_read2_b32 v[218:219], v193 offset0:53 offset1:54
	s_waitcnt vmcnt(19) lgkmcnt(3)
	v_pk_fma_f32 v[144:145], v[216:217], v[210:211], v[144:145] op_sel_hi:[0,1,1] neg_lo:[1,0,0] neg_hi:[1,0,0]
	s_waitcnt vmcnt(17) lgkmcnt(2)
	v_pk_fma_f32 v[166:167], v[216:217], v[212:213], v[166:167] op_sel_hi:[0,1,1] neg_lo:[1,0,0] neg_hi:[1,0,0]
	;; [unrolled: 2-line block ×3, first 2 shown]
	ds_read2_b32 v[210:211], v193 offset0:55 offset1:56
	ds_read2_b32 v[212:213], v193 offset0:57 offset1:58
	;; [unrolled: 1-line block ×4, first 2 shown]
	s_waitcnt vmcnt(13) lgkmcnt(4)
	v_pk_fma_f32 v[170:171], v[216:217], v[218:219], v[170:171] op_sel_hi:[0,1,1] neg_lo:[1,0,0] neg_hi:[1,0,0]
	s_waitcnt vmcnt(11) lgkmcnt(3)
	v_pk_fma_f32 v[164:165], v[216:217], v[210:211], v[164:165] op_sel_hi:[0,1,1] neg_lo:[1,0,0] neg_hi:[1,0,0]
	s_waitcnt vmcnt(9) lgkmcnt(2)
	v_pk_fma_f32 v[186:187], v[216:217], v[212:213], v[186:187] op_sel_hi:[0,1,1] neg_lo:[1,0,0] neg_hi:[1,0,0]
	s_waitcnt vmcnt(7) lgkmcnt(1)
	v_pk_fma_f32 v[188:189], v[216:217], v[214:215], v[188:189] op_sel_hi:[0,1,1] neg_lo:[1,0,0] neg_hi:[1,0,0]
	s_waitcnt vmcnt(5) lgkmcnt(0)
	v_pk_fma_f32 v[190:191], v[216:217], v[220:221], v[190:191] op_sel_hi:[0,1,1] neg_lo:[1,0,0] neg_hi:[1,0,0]
	v_mov_b32_e32 v45, v216
.LBB125_83:
	s_or_b64 exec, exec, s[2:3]
	v_cmp_eq_u32_e32 vcc, 15, v25
	s_waitcnt lgkmcnt(0)
	s_barrier
	s_and_saveexec_b64 s[2:3], vcc
	s_cbranch_execz .LBB125_86
; %bb.84:
	s_waitcnt vmcnt(49)
	v_pk_mov_b32 v[210:211], v[48:49], v[74:75] op_sel:[1,0]
	ds_write_b32 v192, v48
	ds_write2_b32 v193, v210, v211 offset0:16 offset1:17
	s_waitcnt vmcnt(47)
	v_pk_mov_b32 v[210:211], v[74:75], v[68:69] op_sel:[1,0]
	ds_write2_b32 v193, v210, v211 offset0:18 offset1:19
	s_waitcnt vmcnt(45)
	v_pk_mov_b32 v[210:211], v[68:69], v[70:71] op_sel:[1,0]
	;; [unrolled: 3-line block ×22, first 2 shown]
	ds_write2_b32 v193, v210, v211 offset0:60 offset1:61
	ds_write_b32 v193, v191 offset:248
	ds_read_b32 v209, v192
	s_waitcnt lgkmcnt(0)
	v_cmp_neq_f32_e32 vcc, 0, v209
	s_and_b64 exec, exec, vcc
	s_cbranch_execz .LBB125_86
; %bb.85:
	v_div_scale_f32 v194, s[4:5], v209, v209, 1.0
	v_rcp_f32_e32 v195, v194
	v_div_scale_f32 v196, vcc, 1.0, v209, 1.0
	v_fma_f32 v197, -v194, v195, 1.0
	v_fmac_f32_e32 v195, v197, v195
	v_mul_f32_e32 v197, v196, v195
	v_fma_f32 v210, -v194, v197, v196
	v_fmac_f32_e32 v197, v210, v195
	v_fma_f32 v194, -v194, v197, v196
	v_div_fmas_f32 v194, v194, v195, v197
	v_div_fixup_f32 v194, v194, v209, 1.0
	ds_write_b32 v192, v194
.LBB125_86:
	s_or_b64 exec, exec, s[2:3]
	s_waitcnt lgkmcnt(0)
	s_barrier
	ds_read_b32 v3, v192
	v_cmp_lt_u32_e32 vcc, 15, v25
	s_and_saveexec_b64 s[2:3], vcc
	s_cbranch_execz .LBB125_88
; %bb.87:
	ds_read_b32 v194, v193 offset:64
	ds_read2_b32 v[210:211], v193 offset0:17 offset1:18
	ds_read2_b32 v[212:213], v193 offset0:19 offset1:20
	s_waitcnt vmcnt(52) lgkmcnt(3)
	v_mul_f32_e32 v48, v3, v48
	ds_read2_b32 v[214:215], v193 offset0:21 offset1:22
	s_waitcnt vmcnt(51) lgkmcnt(3)
	v_fma_f32 v49, -v48, v194, v49
	s_waitcnt vmcnt(49) lgkmcnt(2)
	v_pk_fma_f32 v[74:75], v[48:49], v[210:211], v[74:75] op_sel_hi:[0,1,1] neg_lo:[1,0,0] neg_hi:[1,0,0]
	s_waitcnt vmcnt(47) lgkmcnt(1)
	v_pk_fma_f32 v[68:69], v[48:49], v[212:213], v[68:69] op_sel_hi:[0,1,1] neg_lo:[1,0,0] neg_hi:[1,0,0]
	ds_read2_b32 v[210:211], v193 offset0:23 offset1:24
	ds_read2_b32 v[212:213], v193 offset0:25 offset1:26
	ds_read2_b32 v[216:217], v193 offset0:27 offset1:28
	s_waitcnt vmcnt(45) lgkmcnt(3)
	v_pk_fma_f32 v[70:71], v[48:49], v[214:215], v[70:71] op_sel_hi:[0,1,1] neg_lo:[1,0,0] neg_hi:[1,0,0]
	ds_read2_b32 v[214:215], v193 offset0:29 offset1:30
	s_waitcnt vmcnt(43) lgkmcnt(3)
	v_pk_fma_f32 v[72:73], v[48:49], v[210:211], v[72:73] op_sel_hi:[0,1,1] neg_lo:[1,0,0] neg_hi:[1,0,0]
	s_waitcnt vmcnt(41) lgkmcnt(2)
	v_pk_fma_f32 v[94:95], v[48:49], v[212:213], v[94:95] op_sel_hi:[0,1,1] neg_lo:[1,0,0] neg_hi:[1,0,0]
	s_waitcnt vmcnt(39) lgkmcnt(1)
	v_pk_fma_f32 v[96:97], v[48:49], v[216:217], v[96:97] op_sel_hi:[0,1,1] neg_lo:[1,0,0] neg_hi:[1,0,0]
	ds_read2_b32 v[210:211], v193 offset0:31 offset1:32
	ds_read2_b32 v[212:213], v193 offset0:33 offset1:34
	ds_read2_b32 v[216:217], v193 offset0:35 offset1:36
	s_waitcnt vmcnt(37) lgkmcnt(3)
	v_pk_fma_f32 v[98:99], v[48:49], v[214:215], v[98:99] op_sel_hi:[0,1,1] neg_lo:[1,0,0] neg_hi:[1,0,0]
	ds_read2_b32 v[214:215], v193 offset0:37 offset1:38
	s_waitcnt vmcnt(35) lgkmcnt(3)
	v_pk_fma_f32 v[92:93], v[48:49], v[210:211], v[92:93] op_sel_hi:[0,1,1] neg_lo:[1,0,0] neg_hi:[1,0,0]
	;; [unrolled: 12-line block ×4, first 2 shown]
	s_waitcnt vmcnt(17) lgkmcnt(2)
	v_pk_fma_f32 v[166:167], v[48:49], v[212:213], v[166:167] op_sel_hi:[0,1,1] neg_lo:[1,0,0] neg_hi:[1,0,0]
	s_waitcnt vmcnt(15) lgkmcnt(1)
	v_pk_fma_f32 v[168:169], v[48:49], v[216:217], v[168:169] op_sel_hi:[0,1,1] neg_lo:[1,0,0] neg_hi:[1,0,0]
	ds_read2_b32 v[210:211], v193 offset0:55 offset1:56
	ds_read2_b32 v[212:213], v193 offset0:57 offset1:58
	;; [unrolled: 1-line block ×4, first 2 shown]
	s_waitcnt vmcnt(13) lgkmcnt(4)
	v_pk_fma_f32 v[170:171], v[48:49], v[214:215], v[170:171] op_sel_hi:[0,1,1] neg_lo:[1,0,0] neg_hi:[1,0,0]
	s_waitcnt vmcnt(11) lgkmcnt(3)
	v_pk_fma_f32 v[164:165], v[48:49], v[210:211], v[164:165] op_sel_hi:[0,1,1] neg_lo:[1,0,0] neg_hi:[1,0,0]
	;; [unrolled: 2-line block ×5, first 2 shown]
.LBB125_88:
	s_or_b64 exec, exec, s[2:3]
	v_cmp_ne_u32_e32 vcc, 16, v25
	s_waitcnt lgkmcnt(0)
	s_barrier
	s_and_saveexec_b64 s[2:3], vcc
	s_xor_b64 s[2:3], exec, s[2:3]
	s_andn2_saveexec_b64 s[2:3], s[2:3]
	s_cbranch_execz .LBB125_92
; %bb.89:
	s_waitcnt vmcnt(51)
	ds_write_b32 v192, v49
	s_waitcnt vmcnt(49)
	ds_write2_b32 v193, v74, v75 offset0:17 offset1:18
	s_waitcnt vmcnt(47)
	ds_write2_b32 v193, v68, v69 offset0:19 offset1:20
	;; [unrolled: 2-line block ×23, first 2 shown]
	ds_read_b32 v210, v192
	s_waitcnt lgkmcnt(0)
	v_cmp_neq_f32_e32 vcc, 0, v210
	s_and_saveexec_b64 s[4:5], vcc
	s_cbranch_execz .LBB125_91
; %bb.90:
	v_div_scale_f32 v194, s[10:11], v210, v210, 1.0
	v_rcp_f32_e32 v195, v194
	v_div_scale_f32 v196, vcc, 1.0, v210, 1.0
	v_fma_f32 v197, -v194, v195, 1.0
	v_fmac_f32_e32 v195, v197, v195
	v_mul_f32_e32 v197, v196, v195
	v_fma_f32 v211, -v194, v197, v196
	v_fmac_f32_e32 v197, v211, v195
	v_fma_f32 v194, -v194, v197, v196
	v_div_fmas_f32 v194, v194, v195, v197
	v_div_fixup_f32 v194, v194, v210, 1.0
	ds_write_b32 v192, v194
.LBB125_91:
	s_or_b64 exec, exec, s[4:5]
.LBB125_92:
	s_or_b64 exec, exec, s[2:3]
	s_waitcnt lgkmcnt(0)
	s_barrier
	ds_read_b32 v210, v192
	v_cmp_lt_u32_e32 vcc, 16, v25
	s_and_saveexec_b64 s[2:3], vcc
	s_cbranch_execz .LBB125_94
; %bb.93:
	ds_read2_b32 v[212:213], v193 offset0:17 offset1:18
	ds_read2_b32 v[214:215], v193 offset0:19 offset1:20
	;; [unrolled: 1-line block ×3, first 2 shown]
	s_waitcnt vmcnt(51) lgkmcnt(3)
	v_mul_f32_e32 v218, v210, v49
	ds_read2_b32 v[220:221], v193 offset0:23 offset1:24
	s_waitcnt vmcnt(49) lgkmcnt(3)
	v_pk_fma_f32 v[74:75], v[218:219], v[212:213], v[74:75] op_sel_hi:[0,1,1] neg_lo:[1,0,0] neg_hi:[1,0,0]
	s_waitcnt vmcnt(47) lgkmcnt(2)
	v_pk_fma_f32 v[68:69], v[218:219], v[214:215], v[68:69] op_sel_hi:[0,1,1] neg_lo:[1,0,0] neg_hi:[1,0,0]
	s_waitcnt vmcnt(45) lgkmcnt(1)
	v_pk_fma_f32 v[70:71], v[218:219], v[216:217], v[70:71] op_sel_hi:[0,1,1] neg_lo:[1,0,0] neg_hi:[1,0,0]
	ds_read2_b32 v[212:213], v193 offset0:25 offset1:26
	ds_read2_b32 v[214:215], v193 offset0:27 offset1:28
	ds_read2_b32 v[216:217], v193 offset0:29 offset1:30
	s_waitcnt vmcnt(43) lgkmcnt(3)
	v_pk_fma_f32 v[72:73], v[218:219], v[220:221], v[72:73] op_sel_hi:[0,1,1] neg_lo:[1,0,0] neg_hi:[1,0,0]
	ds_read2_b32 v[220:221], v193 offset0:31 offset1:32
	s_waitcnt vmcnt(41) lgkmcnt(3)
	v_pk_fma_f32 v[94:95], v[218:219], v[212:213], v[94:95] op_sel_hi:[0,1,1] neg_lo:[1,0,0] neg_hi:[1,0,0]
	s_waitcnt vmcnt(39) lgkmcnt(2)
	v_pk_fma_f32 v[96:97], v[218:219], v[214:215], v[96:97] op_sel_hi:[0,1,1] neg_lo:[1,0,0] neg_hi:[1,0,0]
	s_waitcnt vmcnt(37) lgkmcnt(1)
	v_pk_fma_f32 v[98:99], v[218:219], v[216:217], v[98:99] op_sel_hi:[0,1,1] neg_lo:[1,0,0] neg_hi:[1,0,0]
	ds_read2_b32 v[212:213], v193 offset0:33 offset1:34
	ds_read2_b32 v[214:215], v193 offset0:35 offset1:36
	ds_read2_b32 v[216:217], v193 offset0:37 offset1:38
	s_waitcnt vmcnt(35) lgkmcnt(3)
	v_pk_fma_f32 v[92:93], v[218:219], v[220:221], v[92:93] op_sel_hi:[0,1,1] neg_lo:[1,0,0] neg_hi:[1,0,0]
	;; [unrolled: 12-line block ×3, first 2 shown]
	ds_read2_b32 v[220:221], v193 offset0:47 offset1:48
	s_waitcnt vmcnt(25) lgkmcnt(3)
	v_pk_fma_f32 v[146:147], v[218:219], v[212:213], v[146:147] op_sel_hi:[0,1,1] neg_lo:[1,0,0] neg_hi:[1,0,0]
	s_waitcnt vmcnt(23) lgkmcnt(2)
	v_pk_fma_f32 v[140:141], v[218:219], v[214:215], v[140:141] op_sel_hi:[0,1,1] neg_lo:[1,0,0] neg_hi:[1,0,0]
	ds_read2_b32 v[212:213], v193 offset0:49 offset1:50
	ds_read2_b32 v[214:215], v193 offset0:51 offset1:52
	s_waitcnt vmcnt(21) lgkmcnt(3)
	v_pk_fma_f32 v[142:143], v[218:219], v[216:217], v[142:143] op_sel_hi:[0,1,1] neg_lo:[1,0,0] neg_hi:[1,0,0]
	s_waitcnt vmcnt(19) lgkmcnt(2)
	v_pk_fma_f32 v[144:145], v[218:219], v[220:221], v[144:145] op_sel_hi:[0,1,1] neg_lo:[1,0,0] neg_hi:[1,0,0]
	ds_read2_b32 v[216:217], v193 offset0:53 offset1:54
	;; [unrolled: 6-line block ×3, first 2 shown]
	ds_read2_b32 v[214:215], v193 offset0:59 offset1:60
	ds_read2_b32 v[222:223], v193 offset0:61 offset1:62
	s_waitcnt vmcnt(13) lgkmcnt(4)
	v_pk_fma_f32 v[170:171], v[218:219], v[216:217], v[170:171] op_sel_hi:[0,1,1] neg_lo:[1,0,0] neg_hi:[1,0,0]
	s_waitcnt vmcnt(11) lgkmcnt(3)
	v_pk_fma_f32 v[164:165], v[218:219], v[220:221], v[164:165] op_sel_hi:[0,1,1] neg_lo:[1,0,0] neg_hi:[1,0,0]
	;; [unrolled: 2-line block ×5, first 2 shown]
	v_mov_b32_e32 v49, v218
.LBB125_94:
	s_or_b64 exec, exec, s[2:3]
	v_cmp_eq_u32_e32 vcc, 17, v25
	s_waitcnt lgkmcnt(0)
	s_barrier
	s_and_saveexec_b64 s[2:3], vcc
	s_cbranch_execz .LBB125_97
; %bb.95:
	s_waitcnt vmcnt(47)
	v_pk_mov_b32 v[212:213], v[74:75], v[68:69] op_sel:[1,0]
	ds_write_b32 v192, v74
	ds_write2_b32 v193, v212, v213 offset0:18 offset1:19
	s_waitcnt vmcnt(45)
	v_pk_mov_b32 v[212:213], v[68:69], v[70:71] op_sel:[1,0]
	ds_write2_b32 v193, v212, v213 offset0:20 offset1:21
	s_waitcnt vmcnt(43)
	v_pk_mov_b32 v[212:213], v[70:71], v[72:73] op_sel:[1,0]
	;; [unrolled: 3-line block ×21, first 2 shown]
	ds_write2_b32 v193, v212, v213 offset0:60 offset1:61
	ds_write_b32 v193, v191 offset:248
	ds_read_b32 v211, v192
	s_waitcnt lgkmcnt(0)
	v_cmp_neq_f32_e32 vcc, 0, v211
	s_and_b64 exec, exec, vcc
	s_cbranch_execz .LBB125_97
; %bb.96:
	v_div_scale_f32 v194, s[4:5], v211, v211, 1.0
	v_rcp_f32_e32 v195, v194
	v_div_scale_f32 v196, vcc, 1.0, v211, 1.0
	v_fma_f32 v197, -v194, v195, 1.0
	v_fmac_f32_e32 v195, v197, v195
	v_mul_f32_e32 v197, v196, v195
	v_fma_f32 v212, -v194, v197, v196
	v_fmac_f32_e32 v197, v212, v195
	v_fma_f32 v194, -v194, v197, v196
	v_div_fmas_f32 v194, v194, v195, v197
	v_div_fixup_f32 v194, v194, v211, 1.0
	ds_write_b32 v192, v194
.LBB125_97:
	s_or_b64 exec, exec, s[2:3]
	s_waitcnt lgkmcnt(0)
	s_barrier
	ds_read_b32 v211, v192
	v_cmp_lt_u32_e32 vcc, 17, v25
	s_and_saveexec_b64 s[2:3], vcc
	s_cbranch_execz .LBB125_99
; %bb.98:
	ds_read_b32 v194, v193 offset:72
	ds_read2_b32 v[212:213], v193 offset0:19 offset1:20
	ds_read2_b32 v[214:215], v193 offset0:21 offset1:22
	s_waitcnt vmcnt(50) lgkmcnt(3)
	v_mul_f32_e32 v74, v211, v74
	ds_read2_b32 v[216:217], v193 offset0:23 offset1:24
	s_waitcnt vmcnt(49) lgkmcnt(3)
	v_fma_f32 v75, -v74, v194, v75
	s_waitcnt vmcnt(47) lgkmcnt(2)
	v_pk_fma_f32 v[68:69], v[74:75], v[212:213], v[68:69] op_sel_hi:[0,1,1] neg_lo:[1,0,0] neg_hi:[1,0,0]
	s_waitcnt vmcnt(45) lgkmcnt(1)
	v_pk_fma_f32 v[70:71], v[74:75], v[214:215], v[70:71] op_sel_hi:[0,1,1] neg_lo:[1,0,0] neg_hi:[1,0,0]
	ds_read2_b32 v[212:213], v193 offset0:25 offset1:26
	ds_read2_b32 v[214:215], v193 offset0:27 offset1:28
	ds_read2_b32 v[218:219], v193 offset0:29 offset1:30
	s_waitcnt vmcnt(43) lgkmcnt(3)
	v_pk_fma_f32 v[72:73], v[74:75], v[216:217], v[72:73] op_sel_hi:[0,1,1] neg_lo:[1,0,0] neg_hi:[1,0,0]
	ds_read2_b32 v[216:217], v193 offset0:31 offset1:32
	s_waitcnt vmcnt(41) lgkmcnt(3)
	v_pk_fma_f32 v[94:95], v[74:75], v[212:213], v[94:95] op_sel_hi:[0,1,1] neg_lo:[1,0,0] neg_hi:[1,0,0]
	s_waitcnt vmcnt(39) lgkmcnt(2)
	v_pk_fma_f32 v[96:97], v[74:75], v[214:215], v[96:97] op_sel_hi:[0,1,1] neg_lo:[1,0,0] neg_hi:[1,0,0]
	s_waitcnt vmcnt(37) lgkmcnt(1)
	v_pk_fma_f32 v[98:99], v[74:75], v[218:219], v[98:99] op_sel_hi:[0,1,1] neg_lo:[1,0,0] neg_hi:[1,0,0]
	ds_read2_b32 v[212:213], v193 offset0:33 offset1:34
	ds_read2_b32 v[214:215], v193 offset0:35 offset1:36
	ds_read2_b32 v[218:219], v193 offset0:37 offset1:38
	s_waitcnt vmcnt(35) lgkmcnt(3)
	v_pk_fma_f32 v[92:93], v[74:75], v[216:217], v[92:93] op_sel_hi:[0,1,1] neg_lo:[1,0,0] neg_hi:[1,0,0]
	ds_read2_b32 v[216:217], v193 offset0:39 offset1:40
	s_waitcnt vmcnt(33) lgkmcnt(3)
	v_pk_fma_f32 v[118:119], v[74:75], v[212:213], v[118:119] op_sel_hi:[0,1,1] neg_lo:[1,0,0] neg_hi:[1,0,0]
	;; [unrolled: 12-line block ×3, first 2 shown]
	s_waitcnt vmcnt(23) lgkmcnt(2)
	v_pk_fma_f32 v[140:141], v[74:75], v[214:215], v[140:141] op_sel_hi:[0,1,1] neg_lo:[1,0,0] neg_hi:[1,0,0]
	ds_read2_b32 v[212:213], v193 offset0:49 offset1:50
	ds_read2_b32 v[214:215], v193 offset0:51 offset1:52
	s_waitcnt vmcnt(21) lgkmcnt(3)
	v_pk_fma_f32 v[142:143], v[74:75], v[218:219], v[142:143] op_sel_hi:[0,1,1] neg_lo:[1,0,0] neg_hi:[1,0,0]
	s_waitcnt vmcnt(19) lgkmcnt(2)
	v_pk_fma_f32 v[144:145], v[74:75], v[216:217], v[144:145] op_sel_hi:[0,1,1] neg_lo:[1,0,0] neg_hi:[1,0,0]
	ds_read2_b32 v[216:217], v193 offset0:53 offset1:54
	ds_read2_b32 v[218:219], v193 offset0:55 offset1:56
	s_waitcnt vmcnt(17) lgkmcnt(3)
	v_pk_fma_f32 v[166:167], v[74:75], v[212:213], v[166:167] op_sel_hi:[0,1,1] neg_lo:[1,0,0] neg_hi:[1,0,0]
	s_waitcnt vmcnt(15) lgkmcnt(2)
	v_pk_fma_f32 v[168:169], v[74:75], v[214:215], v[168:169] op_sel_hi:[0,1,1] neg_lo:[1,0,0] neg_hi:[1,0,0]
	ds_read2_b32 v[212:213], v193 offset0:57 offset1:58
	ds_read2_b32 v[214:215], v193 offset0:59 offset1:60
	;; [unrolled: 1-line block ×3, first 2 shown]
	s_waitcnt vmcnt(13) lgkmcnt(4)
	v_pk_fma_f32 v[170:171], v[74:75], v[216:217], v[170:171] op_sel_hi:[0,1,1] neg_lo:[1,0,0] neg_hi:[1,0,0]
	s_waitcnt vmcnt(11) lgkmcnt(3)
	v_pk_fma_f32 v[164:165], v[74:75], v[218:219], v[164:165] op_sel_hi:[0,1,1] neg_lo:[1,0,0] neg_hi:[1,0,0]
	;; [unrolled: 2-line block ×5, first 2 shown]
.LBB125_99:
	s_or_b64 exec, exec, s[2:3]
	v_cmp_ne_u32_e32 vcc, 18, v25
	s_waitcnt lgkmcnt(0)
	s_barrier
	s_and_saveexec_b64 s[2:3], vcc
	s_xor_b64 s[2:3], exec, s[2:3]
	s_andn2_saveexec_b64 s[2:3], s[2:3]
	s_cbranch_execz .LBB125_103
; %bb.100:
	s_waitcnt vmcnt(49)
	ds_write_b32 v192, v75
	s_waitcnt vmcnt(47)
	ds_write2_b32 v193, v68, v69 offset0:19 offset1:20
	s_waitcnt vmcnt(45)
	ds_write2_b32 v193, v70, v71 offset0:21 offset1:22
	s_waitcnt vmcnt(43)
	ds_write2_b32 v193, v72, v73 offset0:23 offset1:24
	s_waitcnt vmcnt(41)
	ds_write2_b32 v193, v94, v95 offset0:25 offset1:26
	s_waitcnt vmcnt(39)
	ds_write2_b32 v193, v96, v97 offset0:27 offset1:28
	s_waitcnt vmcnt(37)
	ds_write2_b32 v193, v98, v99 offset0:29 offset1:30
	s_waitcnt vmcnt(35)
	ds_write2_b32 v193, v92, v93 offset0:31 offset1:32
	s_waitcnt vmcnt(33)
	ds_write2_b32 v193, v118, v119 offset0:33 offset1:34
	s_waitcnt vmcnt(31)
	ds_write2_b32 v193, v122, v123 offset0:35 offset1:36
	s_waitcnt vmcnt(29)
	ds_write2_b32 v193, v116, v117 offset0:37 offset1:38
	s_waitcnt vmcnt(27)
	ds_write2_b32 v193, v120, v121 offset0:39 offset1:40
	s_waitcnt vmcnt(25)
	ds_write2_b32 v193, v146, v147 offset0:41 offset1:42
	s_waitcnt vmcnt(23)
	ds_write2_b32 v193, v140, v141 offset0:43 offset1:44
	s_waitcnt vmcnt(21)
	ds_write2_b32 v193, v142, v143 offset0:45 offset1:46
	s_waitcnt vmcnt(19)
	ds_write2_b32 v193, v144, v145 offset0:47 offset1:48
	s_waitcnt vmcnt(17)
	ds_write2_b32 v193, v166, v167 offset0:49 offset1:50
	s_waitcnt vmcnt(15)
	ds_write2_b32 v193, v168, v169 offset0:51 offset1:52
	s_waitcnt vmcnt(13)
	ds_write2_b32 v193, v170, v171 offset0:53 offset1:54
	s_waitcnt vmcnt(11)
	ds_write2_b32 v193, v164, v165 offset0:55 offset1:56
	s_waitcnt vmcnt(9)
	ds_write2_b32 v193, v186, v187 offset0:57 offset1:58
	s_waitcnt vmcnt(7)
	ds_write2_b32 v193, v188, v189 offset0:59 offset1:60
	s_waitcnt vmcnt(5)
	ds_write2_b32 v193, v190, v191 offset0:61 offset1:62
	ds_read_b32 v212, v192
	s_waitcnt lgkmcnt(0)
	v_cmp_neq_f32_e32 vcc, 0, v212
	s_and_saveexec_b64 s[4:5], vcc
	s_cbranch_execz .LBB125_102
; %bb.101:
	v_div_scale_f32 v194, s[10:11], v212, v212, 1.0
	v_rcp_f32_e32 v195, v194
	v_div_scale_f32 v196, vcc, 1.0, v212, 1.0
	v_fma_f32 v197, -v194, v195, 1.0
	v_fmac_f32_e32 v195, v197, v195
	v_mul_f32_e32 v197, v196, v195
	v_fma_f32 v213, -v194, v197, v196
	v_fmac_f32_e32 v197, v213, v195
	v_fma_f32 v194, -v194, v197, v196
	v_div_fmas_f32 v194, v194, v195, v197
	v_div_fixup_f32 v194, v194, v212, 1.0
	ds_write_b32 v192, v194
.LBB125_102:
	s_or_b64 exec, exec, s[4:5]
.LBB125_103:
	s_or_b64 exec, exec, s[2:3]
	s_waitcnt lgkmcnt(0)
	s_barrier
	ds_read_b32 v212, v192
	v_cmp_lt_u32_e32 vcc, 18, v25
	s_and_saveexec_b64 s[2:3], vcc
	s_cbranch_execz .LBB125_105
; %bb.104:
	ds_read2_b32 v[214:215], v193 offset0:19 offset1:20
	ds_read2_b32 v[216:217], v193 offset0:21 offset1:22
	;; [unrolled: 1-line block ×4, first 2 shown]
	s_waitcnt vmcnt(49) lgkmcnt(4)
	v_mul_f32_e32 v220, v212, v75
	s_waitcnt vmcnt(47) lgkmcnt(3)
	v_pk_fma_f32 v[68:69], v[220:221], v[214:215], v[68:69] op_sel_hi:[0,1,1] neg_lo:[1,0,0] neg_hi:[1,0,0]
	s_waitcnt vmcnt(45) lgkmcnt(2)
	v_pk_fma_f32 v[70:71], v[220:221], v[216:217], v[70:71] op_sel_hi:[0,1,1] neg_lo:[1,0,0] neg_hi:[1,0,0]
	s_waitcnt vmcnt(43) lgkmcnt(1)
	v_pk_fma_f32 v[72:73], v[220:221], v[218:219], v[72:73] op_sel_hi:[0,1,1] neg_lo:[1,0,0] neg_hi:[1,0,0]
	ds_read2_b32 v[214:215], v193 offset0:27 offset1:28
	ds_read2_b32 v[216:217], v193 offset0:29 offset1:30
	ds_read2_b32 v[218:219], v193 offset0:31 offset1:32
	s_waitcnt vmcnt(41) lgkmcnt(3)
	v_pk_fma_f32 v[94:95], v[220:221], v[222:223], v[94:95] op_sel_hi:[0,1,1] neg_lo:[1,0,0] neg_hi:[1,0,0]
	ds_read2_b32 v[222:223], v193 offset0:33 offset1:34
	s_waitcnt vmcnt(39) lgkmcnt(3)
	v_pk_fma_f32 v[96:97], v[220:221], v[214:215], v[96:97] op_sel_hi:[0,1,1] neg_lo:[1,0,0] neg_hi:[1,0,0]
	s_waitcnt vmcnt(37) lgkmcnt(2)
	v_pk_fma_f32 v[98:99], v[220:221], v[216:217], v[98:99] op_sel_hi:[0,1,1] neg_lo:[1,0,0] neg_hi:[1,0,0]
	s_waitcnt vmcnt(35) lgkmcnt(1)
	v_pk_fma_f32 v[92:93], v[220:221], v[218:219], v[92:93] op_sel_hi:[0,1,1] neg_lo:[1,0,0] neg_hi:[1,0,0]
	ds_read2_b32 v[214:215], v193 offset0:35 offset1:36
	ds_read2_b32 v[216:217], v193 offset0:37 offset1:38
	ds_read2_b32 v[218:219], v193 offset0:39 offset1:40
	s_waitcnt vmcnt(33) lgkmcnt(3)
	v_pk_fma_f32 v[118:119], v[220:221], v[222:223], v[118:119] op_sel_hi:[0,1,1] neg_lo:[1,0,0] neg_hi:[1,0,0]
	ds_read2_b32 v[222:223], v193 offset0:41 offset1:42
	;; [unrolled: 12-line block ×3, first 2 shown]
	s_waitcnt vmcnt(23) lgkmcnt(3)
	v_pk_fma_f32 v[140:141], v[220:221], v[214:215], v[140:141] op_sel_hi:[0,1,1] neg_lo:[1,0,0] neg_hi:[1,0,0]
	ds_read2_b32 v[214:215], v193 offset0:51 offset1:52
	s_waitcnt vmcnt(21) lgkmcnt(3)
	v_pk_fma_f32 v[142:143], v[220:221], v[216:217], v[142:143] op_sel_hi:[0,1,1] neg_lo:[1,0,0] neg_hi:[1,0,0]
	s_waitcnt vmcnt(19) lgkmcnt(2)
	v_pk_fma_f32 v[144:145], v[220:221], v[218:219], v[144:145] op_sel_hi:[0,1,1] neg_lo:[1,0,0] neg_hi:[1,0,0]
	;; [unrolled: 2-line block ×3, first 2 shown]
	ds_read2_b32 v[216:217], v193 offset0:53 offset1:54
	ds_read2_b32 v[218:219], v193 offset0:55 offset1:56
	;; [unrolled: 1-line block ×3, first 2 shown]
	s_waitcnt vmcnt(15) lgkmcnt(3)
	v_pk_fma_f32 v[168:169], v[220:221], v[214:215], v[168:169] op_sel_hi:[0,1,1] neg_lo:[1,0,0] neg_hi:[1,0,0]
	ds_read2_b32 v[214:215], v193 offset0:59 offset1:60
	ds_read2_b32 v[224:225], v193 offset0:61 offset1:62
	s_waitcnt vmcnt(13) lgkmcnt(4)
	v_pk_fma_f32 v[170:171], v[220:221], v[216:217], v[170:171] op_sel_hi:[0,1,1] neg_lo:[1,0,0] neg_hi:[1,0,0]
	s_waitcnt vmcnt(11) lgkmcnt(3)
	v_pk_fma_f32 v[164:165], v[220:221], v[218:219], v[164:165] op_sel_hi:[0,1,1] neg_lo:[1,0,0] neg_hi:[1,0,0]
	;; [unrolled: 2-line block ×5, first 2 shown]
	v_mov_b32_e32 v75, v220
.LBB125_105:
	s_or_b64 exec, exec, s[2:3]
	v_cmp_eq_u32_e32 vcc, 19, v25
	s_waitcnt lgkmcnt(0)
	s_barrier
	s_and_saveexec_b64 s[2:3], vcc
	s_cbranch_execz .LBB125_108
; %bb.106:
	s_waitcnt vmcnt(45)
	v_pk_mov_b32 v[214:215], v[68:69], v[70:71] op_sel:[1,0]
	ds_write_b32 v192, v68
	ds_write2_b32 v193, v214, v215 offset0:20 offset1:21
	s_waitcnt vmcnt(43)
	v_pk_mov_b32 v[214:215], v[70:71], v[72:73] op_sel:[1,0]
	ds_write2_b32 v193, v214, v215 offset0:22 offset1:23
	s_waitcnt vmcnt(41)
	v_pk_mov_b32 v[214:215], v[72:73], v[94:95] op_sel:[1,0]
	;; [unrolled: 3-line block ×20, first 2 shown]
	ds_write2_b32 v193, v214, v215 offset0:60 offset1:61
	ds_write_b32 v193, v191 offset:248
	ds_read_b32 v213, v192
	s_waitcnt lgkmcnt(0)
	v_cmp_neq_f32_e32 vcc, 0, v213
	s_and_b64 exec, exec, vcc
	s_cbranch_execz .LBB125_108
; %bb.107:
	v_div_scale_f32 v194, s[4:5], v213, v213, 1.0
	v_rcp_f32_e32 v195, v194
	v_div_scale_f32 v196, vcc, 1.0, v213, 1.0
	v_fma_f32 v197, -v194, v195, 1.0
	v_fmac_f32_e32 v195, v197, v195
	v_mul_f32_e32 v197, v196, v195
	v_fma_f32 v214, -v194, v197, v196
	v_fmac_f32_e32 v197, v214, v195
	v_fma_f32 v194, -v194, v197, v196
	v_div_fmas_f32 v194, v194, v195, v197
	v_div_fixup_f32 v194, v194, v213, 1.0
	ds_write_b32 v192, v194
.LBB125_108:
	s_or_b64 exec, exec, s[2:3]
	s_waitcnt lgkmcnt(0)
	s_barrier
	ds_read_b32 v213, v192
	v_cmp_lt_u32_e32 vcc, 19, v25
	s_and_saveexec_b64 s[2:3], vcc
	s_cbranch_execz .LBB125_110
; %bb.109:
	ds_read_b32 v194, v193 offset:80
	ds_read2_b32 v[214:215], v193 offset0:21 offset1:22
	ds_read2_b32 v[216:217], v193 offset0:23 offset1:24
	s_waitcnt vmcnt(48) lgkmcnt(3)
	v_mul_f32_e32 v68, v213, v68
	ds_read2_b32 v[218:219], v193 offset0:25 offset1:26
	s_waitcnt vmcnt(47) lgkmcnt(3)
	v_fma_f32 v69, -v68, v194, v69
	s_waitcnt vmcnt(45) lgkmcnt(2)
	v_pk_fma_f32 v[70:71], v[68:69], v[214:215], v[70:71] op_sel_hi:[0,1,1] neg_lo:[1,0,0] neg_hi:[1,0,0]
	s_waitcnt vmcnt(43) lgkmcnt(1)
	v_pk_fma_f32 v[72:73], v[68:69], v[216:217], v[72:73] op_sel_hi:[0,1,1] neg_lo:[1,0,0] neg_hi:[1,0,0]
	ds_read2_b32 v[214:215], v193 offset0:27 offset1:28
	ds_read2_b32 v[216:217], v193 offset0:29 offset1:30
	ds_read2_b32 v[220:221], v193 offset0:31 offset1:32
	s_waitcnt vmcnt(41) lgkmcnt(3)
	v_pk_fma_f32 v[94:95], v[68:69], v[218:219], v[94:95] op_sel_hi:[0,1,1] neg_lo:[1,0,0] neg_hi:[1,0,0]
	ds_read2_b32 v[218:219], v193 offset0:33 offset1:34
	s_waitcnt vmcnt(39) lgkmcnt(3)
	v_pk_fma_f32 v[96:97], v[68:69], v[214:215], v[96:97] op_sel_hi:[0,1,1] neg_lo:[1,0,0] neg_hi:[1,0,0]
	s_waitcnt vmcnt(37) lgkmcnt(2)
	v_pk_fma_f32 v[98:99], v[68:69], v[216:217], v[98:99] op_sel_hi:[0,1,1] neg_lo:[1,0,0] neg_hi:[1,0,0]
	s_waitcnt vmcnt(35) lgkmcnt(1)
	v_pk_fma_f32 v[92:93], v[68:69], v[220:221], v[92:93] op_sel_hi:[0,1,1] neg_lo:[1,0,0] neg_hi:[1,0,0]
	ds_read2_b32 v[214:215], v193 offset0:35 offset1:36
	ds_read2_b32 v[216:217], v193 offset0:37 offset1:38
	ds_read2_b32 v[220:221], v193 offset0:39 offset1:40
	s_waitcnt vmcnt(33) lgkmcnt(3)
	v_pk_fma_f32 v[118:119], v[68:69], v[218:219], v[118:119] op_sel_hi:[0,1,1] neg_lo:[1,0,0] neg_hi:[1,0,0]
	ds_read2_b32 v[218:219], v193 offset0:41 offset1:42
	s_waitcnt vmcnt(31) lgkmcnt(3)
	v_pk_fma_f32 v[122:123], v[68:69], v[214:215], v[122:123] op_sel_hi:[0,1,1] neg_lo:[1,0,0] neg_hi:[1,0,0]
	;; [unrolled: 12-line block ×3, first 2 shown]
	ds_read2_b32 v[214:215], v193 offset0:51 offset1:52
	s_waitcnt vmcnt(21) lgkmcnt(3)
	v_pk_fma_f32 v[142:143], v[68:69], v[216:217], v[142:143] op_sel_hi:[0,1,1] neg_lo:[1,0,0] neg_hi:[1,0,0]
	s_waitcnt vmcnt(19) lgkmcnt(2)
	v_pk_fma_f32 v[144:145], v[68:69], v[220:221], v[144:145] op_sel_hi:[0,1,1] neg_lo:[1,0,0] neg_hi:[1,0,0]
	;; [unrolled: 2-line block ×3, first 2 shown]
	ds_read2_b32 v[216:217], v193 offset0:53 offset1:54
	ds_read2_b32 v[218:219], v193 offset0:55 offset1:56
	;; [unrolled: 1-line block ×3, first 2 shown]
	s_waitcnt vmcnt(15) lgkmcnt(3)
	v_pk_fma_f32 v[168:169], v[68:69], v[214:215], v[168:169] op_sel_hi:[0,1,1] neg_lo:[1,0,0] neg_hi:[1,0,0]
	ds_read2_b32 v[214:215], v193 offset0:59 offset1:60
	ds_read2_b32 v[222:223], v193 offset0:61 offset1:62
	s_waitcnt vmcnt(13) lgkmcnt(4)
	v_pk_fma_f32 v[170:171], v[68:69], v[216:217], v[170:171] op_sel_hi:[0,1,1] neg_lo:[1,0,0] neg_hi:[1,0,0]
	s_waitcnt vmcnt(11) lgkmcnt(3)
	v_pk_fma_f32 v[164:165], v[68:69], v[218:219], v[164:165] op_sel_hi:[0,1,1] neg_lo:[1,0,0] neg_hi:[1,0,0]
	;; [unrolled: 2-line block ×5, first 2 shown]
.LBB125_110:
	s_or_b64 exec, exec, s[2:3]
	v_cmp_ne_u32_e32 vcc, 20, v25
	s_waitcnt lgkmcnt(0)
	s_barrier
	s_and_saveexec_b64 s[2:3], vcc
	s_xor_b64 s[2:3], exec, s[2:3]
	s_andn2_saveexec_b64 s[2:3], s[2:3]
	s_cbranch_execz .LBB125_114
; %bb.111:
	s_waitcnt vmcnt(47)
	ds_write_b32 v192, v69
	s_waitcnt vmcnt(45)
	ds_write2_b32 v193, v70, v71 offset0:21 offset1:22
	s_waitcnt vmcnt(43)
	ds_write2_b32 v193, v72, v73 offset0:23 offset1:24
	;; [unrolled: 2-line block ×21, first 2 shown]
	ds_read_b32 v214, v192
	s_waitcnt lgkmcnt(0)
	v_cmp_neq_f32_e32 vcc, 0, v214
	s_and_saveexec_b64 s[4:5], vcc
	s_cbranch_execz .LBB125_113
; %bb.112:
	v_div_scale_f32 v194, s[10:11], v214, v214, 1.0
	v_rcp_f32_e32 v195, v194
	v_div_scale_f32 v196, vcc, 1.0, v214, 1.0
	v_fma_f32 v197, -v194, v195, 1.0
	v_fmac_f32_e32 v195, v197, v195
	v_mul_f32_e32 v197, v196, v195
	v_fma_f32 v215, -v194, v197, v196
	v_fmac_f32_e32 v197, v215, v195
	v_fma_f32 v194, -v194, v197, v196
	v_div_fmas_f32 v194, v194, v195, v197
	v_div_fixup_f32 v194, v194, v214, 1.0
	ds_write_b32 v192, v194
.LBB125_113:
	s_or_b64 exec, exec, s[4:5]
.LBB125_114:
	s_or_b64 exec, exec, s[2:3]
	s_waitcnt lgkmcnt(0)
	s_barrier
	ds_read_b32 v214, v192
	v_cmp_lt_u32_e32 vcc, 20, v25
	s_and_saveexec_b64 s[2:3], vcc
	s_cbranch_execz .LBB125_116
; %bb.115:
	ds_read2_b32 v[216:217], v193 offset0:21 offset1:22
	ds_read2_b32 v[218:219], v193 offset0:23 offset1:24
	;; [unrolled: 1-line block ×3, first 2 shown]
	s_waitcnt vmcnt(47) lgkmcnt(3)
	v_mul_f32_e32 v222, v214, v69
	ds_read2_b32 v[224:225], v193 offset0:27 offset1:28
	s_waitcnt vmcnt(45) lgkmcnt(3)
	v_pk_fma_f32 v[70:71], v[222:223], v[216:217], v[70:71] op_sel_hi:[0,1,1] neg_lo:[1,0,0] neg_hi:[1,0,0]
	s_waitcnt vmcnt(43) lgkmcnt(2)
	v_pk_fma_f32 v[72:73], v[222:223], v[218:219], v[72:73] op_sel_hi:[0,1,1] neg_lo:[1,0,0] neg_hi:[1,0,0]
	;; [unrolled: 2-line block ×3, first 2 shown]
	ds_read2_b32 v[216:217], v193 offset0:29 offset1:30
	ds_read2_b32 v[218:219], v193 offset0:31 offset1:32
	;; [unrolled: 1-line block ×3, first 2 shown]
	s_waitcnt vmcnt(39) lgkmcnt(3)
	v_pk_fma_f32 v[96:97], v[222:223], v[224:225], v[96:97] op_sel_hi:[0,1,1] neg_lo:[1,0,0] neg_hi:[1,0,0]
	ds_read2_b32 v[224:225], v193 offset0:35 offset1:36
	s_waitcnt vmcnt(37) lgkmcnt(3)
	v_pk_fma_f32 v[98:99], v[222:223], v[216:217], v[98:99] op_sel_hi:[0,1,1] neg_lo:[1,0,0] neg_hi:[1,0,0]
	s_waitcnt vmcnt(35) lgkmcnt(2)
	v_pk_fma_f32 v[92:93], v[222:223], v[218:219], v[92:93] op_sel_hi:[0,1,1] neg_lo:[1,0,0] neg_hi:[1,0,0]
	;; [unrolled: 2-line block ×3, first 2 shown]
	ds_read2_b32 v[216:217], v193 offset0:37 offset1:38
	ds_read2_b32 v[218:219], v193 offset0:39 offset1:40
	;; [unrolled: 1-line block ×3, first 2 shown]
	s_waitcnt vmcnt(31) lgkmcnt(3)
	v_pk_fma_f32 v[122:123], v[222:223], v[224:225], v[122:123] op_sel_hi:[0,1,1] neg_lo:[1,0,0] neg_hi:[1,0,0]
	ds_read2_b32 v[224:225], v193 offset0:43 offset1:44
	s_waitcnt vmcnt(29) lgkmcnt(3)
	v_pk_fma_f32 v[116:117], v[222:223], v[216:217], v[116:117] op_sel_hi:[0,1,1] neg_lo:[1,0,0] neg_hi:[1,0,0]
	s_waitcnt vmcnt(27) lgkmcnt(2)
	v_pk_fma_f32 v[120:121], v[222:223], v[218:219], v[120:121] op_sel_hi:[0,1,1] neg_lo:[1,0,0] neg_hi:[1,0,0]
	;; [unrolled: 2-line block ×3, first 2 shown]
	ds_read2_b32 v[216:217], v193 offset0:45 offset1:46
	ds_read2_b32 v[218:219], v193 offset0:47 offset1:48
	;; [unrolled: 1-line block ×4, first 2 shown]
	s_waitcnt vmcnt(23) lgkmcnt(4)
	v_pk_fma_f32 v[140:141], v[222:223], v[224:225], v[140:141] op_sel_hi:[0,1,1] neg_lo:[1,0,0] neg_hi:[1,0,0]
	s_waitcnt vmcnt(21) lgkmcnt(3)
	v_pk_fma_f32 v[142:143], v[222:223], v[216:217], v[142:143] op_sel_hi:[0,1,1] neg_lo:[1,0,0] neg_hi:[1,0,0]
	;; [unrolled: 2-line block ×5, first 2 shown]
	ds_read2_b32 v[216:217], v193 offset0:53 offset1:54
	ds_read2_b32 v[218:219], v193 offset0:55 offset1:56
	ds_read2_b32 v[220:221], v193 offset0:57 offset1:58
	ds_read2_b32 v[224:225], v193 offset0:59 offset1:60
	ds_read2_b32 v[226:227], v193 offset0:61 offset1:62
	s_waitcnt vmcnt(13) lgkmcnt(4)
	v_pk_fma_f32 v[170:171], v[222:223], v[216:217], v[170:171] op_sel_hi:[0,1,1] neg_lo:[1,0,0] neg_hi:[1,0,0]
	s_waitcnt vmcnt(11) lgkmcnt(3)
	v_pk_fma_f32 v[164:165], v[222:223], v[218:219], v[164:165] op_sel_hi:[0,1,1] neg_lo:[1,0,0] neg_hi:[1,0,0]
	;; [unrolled: 2-line block ×5, first 2 shown]
	v_mov_b32_e32 v69, v222
.LBB125_116:
	s_or_b64 exec, exec, s[2:3]
	v_cmp_eq_u32_e32 vcc, 21, v25
	s_waitcnt lgkmcnt(0)
	s_barrier
	s_and_saveexec_b64 s[2:3], vcc
	s_cbranch_execz .LBB125_119
; %bb.117:
	s_waitcnt vmcnt(43)
	v_pk_mov_b32 v[216:217], v[70:71], v[72:73] op_sel:[1,0]
	ds_write_b32 v192, v70
	ds_write2_b32 v193, v216, v217 offset0:22 offset1:23
	s_waitcnt vmcnt(41)
	v_pk_mov_b32 v[216:217], v[72:73], v[94:95] op_sel:[1,0]
	ds_write2_b32 v193, v216, v217 offset0:24 offset1:25
	s_waitcnt vmcnt(39)
	v_pk_mov_b32 v[216:217], v[94:95], v[96:97] op_sel:[1,0]
	;; [unrolled: 3-line block ×19, first 2 shown]
	ds_write2_b32 v193, v216, v217 offset0:60 offset1:61
	ds_write_b32 v193, v191 offset:248
	ds_read_b32 v215, v192
	s_waitcnt lgkmcnt(0)
	v_cmp_neq_f32_e32 vcc, 0, v215
	s_and_b64 exec, exec, vcc
	s_cbranch_execz .LBB125_119
; %bb.118:
	v_div_scale_f32 v194, s[4:5], v215, v215, 1.0
	v_rcp_f32_e32 v195, v194
	v_div_scale_f32 v196, vcc, 1.0, v215, 1.0
	v_fma_f32 v197, -v194, v195, 1.0
	v_fmac_f32_e32 v195, v197, v195
	v_mul_f32_e32 v197, v196, v195
	v_fma_f32 v216, -v194, v197, v196
	v_fmac_f32_e32 v197, v216, v195
	v_fma_f32 v194, -v194, v197, v196
	v_div_fmas_f32 v194, v194, v195, v197
	v_div_fixup_f32 v194, v194, v215, 1.0
	ds_write_b32 v192, v194
.LBB125_119:
	s_or_b64 exec, exec, s[2:3]
	s_waitcnt lgkmcnt(0)
	s_barrier
	ds_read_b32 v215, v192
	v_cmp_lt_u32_e32 vcc, 21, v25
	s_and_saveexec_b64 s[2:3], vcc
	s_cbranch_execz .LBB125_121
; %bb.120:
	ds_read_b32 v194, v193 offset:88
	ds_read2_b32 v[216:217], v193 offset0:23 offset1:24
	ds_read2_b32 v[218:219], v193 offset0:25 offset1:26
	s_waitcnt vmcnt(46) lgkmcnt(3)
	v_mul_f32_e32 v70, v215, v70
	ds_read2_b32 v[220:221], v193 offset0:27 offset1:28
	s_waitcnt vmcnt(45) lgkmcnt(3)
	v_fma_f32 v71, -v70, v194, v71
	s_waitcnt vmcnt(43) lgkmcnt(2)
	v_pk_fma_f32 v[72:73], v[70:71], v[216:217], v[72:73] op_sel_hi:[0,1,1] neg_lo:[1,0,0] neg_hi:[1,0,0]
	s_waitcnt vmcnt(41) lgkmcnt(1)
	v_pk_fma_f32 v[94:95], v[70:71], v[218:219], v[94:95] op_sel_hi:[0,1,1] neg_lo:[1,0,0] neg_hi:[1,0,0]
	ds_read2_b32 v[216:217], v193 offset0:29 offset1:30
	ds_read2_b32 v[218:219], v193 offset0:31 offset1:32
	;; [unrolled: 1-line block ×3, first 2 shown]
	s_waitcnt vmcnt(39) lgkmcnt(3)
	v_pk_fma_f32 v[96:97], v[70:71], v[220:221], v[96:97] op_sel_hi:[0,1,1] neg_lo:[1,0,0] neg_hi:[1,0,0]
	ds_read2_b32 v[220:221], v193 offset0:35 offset1:36
	s_waitcnt vmcnt(37) lgkmcnt(3)
	v_pk_fma_f32 v[98:99], v[70:71], v[216:217], v[98:99] op_sel_hi:[0,1,1] neg_lo:[1,0,0] neg_hi:[1,0,0]
	s_waitcnt vmcnt(35) lgkmcnt(2)
	v_pk_fma_f32 v[92:93], v[70:71], v[218:219], v[92:93] op_sel_hi:[0,1,1] neg_lo:[1,0,0] neg_hi:[1,0,0]
	;; [unrolled: 2-line block ×3, first 2 shown]
	ds_read2_b32 v[216:217], v193 offset0:37 offset1:38
	ds_read2_b32 v[218:219], v193 offset0:39 offset1:40
	;; [unrolled: 1-line block ×3, first 2 shown]
	s_waitcnt vmcnt(31) lgkmcnt(3)
	v_pk_fma_f32 v[122:123], v[70:71], v[220:221], v[122:123] op_sel_hi:[0,1,1] neg_lo:[1,0,0] neg_hi:[1,0,0]
	ds_read2_b32 v[220:221], v193 offset0:43 offset1:44
	s_waitcnt vmcnt(29) lgkmcnt(3)
	v_pk_fma_f32 v[116:117], v[70:71], v[216:217], v[116:117] op_sel_hi:[0,1,1] neg_lo:[1,0,0] neg_hi:[1,0,0]
	s_waitcnt vmcnt(27) lgkmcnt(2)
	v_pk_fma_f32 v[120:121], v[70:71], v[218:219], v[120:121] op_sel_hi:[0,1,1] neg_lo:[1,0,0] neg_hi:[1,0,0]
	;; [unrolled: 2-line block ×3, first 2 shown]
	ds_read2_b32 v[216:217], v193 offset0:45 offset1:46
	ds_read2_b32 v[218:219], v193 offset0:47 offset1:48
	;; [unrolled: 1-line block ×4, first 2 shown]
	s_waitcnt vmcnt(23) lgkmcnt(4)
	v_pk_fma_f32 v[140:141], v[70:71], v[220:221], v[140:141] op_sel_hi:[0,1,1] neg_lo:[1,0,0] neg_hi:[1,0,0]
	s_waitcnt vmcnt(21) lgkmcnt(3)
	v_pk_fma_f32 v[142:143], v[70:71], v[216:217], v[142:143] op_sel_hi:[0,1,1] neg_lo:[1,0,0] neg_hi:[1,0,0]
	;; [unrolled: 2-line block ×5, first 2 shown]
	ds_read2_b32 v[216:217], v193 offset0:53 offset1:54
	ds_read2_b32 v[218:219], v193 offset0:55 offset1:56
	;; [unrolled: 1-line block ×5, first 2 shown]
	s_waitcnt vmcnt(13) lgkmcnt(4)
	v_pk_fma_f32 v[170:171], v[70:71], v[216:217], v[170:171] op_sel_hi:[0,1,1] neg_lo:[1,0,0] neg_hi:[1,0,0]
	s_waitcnt vmcnt(11) lgkmcnt(3)
	v_pk_fma_f32 v[164:165], v[70:71], v[218:219], v[164:165] op_sel_hi:[0,1,1] neg_lo:[1,0,0] neg_hi:[1,0,0]
	;; [unrolled: 2-line block ×5, first 2 shown]
.LBB125_121:
	s_or_b64 exec, exec, s[2:3]
	v_cmp_ne_u32_e32 vcc, 22, v25
	s_waitcnt lgkmcnt(0)
	s_barrier
	s_and_saveexec_b64 s[2:3], vcc
	s_xor_b64 s[2:3], exec, s[2:3]
	s_andn2_saveexec_b64 s[2:3], s[2:3]
	s_cbranch_execz .LBB125_125
; %bb.122:
	s_waitcnt vmcnt(45)
	ds_write_b32 v192, v71
	s_waitcnt vmcnt(43)
	ds_write2_b32 v193, v72, v73 offset0:23 offset1:24
	s_waitcnt vmcnt(41)
	ds_write2_b32 v193, v94, v95 offset0:25 offset1:26
	;; [unrolled: 2-line block ×20, first 2 shown]
	ds_read_b32 v216, v192
	s_waitcnt lgkmcnt(0)
	v_cmp_neq_f32_e32 vcc, 0, v216
	s_and_saveexec_b64 s[4:5], vcc
	s_cbranch_execz .LBB125_124
; %bb.123:
	v_div_scale_f32 v194, s[10:11], v216, v216, 1.0
	v_rcp_f32_e32 v195, v194
	v_div_scale_f32 v196, vcc, 1.0, v216, 1.0
	v_fma_f32 v197, -v194, v195, 1.0
	v_fmac_f32_e32 v195, v197, v195
	v_mul_f32_e32 v197, v196, v195
	v_fma_f32 v217, -v194, v197, v196
	v_fmac_f32_e32 v197, v217, v195
	v_fma_f32 v194, -v194, v197, v196
	v_div_fmas_f32 v194, v194, v195, v197
	v_div_fixup_f32 v194, v194, v216, 1.0
	ds_write_b32 v192, v194
.LBB125_124:
	s_or_b64 exec, exec, s[4:5]
.LBB125_125:
	s_or_b64 exec, exec, s[2:3]
	s_waitcnt lgkmcnt(0)
	s_barrier
	ds_read_b32 v216, v192
	v_cmp_lt_u32_e32 vcc, 22, v25
	s_and_saveexec_b64 s[2:3], vcc
	s_cbranch_execz .LBB125_127
; %bb.126:
	ds_read2_b32 v[218:219], v193 offset0:23 offset1:24
	ds_read2_b32 v[220:221], v193 offset0:25 offset1:26
	;; [unrolled: 1-line block ×3, first 2 shown]
	s_waitcnt vmcnt(45) lgkmcnt(3)
	v_mul_f32_e32 v224, v216, v71
	ds_read2_b32 v[226:227], v193 offset0:29 offset1:30
	s_waitcnt vmcnt(43) lgkmcnt(3)
	v_pk_fma_f32 v[72:73], v[224:225], v[218:219], v[72:73] op_sel_hi:[0,1,1] neg_lo:[1,0,0] neg_hi:[1,0,0]
	s_waitcnt vmcnt(41) lgkmcnt(2)
	v_pk_fma_f32 v[94:95], v[224:225], v[220:221], v[94:95] op_sel_hi:[0,1,1] neg_lo:[1,0,0] neg_hi:[1,0,0]
	s_waitcnt vmcnt(39) lgkmcnt(1)
	v_pk_fma_f32 v[96:97], v[224:225], v[222:223], v[96:97] op_sel_hi:[0,1,1] neg_lo:[1,0,0] neg_hi:[1,0,0]
	ds_read2_b32 v[218:219], v193 offset0:31 offset1:32
	ds_read2_b32 v[220:221], v193 offset0:33 offset1:34
	ds_read2_b32 v[222:223], v193 offset0:35 offset1:36
	s_waitcnt vmcnt(37) lgkmcnt(3)
	v_pk_fma_f32 v[98:99], v[224:225], v[226:227], v[98:99] op_sel_hi:[0,1,1] neg_lo:[1,0,0] neg_hi:[1,0,0]
	ds_read2_b32 v[226:227], v193 offset0:37 offset1:38
	s_waitcnt vmcnt(35) lgkmcnt(3)
	v_pk_fma_f32 v[92:93], v[224:225], v[218:219], v[92:93] op_sel_hi:[0,1,1] neg_lo:[1,0,0] neg_hi:[1,0,0]
	s_waitcnt vmcnt(33) lgkmcnt(2)
	v_pk_fma_f32 v[118:119], v[224:225], v[220:221], v[118:119] op_sel_hi:[0,1,1] neg_lo:[1,0,0] neg_hi:[1,0,0]
	s_waitcnt vmcnt(31) lgkmcnt(1)
	v_pk_fma_f32 v[122:123], v[224:225], v[222:223], v[122:123] op_sel_hi:[0,1,1] neg_lo:[1,0,0] neg_hi:[1,0,0]
	ds_read2_b32 v[218:219], v193 offset0:39 offset1:40
	ds_read2_b32 v[220:221], v193 offset0:41 offset1:42
	ds_read2_b32 v[222:223], v193 offset0:43 offset1:44
	s_waitcnt vmcnt(29) lgkmcnt(3)
	v_pk_fma_f32 v[116:117], v[224:225], v[226:227], v[116:117] op_sel_hi:[0,1,1] neg_lo:[1,0,0] neg_hi:[1,0,0]
	;; [unrolled: 12-line block ×3, first 2 shown]
	ds_read2_b32 v[226:227], v193 offset0:53 offset1:54
	s_waitcnt vmcnt(19) lgkmcnt(3)
	v_pk_fma_f32 v[144:145], v[224:225], v[218:219], v[144:145] op_sel_hi:[0,1,1] neg_lo:[1,0,0] neg_hi:[1,0,0]
	s_waitcnt vmcnt(17) lgkmcnt(2)
	v_pk_fma_f32 v[166:167], v[224:225], v[220:221], v[166:167] op_sel_hi:[0,1,1] neg_lo:[1,0,0] neg_hi:[1,0,0]
	s_waitcnt vmcnt(15) lgkmcnt(1)
	v_pk_fma_f32 v[168:169], v[224:225], v[222:223], v[168:169] op_sel_hi:[0,1,1] neg_lo:[1,0,0] neg_hi:[1,0,0]
	ds_read2_b32 v[218:219], v193 offset0:55 offset1:56
	ds_read2_b32 v[220:221], v193 offset0:57 offset1:58
	;; [unrolled: 1-line block ×4, first 2 shown]
	s_waitcnt vmcnt(13) lgkmcnt(4)
	v_pk_fma_f32 v[170:171], v[224:225], v[226:227], v[170:171] op_sel_hi:[0,1,1] neg_lo:[1,0,0] neg_hi:[1,0,0]
	s_waitcnt vmcnt(11) lgkmcnt(3)
	v_pk_fma_f32 v[164:165], v[224:225], v[218:219], v[164:165] op_sel_hi:[0,1,1] neg_lo:[1,0,0] neg_hi:[1,0,0]
	;; [unrolled: 2-line block ×5, first 2 shown]
	v_mov_b32_e32 v71, v224
.LBB125_127:
	s_or_b64 exec, exec, s[2:3]
	v_cmp_eq_u32_e32 vcc, 23, v25
	s_waitcnt lgkmcnt(0)
	s_barrier
	s_and_saveexec_b64 s[2:3], vcc
	s_cbranch_execz .LBB125_130
; %bb.128:
	s_waitcnt vmcnt(41)
	v_pk_mov_b32 v[218:219], v[72:73], v[94:95] op_sel:[1,0]
	ds_write_b32 v192, v72
	ds_write2_b32 v193, v218, v219 offset0:24 offset1:25
	s_waitcnt vmcnt(39)
	v_pk_mov_b32 v[218:219], v[94:95], v[96:97] op_sel:[1,0]
	ds_write2_b32 v193, v218, v219 offset0:26 offset1:27
	s_waitcnt vmcnt(37)
	v_pk_mov_b32 v[218:219], v[96:97], v[98:99] op_sel:[1,0]
	;; [unrolled: 3-line block ×18, first 2 shown]
	ds_write2_b32 v193, v218, v219 offset0:60 offset1:61
	ds_write_b32 v193, v191 offset:248
	ds_read_b32 v217, v192
	s_waitcnt lgkmcnt(0)
	v_cmp_neq_f32_e32 vcc, 0, v217
	s_and_b64 exec, exec, vcc
	s_cbranch_execz .LBB125_130
; %bb.129:
	v_div_scale_f32 v194, s[4:5], v217, v217, 1.0
	v_rcp_f32_e32 v195, v194
	v_div_scale_f32 v196, vcc, 1.0, v217, 1.0
	v_fma_f32 v197, -v194, v195, 1.0
	v_fmac_f32_e32 v195, v197, v195
	v_mul_f32_e32 v197, v196, v195
	v_fma_f32 v218, -v194, v197, v196
	v_fmac_f32_e32 v197, v218, v195
	v_fma_f32 v194, -v194, v197, v196
	v_div_fmas_f32 v194, v194, v195, v197
	v_div_fixup_f32 v194, v194, v217, 1.0
	ds_write_b32 v192, v194
.LBB125_130:
	s_or_b64 exec, exec, s[2:3]
	s_waitcnt lgkmcnt(0)
	s_barrier
	ds_read_b32 v217, v192
	v_cmp_lt_u32_e32 vcc, 23, v25
	s_and_saveexec_b64 s[2:3], vcc
	s_cbranch_execz .LBB125_132
; %bb.131:
	ds_read_b32 v194, v193 offset:96
	ds_read2_b32 v[218:219], v193 offset0:25 offset1:26
	ds_read2_b32 v[220:221], v193 offset0:27 offset1:28
	s_waitcnt vmcnt(44) lgkmcnt(3)
	v_mul_f32_e32 v72, v217, v72
	ds_read2_b32 v[222:223], v193 offset0:29 offset1:30
	s_waitcnt vmcnt(43) lgkmcnt(3)
	v_fma_f32 v73, -v72, v194, v73
	s_waitcnt vmcnt(41) lgkmcnt(2)
	v_pk_fma_f32 v[94:95], v[72:73], v[218:219], v[94:95] op_sel_hi:[0,1,1] neg_lo:[1,0,0] neg_hi:[1,0,0]
	s_waitcnt vmcnt(39) lgkmcnt(1)
	v_pk_fma_f32 v[96:97], v[72:73], v[220:221], v[96:97] op_sel_hi:[0,1,1] neg_lo:[1,0,0] neg_hi:[1,0,0]
	ds_read2_b32 v[218:219], v193 offset0:31 offset1:32
	ds_read2_b32 v[220:221], v193 offset0:33 offset1:34
	ds_read2_b32 v[224:225], v193 offset0:35 offset1:36
	s_waitcnt vmcnt(37) lgkmcnt(3)
	v_pk_fma_f32 v[98:99], v[72:73], v[222:223], v[98:99] op_sel_hi:[0,1,1] neg_lo:[1,0,0] neg_hi:[1,0,0]
	ds_read2_b32 v[222:223], v193 offset0:37 offset1:38
	s_waitcnt vmcnt(35) lgkmcnt(3)
	v_pk_fma_f32 v[92:93], v[72:73], v[218:219], v[92:93] op_sel_hi:[0,1,1] neg_lo:[1,0,0] neg_hi:[1,0,0]
	s_waitcnt vmcnt(33) lgkmcnt(2)
	v_pk_fma_f32 v[118:119], v[72:73], v[220:221], v[118:119] op_sel_hi:[0,1,1] neg_lo:[1,0,0] neg_hi:[1,0,0]
	s_waitcnt vmcnt(31) lgkmcnt(1)
	v_pk_fma_f32 v[122:123], v[72:73], v[224:225], v[122:123] op_sel_hi:[0,1,1] neg_lo:[1,0,0] neg_hi:[1,0,0]
	ds_read2_b32 v[218:219], v193 offset0:39 offset1:40
	ds_read2_b32 v[220:221], v193 offset0:41 offset1:42
	ds_read2_b32 v[224:225], v193 offset0:43 offset1:44
	s_waitcnt vmcnt(29) lgkmcnt(3)
	v_pk_fma_f32 v[116:117], v[72:73], v[222:223], v[116:117] op_sel_hi:[0,1,1] neg_lo:[1,0,0] neg_hi:[1,0,0]
	ds_read2_b32 v[222:223], v193 offset0:45 offset1:46
	s_waitcnt vmcnt(27) lgkmcnt(3)
	v_pk_fma_f32 v[120:121], v[72:73], v[218:219], v[120:121] op_sel_hi:[0,1,1] neg_lo:[1,0,0] neg_hi:[1,0,0]
	s_waitcnt vmcnt(25) lgkmcnt(2)
	v_pk_fma_f32 v[146:147], v[72:73], v[220:221], v[146:147] op_sel_hi:[0,1,1] neg_lo:[1,0,0] neg_hi:[1,0,0]
	s_waitcnt vmcnt(23) lgkmcnt(1)
	v_pk_fma_f32 v[140:141], v[72:73], v[224:225], v[140:141] op_sel_hi:[0,1,1] neg_lo:[1,0,0] neg_hi:[1,0,0]
	ds_read2_b32 v[218:219], v193 offset0:47 offset1:48
	ds_read2_b32 v[220:221], v193 offset0:49 offset1:50
	ds_read2_b32 v[224:225], v193 offset0:51 offset1:52
	s_waitcnt vmcnt(21) lgkmcnt(3)
	v_pk_fma_f32 v[142:143], v[72:73], v[222:223], v[142:143] op_sel_hi:[0,1,1] neg_lo:[1,0,0] neg_hi:[1,0,0]
	ds_read2_b32 v[222:223], v193 offset0:53 offset1:54
	s_waitcnt vmcnt(19) lgkmcnt(3)
	v_pk_fma_f32 v[144:145], v[72:73], v[218:219], v[144:145] op_sel_hi:[0,1,1] neg_lo:[1,0,0] neg_hi:[1,0,0]
	s_waitcnt vmcnt(17) lgkmcnt(2)
	v_pk_fma_f32 v[166:167], v[72:73], v[220:221], v[166:167] op_sel_hi:[0,1,1] neg_lo:[1,0,0] neg_hi:[1,0,0]
	s_waitcnt vmcnt(15) lgkmcnt(1)
	v_pk_fma_f32 v[168:169], v[72:73], v[224:225], v[168:169] op_sel_hi:[0,1,1] neg_lo:[1,0,0] neg_hi:[1,0,0]
	ds_read2_b32 v[218:219], v193 offset0:55 offset1:56
	ds_read2_b32 v[220:221], v193 offset0:57 offset1:58
	;; [unrolled: 1-line block ×4, first 2 shown]
	s_waitcnt vmcnt(13) lgkmcnt(4)
	v_pk_fma_f32 v[170:171], v[72:73], v[222:223], v[170:171] op_sel_hi:[0,1,1] neg_lo:[1,0,0] neg_hi:[1,0,0]
	s_waitcnt vmcnt(11) lgkmcnt(3)
	v_pk_fma_f32 v[164:165], v[72:73], v[218:219], v[164:165] op_sel_hi:[0,1,1] neg_lo:[1,0,0] neg_hi:[1,0,0]
	;; [unrolled: 2-line block ×5, first 2 shown]
.LBB125_132:
	s_or_b64 exec, exec, s[2:3]
	v_cmp_ne_u32_e32 vcc, 24, v25
	s_waitcnt lgkmcnt(0)
	s_barrier
	s_and_saveexec_b64 s[2:3], vcc
	s_xor_b64 s[2:3], exec, s[2:3]
	s_andn2_saveexec_b64 s[2:3], s[2:3]
	s_cbranch_execz .LBB125_136
; %bb.133:
	s_waitcnt vmcnt(43)
	ds_write_b32 v192, v73
	s_waitcnt vmcnt(41)
	ds_write2_b32 v193, v94, v95 offset0:25 offset1:26
	s_waitcnt vmcnt(39)
	ds_write2_b32 v193, v96, v97 offset0:27 offset1:28
	s_waitcnt vmcnt(37)
	ds_write2_b32 v193, v98, v99 offset0:29 offset1:30
	s_waitcnt vmcnt(35)
	ds_write2_b32 v193, v92, v93 offset0:31 offset1:32
	s_waitcnt vmcnt(33)
	ds_write2_b32 v193, v118, v119 offset0:33 offset1:34
	s_waitcnt vmcnt(31)
	ds_write2_b32 v193, v122, v123 offset0:35 offset1:36
	s_waitcnt vmcnt(29)
	ds_write2_b32 v193, v116, v117 offset0:37 offset1:38
	s_waitcnt vmcnt(27)
	ds_write2_b32 v193, v120, v121 offset0:39 offset1:40
	s_waitcnt vmcnt(25)
	ds_write2_b32 v193, v146, v147 offset0:41 offset1:42
	s_waitcnt vmcnt(23)
	ds_write2_b32 v193, v140, v141 offset0:43 offset1:44
	s_waitcnt vmcnt(21)
	ds_write2_b32 v193, v142, v143 offset0:45 offset1:46
	s_waitcnt vmcnt(19)
	ds_write2_b32 v193, v144, v145 offset0:47 offset1:48
	s_waitcnt vmcnt(17)
	ds_write2_b32 v193, v166, v167 offset0:49 offset1:50
	s_waitcnt vmcnt(15)
	ds_write2_b32 v193, v168, v169 offset0:51 offset1:52
	s_waitcnt vmcnt(13)
	ds_write2_b32 v193, v170, v171 offset0:53 offset1:54
	s_waitcnt vmcnt(11)
	ds_write2_b32 v193, v164, v165 offset0:55 offset1:56
	s_waitcnt vmcnt(9)
	ds_write2_b32 v193, v186, v187 offset0:57 offset1:58
	s_waitcnt vmcnt(7)
	ds_write2_b32 v193, v188, v189 offset0:59 offset1:60
	s_waitcnt vmcnt(5)
	ds_write2_b32 v193, v190, v191 offset0:61 offset1:62
	ds_read_b32 v218, v192
	s_waitcnt lgkmcnt(0)
	v_cmp_neq_f32_e32 vcc, 0, v218
	s_and_saveexec_b64 s[4:5], vcc
	s_cbranch_execz .LBB125_135
; %bb.134:
	v_div_scale_f32 v194, s[10:11], v218, v218, 1.0
	v_rcp_f32_e32 v195, v194
	v_div_scale_f32 v196, vcc, 1.0, v218, 1.0
	v_fma_f32 v197, -v194, v195, 1.0
	v_fmac_f32_e32 v195, v197, v195
	v_mul_f32_e32 v197, v196, v195
	v_fma_f32 v219, -v194, v197, v196
	v_fmac_f32_e32 v197, v219, v195
	v_fma_f32 v194, -v194, v197, v196
	v_div_fmas_f32 v194, v194, v195, v197
	v_div_fixup_f32 v194, v194, v218, 1.0
	ds_write_b32 v192, v194
.LBB125_135:
	s_or_b64 exec, exec, s[4:5]
.LBB125_136:
	s_or_b64 exec, exec, s[2:3]
	s_waitcnt lgkmcnt(0)
	s_barrier
	ds_read_b32 v218, v192
	v_cmp_lt_u32_e32 vcc, 24, v25
	s_and_saveexec_b64 s[2:3], vcc
	s_cbranch_execz .LBB125_138
; %bb.137:
	ds_read2_b32 v[220:221], v193 offset0:25 offset1:26
	ds_read2_b32 v[222:223], v193 offset0:27 offset1:28
	;; [unrolled: 1-line block ×3, first 2 shown]
	s_waitcnt vmcnt(43) lgkmcnt(3)
	v_mul_f32_e32 v226, v218, v73
	ds_read2_b32 v[228:229], v193 offset0:31 offset1:32
	s_waitcnt vmcnt(41) lgkmcnt(3)
	v_pk_fma_f32 v[94:95], v[226:227], v[220:221], v[94:95] op_sel_hi:[0,1,1] neg_lo:[1,0,0] neg_hi:[1,0,0]
	s_waitcnt vmcnt(39) lgkmcnt(2)
	v_pk_fma_f32 v[96:97], v[226:227], v[222:223], v[96:97] op_sel_hi:[0,1,1] neg_lo:[1,0,0] neg_hi:[1,0,0]
	s_waitcnt vmcnt(37) lgkmcnt(1)
	v_pk_fma_f32 v[98:99], v[226:227], v[224:225], v[98:99] op_sel_hi:[0,1,1] neg_lo:[1,0,0] neg_hi:[1,0,0]
	ds_read2_b32 v[220:221], v193 offset0:33 offset1:34
	ds_read2_b32 v[222:223], v193 offset0:35 offset1:36
	;; [unrolled: 1-line block ×3, first 2 shown]
	s_waitcnt vmcnt(35) lgkmcnt(3)
	v_pk_fma_f32 v[92:93], v[226:227], v[228:229], v[92:93] op_sel_hi:[0,1,1] neg_lo:[1,0,0] neg_hi:[1,0,0]
	ds_read2_b32 v[228:229], v193 offset0:39 offset1:40
	s_waitcnt vmcnt(33) lgkmcnt(3)
	v_pk_fma_f32 v[118:119], v[226:227], v[220:221], v[118:119] op_sel_hi:[0,1,1] neg_lo:[1,0,0] neg_hi:[1,0,0]
	s_waitcnt vmcnt(31) lgkmcnt(2)
	v_pk_fma_f32 v[122:123], v[226:227], v[222:223], v[122:123] op_sel_hi:[0,1,1] neg_lo:[1,0,0] neg_hi:[1,0,0]
	;; [unrolled: 2-line block ×3, first 2 shown]
	ds_read2_b32 v[220:221], v193 offset0:41 offset1:42
	ds_read2_b32 v[222:223], v193 offset0:43 offset1:44
	;; [unrolled: 1-line block ×3, first 2 shown]
	s_waitcnt vmcnt(27) lgkmcnt(3)
	v_pk_fma_f32 v[120:121], v[226:227], v[228:229], v[120:121] op_sel_hi:[0,1,1] neg_lo:[1,0,0] neg_hi:[1,0,0]
	ds_read2_b32 v[228:229], v193 offset0:47 offset1:48
	s_waitcnt vmcnt(25) lgkmcnt(3)
	v_pk_fma_f32 v[146:147], v[226:227], v[220:221], v[146:147] op_sel_hi:[0,1,1] neg_lo:[1,0,0] neg_hi:[1,0,0]
	s_waitcnt vmcnt(23) lgkmcnt(2)
	v_pk_fma_f32 v[140:141], v[226:227], v[222:223], v[140:141] op_sel_hi:[0,1,1] neg_lo:[1,0,0] neg_hi:[1,0,0]
	ds_read2_b32 v[220:221], v193 offset0:49 offset1:50
	ds_read2_b32 v[222:223], v193 offset0:51 offset1:52
	s_waitcnt vmcnt(21) lgkmcnt(3)
	v_pk_fma_f32 v[142:143], v[226:227], v[224:225], v[142:143] op_sel_hi:[0,1,1] neg_lo:[1,0,0] neg_hi:[1,0,0]
	s_waitcnt vmcnt(19) lgkmcnt(2)
	v_pk_fma_f32 v[144:145], v[226:227], v[228:229], v[144:145] op_sel_hi:[0,1,1] neg_lo:[1,0,0] neg_hi:[1,0,0]
	ds_read2_b32 v[224:225], v193 offset0:53 offset1:54
	;; [unrolled: 6-line block ×3, first 2 shown]
	ds_read2_b32 v[222:223], v193 offset0:59 offset1:60
	ds_read2_b32 v[230:231], v193 offset0:61 offset1:62
	s_waitcnt vmcnt(13) lgkmcnt(4)
	v_pk_fma_f32 v[170:171], v[226:227], v[224:225], v[170:171] op_sel_hi:[0,1,1] neg_lo:[1,0,0] neg_hi:[1,0,0]
	s_waitcnt vmcnt(11) lgkmcnt(3)
	v_pk_fma_f32 v[164:165], v[226:227], v[228:229], v[164:165] op_sel_hi:[0,1,1] neg_lo:[1,0,0] neg_hi:[1,0,0]
	;; [unrolled: 2-line block ×5, first 2 shown]
	v_mov_b32_e32 v73, v226
.LBB125_138:
	s_or_b64 exec, exec, s[2:3]
	v_cmp_eq_u32_e32 vcc, 25, v25
	s_waitcnt lgkmcnt(0)
	s_barrier
	s_and_saveexec_b64 s[2:3], vcc
	s_cbranch_execz .LBB125_141
; %bb.139:
	s_waitcnt vmcnt(39)
	v_pk_mov_b32 v[220:221], v[94:95], v[96:97] op_sel:[1,0]
	ds_write_b32 v192, v94
	ds_write2_b32 v193, v220, v221 offset0:26 offset1:27
	s_waitcnt vmcnt(37)
	v_pk_mov_b32 v[220:221], v[96:97], v[98:99] op_sel:[1,0]
	ds_write2_b32 v193, v220, v221 offset0:28 offset1:29
	s_waitcnt vmcnt(35)
	v_pk_mov_b32 v[220:221], v[98:99], v[92:93] op_sel:[1,0]
	;; [unrolled: 3-line block ×17, first 2 shown]
	ds_write2_b32 v193, v220, v221 offset0:60 offset1:61
	ds_write_b32 v193, v191 offset:248
	ds_read_b32 v219, v192
	s_waitcnt lgkmcnt(0)
	v_cmp_neq_f32_e32 vcc, 0, v219
	s_and_b64 exec, exec, vcc
	s_cbranch_execz .LBB125_141
; %bb.140:
	v_div_scale_f32 v194, s[4:5], v219, v219, 1.0
	v_rcp_f32_e32 v195, v194
	v_div_scale_f32 v196, vcc, 1.0, v219, 1.0
	v_fma_f32 v197, -v194, v195, 1.0
	v_fmac_f32_e32 v195, v197, v195
	v_mul_f32_e32 v197, v196, v195
	v_fma_f32 v220, -v194, v197, v196
	v_fmac_f32_e32 v197, v220, v195
	v_fma_f32 v194, -v194, v197, v196
	v_div_fmas_f32 v194, v194, v195, v197
	v_div_fixup_f32 v194, v194, v219, 1.0
	ds_write_b32 v192, v194
.LBB125_141:
	s_or_b64 exec, exec, s[2:3]
	s_waitcnt lgkmcnt(0)
	s_barrier
	ds_read_b32 v219, v192
	v_cmp_lt_u32_e32 vcc, 25, v25
	s_and_saveexec_b64 s[2:3], vcc
	s_cbranch_execz .LBB125_143
; %bb.142:
	ds_read_b32 v194, v193 offset:104
	ds_read2_b32 v[220:221], v193 offset0:27 offset1:28
	ds_read2_b32 v[222:223], v193 offset0:29 offset1:30
	s_waitcnt vmcnt(42) lgkmcnt(3)
	v_mul_f32_e32 v94, v219, v94
	ds_read2_b32 v[224:225], v193 offset0:31 offset1:32
	s_waitcnt vmcnt(41) lgkmcnt(3)
	v_fma_f32 v95, -v94, v194, v95
	s_waitcnt vmcnt(39) lgkmcnt(2)
	v_pk_fma_f32 v[96:97], v[94:95], v[220:221], v[96:97] op_sel_hi:[0,1,1] neg_lo:[1,0,0] neg_hi:[1,0,0]
	s_waitcnt vmcnt(37) lgkmcnt(1)
	v_pk_fma_f32 v[98:99], v[94:95], v[222:223], v[98:99] op_sel_hi:[0,1,1] neg_lo:[1,0,0] neg_hi:[1,0,0]
	ds_read2_b32 v[220:221], v193 offset0:33 offset1:34
	ds_read2_b32 v[222:223], v193 offset0:35 offset1:36
	;; [unrolled: 1-line block ×3, first 2 shown]
	s_waitcnt vmcnt(35) lgkmcnt(3)
	v_pk_fma_f32 v[92:93], v[94:95], v[224:225], v[92:93] op_sel_hi:[0,1,1] neg_lo:[1,0,0] neg_hi:[1,0,0]
	ds_read2_b32 v[224:225], v193 offset0:39 offset1:40
	s_waitcnt vmcnt(33) lgkmcnt(3)
	v_pk_fma_f32 v[118:119], v[94:95], v[220:221], v[118:119] op_sel_hi:[0,1,1] neg_lo:[1,0,0] neg_hi:[1,0,0]
	s_waitcnt vmcnt(31) lgkmcnt(2)
	v_pk_fma_f32 v[122:123], v[94:95], v[222:223], v[122:123] op_sel_hi:[0,1,1] neg_lo:[1,0,0] neg_hi:[1,0,0]
	;; [unrolled: 2-line block ×3, first 2 shown]
	ds_read2_b32 v[220:221], v193 offset0:41 offset1:42
	ds_read2_b32 v[222:223], v193 offset0:43 offset1:44
	;; [unrolled: 1-line block ×3, first 2 shown]
	s_waitcnt vmcnt(27) lgkmcnt(3)
	v_pk_fma_f32 v[120:121], v[94:95], v[224:225], v[120:121] op_sel_hi:[0,1,1] neg_lo:[1,0,0] neg_hi:[1,0,0]
	ds_read2_b32 v[224:225], v193 offset0:47 offset1:48
	s_waitcnt vmcnt(25) lgkmcnt(3)
	v_pk_fma_f32 v[146:147], v[94:95], v[220:221], v[146:147] op_sel_hi:[0,1,1] neg_lo:[1,0,0] neg_hi:[1,0,0]
	s_waitcnt vmcnt(23) lgkmcnt(2)
	v_pk_fma_f32 v[140:141], v[94:95], v[222:223], v[140:141] op_sel_hi:[0,1,1] neg_lo:[1,0,0] neg_hi:[1,0,0]
	ds_read2_b32 v[220:221], v193 offset0:49 offset1:50
	ds_read2_b32 v[222:223], v193 offset0:51 offset1:52
	s_waitcnt vmcnt(21) lgkmcnt(3)
	v_pk_fma_f32 v[142:143], v[94:95], v[226:227], v[142:143] op_sel_hi:[0,1,1] neg_lo:[1,0,0] neg_hi:[1,0,0]
	s_waitcnt vmcnt(19) lgkmcnt(2)
	v_pk_fma_f32 v[144:145], v[94:95], v[224:225], v[144:145] op_sel_hi:[0,1,1] neg_lo:[1,0,0] neg_hi:[1,0,0]
	ds_read2_b32 v[224:225], v193 offset0:53 offset1:54
	;; [unrolled: 6-line block ×3, first 2 shown]
	ds_read2_b32 v[222:223], v193 offset0:59 offset1:60
	ds_read2_b32 v[228:229], v193 offset0:61 offset1:62
	s_waitcnt vmcnt(13) lgkmcnt(4)
	v_pk_fma_f32 v[170:171], v[94:95], v[224:225], v[170:171] op_sel_hi:[0,1,1] neg_lo:[1,0,0] neg_hi:[1,0,0]
	s_waitcnt vmcnt(11) lgkmcnt(3)
	v_pk_fma_f32 v[164:165], v[94:95], v[226:227], v[164:165] op_sel_hi:[0,1,1] neg_lo:[1,0,0] neg_hi:[1,0,0]
	;; [unrolled: 2-line block ×5, first 2 shown]
.LBB125_143:
	s_or_b64 exec, exec, s[2:3]
	v_cmp_ne_u32_e32 vcc, 26, v25
	s_waitcnt lgkmcnt(0)
	s_barrier
	s_and_saveexec_b64 s[2:3], vcc
	s_xor_b64 s[2:3], exec, s[2:3]
	s_andn2_saveexec_b64 s[2:3], s[2:3]
	s_cbranch_execz .LBB125_147
; %bb.144:
	s_waitcnt vmcnt(41)
	ds_write_b32 v192, v95
	s_waitcnt vmcnt(39)
	ds_write2_b32 v193, v96, v97 offset0:27 offset1:28
	s_waitcnt vmcnt(37)
	ds_write2_b32 v193, v98, v99 offset0:29 offset1:30
	;; [unrolled: 2-line block ×18, first 2 shown]
	ds_read_b32 v220, v192
	s_waitcnt lgkmcnt(0)
	v_cmp_neq_f32_e32 vcc, 0, v220
	s_and_saveexec_b64 s[4:5], vcc
	s_cbranch_execz .LBB125_146
; %bb.145:
	v_div_scale_f32 v194, s[10:11], v220, v220, 1.0
	v_rcp_f32_e32 v195, v194
	v_div_scale_f32 v196, vcc, 1.0, v220, 1.0
	v_fma_f32 v197, -v194, v195, 1.0
	v_fmac_f32_e32 v195, v197, v195
	v_mul_f32_e32 v197, v196, v195
	v_fma_f32 v221, -v194, v197, v196
	v_fmac_f32_e32 v197, v221, v195
	v_fma_f32 v194, -v194, v197, v196
	v_div_fmas_f32 v194, v194, v195, v197
	v_div_fixup_f32 v194, v194, v220, 1.0
	ds_write_b32 v192, v194
.LBB125_146:
	s_or_b64 exec, exec, s[4:5]
.LBB125_147:
	s_or_b64 exec, exec, s[2:3]
	s_waitcnt lgkmcnt(0)
	s_barrier
	ds_read_b32 v220, v192
	v_cmp_lt_u32_e32 vcc, 26, v25
	s_and_saveexec_b64 s[2:3], vcc
	s_cbranch_execz .LBB125_149
; %bb.148:
	ds_read2_b32 v[222:223], v193 offset0:27 offset1:28
	ds_read2_b32 v[224:225], v193 offset0:29 offset1:30
	;; [unrolled: 1-line block ×4, first 2 shown]
	s_waitcnt vmcnt(41) lgkmcnt(4)
	v_mul_f32_e32 v228, v220, v95
	s_waitcnt vmcnt(39) lgkmcnt(3)
	v_pk_fma_f32 v[96:97], v[228:229], v[222:223], v[96:97] op_sel_hi:[0,1,1] neg_lo:[1,0,0] neg_hi:[1,0,0]
	s_waitcnt vmcnt(37) lgkmcnt(2)
	v_pk_fma_f32 v[98:99], v[228:229], v[224:225], v[98:99] op_sel_hi:[0,1,1] neg_lo:[1,0,0] neg_hi:[1,0,0]
	;; [unrolled: 2-line block ×3, first 2 shown]
	ds_read2_b32 v[222:223], v193 offset0:35 offset1:36
	ds_read2_b32 v[224:225], v193 offset0:37 offset1:38
	ds_read2_b32 v[226:227], v193 offset0:39 offset1:40
	s_waitcnt vmcnt(33) lgkmcnt(3)
	v_pk_fma_f32 v[118:119], v[228:229], v[230:231], v[118:119] op_sel_hi:[0,1,1] neg_lo:[1,0,0] neg_hi:[1,0,0]
	ds_read2_b32 v[230:231], v193 offset0:41 offset1:42
	s_waitcnt vmcnt(31) lgkmcnt(3)
	v_pk_fma_f32 v[122:123], v[228:229], v[222:223], v[122:123] op_sel_hi:[0,1,1] neg_lo:[1,0,0] neg_hi:[1,0,0]
	s_waitcnt vmcnt(29) lgkmcnt(2)
	v_pk_fma_f32 v[116:117], v[228:229], v[224:225], v[116:117] op_sel_hi:[0,1,1] neg_lo:[1,0,0] neg_hi:[1,0,0]
	;; [unrolled: 2-line block ×3, first 2 shown]
	ds_read2_b32 v[222:223], v193 offset0:43 offset1:44
	ds_read2_b32 v[224:225], v193 offset0:45 offset1:46
	;; [unrolled: 1-line block ×3, first 2 shown]
	s_waitcnt vmcnt(25) lgkmcnt(3)
	v_pk_fma_f32 v[146:147], v[228:229], v[230:231], v[146:147] op_sel_hi:[0,1,1] neg_lo:[1,0,0] neg_hi:[1,0,0]
	ds_read2_b32 v[230:231], v193 offset0:49 offset1:50
	s_waitcnt vmcnt(23) lgkmcnt(3)
	v_pk_fma_f32 v[140:141], v[228:229], v[222:223], v[140:141] op_sel_hi:[0,1,1] neg_lo:[1,0,0] neg_hi:[1,0,0]
	ds_read2_b32 v[222:223], v193 offset0:51 offset1:52
	s_waitcnt vmcnt(21) lgkmcnt(3)
	v_pk_fma_f32 v[142:143], v[228:229], v[224:225], v[142:143] op_sel_hi:[0,1,1] neg_lo:[1,0,0] neg_hi:[1,0,0]
	s_waitcnt vmcnt(19) lgkmcnt(2)
	v_pk_fma_f32 v[144:145], v[228:229], v[226:227], v[144:145] op_sel_hi:[0,1,1] neg_lo:[1,0,0] neg_hi:[1,0,0]
	;; [unrolled: 2-line block ×3, first 2 shown]
	ds_read2_b32 v[224:225], v193 offset0:53 offset1:54
	ds_read2_b32 v[226:227], v193 offset0:55 offset1:56
	;; [unrolled: 1-line block ×3, first 2 shown]
	s_waitcnt vmcnt(15) lgkmcnt(3)
	v_pk_fma_f32 v[168:169], v[228:229], v[222:223], v[168:169] op_sel_hi:[0,1,1] neg_lo:[1,0,0] neg_hi:[1,0,0]
	ds_read2_b32 v[222:223], v193 offset0:59 offset1:60
	ds_read2_b32 v[232:233], v193 offset0:61 offset1:62
	s_waitcnt vmcnt(13) lgkmcnt(4)
	v_pk_fma_f32 v[170:171], v[228:229], v[224:225], v[170:171] op_sel_hi:[0,1,1] neg_lo:[1,0,0] neg_hi:[1,0,0]
	s_waitcnt vmcnt(11) lgkmcnt(3)
	v_pk_fma_f32 v[164:165], v[228:229], v[226:227], v[164:165] op_sel_hi:[0,1,1] neg_lo:[1,0,0] neg_hi:[1,0,0]
	;; [unrolled: 2-line block ×5, first 2 shown]
	v_mov_b32_e32 v95, v228
.LBB125_149:
	s_or_b64 exec, exec, s[2:3]
	v_cmp_eq_u32_e32 vcc, 27, v25
	s_waitcnt lgkmcnt(0)
	s_barrier
	s_and_saveexec_b64 s[2:3], vcc
	s_cbranch_execz .LBB125_152
; %bb.150:
	s_waitcnt vmcnt(37)
	v_pk_mov_b32 v[222:223], v[96:97], v[98:99] op_sel:[1,0]
	ds_write_b32 v192, v96
	ds_write2_b32 v193, v222, v223 offset0:28 offset1:29
	s_waitcnt vmcnt(35)
	v_pk_mov_b32 v[222:223], v[98:99], v[92:93] op_sel:[1,0]
	ds_write2_b32 v193, v222, v223 offset0:30 offset1:31
	s_waitcnt vmcnt(33)
	v_pk_mov_b32 v[222:223], v[92:93], v[118:119] op_sel:[1,0]
	;; [unrolled: 3-line block ×16, first 2 shown]
	ds_write2_b32 v193, v222, v223 offset0:60 offset1:61
	ds_write_b32 v193, v191 offset:248
	ds_read_b32 v221, v192
	s_waitcnt lgkmcnt(0)
	v_cmp_neq_f32_e32 vcc, 0, v221
	s_and_b64 exec, exec, vcc
	s_cbranch_execz .LBB125_152
; %bb.151:
	v_div_scale_f32 v194, s[4:5], v221, v221, 1.0
	v_rcp_f32_e32 v195, v194
	v_div_scale_f32 v196, vcc, 1.0, v221, 1.0
	v_fma_f32 v197, -v194, v195, 1.0
	v_fmac_f32_e32 v195, v197, v195
	v_mul_f32_e32 v197, v196, v195
	v_fma_f32 v222, -v194, v197, v196
	v_fmac_f32_e32 v197, v222, v195
	v_fma_f32 v194, -v194, v197, v196
	v_div_fmas_f32 v194, v194, v195, v197
	v_div_fixup_f32 v194, v194, v221, 1.0
	ds_write_b32 v192, v194
.LBB125_152:
	s_or_b64 exec, exec, s[2:3]
	s_waitcnt lgkmcnt(0)
	s_barrier
	ds_read_b32 v221, v192
	v_cmp_lt_u32_e32 vcc, 27, v25
	s_and_saveexec_b64 s[2:3], vcc
	s_cbranch_execz .LBB125_154
; %bb.153:
	ds_read_b32 v194, v193 offset:112
	ds_read2_b32 v[222:223], v193 offset0:29 offset1:30
	ds_read2_b32 v[224:225], v193 offset0:31 offset1:32
	s_waitcnt vmcnt(40) lgkmcnt(3)
	v_mul_f32_e32 v96, v221, v96
	ds_read2_b32 v[226:227], v193 offset0:33 offset1:34
	s_waitcnt vmcnt(39) lgkmcnt(3)
	v_fma_f32 v97, -v96, v194, v97
	s_waitcnt vmcnt(37) lgkmcnt(2)
	v_pk_fma_f32 v[98:99], v[96:97], v[222:223], v[98:99] op_sel_hi:[0,1,1] neg_lo:[1,0,0] neg_hi:[1,0,0]
	s_waitcnt vmcnt(35) lgkmcnt(1)
	v_pk_fma_f32 v[92:93], v[96:97], v[224:225], v[92:93] op_sel_hi:[0,1,1] neg_lo:[1,0,0] neg_hi:[1,0,0]
	ds_read2_b32 v[222:223], v193 offset0:35 offset1:36
	ds_read2_b32 v[224:225], v193 offset0:37 offset1:38
	;; [unrolled: 1-line block ×3, first 2 shown]
	s_waitcnt vmcnt(33) lgkmcnt(3)
	v_pk_fma_f32 v[118:119], v[96:97], v[226:227], v[118:119] op_sel_hi:[0,1,1] neg_lo:[1,0,0] neg_hi:[1,0,0]
	ds_read2_b32 v[226:227], v193 offset0:41 offset1:42
	s_waitcnt vmcnt(31) lgkmcnt(3)
	v_pk_fma_f32 v[122:123], v[96:97], v[222:223], v[122:123] op_sel_hi:[0,1,1] neg_lo:[1,0,0] neg_hi:[1,0,0]
	s_waitcnt vmcnt(29) lgkmcnt(2)
	v_pk_fma_f32 v[116:117], v[96:97], v[224:225], v[116:117] op_sel_hi:[0,1,1] neg_lo:[1,0,0] neg_hi:[1,0,0]
	;; [unrolled: 2-line block ×3, first 2 shown]
	ds_read2_b32 v[222:223], v193 offset0:43 offset1:44
	ds_read2_b32 v[224:225], v193 offset0:45 offset1:46
	;; [unrolled: 1-line block ×3, first 2 shown]
	s_waitcnt vmcnt(25) lgkmcnt(3)
	v_pk_fma_f32 v[146:147], v[96:97], v[226:227], v[146:147] op_sel_hi:[0,1,1] neg_lo:[1,0,0] neg_hi:[1,0,0]
	ds_read2_b32 v[226:227], v193 offset0:49 offset1:50
	s_waitcnt vmcnt(23) lgkmcnt(3)
	v_pk_fma_f32 v[140:141], v[96:97], v[222:223], v[140:141] op_sel_hi:[0,1,1] neg_lo:[1,0,0] neg_hi:[1,0,0]
	ds_read2_b32 v[222:223], v193 offset0:51 offset1:52
	s_waitcnt vmcnt(21) lgkmcnt(3)
	v_pk_fma_f32 v[142:143], v[96:97], v[224:225], v[142:143] op_sel_hi:[0,1,1] neg_lo:[1,0,0] neg_hi:[1,0,0]
	s_waitcnt vmcnt(19) lgkmcnt(2)
	v_pk_fma_f32 v[144:145], v[96:97], v[228:229], v[144:145] op_sel_hi:[0,1,1] neg_lo:[1,0,0] neg_hi:[1,0,0]
	;; [unrolled: 2-line block ×3, first 2 shown]
	ds_read2_b32 v[224:225], v193 offset0:53 offset1:54
	ds_read2_b32 v[226:227], v193 offset0:55 offset1:56
	;; [unrolled: 1-line block ×3, first 2 shown]
	s_waitcnt vmcnt(15) lgkmcnt(3)
	v_pk_fma_f32 v[168:169], v[96:97], v[222:223], v[168:169] op_sel_hi:[0,1,1] neg_lo:[1,0,0] neg_hi:[1,0,0]
	ds_read2_b32 v[222:223], v193 offset0:59 offset1:60
	ds_read2_b32 v[230:231], v193 offset0:61 offset1:62
	s_waitcnt vmcnt(13) lgkmcnt(4)
	v_pk_fma_f32 v[170:171], v[96:97], v[224:225], v[170:171] op_sel_hi:[0,1,1] neg_lo:[1,0,0] neg_hi:[1,0,0]
	s_waitcnt vmcnt(11) lgkmcnt(3)
	v_pk_fma_f32 v[164:165], v[96:97], v[226:227], v[164:165] op_sel_hi:[0,1,1] neg_lo:[1,0,0] neg_hi:[1,0,0]
	s_waitcnt vmcnt(9) lgkmcnt(2)
	v_pk_fma_f32 v[186:187], v[96:97], v[228:229], v[186:187] op_sel_hi:[0,1,1] neg_lo:[1,0,0] neg_hi:[1,0,0]
	s_waitcnt vmcnt(7) lgkmcnt(1)
	v_pk_fma_f32 v[188:189], v[96:97], v[222:223], v[188:189] op_sel_hi:[0,1,1] neg_lo:[1,0,0] neg_hi:[1,0,0]
	s_waitcnt vmcnt(5) lgkmcnt(0)
	v_pk_fma_f32 v[190:191], v[96:97], v[230:231], v[190:191] op_sel_hi:[0,1,1] neg_lo:[1,0,0] neg_hi:[1,0,0]
.LBB125_154:
	s_or_b64 exec, exec, s[2:3]
	v_cmp_ne_u32_e32 vcc, 28, v25
	s_waitcnt lgkmcnt(0)
	s_barrier
	s_and_saveexec_b64 s[2:3], vcc
	s_xor_b64 s[2:3], exec, s[2:3]
	s_andn2_saveexec_b64 s[2:3], s[2:3]
	s_cbranch_execz .LBB125_158
; %bb.155:
	s_waitcnt vmcnt(39)
	ds_write_b32 v192, v97
	s_waitcnt vmcnt(37)
	ds_write2_b32 v193, v98, v99 offset0:29 offset1:30
	s_waitcnt vmcnt(35)
	ds_write2_b32 v193, v92, v93 offset0:31 offset1:32
	;; [unrolled: 2-line block ×17, first 2 shown]
	ds_read_b32 v222, v192
	s_waitcnt lgkmcnt(0)
	v_cmp_neq_f32_e32 vcc, 0, v222
	s_and_saveexec_b64 s[4:5], vcc
	s_cbranch_execz .LBB125_157
; %bb.156:
	v_div_scale_f32 v194, s[10:11], v222, v222, 1.0
	v_rcp_f32_e32 v195, v194
	v_div_scale_f32 v196, vcc, 1.0, v222, 1.0
	v_fma_f32 v197, -v194, v195, 1.0
	v_fmac_f32_e32 v195, v197, v195
	v_mul_f32_e32 v197, v196, v195
	v_fma_f32 v223, -v194, v197, v196
	v_fmac_f32_e32 v197, v223, v195
	v_fma_f32 v194, -v194, v197, v196
	v_div_fmas_f32 v194, v194, v195, v197
	v_div_fixup_f32 v194, v194, v222, 1.0
	ds_write_b32 v192, v194
.LBB125_157:
	s_or_b64 exec, exec, s[4:5]
.LBB125_158:
	s_or_b64 exec, exec, s[2:3]
	s_waitcnt lgkmcnt(0)
	s_barrier
	ds_read_b32 v222, v192
	v_cmp_lt_u32_e32 vcc, 28, v25
	s_and_saveexec_b64 s[2:3], vcc
	s_cbranch_execz .LBB125_160
; %bb.159:
	ds_read2_b32 v[224:225], v193 offset0:29 offset1:30
	ds_read2_b32 v[226:227], v193 offset0:31 offset1:32
	ds_read2_b32 v[228:229], v193 offset0:33 offset1:34
	s_waitcnt vmcnt(39) lgkmcnt(3)
	v_mul_f32_e32 v230, v222, v97
	ds_read2_b32 v[232:233], v193 offset0:35 offset1:36
	s_waitcnt vmcnt(37) lgkmcnt(3)
	v_pk_fma_f32 v[98:99], v[230:231], v[224:225], v[98:99] op_sel_hi:[0,1,1] neg_lo:[1,0,0] neg_hi:[1,0,0]
	s_waitcnt vmcnt(35) lgkmcnt(2)
	v_pk_fma_f32 v[92:93], v[230:231], v[226:227], v[92:93] op_sel_hi:[0,1,1] neg_lo:[1,0,0] neg_hi:[1,0,0]
	;; [unrolled: 2-line block ×3, first 2 shown]
	ds_read2_b32 v[224:225], v193 offset0:37 offset1:38
	ds_read2_b32 v[226:227], v193 offset0:39 offset1:40
	;; [unrolled: 1-line block ×3, first 2 shown]
	s_waitcnt vmcnt(31) lgkmcnt(3)
	v_pk_fma_f32 v[122:123], v[230:231], v[232:233], v[122:123] op_sel_hi:[0,1,1] neg_lo:[1,0,0] neg_hi:[1,0,0]
	ds_read2_b32 v[232:233], v193 offset0:43 offset1:44
	s_waitcnt vmcnt(29) lgkmcnt(3)
	v_pk_fma_f32 v[116:117], v[230:231], v[224:225], v[116:117] op_sel_hi:[0,1,1] neg_lo:[1,0,0] neg_hi:[1,0,0]
	s_waitcnt vmcnt(27) lgkmcnt(2)
	v_pk_fma_f32 v[120:121], v[230:231], v[226:227], v[120:121] op_sel_hi:[0,1,1] neg_lo:[1,0,0] neg_hi:[1,0,0]
	;; [unrolled: 2-line block ×3, first 2 shown]
	ds_read2_b32 v[224:225], v193 offset0:45 offset1:46
	ds_read2_b32 v[226:227], v193 offset0:47 offset1:48
	;; [unrolled: 1-line block ×4, first 2 shown]
	s_waitcnt vmcnt(23) lgkmcnt(4)
	v_pk_fma_f32 v[140:141], v[230:231], v[232:233], v[140:141] op_sel_hi:[0,1,1] neg_lo:[1,0,0] neg_hi:[1,0,0]
	s_waitcnt vmcnt(21) lgkmcnt(3)
	v_pk_fma_f32 v[142:143], v[230:231], v[224:225], v[142:143] op_sel_hi:[0,1,1] neg_lo:[1,0,0] neg_hi:[1,0,0]
	;; [unrolled: 2-line block ×5, first 2 shown]
	ds_read2_b32 v[224:225], v193 offset0:53 offset1:54
	ds_read2_b32 v[226:227], v193 offset0:55 offset1:56
	;; [unrolled: 1-line block ×5, first 2 shown]
	s_waitcnt vmcnt(13) lgkmcnt(4)
	v_pk_fma_f32 v[170:171], v[230:231], v[224:225], v[170:171] op_sel_hi:[0,1,1] neg_lo:[1,0,0] neg_hi:[1,0,0]
	s_waitcnt vmcnt(11) lgkmcnt(3)
	v_pk_fma_f32 v[164:165], v[230:231], v[226:227], v[164:165] op_sel_hi:[0,1,1] neg_lo:[1,0,0] neg_hi:[1,0,0]
	;; [unrolled: 2-line block ×5, first 2 shown]
	v_mov_b32_e32 v97, v230
.LBB125_160:
	s_or_b64 exec, exec, s[2:3]
	v_cmp_eq_u32_e32 vcc, 29, v25
	s_waitcnt lgkmcnt(0)
	s_barrier
	s_and_saveexec_b64 s[2:3], vcc
	s_cbranch_execz .LBB125_163
; %bb.161:
	s_waitcnt vmcnt(35)
	v_pk_mov_b32 v[224:225], v[98:99], v[92:93] op_sel:[1,0]
	ds_write_b32 v192, v98
	ds_write2_b32 v193, v224, v225 offset0:30 offset1:31
	s_waitcnt vmcnt(33)
	v_pk_mov_b32 v[224:225], v[92:93], v[118:119] op_sel:[1,0]
	ds_write2_b32 v193, v224, v225 offset0:32 offset1:33
	s_waitcnt vmcnt(31)
	v_pk_mov_b32 v[224:225], v[118:119], v[122:123] op_sel:[1,0]
	;; [unrolled: 3-line block ×15, first 2 shown]
	ds_write2_b32 v193, v224, v225 offset0:60 offset1:61
	ds_write_b32 v193, v191 offset:248
	ds_read_b32 v223, v192
	s_waitcnt lgkmcnt(0)
	v_cmp_neq_f32_e32 vcc, 0, v223
	s_and_b64 exec, exec, vcc
	s_cbranch_execz .LBB125_163
; %bb.162:
	v_div_scale_f32 v194, s[4:5], v223, v223, 1.0
	v_rcp_f32_e32 v195, v194
	v_div_scale_f32 v196, vcc, 1.0, v223, 1.0
	v_fma_f32 v197, -v194, v195, 1.0
	v_fmac_f32_e32 v195, v197, v195
	v_mul_f32_e32 v197, v196, v195
	v_fma_f32 v224, -v194, v197, v196
	v_fmac_f32_e32 v197, v224, v195
	v_fma_f32 v194, -v194, v197, v196
	v_div_fmas_f32 v194, v194, v195, v197
	v_div_fixup_f32 v194, v194, v223, 1.0
	ds_write_b32 v192, v194
.LBB125_163:
	s_or_b64 exec, exec, s[2:3]
	s_waitcnt lgkmcnt(0)
	s_barrier
	ds_read_b32 v223, v192
	v_cmp_lt_u32_e32 vcc, 29, v25
	s_and_saveexec_b64 s[2:3], vcc
	s_cbranch_execz .LBB125_165
; %bb.164:
	ds_read_b32 v194, v193 offset:120
	ds_read2_b32 v[224:225], v193 offset0:31 offset1:32
	ds_read2_b32 v[226:227], v193 offset0:33 offset1:34
	s_waitcnt vmcnt(38) lgkmcnt(3)
	v_mul_f32_e32 v98, v223, v98
	ds_read2_b32 v[228:229], v193 offset0:35 offset1:36
	s_waitcnt vmcnt(37) lgkmcnt(3)
	v_fma_f32 v99, -v98, v194, v99
	s_waitcnt vmcnt(35) lgkmcnt(2)
	v_pk_fma_f32 v[92:93], v[98:99], v[224:225], v[92:93] op_sel_hi:[0,1,1] neg_lo:[1,0,0] neg_hi:[1,0,0]
	s_waitcnt vmcnt(33) lgkmcnt(1)
	v_pk_fma_f32 v[118:119], v[98:99], v[226:227], v[118:119] op_sel_hi:[0,1,1] neg_lo:[1,0,0] neg_hi:[1,0,0]
	ds_read2_b32 v[224:225], v193 offset0:37 offset1:38
	ds_read2_b32 v[226:227], v193 offset0:39 offset1:40
	;; [unrolled: 1-line block ×3, first 2 shown]
	s_waitcnt vmcnt(31) lgkmcnt(3)
	v_pk_fma_f32 v[122:123], v[98:99], v[228:229], v[122:123] op_sel_hi:[0,1,1] neg_lo:[1,0,0] neg_hi:[1,0,0]
	ds_read2_b32 v[228:229], v193 offset0:43 offset1:44
	s_waitcnt vmcnt(29) lgkmcnt(3)
	v_pk_fma_f32 v[116:117], v[98:99], v[224:225], v[116:117] op_sel_hi:[0,1,1] neg_lo:[1,0,0] neg_hi:[1,0,0]
	s_waitcnt vmcnt(27) lgkmcnt(2)
	v_pk_fma_f32 v[120:121], v[98:99], v[226:227], v[120:121] op_sel_hi:[0,1,1] neg_lo:[1,0,0] neg_hi:[1,0,0]
	;; [unrolled: 2-line block ×3, first 2 shown]
	ds_read2_b32 v[224:225], v193 offset0:45 offset1:46
	ds_read2_b32 v[226:227], v193 offset0:47 offset1:48
	;; [unrolled: 1-line block ×4, first 2 shown]
	s_waitcnt vmcnt(23) lgkmcnt(4)
	v_pk_fma_f32 v[140:141], v[98:99], v[228:229], v[140:141] op_sel_hi:[0,1,1] neg_lo:[1,0,0] neg_hi:[1,0,0]
	s_waitcnt vmcnt(21) lgkmcnt(3)
	v_pk_fma_f32 v[142:143], v[98:99], v[224:225], v[142:143] op_sel_hi:[0,1,1] neg_lo:[1,0,0] neg_hi:[1,0,0]
	;; [unrolled: 2-line block ×5, first 2 shown]
	ds_read2_b32 v[224:225], v193 offset0:53 offset1:54
	ds_read2_b32 v[226:227], v193 offset0:55 offset1:56
	;; [unrolled: 1-line block ×5, first 2 shown]
	s_waitcnt vmcnt(13) lgkmcnt(4)
	v_pk_fma_f32 v[170:171], v[98:99], v[224:225], v[170:171] op_sel_hi:[0,1,1] neg_lo:[1,0,0] neg_hi:[1,0,0]
	s_waitcnt vmcnt(11) lgkmcnt(3)
	v_pk_fma_f32 v[164:165], v[98:99], v[226:227], v[164:165] op_sel_hi:[0,1,1] neg_lo:[1,0,0] neg_hi:[1,0,0]
	;; [unrolled: 2-line block ×5, first 2 shown]
.LBB125_165:
	s_or_b64 exec, exec, s[2:3]
	v_cmp_ne_u32_e32 vcc, 30, v25
	s_waitcnt lgkmcnt(0)
	s_barrier
	s_and_saveexec_b64 s[2:3], vcc
	s_xor_b64 s[2:3], exec, s[2:3]
	s_andn2_saveexec_b64 s[2:3], s[2:3]
	s_cbranch_execz .LBB125_169
; %bb.166:
	s_waitcnt vmcnt(37)
	ds_write_b32 v192, v99
	s_waitcnt vmcnt(35)
	ds_write2_b32 v193, v92, v93 offset0:31 offset1:32
	s_waitcnt vmcnt(33)
	ds_write2_b32 v193, v118, v119 offset0:33 offset1:34
	;; [unrolled: 2-line block ×16, first 2 shown]
	ds_read_b32 v224, v192
	s_waitcnt lgkmcnt(0)
	v_cmp_neq_f32_e32 vcc, 0, v224
	s_and_saveexec_b64 s[4:5], vcc
	s_cbranch_execz .LBB125_168
; %bb.167:
	v_div_scale_f32 v194, s[10:11], v224, v224, 1.0
	v_rcp_f32_e32 v195, v194
	v_div_scale_f32 v196, vcc, 1.0, v224, 1.0
	v_fma_f32 v197, -v194, v195, 1.0
	v_fmac_f32_e32 v195, v197, v195
	v_mul_f32_e32 v197, v196, v195
	v_fma_f32 v225, -v194, v197, v196
	v_fmac_f32_e32 v197, v225, v195
	v_fma_f32 v194, -v194, v197, v196
	v_div_fmas_f32 v194, v194, v195, v197
	v_div_fixup_f32 v194, v194, v224, 1.0
	ds_write_b32 v192, v194
.LBB125_168:
	s_or_b64 exec, exec, s[4:5]
.LBB125_169:
	s_or_b64 exec, exec, s[2:3]
	s_waitcnt lgkmcnt(0)
	s_barrier
	ds_read_b32 v224, v192
	v_cmp_lt_u32_e32 vcc, 30, v25
	s_and_saveexec_b64 s[2:3], vcc
	s_cbranch_execz .LBB125_171
; %bb.170:
	ds_read2_b32 v[226:227], v193 offset0:31 offset1:32
	ds_read2_b32 v[228:229], v193 offset0:33 offset1:34
	;; [unrolled: 1-line block ×3, first 2 shown]
	s_waitcnt vmcnt(37) lgkmcnt(3)
	v_mul_f32_e32 v232, v224, v99
	ds_read2_b32 v[234:235], v193 offset0:37 offset1:38
	s_waitcnt vmcnt(35) lgkmcnt(3)
	v_pk_fma_f32 v[92:93], v[232:233], v[226:227], v[92:93] op_sel_hi:[0,1,1] neg_lo:[1,0,0] neg_hi:[1,0,0]
	s_waitcnt vmcnt(33) lgkmcnt(2)
	v_pk_fma_f32 v[118:119], v[232:233], v[228:229], v[118:119] op_sel_hi:[0,1,1] neg_lo:[1,0,0] neg_hi:[1,0,0]
	s_waitcnt vmcnt(31) lgkmcnt(1)
	v_pk_fma_f32 v[122:123], v[232:233], v[230:231], v[122:123] op_sel_hi:[0,1,1] neg_lo:[1,0,0] neg_hi:[1,0,0]
	ds_read2_b32 v[226:227], v193 offset0:39 offset1:40
	ds_read2_b32 v[228:229], v193 offset0:41 offset1:42
	;; [unrolled: 1-line block ×3, first 2 shown]
	s_waitcnt vmcnt(29) lgkmcnt(3)
	v_pk_fma_f32 v[116:117], v[232:233], v[234:235], v[116:117] op_sel_hi:[0,1,1] neg_lo:[1,0,0] neg_hi:[1,0,0]
	ds_read2_b32 v[234:235], v193 offset0:45 offset1:46
	s_waitcnt vmcnt(27) lgkmcnt(3)
	v_pk_fma_f32 v[120:121], v[232:233], v[226:227], v[120:121] op_sel_hi:[0,1,1] neg_lo:[1,0,0] neg_hi:[1,0,0]
	s_waitcnt vmcnt(25) lgkmcnt(2)
	v_pk_fma_f32 v[146:147], v[232:233], v[228:229], v[146:147] op_sel_hi:[0,1,1] neg_lo:[1,0,0] neg_hi:[1,0,0]
	;; [unrolled: 2-line block ×3, first 2 shown]
	ds_read2_b32 v[226:227], v193 offset0:47 offset1:48
	ds_read2_b32 v[228:229], v193 offset0:49 offset1:50
	;; [unrolled: 1-line block ×3, first 2 shown]
	s_waitcnt vmcnt(21) lgkmcnt(3)
	v_pk_fma_f32 v[142:143], v[232:233], v[234:235], v[142:143] op_sel_hi:[0,1,1] neg_lo:[1,0,0] neg_hi:[1,0,0]
	ds_read2_b32 v[234:235], v193 offset0:53 offset1:54
	s_waitcnt vmcnt(19) lgkmcnt(3)
	v_pk_fma_f32 v[144:145], v[232:233], v[226:227], v[144:145] op_sel_hi:[0,1,1] neg_lo:[1,0,0] neg_hi:[1,0,0]
	s_waitcnt vmcnt(17) lgkmcnt(2)
	v_pk_fma_f32 v[166:167], v[232:233], v[228:229], v[166:167] op_sel_hi:[0,1,1] neg_lo:[1,0,0] neg_hi:[1,0,0]
	;; [unrolled: 2-line block ×3, first 2 shown]
	ds_read2_b32 v[226:227], v193 offset0:55 offset1:56
	ds_read2_b32 v[228:229], v193 offset0:57 offset1:58
	;; [unrolled: 1-line block ×4, first 2 shown]
	s_waitcnt vmcnt(13) lgkmcnt(4)
	v_pk_fma_f32 v[170:171], v[232:233], v[234:235], v[170:171] op_sel_hi:[0,1,1] neg_lo:[1,0,0] neg_hi:[1,0,0]
	s_waitcnt vmcnt(11) lgkmcnt(3)
	v_pk_fma_f32 v[164:165], v[232:233], v[226:227], v[164:165] op_sel_hi:[0,1,1] neg_lo:[1,0,0] neg_hi:[1,0,0]
	;; [unrolled: 2-line block ×5, first 2 shown]
	v_mov_b32_e32 v99, v232
.LBB125_171:
	s_or_b64 exec, exec, s[2:3]
	v_cmp_eq_u32_e32 vcc, 31, v25
	s_waitcnt lgkmcnt(0)
	s_barrier
	s_and_saveexec_b64 s[2:3], vcc
	s_cbranch_execz .LBB125_174
; %bb.172:
	s_waitcnt vmcnt(33)
	v_pk_mov_b32 v[226:227], v[92:93], v[118:119] op_sel:[1,0]
	ds_write_b32 v192, v92
	ds_write2_b32 v193, v226, v227 offset0:32 offset1:33
	s_waitcnt vmcnt(31)
	v_pk_mov_b32 v[226:227], v[118:119], v[122:123] op_sel:[1,0]
	ds_write2_b32 v193, v226, v227 offset0:34 offset1:35
	s_waitcnt vmcnt(29)
	v_pk_mov_b32 v[226:227], v[122:123], v[116:117] op_sel:[1,0]
	;; [unrolled: 3-line block ×14, first 2 shown]
	ds_write2_b32 v193, v226, v227 offset0:60 offset1:61
	ds_write_b32 v193, v191 offset:248
	ds_read_b32 v225, v192
	s_waitcnt lgkmcnt(0)
	v_cmp_neq_f32_e32 vcc, 0, v225
	s_and_b64 exec, exec, vcc
	s_cbranch_execz .LBB125_174
; %bb.173:
	v_div_scale_f32 v194, s[4:5], v225, v225, 1.0
	v_rcp_f32_e32 v195, v194
	v_div_scale_f32 v196, vcc, 1.0, v225, 1.0
	v_fma_f32 v197, -v194, v195, 1.0
	v_fmac_f32_e32 v195, v197, v195
	v_mul_f32_e32 v197, v196, v195
	v_fma_f32 v226, -v194, v197, v196
	v_fmac_f32_e32 v197, v226, v195
	v_fma_f32 v194, -v194, v197, v196
	v_div_fmas_f32 v194, v194, v195, v197
	v_div_fixup_f32 v194, v194, v225, 1.0
	ds_write_b32 v192, v194
.LBB125_174:
	s_or_b64 exec, exec, s[2:3]
	s_waitcnt lgkmcnt(0)
	s_barrier
	ds_read_b32 v225, v192
	v_cmp_lt_u32_e32 vcc, 31, v25
	s_and_saveexec_b64 s[2:3], vcc
	s_cbranch_execz .LBB125_176
; %bb.175:
	ds_read_b32 v194, v193 offset:128
	ds_read2_b32 v[226:227], v193 offset0:33 offset1:34
	ds_read2_b32 v[228:229], v193 offset0:35 offset1:36
	s_waitcnt vmcnt(36) lgkmcnt(3)
	v_mul_f32_e32 v92, v225, v92
	ds_read2_b32 v[230:231], v193 offset0:37 offset1:38
	s_waitcnt vmcnt(35) lgkmcnt(3)
	v_fma_f32 v93, -v92, v194, v93
	s_waitcnt vmcnt(33) lgkmcnt(2)
	v_pk_fma_f32 v[118:119], v[92:93], v[226:227], v[118:119] op_sel_hi:[0,1,1] neg_lo:[1,0,0] neg_hi:[1,0,0]
	s_waitcnt vmcnt(31) lgkmcnt(1)
	v_pk_fma_f32 v[122:123], v[92:93], v[228:229], v[122:123] op_sel_hi:[0,1,1] neg_lo:[1,0,0] neg_hi:[1,0,0]
	ds_read2_b32 v[226:227], v193 offset0:39 offset1:40
	ds_read2_b32 v[228:229], v193 offset0:41 offset1:42
	;; [unrolled: 1-line block ×3, first 2 shown]
	s_waitcnt vmcnt(29) lgkmcnt(3)
	v_pk_fma_f32 v[116:117], v[92:93], v[230:231], v[116:117] op_sel_hi:[0,1,1] neg_lo:[1,0,0] neg_hi:[1,0,0]
	ds_read2_b32 v[230:231], v193 offset0:45 offset1:46
	s_waitcnt vmcnt(27) lgkmcnt(3)
	v_pk_fma_f32 v[120:121], v[92:93], v[226:227], v[120:121] op_sel_hi:[0,1,1] neg_lo:[1,0,0] neg_hi:[1,0,0]
	s_waitcnt vmcnt(25) lgkmcnt(2)
	v_pk_fma_f32 v[146:147], v[92:93], v[228:229], v[146:147] op_sel_hi:[0,1,1] neg_lo:[1,0,0] neg_hi:[1,0,0]
	s_waitcnt vmcnt(23) lgkmcnt(1)
	v_pk_fma_f32 v[140:141], v[92:93], v[232:233], v[140:141] op_sel_hi:[0,1,1] neg_lo:[1,0,0] neg_hi:[1,0,0]
	ds_read2_b32 v[226:227], v193 offset0:47 offset1:48
	ds_read2_b32 v[228:229], v193 offset0:49 offset1:50
	ds_read2_b32 v[232:233], v193 offset0:51 offset1:52
	s_waitcnt vmcnt(21) lgkmcnt(3)
	v_pk_fma_f32 v[142:143], v[92:93], v[230:231], v[142:143] op_sel_hi:[0,1,1] neg_lo:[1,0,0] neg_hi:[1,0,0]
	ds_read2_b32 v[230:231], v193 offset0:53 offset1:54
	s_waitcnt vmcnt(19) lgkmcnt(3)
	v_pk_fma_f32 v[144:145], v[92:93], v[226:227], v[144:145] op_sel_hi:[0,1,1] neg_lo:[1,0,0] neg_hi:[1,0,0]
	s_waitcnt vmcnt(17) lgkmcnt(2)
	v_pk_fma_f32 v[166:167], v[92:93], v[228:229], v[166:167] op_sel_hi:[0,1,1] neg_lo:[1,0,0] neg_hi:[1,0,0]
	s_waitcnt vmcnt(15) lgkmcnt(1)
	v_pk_fma_f32 v[168:169], v[92:93], v[232:233], v[168:169] op_sel_hi:[0,1,1] neg_lo:[1,0,0] neg_hi:[1,0,0]
	ds_read2_b32 v[226:227], v193 offset0:55 offset1:56
	ds_read2_b32 v[228:229], v193 offset0:57 offset1:58
	;; [unrolled: 1-line block ×4, first 2 shown]
	s_waitcnt vmcnt(13) lgkmcnt(4)
	v_pk_fma_f32 v[170:171], v[92:93], v[230:231], v[170:171] op_sel_hi:[0,1,1] neg_lo:[1,0,0] neg_hi:[1,0,0]
	s_waitcnt vmcnt(11) lgkmcnt(3)
	v_pk_fma_f32 v[164:165], v[92:93], v[226:227], v[164:165] op_sel_hi:[0,1,1] neg_lo:[1,0,0] neg_hi:[1,0,0]
	;; [unrolled: 2-line block ×5, first 2 shown]
.LBB125_176:
	s_or_b64 exec, exec, s[2:3]
	v_cmp_ne_u32_e32 vcc, 32, v25
	s_waitcnt lgkmcnt(0)
	s_barrier
	s_and_saveexec_b64 s[2:3], vcc
	s_xor_b64 s[2:3], exec, s[2:3]
	s_andn2_saveexec_b64 s[2:3], s[2:3]
	s_cbranch_execz .LBB125_180
; %bb.177:
	s_waitcnt vmcnt(35)
	ds_write_b32 v192, v93
	s_waitcnt vmcnt(33)
	ds_write2_b32 v193, v118, v119 offset0:33 offset1:34
	s_waitcnt vmcnt(31)
	ds_write2_b32 v193, v122, v123 offset0:35 offset1:36
	;; [unrolled: 2-line block ×15, first 2 shown]
	ds_read_b32 v226, v192
	s_waitcnt lgkmcnt(0)
	v_cmp_neq_f32_e32 vcc, 0, v226
	s_and_saveexec_b64 s[4:5], vcc
	s_cbranch_execz .LBB125_179
; %bb.178:
	v_div_scale_f32 v194, s[10:11], v226, v226, 1.0
	v_rcp_f32_e32 v195, v194
	v_div_scale_f32 v196, vcc, 1.0, v226, 1.0
	v_fma_f32 v197, -v194, v195, 1.0
	v_fmac_f32_e32 v195, v197, v195
	v_mul_f32_e32 v197, v196, v195
	v_fma_f32 v227, -v194, v197, v196
	v_fmac_f32_e32 v197, v227, v195
	v_fma_f32 v194, -v194, v197, v196
	v_div_fmas_f32 v194, v194, v195, v197
	v_div_fixup_f32 v194, v194, v226, 1.0
	ds_write_b32 v192, v194
.LBB125_179:
	s_or_b64 exec, exec, s[4:5]
.LBB125_180:
	s_or_b64 exec, exec, s[2:3]
	s_waitcnt lgkmcnt(0)
	s_barrier
	ds_read_b32 v226, v192
	v_cmp_lt_u32_e32 vcc, 32, v25
	s_and_saveexec_b64 s[2:3], vcc
	s_cbranch_execz .LBB125_182
; %bb.181:
	ds_read2_b32 v[228:229], v193 offset0:33 offset1:34
	ds_read2_b32 v[230:231], v193 offset0:35 offset1:36
	;; [unrolled: 1-line block ×3, first 2 shown]
	s_waitcnt vmcnt(35) lgkmcnt(3)
	v_mul_f32_e32 v234, v226, v93
	ds_read2_b32 v[236:237], v193 offset0:39 offset1:40
	s_waitcnt vmcnt(33) lgkmcnt(3)
	v_pk_fma_f32 v[118:119], v[234:235], v[228:229], v[118:119] op_sel_hi:[0,1,1] neg_lo:[1,0,0] neg_hi:[1,0,0]
	s_waitcnt vmcnt(31) lgkmcnt(2)
	v_pk_fma_f32 v[122:123], v[234:235], v[230:231], v[122:123] op_sel_hi:[0,1,1] neg_lo:[1,0,0] neg_hi:[1,0,0]
	;; [unrolled: 2-line block ×3, first 2 shown]
	ds_read2_b32 v[228:229], v193 offset0:41 offset1:42
	ds_read2_b32 v[230:231], v193 offset0:43 offset1:44
	;; [unrolled: 1-line block ×3, first 2 shown]
	s_waitcnt vmcnt(27) lgkmcnt(3)
	v_pk_fma_f32 v[120:121], v[234:235], v[236:237], v[120:121] op_sel_hi:[0,1,1] neg_lo:[1,0,0] neg_hi:[1,0,0]
	ds_read2_b32 v[236:237], v193 offset0:47 offset1:48
	s_waitcnt vmcnt(25) lgkmcnt(3)
	v_pk_fma_f32 v[146:147], v[234:235], v[228:229], v[146:147] op_sel_hi:[0,1,1] neg_lo:[1,0,0] neg_hi:[1,0,0]
	s_waitcnt vmcnt(23) lgkmcnt(2)
	v_pk_fma_f32 v[140:141], v[234:235], v[230:231], v[140:141] op_sel_hi:[0,1,1] neg_lo:[1,0,0] neg_hi:[1,0,0]
	ds_read2_b32 v[228:229], v193 offset0:49 offset1:50
	ds_read2_b32 v[230:231], v193 offset0:51 offset1:52
	s_waitcnt vmcnt(21) lgkmcnt(3)
	v_pk_fma_f32 v[142:143], v[234:235], v[232:233], v[142:143] op_sel_hi:[0,1,1] neg_lo:[1,0,0] neg_hi:[1,0,0]
	s_waitcnt vmcnt(19) lgkmcnt(2)
	v_pk_fma_f32 v[144:145], v[234:235], v[236:237], v[144:145] op_sel_hi:[0,1,1] neg_lo:[1,0,0] neg_hi:[1,0,0]
	ds_read2_b32 v[232:233], v193 offset0:53 offset1:54
	;; [unrolled: 6-line block ×3, first 2 shown]
	ds_read2_b32 v[230:231], v193 offset0:59 offset1:60
	ds_read2_b32 v[238:239], v193 offset0:61 offset1:62
	s_waitcnt vmcnt(13) lgkmcnt(4)
	v_pk_fma_f32 v[170:171], v[234:235], v[232:233], v[170:171] op_sel_hi:[0,1,1] neg_lo:[1,0,0] neg_hi:[1,0,0]
	s_waitcnt vmcnt(11) lgkmcnt(3)
	v_pk_fma_f32 v[164:165], v[234:235], v[236:237], v[164:165] op_sel_hi:[0,1,1] neg_lo:[1,0,0] neg_hi:[1,0,0]
	;; [unrolled: 2-line block ×5, first 2 shown]
	v_mov_b32_e32 v93, v234
.LBB125_182:
	s_or_b64 exec, exec, s[2:3]
	v_cmp_eq_u32_e32 vcc, 33, v25
	s_waitcnt lgkmcnt(0)
	s_barrier
	s_and_saveexec_b64 s[2:3], vcc
	s_cbranch_execz .LBB125_185
; %bb.183:
	s_waitcnt vmcnt(31)
	v_pk_mov_b32 v[228:229], v[118:119], v[122:123] op_sel:[1,0]
	ds_write_b32 v192, v118
	ds_write2_b32 v193, v228, v229 offset0:34 offset1:35
	s_waitcnt vmcnt(29)
	v_pk_mov_b32 v[228:229], v[122:123], v[116:117] op_sel:[1,0]
	ds_write2_b32 v193, v228, v229 offset0:36 offset1:37
	s_waitcnt vmcnt(27)
	v_pk_mov_b32 v[228:229], v[116:117], v[120:121] op_sel:[1,0]
	;; [unrolled: 3-line block ×13, first 2 shown]
	ds_write2_b32 v193, v228, v229 offset0:60 offset1:61
	ds_write_b32 v193, v191 offset:248
	ds_read_b32 v227, v192
	s_waitcnt lgkmcnt(0)
	v_cmp_neq_f32_e32 vcc, 0, v227
	s_and_b64 exec, exec, vcc
	s_cbranch_execz .LBB125_185
; %bb.184:
	v_div_scale_f32 v194, s[4:5], v227, v227, 1.0
	v_rcp_f32_e32 v195, v194
	v_div_scale_f32 v196, vcc, 1.0, v227, 1.0
	v_fma_f32 v197, -v194, v195, 1.0
	v_fmac_f32_e32 v195, v197, v195
	v_mul_f32_e32 v197, v196, v195
	v_fma_f32 v228, -v194, v197, v196
	v_fmac_f32_e32 v197, v228, v195
	v_fma_f32 v194, -v194, v197, v196
	v_div_fmas_f32 v194, v194, v195, v197
	v_div_fixup_f32 v194, v194, v227, 1.0
	ds_write_b32 v192, v194
.LBB125_185:
	s_or_b64 exec, exec, s[2:3]
	s_waitcnt lgkmcnt(0)
	s_barrier
	ds_read_b32 v227, v192
	v_cmp_lt_u32_e32 vcc, 33, v25
	s_and_saveexec_b64 s[2:3], vcc
	s_cbranch_execz .LBB125_187
; %bb.186:
	ds_read_b32 v194, v193 offset:136
	ds_read2_b32 v[228:229], v193 offset0:35 offset1:36
	ds_read2_b32 v[230:231], v193 offset0:37 offset1:38
	s_waitcnt vmcnt(34) lgkmcnt(3)
	v_mul_f32_e32 v118, v227, v118
	ds_read2_b32 v[232:233], v193 offset0:39 offset1:40
	s_waitcnt vmcnt(33) lgkmcnt(3)
	v_fma_f32 v119, -v118, v194, v119
	s_waitcnt vmcnt(31) lgkmcnt(2)
	v_pk_fma_f32 v[122:123], v[118:119], v[228:229], v[122:123] op_sel_hi:[0,1,1] neg_lo:[1,0,0] neg_hi:[1,0,0]
	s_waitcnt vmcnt(29) lgkmcnt(1)
	v_pk_fma_f32 v[116:117], v[118:119], v[230:231], v[116:117] op_sel_hi:[0,1,1] neg_lo:[1,0,0] neg_hi:[1,0,0]
	ds_read2_b32 v[228:229], v193 offset0:41 offset1:42
	ds_read2_b32 v[230:231], v193 offset0:43 offset1:44
	;; [unrolled: 1-line block ×3, first 2 shown]
	s_waitcnt vmcnt(27) lgkmcnt(3)
	v_pk_fma_f32 v[120:121], v[118:119], v[232:233], v[120:121] op_sel_hi:[0,1,1] neg_lo:[1,0,0] neg_hi:[1,0,0]
	ds_read2_b32 v[232:233], v193 offset0:47 offset1:48
	s_waitcnt vmcnt(25) lgkmcnt(3)
	v_pk_fma_f32 v[146:147], v[118:119], v[228:229], v[146:147] op_sel_hi:[0,1,1] neg_lo:[1,0,0] neg_hi:[1,0,0]
	s_waitcnt vmcnt(23) lgkmcnt(2)
	v_pk_fma_f32 v[140:141], v[118:119], v[230:231], v[140:141] op_sel_hi:[0,1,1] neg_lo:[1,0,0] neg_hi:[1,0,0]
	ds_read2_b32 v[228:229], v193 offset0:49 offset1:50
	ds_read2_b32 v[230:231], v193 offset0:51 offset1:52
	s_waitcnt vmcnt(21) lgkmcnt(3)
	v_pk_fma_f32 v[142:143], v[118:119], v[234:235], v[142:143] op_sel_hi:[0,1,1] neg_lo:[1,0,0] neg_hi:[1,0,0]
	s_waitcnt vmcnt(19) lgkmcnt(2)
	v_pk_fma_f32 v[144:145], v[118:119], v[232:233], v[144:145] op_sel_hi:[0,1,1] neg_lo:[1,0,0] neg_hi:[1,0,0]
	ds_read2_b32 v[232:233], v193 offset0:53 offset1:54
	;; [unrolled: 6-line block ×3, first 2 shown]
	ds_read2_b32 v[230:231], v193 offset0:59 offset1:60
	ds_read2_b32 v[236:237], v193 offset0:61 offset1:62
	s_waitcnt vmcnt(13) lgkmcnt(4)
	v_pk_fma_f32 v[170:171], v[118:119], v[232:233], v[170:171] op_sel_hi:[0,1,1] neg_lo:[1,0,0] neg_hi:[1,0,0]
	s_waitcnt vmcnt(11) lgkmcnt(3)
	v_pk_fma_f32 v[164:165], v[118:119], v[234:235], v[164:165] op_sel_hi:[0,1,1] neg_lo:[1,0,0] neg_hi:[1,0,0]
	;; [unrolled: 2-line block ×5, first 2 shown]
.LBB125_187:
	s_or_b64 exec, exec, s[2:3]
	v_cmp_ne_u32_e32 vcc, 34, v25
	s_waitcnt lgkmcnt(0)
	s_barrier
	s_and_saveexec_b64 s[2:3], vcc
	s_xor_b64 s[2:3], exec, s[2:3]
	s_andn2_saveexec_b64 s[2:3], s[2:3]
	s_cbranch_execz .LBB125_191
; %bb.188:
	s_waitcnt vmcnt(33)
	ds_write_b32 v192, v119
	s_waitcnt vmcnt(31)
	ds_write2_b32 v193, v122, v123 offset0:35 offset1:36
	s_waitcnt vmcnt(29)
	ds_write2_b32 v193, v116, v117 offset0:37 offset1:38
	;; [unrolled: 2-line block ×14, first 2 shown]
	ds_read_b32 v228, v192
	s_waitcnt lgkmcnt(0)
	v_cmp_neq_f32_e32 vcc, 0, v228
	s_and_saveexec_b64 s[4:5], vcc
	s_cbranch_execz .LBB125_190
; %bb.189:
	v_div_scale_f32 v194, s[10:11], v228, v228, 1.0
	v_rcp_f32_e32 v195, v194
	v_div_scale_f32 v196, vcc, 1.0, v228, 1.0
	v_fma_f32 v197, -v194, v195, 1.0
	v_fmac_f32_e32 v195, v197, v195
	v_mul_f32_e32 v197, v196, v195
	v_fma_f32 v229, -v194, v197, v196
	v_fmac_f32_e32 v197, v229, v195
	v_fma_f32 v194, -v194, v197, v196
	v_div_fmas_f32 v194, v194, v195, v197
	v_div_fixup_f32 v194, v194, v228, 1.0
	ds_write_b32 v192, v194
.LBB125_190:
	s_or_b64 exec, exec, s[4:5]
.LBB125_191:
	s_or_b64 exec, exec, s[2:3]
	s_waitcnt lgkmcnt(0)
	s_barrier
	ds_read_b32 v228, v192
	v_cmp_lt_u32_e32 vcc, 34, v25
	s_and_saveexec_b64 s[2:3], vcc
	s_cbranch_execz .LBB125_193
; %bb.192:
	ds_read2_b32 v[230:231], v193 offset0:35 offset1:36
	ds_read2_b32 v[232:233], v193 offset0:37 offset1:38
	;; [unrolled: 1-line block ×4, first 2 shown]
	s_waitcnt vmcnt(33) lgkmcnt(4)
	v_mul_f32_e32 v236, v228, v119
	s_waitcnt vmcnt(31) lgkmcnt(3)
	v_pk_fma_f32 v[122:123], v[236:237], v[230:231], v[122:123] op_sel_hi:[0,1,1] neg_lo:[1,0,0] neg_hi:[1,0,0]
	s_waitcnt vmcnt(29) lgkmcnt(2)
	v_pk_fma_f32 v[116:117], v[236:237], v[232:233], v[116:117] op_sel_hi:[0,1,1] neg_lo:[1,0,0] neg_hi:[1,0,0]
	;; [unrolled: 2-line block ×3, first 2 shown]
	ds_read2_b32 v[230:231], v193 offset0:43 offset1:44
	ds_read2_b32 v[232:233], v193 offset0:45 offset1:46
	;; [unrolled: 1-line block ×3, first 2 shown]
	s_waitcnt vmcnt(25) lgkmcnt(3)
	v_pk_fma_f32 v[146:147], v[236:237], v[238:239], v[146:147] op_sel_hi:[0,1,1] neg_lo:[1,0,0] neg_hi:[1,0,0]
	ds_read2_b32 v[238:239], v193 offset0:49 offset1:50
	s_waitcnt vmcnt(23) lgkmcnt(3)
	v_pk_fma_f32 v[140:141], v[236:237], v[230:231], v[140:141] op_sel_hi:[0,1,1] neg_lo:[1,0,0] neg_hi:[1,0,0]
	ds_read2_b32 v[230:231], v193 offset0:51 offset1:52
	s_waitcnt vmcnt(21) lgkmcnt(3)
	v_pk_fma_f32 v[142:143], v[236:237], v[232:233], v[142:143] op_sel_hi:[0,1,1] neg_lo:[1,0,0] neg_hi:[1,0,0]
	s_waitcnt vmcnt(19) lgkmcnt(2)
	v_pk_fma_f32 v[144:145], v[236:237], v[234:235], v[144:145] op_sel_hi:[0,1,1] neg_lo:[1,0,0] neg_hi:[1,0,0]
	;; [unrolled: 2-line block ×3, first 2 shown]
	ds_read2_b32 v[232:233], v193 offset0:53 offset1:54
	ds_read2_b32 v[234:235], v193 offset0:55 offset1:56
	;; [unrolled: 1-line block ×3, first 2 shown]
	s_waitcnt vmcnt(15) lgkmcnt(3)
	v_pk_fma_f32 v[168:169], v[236:237], v[230:231], v[168:169] op_sel_hi:[0,1,1] neg_lo:[1,0,0] neg_hi:[1,0,0]
	ds_read2_b32 v[230:231], v193 offset0:59 offset1:60
	ds_read2_b32 v[240:241], v193 offset0:61 offset1:62
	s_waitcnt vmcnt(13) lgkmcnt(4)
	v_pk_fma_f32 v[170:171], v[236:237], v[232:233], v[170:171] op_sel_hi:[0,1,1] neg_lo:[1,0,0] neg_hi:[1,0,0]
	s_waitcnt vmcnt(11) lgkmcnt(3)
	v_pk_fma_f32 v[164:165], v[236:237], v[234:235], v[164:165] op_sel_hi:[0,1,1] neg_lo:[1,0,0] neg_hi:[1,0,0]
	;; [unrolled: 2-line block ×5, first 2 shown]
	v_mov_b32_e32 v119, v236
.LBB125_193:
	s_or_b64 exec, exec, s[2:3]
	v_cmp_eq_u32_e32 vcc, 35, v25
	s_waitcnt lgkmcnt(0)
	s_barrier
	s_and_saveexec_b64 s[2:3], vcc
	s_cbranch_execz .LBB125_196
; %bb.194:
	s_waitcnt vmcnt(29)
	v_pk_mov_b32 v[230:231], v[122:123], v[116:117] op_sel:[1,0]
	ds_write_b32 v192, v122
	ds_write2_b32 v193, v230, v231 offset0:36 offset1:37
	s_waitcnt vmcnt(27)
	v_pk_mov_b32 v[230:231], v[116:117], v[120:121] op_sel:[1,0]
	ds_write2_b32 v193, v230, v231 offset0:38 offset1:39
	s_waitcnt vmcnt(25)
	v_pk_mov_b32 v[230:231], v[120:121], v[146:147] op_sel:[1,0]
	;; [unrolled: 3-line block ×12, first 2 shown]
	ds_write2_b32 v193, v230, v231 offset0:60 offset1:61
	ds_write_b32 v193, v191 offset:248
	ds_read_b32 v229, v192
	s_waitcnt lgkmcnt(0)
	v_cmp_neq_f32_e32 vcc, 0, v229
	s_and_b64 exec, exec, vcc
	s_cbranch_execz .LBB125_196
; %bb.195:
	v_div_scale_f32 v194, s[4:5], v229, v229, 1.0
	v_rcp_f32_e32 v195, v194
	v_div_scale_f32 v196, vcc, 1.0, v229, 1.0
	v_fma_f32 v197, -v194, v195, 1.0
	v_fmac_f32_e32 v195, v197, v195
	v_mul_f32_e32 v197, v196, v195
	v_fma_f32 v230, -v194, v197, v196
	v_fmac_f32_e32 v197, v230, v195
	v_fma_f32 v194, -v194, v197, v196
	v_div_fmas_f32 v194, v194, v195, v197
	v_div_fixup_f32 v194, v194, v229, 1.0
	ds_write_b32 v192, v194
.LBB125_196:
	s_or_b64 exec, exec, s[2:3]
	s_waitcnt lgkmcnt(0)
	s_barrier
	ds_read_b32 v229, v192
	v_cmp_lt_u32_e32 vcc, 35, v25
	s_and_saveexec_b64 s[2:3], vcc
	s_cbranch_execz .LBB125_198
; %bb.197:
	ds_read_b32 v194, v193 offset:144
	ds_read2_b32 v[230:231], v193 offset0:37 offset1:38
	ds_read2_b32 v[232:233], v193 offset0:39 offset1:40
	s_waitcnt vmcnt(32) lgkmcnt(3)
	v_mul_f32_e32 v122, v229, v122
	ds_read2_b32 v[234:235], v193 offset0:41 offset1:42
	s_waitcnt vmcnt(31) lgkmcnt(3)
	v_fma_f32 v123, -v122, v194, v123
	s_waitcnt vmcnt(29) lgkmcnt(2)
	v_pk_fma_f32 v[116:117], v[122:123], v[230:231], v[116:117] op_sel_hi:[0,1,1] neg_lo:[1,0,0] neg_hi:[1,0,0]
	s_waitcnt vmcnt(27) lgkmcnt(1)
	v_pk_fma_f32 v[120:121], v[122:123], v[232:233], v[120:121] op_sel_hi:[0,1,1] neg_lo:[1,0,0] neg_hi:[1,0,0]
	ds_read2_b32 v[230:231], v193 offset0:43 offset1:44
	ds_read2_b32 v[232:233], v193 offset0:45 offset1:46
	;; [unrolled: 1-line block ×3, first 2 shown]
	s_waitcnt vmcnt(25) lgkmcnt(3)
	v_pk_fma_f32 v[146:147], v[122:123], v[234:235], v[146:147] op_sel_hi:[0,1,1] neg_lo:[1,0,0] neg_hi:[1,0,0]
	ds_read2_b32 v[234:235], v193 offset0:49 offset1:50
	s_waitcnt vmcnt(23) lgkmcnt(3)
	v_pk_fma_f32 v[140:141], v[122:123], v[230:231], v[140:141] op_sel_hi:[0,1,1] neg_lo:[1,0,0] neg_hi:[1,0,0]
	ds_read2_b32 v[230:231], v193 offset0:51 offset1:52
	s_waitcnt vmcnt(21) lgkmcnt(3)
	v_pk_fma_f32 v[142:143], v[122:123], v[232:233], v[142:143] op_sel_hi:[0,1,1] neg_lo:[1,0,0] neg_hi:[1,0,0]
	s_waitcnt vmcnt(19) lgkmcnt(2)
	v_pk_fma_f32 v[144:145], v[122:123], v[236:237], v[144:145] op_sel_hi:[0,1,1] neg_lo:[1,0,0] neg_hi:[1,0,0]
	;; [unrolled: 2-line block ×3, first 2 shown]
	ds_read2_b32 v[232:233], v193 offset0:53 offset1:54
	ds_read2_b32 v[234:235], v193 offset0:55 offset1:56
	;; [unrolled: 1-line block ×3, first 2 shown]
	s_waitcnt vmcnt(15) lgkmcnt(3)
	v_pk_fma_f32 v[168:169], v[122:123], v[230:231], v[168:169] op_sel_hi:[0,1,1] neg_lo:[1,0,0] neg_hi:[1,0,0]
	ds_read2_b32 v[230:231], v193 offset0:59 offset1:60
	ds_read2_b32 v[238:239], v193 offset0:61 offset1:62
	s_waitcnt vmcnt(13) lgkmcnt(4)
	v_pk_fma_f32 v[170:171], v[122:123], v[232:233], v[170:171] op_sel_hi:[0,1,1] neg_lo:[1,0,0] neg_hi:[1,0,0]
	s_waitcnt vmcnt(11) lgkmcnt(3)
	v_pk_fma_f32 v[164:165], v[122:123], v[234:235], v[164:165] op_sel_hi:[0,1,1] neg_lo:[1,0,0] neg_hi:[1,0,0]
	;; [unrolled: 2-line block ×5, first 2 shown]
.LBB125_198:
	s_or_b64 exec, exec, s[2:3]
	v_cmp_ne_u32_e32 vcc, 36, v25
	s_waitcnt lgkmcnt(0)
	s_barrier
	s_and_saveexec_b64 s[2:3], vcc
	s_xor_b64 s[2:3], exec, s[2:3]
	s_andn2_saveexec_b64 s[2:3], s[2:3]
	s_cbranch_execz .LBB125_202
; %bb.199:
	s_waitcnt vmcnt(31)
	ds_write_b32 v192, v123
	s_waitcnt vmcnt(29)
	ds_write2_b32 v193, v116, v117 offset0:37 offset1:38
	s_waitcnt vmcnt(27)
	ds_write2_b32 v193, v120, v121 offset0:39 offset1:40
	;; [unrolled: 2-line block ×13, first 2 shown]
	ds_read_b32 v230, v192
	s_waitcnt lgkmcnt(0)
	v_cmp_neq_f32_e32 vcc, 0, v230
	s_and_saveexec_b64 s[4:5], vcc
	s_cbranch_execz .LBB125_201
; %bb.200:
	v_div_scale_f32 v194, s[10:11], v230, v230, 1.0
	v_rcp_f32_e32 v195, v194
	v_div_scale_f32 v196, vcc, 1.0, v230, 1.0
	v_fma_f32 v197, -v194, v195, 1.0
	v_fmac_f32_e32 v195, v197, v195
	v_mul_f32_e32 v197, v196, v195
	v_fma_f32 v231, -v194, v197, v196
	v_fmac_f32_e32 v197, v231, v195
	v_fma_f32 v194, -v194, v197, v196
	v_div_fmas_f32 v194, v194, v195, v197
	v_div_fixup_f32 v194, v194, v230, 1.0
	ds_write_b32 v192, v194
.LBB125_201:
	s_or_b64 exec, exec, s[4:5]
.LBB125_202:
	s_or_b64 exec, exec, s[2:3]
	s_waitcnt lgkmcnt(0)
	s_barrier
	ds_read_b32 v230, v192
	v_cmp_lt_u32_e32 vcc, 36, v25
	s_and_saveexec_b64 s[2:3], vcc
	s_cbranch_execz .LBB125_204
; %bb.203:
	ds_read2_b32 v[232:233], v193 offset0:37 offset1:38
	ds_read2_b32 v[234:235], v193 offset0:39 offset1:40
	;; [unrolled: 1-line block ×3, first 2 shown]
	s_waitcnt vmcnt(31) lgkmcnt(3)
	v_mul_f32_e32 v238, v230, v123
	ds_read2_b32 v[240:241], v193 offset0:43 offset1:44
	s_waitcnt vmcnt(29) lgkmcnt(3)
	v_pk_fma_f32 v[116:117], v[238:239], v[232:233], v[116:117] op_sel_hi:[0,1,1] neg_lo:[1,0,0] neg_hi:[1,0,0]
	s_waitcnt vmcnt(27) lgkmcnt(2)
	v_pk_fma_f32 v[120:121], v[238:239], v[234:235], v[120:121] op_sel_hi:[0,1,1] neg_lo:[1,0,0] neg_hi:[1,0,0]
	;; [unrolled: 2-line block ×3, first 2 shown]
	ds_read2_b32 v[232:233], v193 offset0:45 offset1:46
	ds_read2_b32 v[234:235], v193 offset0:47 offset1:48
	;; [unrolled: 1-line block ×4, first 2 shown]
	s_waitcnt vmcnt(23) lgkmcnt(4)
	v_pk_fma_f32 v[140:141], v[238:239], v[240:241], v[140:141] op_sel_hi:[0,1,1] neg_lo:[1,0,0] neg_hi:[1,0,0]
	s_waitcnt vmcnt(21) lgkmcnt(3)
	v_pk_fma_f32 v[142:143], v[238:239], v[232:233], v[142:143] op_sel_hi:[0,1,1] neg_lo:[1,0,0] neg_hi:[1,0,0]
	s_waitcnt vmcnt(19) lgkmcnt(2)
	v_pk_fma_f32 v[144:145], v[238:239], v[234:235], v[144:145] op_sel_hi:[0,1,1] neg_lo:[1,0,0] neg_hi:[1,0,0]
	s_waitcnt vmcnt(17) lgkmcnt(1)
	v_pk_fma_f32 v[166:167], v[238:239], v[236:237], v[166:167] op_sel_hi:[0,1,1] neg_lo:[1,0,0] neg_hi:[1,0,0]
	s_waitcnt vmcnt(15) lgkmcnt(0)
	v_pk_fma_f32 v[168:169], v[238:239], v[242:243], v[168:169] op_sel_hi:[0,1,1] neg_lo:[1,0,0] neg_hi:[1,0,0]
	ds_read2_b32 v[232:233], v193 offset0:53 offset1:54
	ds_read2_b32 v[234:235], v193 offset0:55 offset1:56
	;; [unrolled: 1-line block ×5, first 2 shown]
	s_waitcnt vmcnt(13) lgkmcnt(4)
	v_pk_fma_f32 v[170:171], v[238:239], v[232:233], v[170:171] op_sel_hi:[0,1,1] neg_lo:[1,0,0] neg_hi:[1,0,0]
	s_waitcnt vmcnt(11) lgkmcnt(3)
	v_pk_fma_f32 v[164:165], v[238:239], v[234:235], v[164:165] op_sel_hi:[0,1,1] neg_lo:[1,0,0] neg_hi:[1,0,0]
	;; [unrolled: 2-line block ×5, first 2 shown]
	v_mov_b32_e32 v123, v238
.LBB125_204:
	s_or_b64 exec, exec, s[2:3]
	v_cmp_eq_u32_e32 vcc, 37, v25
	s_waitcnt lgkmcnt(0)
	s_barrier
	s_and_saveexec_b64 s[2:3], vcc
	s_cbranch_execz .LBB125_207
; %bb.205:
	s_waitcnt vmcnt(27)
	v_pk_mov_b32 v[232:233], v[116:117], v[120:121] op_sel:[1,0]
	ds_write_b32 v192, v116
	ds_write2_b32 v193, v232, v233 offset0:38 offset1:39
	s_waitcnt vmcnt(25)
	v_pk_mov_b32 v[232:233], v[120:121], v[146:147] op_sel:[1,0]
	ds_write2_b32 v193, v232, v233 offset0:40 offset1:41
	s_waitcnt vmcnt(23)
	v_pk_mov_b32 v[232:233], v[146:147], v[140:141] op_sel:[1,0]
	;; [unrolled: 3-line block ×11, first 2 shown]
	ds_write2_b32 v193, v232, v233 offset0:60 offset1:61
	ds_write_b32 v193, v191 offset:248
	ds_read_b32 v231, v192
	s_waitcnt lgkmcnt(0)
	v_cmp_neq_f32_e32 vcc, 0, v231
	s_and_b64 exec, exec, vcc
	s_cbranch_execz .LBB125_207
; %bb.206:
	v_div_scale_f32 v194, s[4:5], v231, v231, 1.0
	v_rcp_f32_e32 v195, v194
	v_div_scale_f32 v196, vcc, 1.0, v231, 1.0
	v_fma_f32 v197, -v194, v195, 1.0
	v_fmac_f32_e32 v195, v197, v195
	v_mul_f32_e32 v197, v196, v195
	v_fma_f32 v232, -v194, v197, v196
	v_fmac_f32_e32 v197, v232, v195
	v_fma_f32 v194, -v194, v197, v196
	v_div_fmas_f32 v194, v194, v195, v197
	v_div_fixup_f32 v194, v194, v231, 1.0
	ds_write_b32 v192, v194
.LBB125_207:
	s_or_b64 exec, exec, s[2:3]
	s_waitcnt lgkmcnt(0)
	s_barrier
	ds_read_b32 v231, v192
	v_cmp_lt_u32_e32 vcc, 37, v25
	s_and_saveexec_b64 s[2:3], vcc
	s_cbranch_execz .LBB125_209
; %bb.208:
	ds_read_b32 v194, v193 offset:152
	ds_read2_b32 v[232:233], v193 offset0:39 offset1:40
	ds_read2_b32 v[234:235], v193 offset0:41 offset1:42
	s_waitcnt vmcnt(30) lgkmcnt(3)
	v_mul_f32_e32 v116, v231, v116
	ds_read2_b32 v[236:237], v193 offset0:43 offset1:44
	s_waitcnt vmcnt(29) lgkmcnt(3)
	v_fma_f32 v117, -v116, v194, v117
	s_waitcnt vmcnt(27) lgkmcnt(2)
	v_pk_fma_f32 v[120:121], v[116:117], v[232:233], v[120:121] op_sel_hi:[0,1,1] neg_lo:[1,0,0] neg_hi:[1,0,0]
	s_waitcnt vmcnt(25) lgkmcnt(1)
	v_pk_fma_f32 v[146:147], v[116:117], v[234:235], v[146:147] op_sel_hi:[0,1,1] neg_lo:[1,0,0] neg_hi:[1,0,0]
	ds_read2_b32 v[232:233], v193 offset0:45 offset1:46
	ds_read2_b32 v[234:235], v193 offset0:47 offset1:48
	;; [unrolled: 1-line block ×4, first 2 shown]
	s_waitcnt vmcnt(23) lgkmcnt(4)
	v_pk_fma_f32 v[140:141], v[116:117], v[236:237], v[140:141] op_sel_hi:[0,1,1] neg_lo:[1,0,0] neg_hi:[1,0,0]
	s_waitcnt vmcnt(21) lgkmcnt(3)
	v_pk_fma_f32 v[142:143], v[116:117], v[232:233], v[142:143] op_sel_hi:[0,1,1] neg_lo:[1,0,0] neg_hi:[1,0,0]
	s_waitcnt vmcnt(19) lgkmcnt(2)
	v_pk_fma_f32 v[144:145], v[116:117], v[234:235], v[144:145] op_sel_hi:[0,1,1] neg_lo:[1,0,0] neg_hi:[1,0,0]
	s_waitcnt vmcnt(17) lgkmcnt(1)
	v_pk_fma_f32 v[166:167], v[116:117], v[238:239], v[166:167] op_sel_hi:[0,1,1] neg_lo:[1,0,0] neg_hi:[1,0,0]
	s_waitcnt vmcnt(15) lgkmcnt(0)
	v_pk_fma_f32 v[168:169], v[116:117], v[240:241], v[168:169] op_sel_hi:[0,1,1] neg_lo:[1,0,0] neg_hi:[1,0,0]
	ds_read2_b32 v[232:233], v193 offset0:53 offset1:54
	ds_read2_b32 v[234:235], v193 offset0:55 offset1:56
	;; [unrolled: 1-line block ×5, first 2 shown]
	s_waitcnt vmcnt(13) lgkmcnt(4)
	v_pk_fma_f32 v[170:171], v[116:117], v[232:233], v[170:171] op_sel_hi:[0,1,1] neg_lo:[1,0,0] neg_hi:[1,0,0]
	s_waitcnt vmcnt(11) lgkmcnt(3)
	v_pk_fma_f32 v[164:165], v[116:117], v[234:235], v[164:165] op_sel_hi:[0,1,1] neg_lo:[1,0,0] neg_hi:[1,0,0]
	;; [unrolled: 2-line block ×5, first 2 shown]
.LBB125_209:
	s_or_b64 exec, exec, s[2:3]
	v_cmp_ne_u32_e32 vcc, 38, v25
	s_waitcnt lgkmcnt(0)
	s_barrier
	s_and_saveexec_b64 s[2:3], vcc
	s_xor_b64 s[2:3], exec, s[2:3]
	s_andn2_saveexec_b64 s[2:3], s[2:3]
	s_cbranch_execz .LBB125_213
; %bb.210:
	s_waitcnt vmcnt(29)
	ds_write_b32 v192, v117
	s_waitcnt vmcnt(27)
	ds_write2_b32 v193, v120, v121 offset0:39 offset1:40
	s_waitcnt vmcnt(25)
	ds_write2_b32 v193, v146, v147 offset0:41 offset1:42
	;; [unrolled: 2-line block ×12, first 2 shown]
	ds_read_b32 v232, v192
	s_waitcnt lgkmcnt(0)
	v_cmp_neq_f32_e32 vcc, 0, v232
	s_and_saveexec_b64 s[4:5], vcc
	s_cbranch_execz .LBB125_212
; %bb.211:
	v_div_scale_f32 v194, s[10:11], v232, v232, 1.0
	v_rcp_f32_e32 v195, v194
	v_div_scale_f32 v196, vcc, 1.0, v232, 1.0
	v_fma_f32 v197, -v194, v195, 1.0
	v_fmac_f32_e32 v195, v197, v195
	v_mul_f32_e32 v197, v196, v195
	v_fma_f32 v233, -v194, v197, v196
	v_fmac_f32_e32 v197, v233, v195
	v_fma_f32 v194, -v194, v197, v196
	v_div_fmas_f32 v194, v194, v195, v197
	v_div_fixup_f32 v194, v194, v232, 1.0
	ds_write_b32 v192, v194
.LBB125_212:
	s_or_b64 exec, exec, s[4:5]
.LBB125_213:
	s_or_b64 exec, exec, s[2:3]
	s_waitcnt lgkmcnt(0)
	s_barrier
	ds_read_b32 v232, v192
	v_cmp_lt_u32_e32 vcc, 38, v25
	s_and_saveexec_b64 s[2:3], vcc
	s_cbranch_execz .LBB125_215
; %bb.214:
	ds_read2_b32 v[234:235], v193 offset0:39 offset1:40
	ds_read2_b32 v[236:237], v193 offset0:41 offset1:42
	;; [unrolled: 1-line block ×3, first 2 shown]
	s_waitcnt vmcnt(29) lgkmcnt(3)
	v_mul_f32_e32 v240, v232, v117
	ds_read2_b32 v[242:243], v193 offset0:45 offset1:46
	s_waitcnt vmcnt(27) lgkmcnt(3)
	v_pk_fma_f32 v[120:121], v[240:241], v[234:235], v[120:121] op_sel_hi:[0,1,1] neg_lo:[1,0,0] neg_hi:[1,0,0]
	s_waitcnt vmcnt(25) lgkmcnt(2)
	v_pk_fma_f32 v[146:147], v[240:241], v[236:237], v[146:147] op_sel_hi:[0,1,1] neg_lo:[1,0,0] neg_hi:[1,0,0]
	;; [unrolled: 2-line block ×3, first 2 shown]
	ds_read2_b32 v[234:235], v193 offset0:47 offset1:48
	ds_read2_b32 v[236:237], v193 offset0:49 offset1:50
	;; [unrolled: 1-line block ×3, first 2 shown]
	s_waitcnt vmcnt(21) lgkmcnt(3)
	v_pk_fma_f32 v[142:143], v[240:241], v[242:243], v[142:143] op_sel_hi:[0,1,1] neg_lo:[1,0,0] neg_hi:[1,0,0]
	ds_read2_b32 v[242:243], v193 offset0:53 offset1:54
	s_waitcnt vmcnt(19) lgkmcnt(3)
	v_pk_fma_f32 v[144:145], v[240:241], v[234:235], v[144:145] op_sel_hi:[0,1,1] neg_lo:[1,0,0] neg_hi:[1,0,0]
	s_waitcnt vmcnt(17) lgkmcnt(2)
	v_pk_fma_f32 v[166:167], v[240:241], v[236:237], v[166:167] op_sel_hi:[0,1,1] neg_lo:[1,0,0] neg_hi:[1,0,0]
	;; [unrolled: 2-line block ×3, first 2 shown]
	ds_read2_b32 v[234:235], v193 offset0:55 offset1:56
	ds_read2_b32 v[236:237], v193 offset0:57 offset1:58
	;; [unrolled: 1-line block ×4, first 2 shown]
	s_waitcnt vmcnt(13) lgkmcnt(4)
	v_pk_fma_f32 v[170:171], v[240:241], v[242:243], v[170:171] op_sel_hi:[0,1,1] neg_lo:[1,0,0] neg_hi:[1,0,0]
	s_waitcnt vmcnt(11) lgkmcnt(3)
	v_pk_fma_f32 v[164:165], v[240:241], v[234:235], v[164:165] op_sel_hi:[0,1,1] neg_lo:[1,0,0] neg_hi:[1,0,0]
	;; [unrolled: 2-line block ×5, first 2 shown]
	v_mov_b32_e32 v117, v240
.LBB125_215:
	s_or_b64 exec, exec, s[2:3]
	v_cmp_eq_u32_e32 vcc, 39, v25
	s_waitcnt lgkmcnt(0)
	s_barrier
	s_and_saveexec_b64 s[2:3], vcc
	s_cbranch_execz .LBB125_218
; %bb.216:
	s_waitcnt vmcnt(25)
	v_pk_mov_b32 v[234:235], v[120:121], v[146:147] op_sel:[1,0]
	ds_write_b32 v192, v120
	ds_write2_b32 v193, v234, v235 offset0:40 offset1:41
	s_waitcnt vmcnt(23)
	v_pk_mov_b32 v[234:235], v[146:147], v[140:141] op_sel:[1,0]
	ds_write2_b32 v193, v234, v235 offset0:42 offset1:43
	s_waitcnt vmcnt(21)
	v_pk_mov_b32 v[234:235], v[140:141], v[142:143] op_sel:[1,0]
	;; [unrolled: 3-line block ×10, first 2 shown]
	ds_write2_b32 v193, v234, v235 offset0:60 offset1:61
	ds_write_b32 v193, v191 offset:248
	ds_read_b32 v233, v192
	s_waitcnt lgkmcnt(0)
	v_cmp_neq_f32_e32 vcc, 0, v233
	s_and_b64 exec, exec, vcc
	s_cbranch_execz .LBB125_218
; %bb.217:
	v_div_scale_f32 v194, s[4:5], v233, v233, 1.0
	v_rcp_f32_e32 v195, v194
	v_div_scale_f32 v196, vcc, 1.0, v233, 1.0
	v_fma_f32 v197, -v194, v195, 1.0
	v_fmac_f32_e32 v195, v197, v195
	v_mul_f32_e32 v197, v196, v195
	v_fma_f32 v234, -v194, v197, v196
	v_fmac_f32_e32 v197, v234, v195
	v_fma_f32 v194, -v194, v197, v196
	v_div_fmas_f32 v194, v194, v195, v197
	v_div_fixup_f32 v194, v194, v233, 1.0
	ds_write_b32 v192, v194
.LBB125_218:
	s_or_b64 exec, exec, s[2:3]
	s_waitcnt lgkmcnt(0)
	s_barrier
	ds_read_b32 v233, v192
	v_cmp_lt_u32_e32 vcc, 39, v25
	s_and_saveexec_b64 s[2:3], vcc
	s_cbranch_execz .LBB125_220
; %bb.219:
	ds_read_b32 v194, v193 offset:160
	ds_read2_b32 v[234:235], v193 offset0:41 offset1:42
	ds_read2_b32 v[236:237], v193 offset0:43 offset1:44
	s_waitcnt vmcnt(28) lgkmcnt(3)
	v_mul_f32_e32 v120, v233, v120
	ds_read2_b32 v[238:239], v193 offset0:45 offset1:46
	s_waitcnt vmcnt(27) lgkmcnt(3)
	v_fma_f32 v121, -v120, v194, v121
	s_waitcnt vmcnt(25) lgkmcnt(2)
	v_pk_fma_f32 v[146:147], v[120:121], v[234:235], v[146:147] op_sel_hi:[0,1,1] neg_lo:[1,0,0] neg_hi:[1,0,0]
	s_waitcnt vmcnt(23) lgkmcnt(1)
	v_pk_fma_f32 v[140:141], v[120:121], v[236:237], v[140:141] op_sel_hi:[0,1,1] neg_lo:[1,0,0] neg_hi:[1,0,0]
	ds_read2_b32 v[234:235], v193 offset0:47 offset1:48
	ds_read2_b32 v[236:237], v193 offset0:49 offset1:50
	;; [unrolled: 1-line block ×3, first 2 shown]
	s_waitcnt vmcnt(21) lgkmcnt(3)
	v_pk_fma_f32 v[142:143], v[120:121], v[238:239], v[142:143] op_sel_hi:[0,1,1] neg_lo:[1,0,0] neg_hi:[1,0,0]
	ds_read2_b32 v[238:239], v193 offset0:53 offset1:54
	s_waitcnt vmcnt(19) lgkmcnt(3)
	v_pk_fma_f32 v[144:145], v[120:121], v[234:235], v[144:145] op_sel_hi:[0,1,1] neg_lo:[1,0,0] neg_hi:[1,0,0]
	s_waitcnt vmcnt(17) lgkmcnt(2)
	v_pk_fma_f32 v[166:167], v[120:121], v[236:237], v[166:167] op_sel_hi:[0,1,1] neg_lo:[1,0,0] neg_hi:[1,0,0]
	;; [unrolled: 2-line block ×3, first 2 shown]
	ds_read2_b32 v[234:235], v193 offset0:55 offset1:56
	ds_read2_b32 v[236:237], v193 offset0:57 offset1:58
	;; [unrolled: 1-line block ×4, first 2 shown]
	s_waitcnt vmcnt(13) lgkmcnt(4)
	v_pk_fma_f32 v[170:171], v[120:121], v[238:239], v[170:171] op_sel_hi:[0,1,1] neg_lo:[1,0,0] neg_hi:[1,0,0]
	s_waitcnt vmcnt(11) lgkmcnt(3)
	v_pk_fma_f32 v[164:165], v[120:121], v[234:235], v[164:165] op_sel_hi:[0,1,1] neg_lo:[1,0,0] neg_hi:[1,0,0]
	;; [unrolled: 2-line block ×5, first 2 shown]
.LBB125_220:
	s_or_b64 exec, exec, s[2:3]
	v_cmp_ne_u32_e32 vcc, 40, v25
	s_waitcnt lgkmcnt(0)
	s_barrier
	s_and_saveexec_b64 s[2:3], vcc
	s_xor_b64 s[2:3], exec, s[2:3]
	s_andn2_saveexec_b64 s[2:3], s[2:3]
	s_cbranch_execz .LBB125_224
; %bb.221:
	s_waitcnt vmcnt(27)
	ds_write_b32 v192, v121
	s_waitcnt vmcnt(25)
	ds_write2_b32 v193, v146, v147 offset0:41 offset1:42
	s_waitcnt vmcnt(23)
	ds_write2_b32 v193, v140, v141 offset0:43 offset1:44
	;; [unrolled: 2-line block ×11, first 2 shown]
	ds_read_b32 v234, v192
	s_waitcnt lgkmcnt(0)
	v_cmp_neq_f32_e32 vcc, 0, v234
	s_and_saveexec_b64 s[4:5], vcc
	s_cbranch_execz .LBB125_223
; %bb.222:
	v_div_scale_f32 v194, s[10:11], v234, v234, 1.0
	v_rcp_f32_e32 v195, v194
	v_div_scale_f32 v196, vcc, 1.0, v234, 1.0
	v_fma_f32 v197, -v194, v195, 1.0
	v_fmac_f32_e32 v195, v197, v195
	v_mul_f32_e32 v197, v196, v195
	v_fma_f32 v235, -v194, v197, v196
	v_fmac_f32_e32 v197, v235, v195
	v_fma_f32 v194, -v194, v197, v196
	v_div_fmas_f32 v194, v194, v195, v197
	v_div_fixup_f32 v194, v194, v234, 1.0
	ds_write_b32 v192, v194
.LBB125_223:
	s_or_b64 exec, exec, s[4:5]
.LBB125_224:
	s_or_b64 exec, exec, s[2:3]
	s_waitcnt lgkmcnt(0)
	s_barrier
	ds_read_b32 v234, v192
	v_cmp_lt_u32_e32 vcc, 40, v25
	s_and_saveexec_b64 s[2:3], vcc
	s_cbranch_execz .LBB125_226
; %bb.225:
	ds_read2_b32 v[236:237], v193 offset0:41 offset1:42
	ds_read2_b32 v[238:239], v193 offset0:43 offset1:44
	;; [unrolled: 1-line block ×3, first 2 shown]
	s_waitcnt vmcnt(27) lgkmcnt(3)
	v_mul_f32_e32 v242, v234, v121
	ds_read2_b32 v[244:245], v193 offset0:47 offset1:48
	s_waitcnt vmcnt(25) lgkmcnt(3)
	v_pk_fma_f32 v[146:147], v[242:243], v[236:237], v[146:147] op_sel_hi:[0,1,1] neg_lo:[1,0,0] neg_hi:[1,0,0]
	s_waitcnt vmcnt(23) lgkmcnt(2)
	v_pk_fma_f32 v[140:141], v[242:243], v[238:239], v[140:141] op_sel_hi:[0,1,1] neg_lo:[1,0,0] neg_hi:[1,0,0]
	ds_read2_b32 v[236:237], v193 offset0:49 offset1:50
	ds_read2_b32 v[238:239], v193 offset0:51 offset1:52
	s_waitcnt vmcnt(21) lgkmcnt(3)
	v_pk_fma_f32 v[142:143], v[242:243], v[240:241], v[142:143] op_sel_hi:[0,1,1] neg_lo:[1,0,0] neg_hi:[1,0,0]
	s_waitcnt vmcnt(19) lgkmcnt(2)
	v_pk_fma_f32 v[144:145], v[242:243], v[244:245], v[144:145] op_sel_hi:[0,1,1] neg_lo:[1,0,0] neg_hi:[1,0,0]
	ds_read2_b32 v[240:241], v193 offset0:53 offset1:54
	;; [unrolled: 6-line block ×3, first 2 shown]
	ds_read2_b32 v[238:239], v193 offset0:59 offset1:60
	ds_read2_b32 v[246:247], v193 offset0:61 offset1:62
	s_waitcnt vmcnt(13) lgkmcnt(4)
	v_pk_fma_f32 v[170:171], v[242:243], v[240:241], v[170:171] op_sel_hi:[0,1,1] neg_lo:[1,0,0] neg_hi:[1,0,0]
	s_waitcnt vmcnt(11) lgkmcnt(3)
	v_pk_fma_f32 v[164:165], v[242:243], v[244:245], v[164:165] op_sel_hi:[0,1,1] neg_lo:[1,0,0] neg_hi:[1,0,0]
	;; [unrolled: 2-line block ×5, first 2 shown]
	v_mov_b32_e32 v121, v242
.LBB125_226:
	s_or_b64 exec, exec, s[2:3]
	v_cmp_eq_u32_e32 vcc, 41, v25
	s_waitcnt lgkmcnt(0)
	s_barrier
	s_and_saveexec_b64 s[2:3], vcc
	s_cbranch_execz .LBB125_229
; %bb.227:
	s_waitcnt vmcnt(23)
	v_pk_mov_b32 v[236:237], v[146:147], v[140:141] op_sel:[1,0]
	ds_write_b32 v192, v146
	ds_write2_b32 v193, v236, v237 offset0:42 offset1:43
	s_waitcnt vmcnt(21)
	v_pk_mov_b32 v[236:237], v[140:141], v[142:143] op_sel:[1,0]
	ds_write2_b32 v193, v236, v237 offset0:44 offset1:45
	s_waitcnt vmcnt(19)
	v_pk_mov_b32 v[236:237], v[142:143], v[144:145] op_sel:[1,0]
	;; [unrolled: 3-line block ×9, first 2 shown]
	ds_write2_b32 v193, v236, v237 offset0:60 offset1:61
	ds_write_b32 v193, v191 offset:248
	ds_read_b32 v235, v192
	s_waitcnt lgkmcnt(0)
	v_cmp_neq_f32_e32 vcc, 0, v235
	s_and_b64 exec, exec, vcc
	s_cbranch_execz .LBB125_229
; %bb.228:
	v_div_scale_f32 v194, s[4:5], v235, v235, 1.0
	v_rcp_f32_e32 v195, v194
	v_div_scale_f32 v196, vcc, 1.0, v235, 1.0
	v_fma_f32 v197, -v194, v195, 1.0
	v_fmac_f32_e32 v195, v197, v195
	v_mul_f32_e32 v197, v196, v195
	v_fma_f32 v236, -v194, v197, v196
	v_fmac_f32_e32 v197, v236, v195
	v_fma_f32 v194, -v194, v197, v196
	v_div_fmas_f32 v194, v194, v195, v197
	v_div_fixup_f32 v194, v194, v235, 1.0
	ds_write_b32 v192, v194
.LBB125_229:
	s_or_b64 exec, exec, s[2:3]
	s_waitcnt lgkmcnt(0)
	s_barrier
	ds_read_b32 v235, v192
	v_cmp_lt_u32_e32 vcc, 41, v25
	s_and_saveexec_b64 s[2:3], vcc
	s_cbranch_execz .LBB125_231
; %bb.230:
	ds_read_b32 v194, v193 offset:168
	ds_read2_b32 v[236:237], v193 offset0:43 offset1:44
	ds_read2_b32 v[238:239], v193 offset0:45 offset1:46
	s_waitcnt vmcnt(26) lgkmcnt(3)
	v_mul_f32_e32 v146, v235, v146
	ds_read2_b32 v[240:241], v193 offset0:47 offset1:48
	s_waitcnt vmcnt(25) lgkmcnt(3)
	v_fma_f32 v147, -v146, v194, v147
	s_waitcnt vmcnt(23) lgkmcnt(2)
	v_pk_fma_f32 v[140:141], v[146:147], v[236:237], v[140:141] op_sel_hi:[0,1,1] neg_lo:[1,0,0] neg_hi:[1,0,0]
	s_waitcnt vmcnt(21) lgkmcnt(1)
	v_pk_fma_f32 v[142:143], v[146:147], v[238:239], v[142:143] op_sel_hi:[0,1,1] neg_lo:[1,0,0] neg_hi:[1,0,0]
	ds_read2_b32 v[236:237], v193 offset0:49 offset1:50
	ds_read2_b32 v[238:239], v193 offset0:51 offset1:52
	s_waitcnt vmcnt(19) lgkmcnt(2)
	v_pk_fma_f32 v[144:145], v[146:147], v[240:241], v[144:145] op_sel_hi:[0,1,1] neg_lo:[1,0,0] neg_hi:[1,0,0]
	ds_read2_b32 v[240:241], v193 offset0:53 offset1:54
	ds_read2_b32 v[242:243], v193 offset0:55 offset1:56
	s_waitcnt vmcnt(17) lgkmcnt(3)
	v_pk_fma_f32 v[166:167], v[146:147], v[236:237], v[166:167] op_sel_hi:[0,1,1] neg_lo:[1,0,0] neg_hi:[1,0,0]
	s_waitcnt vmcnt(15) lgkmcnt(2)
	v_pk_fma_f32 v[168:169], v[146:147], v[238:239], v[168:169] op_sel_hi:[0,1,1] neg_lo:[1,0,0] neg_hi:[1,0,0]
	ds_read2_b32 v[236:237], v193 offset0:57 offset1:58
	ds_read2_b32 v[238:239], v193 offset0:59 offset1:60
	;; [unrolled: 1-line block ×3, first 2 shown]
	s_waitcnt vmcnt(13) lgkmcnt(4)
	v_pk_fma_f32 v[170:171], v[146:147], v[240:241], v[170:171] op_sel_hi:[0,1,1] neg_lo:[1,0,0] neg_hi:[1,0,0]
	s_waitcnt vmcnt(11) lgkmcnt(3)
	v_pk_fma_f32 v[164:165], v[146:147], v[242:243], v[164:165] op_sel_hi:[0,1,1] neg_lo:[1,0,0] neg_hi:[1,0,0]
	s_waitcnt vmcnt(9) lgkmcnt(2)
	v_pk_fma_f32 v[186:187], v[146:147], v[236:237], v[186:187] op_sel_hi:[0,1,1] neg_lo:[1,0,0] neg_hi:[1,0,0]
	s_waitcnt vmcnt(7) lgkmcnt(1)
	v_pk_fma_f32 v[188:189], v[146:147], v[238:239], v[188:189] op_sel_hi:[0,1,1] neg_lo:[1,0,0] neg_hi:[1,0,0]
	s_waitcnt vmcnt(5) lgkmcnt(0)
	v_pk_fma_f32 v[190:191], v[146:147], v[244:245], v[190:191] op_sel_hi:[0,1,1] neg_lo:[1,0,0] neg_hi:[1,0,0]
.LBB125_231:
	s_or_b64 exec, exec, s[2:3]
	v_cmp_ne_u32_e32 vcc, 42, v25
	s_waitcnt lgkmcnt(0)
	s_barrier
	s_and_saveexec_b64 s[2:3], vcc
	s_xor_b64 s[2:3], exec, s[2:3]
	s_andn2_saveexec_b64 s[2:3], s[2:3]
	s_cbranch_execz .LBB125_235
; %bb.232:
	s_waitcnt vmcnt(25)
	ds_write_b32 v192, v147
	s_waitcnt vmcnt(23)
	ds_write2_b32 v193, v140, v141 offset0:43 offset1:44
	s_waitcnt vmcnt(21)
	ds_write2_b32 v193, v142, v143 offset0:45 offset1:46
	;; [unrolled: 2-line block ×10, first 2 shown]
	ds_read_b32 v236, v192
	s_waitcnt lgkmcnt(0)
	v_cmp_neq_f32_e32 vcc, 0, v236
	s_and_saveexec_b64 s[4:5], vcc
	s_cbranch_execz .LBB125_234
; %bb.233:
	v_div_scale_f32 v194, s[10:11], v236, v236, 1.0
	v_rcp_f32_e32 v195, v194
	v_div_scale_f32 v196, vcc, 1.0, v236, 1.0
	v_fma_f32 v197, -v194, v195, 1.0
	v_fmac_f32_e32 v195, v197, v195
	v_mul_f32_e32 v197, v196, v195
	v_fma_f32 v237, -v194, v197, v196
	v_fmac_f32_e32 v197, v237, v195
	v_fma_f32 v194, -v194, v197, v196
	v_div_fmas_f32 v194, v194, v195, v197
	v_div_fixup_f32 v194, v194, v236, 1.0
	ds_write_b32 v192, v194
.LBB125_234:
	s_or_b64 exec, exec, s[4:5]
.LBB125_235:
	s_or_b64 exec, exec, s[2:3]
	s_waitcnt lgkmcnt(0)
	s_barrier
	ds_read_b32 v236, v192
	v_cmp_lt_u32_e32 vcc, 42, v25
	s_and_saveexec_b64 s[2:3], vcc
	s_cbranch_execz .LBB125_237
; %bb.236:
	ds_read2_b32 v[238:239], v193 offset0:43 offset1:44
	ds_read2_b32 v[240:241], v193 offset0:45 offset1:46
	;; [unrolled: 1-line block ×3, first 2 shown]
	s_waitcnt vmcnt(25) lgkmcnt(3)
	v_mul_f32_e32 v244, v236, v147
	ds_read2_b32 v[246:247], v193 offset0:49 offset1:50
	s_waitcnt vmcnt(23) lgkmcnt(3)
	v_pk_fma_f32 v[140:141], v[244:245], v[238:239], v[140:141] op_sel_hi:[0,1,1] neg_lo:[1,0,0] neg_hi:[1,0,0]
	ds_read2_b32 v[238:239], v193 offset0:51 offset1:52
	s_waitcnt vmcnt(21) lgkmcnt(3)
	v_pk_fma_f32 v[142:143], v[244:245], v[240:241], v[142:143] op_sel_hi:[0,1,1] neg_lo:[1,0,0] neg_hi:[1,0,0]
	s_waitcnt vmcnt(19) lgkmcnt(2)
	v_pk_fma_f32 v[144:145], v[244:245], v[242:243], v[144:145] op_sel_hi:[0,1,1] neg_lo:[1,0,0] neg_hi:[1,0,0]
	;; [unrolled: 2-line block ×3, first 2 shown]
	ds_read2_b32 v[240:241], v193 offset0:53 offset1:54
	ds_read2_b32 v[242:243], v193 offset0:55 offset1:56
	;; [unrolled: 1-line block ×3, first 2 shown]
	s_waitcnt vmcnt(15) lgkmcnt(3)
	v_pk_fma_f32 v[168:169], v[244:245], v[238:239], v[168:169] op_sel_hi:[0,1,1] neg_lo:[1,0,0] neg_hi:[1,0,0]
	ds_read2_b32 v[238:239], v193 offset0:59 offset1:60
	ds_read2_b32 v[248:249], v193 offset0:61 offset1:62
	s_waitcnt vmcnt(13) lgkmcnt(4)
	v_pk_fma_f32 v[170:171], v[244:245], v[240:241], v[170:171] op_sel_hi:[0,1,1] neg_lo:[1,0,0] neg_hi:[1,0,0]
	s_waitcnt vmcnt(11) lgkmcnt(3)
	v_pk_fma_f32 v[164:165], v[244:245], v[242:243], v[164:165] op_sel_hi:[0,1,1] neg_lo:[1,0,0] neg_hi:[1,0,0]
	;; [unrolled: 2-line block ×5, first 2 shown]
	v_mov_b32_e32 v147, v244
.LBB125_237:
	s_or_b64 exec, exec, s[2:3]
	v_cmp_eq_u32_e32 vcc, 43, v25
	s_waitcnt lgkmcnt(0)
	s_barrier
	s_and_saveexec_b64 s[2:3], vcc
	s_cbranch_execz .LBB125_240
; %bb.238:
	s_waitcnt vmcnt(21)
	v_pk_mov_b32 v[238:239], v[140:141], v[142:143] op_sel:[1,0]
	ds_write_b32 v192, v140
	ds_write2_b32 v193, v238, v239 offset0:44 offset1:45
	s_waitcnt vmcnt(19)
	v_pk_mov_b32 v[238:239], v[142:143], v[144:145] op_sel:[1,0]
	ds_write2_b32 v193, v238, v239 offset0:46 offset1:47
	s_waitcnt vmcnt(17)
	v_pk_mov_b32 v[238:239], v[144:145], v[166:167] op_sel:[1,0]
	;; [unrolled: 3-line block ×8, first 2 shown]
	ds_write2_b32 v193, v238, v239 offset0:60 offset1:61
	ds_write_b32 v193, v191 offset:248
	ds_read_b32 v237, v192
	s_waitcnt lgkmcnt(0)
	v_cmp_neq_f32_e32 vcc, 0, v237
	s_and_b64 exec, exec, vcc
	s_cbranch_execz .LBB125_240
; %bb.239:
	v_div_scale_f32 v194, s[4:5], v237, v237, 1.0
	v_rcp_f32_e32 v195, v194
	v_div_scale_f32 v196, vcc, 1.0, v237, 1.0
	v_fma_f32 v197, -v194, v195, 1.0
	v_fmac_f32_e32 v195, v197, v195
	v_mul_f32_e32 v197, v196, v195
	v_fma_f32 v238, -v194, v197, v196
	v_fmac_f32_e32 v197, v238, v195
	v_fma_f32 v194, -v194, v197, v196
	v_div_fmas_f32 v194, v194, v195, v197
	v_div_fixup_f32 v194, v194, v237, 1.0
	ds_write_b32 v192, v194
.LBB125_240:
	s_or_b64 exec, exec, s[2:3]
	s_waitcnt lgkmcnt(0)
	s_barrier
	ds_read_b32 v237, v192
	v_cmp_lt_u32_e32 vcc, 43, v25
	s_and_saveexec_b64 s[2:3], vcc
	s_cbranch_execz .LBB125_242
; %bb.241:
	ds_read_b32 v194, v193 offset:176
	ds_read2_b32 v[238:239], v193 offset0:45 offset1:46
	ds_read2_b32 v[240:241], v193 offset0:47 offset1:48
	s_waitcnt vmcnt(24) lgkmcnt(3)
	v_mul_f32_e32 v140, v237, v140
	ds_read2_b32 v[242:243], v193 offset0:49 offset1:50
	s_waitcnt vmcnt(23) lgkmcnt(3)
	v_fma_f32 v141, -v140, v194, v141
	s_waitcnt vmcnt(21) lgkmcnt(2)
	v_pk_fma_f32 v[142:143], v[140:141], v[238:239], v[142:143] op_sel_hi:[0,1,1] neg_lo:[1,0,0] neg_hi:[1,0,0]
	ds_read2_b32 v[238:239], v193 offset0:51 offset1:52
	s_waitcnt vmcnt(19) lgkmcnt(2)
	v_pk_fma_f32 v[144:145], v[140:141], v[240:241], v[144:145] op_sel_hi:[0,1,1] neg_lo:[1,0,0] neg_hi:[1,0,0]
	s_waitcnt vmcnt(17) lgkmcnt(1)
	v_pk_fma_f32 v[166:167], v[140:141], v[242:243], v[166:167] op_sel_hi:[0,1,1] neg_lo:[1,0,0] neg_hi:[1,0,0]
	ds_read2_b32 v[240:241], v193 offset0:53 offset1:54
	ds_read2_b32 v[242:243], v193 offset0:55 offset1:56
	;; [unrolled: 1-line block ×3, first 2 shown]
	s_waitcnt vmcnt(15) lgkmcnt(3)
	v_pk_fma_f32 v[168:169], v[140:141], v[238:239], v[168:169] op_sel_hi:[0,1,1] neg_lo:[1,0,0] neg_hi:[1,0,0]
	ds_read2_b32 v[238:239], v193 offset0:59 offset1:60
	ds_read2_b32 v[246:247], v193 offset0:61 offset1:62
	s_waitcnt vmcnt(13) lgkmcnt(4)
	v_pk_fma_f32 v[170:171], v[140:141], v[240:241], v[170:171] op_sel_hi:[0,1,1] neg_lo:[1,0,0] neg_hi:[1,0,0]
	s_waitcnt vmcnt(11) lgkmcnt(3)
	v_pk_fma_f32 v[164:165], v[140:141], v[242:243], v[164:165] op_sel_hi:[0,1,1] neg_lo:[1,0,0] neg_hi:[1,0,0]
	s_waitcnt vmcnt(9) lgkmcnt(2)
	v_pk_fma_f32 v[186:187], v[140:141], v[244:245], v[186:187] op_sel_hi:[0,1,1] neg_lo:[1,0,0] neg_hi:[1,0,0]
	s_waitcnt vmcnt(7) lgkmcnt(1)
	v_pk_fma_f32 v[188:189], v[140:141], v[238:239], v[188:189] op_sel_hi:[0,1,1] neg_lo:[1,0,0] neg_hi:[1,0,0]
	s_waitcnt vmcnt(5) lgkmcnt(0)
	v_pk_fma_f32 v[190:191], v[140:141], v[246:247], v[190:191] op_sel_hi:[0,1,1] neg_lo:[1,0,0] neg_hi:[1,0,0]
.LBB125_242:
	s_or_b64 exec, exec, s[2:3]
	v_cmp_ne_u32_e32 vcc, 44, v25
	s_waitcnt lgkmcnt(0)
	s_barrier
	s_and_saveexec_b64 s[2:3], vcc
	s_xor_b64 s[2:3], exec, s[2:3]
	s_andn2_saveexec_b64 s[2:3], s[2:3]
	s_cbranch_execz .LBB125_246
; %bb.243:
	s_waitcnt vmcnt(23)
	ds_write_b32 v192, v141
	s_waitcnt vmcnt(21)
	ds_write2_b32 v193, v142, v143 offset0:45 offset1:46
	s_waitcnt vmcnt(19)
	ds_write2_b32 v193, v144, v145 offset0:47 offset1:48
	;; [unrolled: 2-line block ×9, first 2 shown]
	ds_read_b32 v238, v192
	s_waitcnt lgkmcnt(0)
	v_cmp_neq_f32_e32 vcc, 0, v238
	s_and_saveexec_b64 s[4:5], vcc
	s_cbranch_execz .LBB125_245
; %bb.244:
	v_div_scale_f32 v194, s[10:11], v238, v238, 1.0
	v_rcp_f32_e32 v195, v194
	v_div_scale_f32 v196, vcc, 1.0, v238, 1.0
	v_fma_f32 v197, -v194, v195, 1.0
	v_fmac_f32_e32 v195, v197, v195
	v_mul_f32_e32 v197, v196, v195
	v_fma_f32 v239, -v194, v197, v196
	v_fmac_f32_e32 v197, v239, v195
	v_fma_f32 v194, -v194, v197, v196
	v_div_fmas_f32 v194, v194, v195, v197
	v_div_fixup_f32 v194, v194, v238, 1.0
	ds_write_b32 v192, v194
.LBB125_245:
	s_or_b64 exec, exec, s[4:5]
.LBB125_246:
	s_or_b64 exec, exec, s[2:3]
	s_waitcnt lgkmcnt(0)
	s_barrier
	ds_read_b32 v238, v192
	v_cmp_lt_u32_e32 vcc, 44, v25
	s_and_saveexec_b64 s[2:3], vcc
	s_cbranch_execz .LBB125_248
; %bb.247:
	ds_read2_b32 v[240:241], v193 offset0:45 offset1:46
	ds_read2_b32 v[242:243], v193 offset0:47 offset1:48
	;; [unrolled: 1-line block ×4, first 2 shown]
	s_waitcnt vmcnt(23) lgkmcnt(4)
	v_mul_f32_e32 v248, v238, v141
	s_waitcnt vmcnt(21) lgkmcnt(3)
	v_pk_fma_f32 v[142:143], v[248:249], v[240:241], v[142:143] op_sel_hi:[0,1,1] neg_lo:[1,0,0] neg_hi:[1,0,0]
	s_waitcnt vmcnt(19) lgkmcnt(2)
	v_pk_fma_f32 v[144:145], v[248:249], v[242:243], v[144:145] op_sel_hi:[0,1,1] neg_lo:[1,0,0] neg_hi:[1,0,0]
	;; [unrolled: 2-line block ×4, first 2 shown]
	ds_read2_b32 v[240:241], v193 offset0:53 offset1:54
	ds_read2_b32 v[242:243], v193 offset0:55 offset1:56
	;; [unrolled: 1-line block ×5, first 2 shown]
	s_waitcnt vmcnt(13) lgkmcnt(4)
	v_pk_fma_f32 v[170:171], v[248:249], v[240:241], v[170:171] op_sel_hi:[0,1,1] neg_lo:[1,0,0] neg_hi:[1,0,0]
	s_waitcnt vmcnt(11) lgkmcnt(3)
	v_pk_fma_f32 v[164:165], v[248:249], v[242:243], v[164:165] op_sel_hi:[0,1,1] neg_lo:[1,0,0] neg_hi:[1,0,0]
	;; [unrolled: 2-line block ×5, first 2 shown]
	v_mov_b32_e32 v141, v248
.LBB125_248:
	s_or_b64 exec, exec, s[2:3]
	v_cmp_eq_u32_e32 vcc, 45, v25
	s_waitcnt lgkmcnt(0)
	s_barrier
	s_and_saveexec_b64 s[2:3], vcc
	s_cbranch_execz .LBB125_251
; %bb.249:
	s_waitcnt vmcnt(19)
	v_pk_mov_b32 v[240:241], v[142:143], v[144:145] op_sel:[1,0]
	ds_write_b32 v192, v142
	ds_write2_b32 v193, v240, v241 offset0:46 offset1:47
	s_waitcnt vmcnt(17)
	v_pk_mov_b32 v[240:241], v[144:145], v[166:167] op_sel:[1,0]
	ds_write2_b32 v193, v240, v241 offset0:48 offset1:49
	s_waitcnt vmcnt(15)
	v_pk_mov_b32 v[240:241], v[166:167], v[168:169] op_sel:[1,0]
	;; [unrolled: 3-line block ×7, first 2 shown]
	ds_write2_b32 v193, v240, v241 offset0:60 offset1:61
	ds_write_b32 v193, v191 offset:248
	ds_read_b32 v239, v192
	s_waitcnt lgkmcnt(0)
	v_cmp_neq_f32_e32 vcc, 0, v239
	s_and_b64 exec, exec, vcc
	s_cbranch_execz .LBB125_251
; %bb.250:
	v_div_scale_f32 v194, s[4:5], v239, v239, 1.0
	v_rcp_f32_e32 v195, v194
	v_div_scale_f32 v196, vcc, 1.0, v239, 1.0
	v_fma_f32 v197, -v194, v195, 1.0
	v_fmac_f32_e32 v195, v197, v195
	v_mul_f32_e32 v197, v196, v195
	v_fma_f32 v240, -v194, v197, v196
	v_fmac_f32_e32 v197, v240, v195
	v_fma_f32 v194, -v194, v197, v196
	v_div_fmas_f32 v194, v194, v195, v197
	v_div_fixup_f32 v194, v194, v239, 1.0
	ds_write_b32 v192, v194
.LBB125_251:
	s_or_b64 exec, exec, s[2:3]
	s_waitcnt lgkmcnt(0)
	s_barrier
	ds_read_b32 v239, v192
	v_cmp_lt_u32_e32 vcc, 45, v25
	s_and_saveexec_b64 s[2:3], vcc
	s_cbranch_execz .LBB125_253
; %bb.252:
	ds_read_b32 v194, v193 offset:184
	ds_read2_b32 v[240:241], v193 offset0:47 offset1:48
	ds_read2_b32 v[242:243], v193 offset0:49 offset1:50
	;; [unrolled: 1-line block ×3, first 2 shown]
	s_waitcnt vmcnt(22) lgkmcnt(4)
	v_mul_f32_e32 v142, v239, v142
	s_waitcnt vmcnt(21) lgkmcnt(3)
	v_fma_f32 v143, -v142, v194, v143
	s_waitcnt vmcnt(19) lgkmcnt(2)
	v_pk_fma_f32 v[144:145], v[142:143], v[240:241], v[144:145] op_sel_hi:[0,1,1] neg_lo:[1,0,0] neg_hi:[1,0,0]
	s_waitcnt vmcnt(17) lgkmcnt(1)
	v_pk_fma_f32 v[166:167], v[142:143], v[242:243], v[166:167] op_sel_hi:[0,1,1] neg_lo:[1,0,0] neg_hi:[1,0,0]
	;; [unrolled: 2-line block ×3, first 2 shown]
	ds_read2_b32 v[240:241], v193 offset0:53 offset1:54
	ds_read2_b32 v[242:243], v193 offset0:55 offset1:56
	;; [unrolled: 1-line block ×5, first 2 shown]
	s_waitcnt vmcnt(13) lgkmcnt(4)
	v_pk_fma_f32 v[170:171], v[142:143], v[240:241], v[170:171] op_sel_hi:[0,1,1] neg_lo:[1,0,0] neg_hi:[1,0,0]
	s_waitcnt vmcnt(11) lgkmcnt(3)
	v_pk_fma_f32 v[164:165], v[142:143], v[242:243], v[164:165] op_sel_hi:[0,1,1] neg_lo:[1,0,0] neg_hi:[1,0,0]
	s_waitcnt vmcnt(9) lgkmcnt(2)
	v_pk_fma_f32 v[186:187], v[142:143], v[244:245], v[186:187] op_sel_hi:[0,1,1] neg_lo:[1,0,0] neg_hi:[1,0,0]
	s_waitcnt vmcnt(7) lgkmcnt(1)
	v_pk_fma_f32 v[188:189], v[142:143], v[246:247], v[188:189] op_sel_hi:[0,1,1] neg_lo:[1,0,0] neg_hi:[1,0,0]
	s_waitcnt vmcnt(5) lgkmcnt(0)
	v_pk_fma_f32 v[190:191], v[142:143], v[248:249], v[190:191] op_sel_hi:[0,1,1] neg_lo:[1,0,0] neg_hi:[1,0,0]
.LBB125_253:
	s_or_b64 exec, exec, s[2:3]
	v_cmp_ne_u32_e32 vcc, 46, v25
	s_waitcnt lgkmcnt(0)
	s_barrier
	s_and_saveexec_b64 s[2:3], vcc
	s_xor_b64 s[2:3], exec, s[2:3]
	s_andn2_saveexec_b64 s[2:3], s[2:3]
	s_cbranch_execz .LBB125_257
; %bb.254:
	s_waitcnt vmcnt(21)
	ds_write_b32 v192, v143
	s_waitcnt vmcnt(19)
	ds_write2_b32 v193, v144, v145 offset0:47 offset1:48
	s_waitcnt vmcnt(17)
	ds_write2_b32 v193, v166, v167 offset0:49 offset1:50
	;; [unrolled: 2-line block ×8, first 2 shown]
	ds_read_b32 v240, v192
	s_waitcnt lgkmcnt(0)
	v_cmp_neq_f32_e32 vcc, 0, v240
	s_and_saveexec_b64 s[4:5], vcc
	s_cbranch_execz .LBB125_256
; %bb.255:
	v_div_scale_f32 v194, s[10:11], v240, v240, 1.0
	v_rcp_f32_e32 v195, v194
	v_div_scale_f32 v196, vcc, 1.0, v240, 1.0
	v_fma_f32 v197, -v194, v195, 1.0
	v_fmac_f32_e32 v195, v197, v195
	v_mul_f32_e32 v197, v196, v195
	v_fma_f32 v241, -v194, v197, v196
	v_fmac_f32_e32 v197, v241, v195
	v_fma_f32 v194, -v194, v197, v196
	v_div_fmas_f32 v194, v194, v195, v197
	v_div_fixup_f32 v194, v194, v240, 1.0
	ds_write_b32 v192, v194
.LBB125_256:
	s_or_b64 exec, exec, s[4:5]
.LBB125_257:
	s_or_b64 exec, exec, s[2:3]
	s_waitcnt lgkmcnt(0)
	s_barrier
	ds_read_b32 v240, v192
	v_cmp_lt_u32_e32 vcc, 46, v25
	s_and_saveexec_b64 s[2:3], vcc
	s_cbranch_execz .LBB125_259
; %bb.258:
	ds_read2_b32 v[242:243], v193 offset0:47 offset1:48
	ds_read2_b32 v[244:245], v193 offset0:49 offset1:50
	;; [unrolled: 1-line block ×3, first 2 shown]
	s_waitcnt vmcnt(21) lgkmcnt(3)
	v_mul_f32_e32 v248, v240, v143
	ds_read2_b32 v[250:251], v193 offset0:53 offset1:54
	s_waitcnt vmcnt(19) lgkmcnt(3)
	v_pk_fma_f32 v[144:145], v[248:249], v[242:243], v[144:145] op_sel_hi:[0,1,1] neg_lo:[1,0,0] neg_hi:[1,0,0]
	s_waitcnt vmcnt(17) lgkmcnt(2)
	v_pk_fma_f32 v[166:167], v[248:249], v[244:245], v[166:167] op_sel_hi:[0,1,1] neg_lo:[1,0,0] neg_hi:[1,0,0]
	;; [unrolled: 2-line block ×3, first 2 shown]
	ds_read2_b32 v[242:243], v193 offset0:55 offset1:56
	ds_read2_b32 v[244:245], v193 offset0:57 offset1:58
	;; [unrolled: 1-line block ×4, first 2 shown]
	s_waitcnt vmcnt(13) lgkmcnt(4)
	v_pk_fma_f32 v[170:171], v[248:249], v[250:251], v[170:171] op_sel_hi:[0,1,1] neg_lo:[1,0,0] neg_hi:[1,0,0]
	s_waitcnt vmcnt(11) lgkmcnt(3)
	v_pk_fma_f32 v[164:165], v[248:249], v[242:243], v[164:165] op_sel_hi:[0,1,1] neg_lo:[1,0,0] neg_hi:[1,0,0]
	;; [unrolled: 2-line block ×5, first 2 shown]
	v_mov_b32_e32 v143, v248
.LBB125_259:
	s_or_b64 exec, exec, s[2:3]
	v_cmp_eq_u32_e32 vcc, 47, v25
	s_waitcnt lgkmcnt(0)
	s_barrier
	s_and_saveexec_b64 s[2:3], vcc
	s_cbranch_execz .LBB125_262
; %bb.260:
	s_waitcnt vmcnt(17)
	v_pk_mov_b32 v[242:243], v[144:145], v[166:167] op_sel:[1,0]
	ds_write_b32 v192, v144
	ds_write2_b32 v193, v242, v243 offset0:48 offset1:49
	s_waitcnt vmcnt(15)
	v_pk_mov_b32 v[242:243], v[166:167], v[168:169] op_sel:[1,0]
	ds_write2_b32 v193, v242, v243 offset0:50 offset1:51
	s_waitcnt vmcnt(13)
	v_pk_mov_b32 v[242:243], v[168:169], v[170:171] op_sel:[1,0]
	;; [unrolled: 3-line block ×6, first 2 shown]
	ds_write2_b32 v193, v242, v243 offset0:60 offset1:61
	ds_write_b32 v193, v191 offset:248
	ds_read_b32 v241, v192
	s_waitcnt lgkmcnt(0)
	v_cmp_neq_f32_e32 vcc, 0, v241
	s_and_b64 exec, exec, vcc
	s_cbranch_execz .LBB125_262
; %bb.261:
	v_div_scale_f32 v194, s[4:5], v241, v241, 1.0
	v_rcp_f32_e32 v195, v194
	v_div_scale_f32 v196, vcc, 1.0, v241, 1.0
	v_fma_f32 v197, -v194, v195, 1.0
	v_fmac_f32_e32 v195, v197, v195
	v_mul_f32_e32 v197, v196, v195
	v_fma_f32 v242, -v194, v197, v196
	v_fmac_f32_e32 v197, v242, v195
	v_fma_f32 v194, -v194, v197, v196
	v_div_fmas_f32 v194, v194, v195, v197
	v_div_fixup_f32 v194, v194, v241, 1.0
	ds_write_b32 v192, v194
.LBB125_262:
	s_or_b64 exec, exec, s[2:3]
	s_waitcnt lgkmcnt(0)
	s_barrier
	ds_read_b32 v241, v192
	v_cmp_lt_u32_e32 vcc, 47, v25
	s_and_saveexec_b64 s[2:3], vcc
	s_cbranch_execz .LBB125_264
; %bb.263:
	ds_read_b32 v194, v193 offset:192
	ds_read2_b32 v[242:243], v193 offset0:49 offset1:50
	ds_read2_b32 v[244:245], v193 offset0:51 offset1:52
	s_waitcnt vmcnt(20) lgkmcnt(3)
	v_mul_f32_e32 v144, v241, v144
	ds_read2_b32 v[246:247], v193 offset0:53 offset1:54
	s_waitcnt vmcnt(19) lgkmcnt(3)
	v_fma_f32 v145, -v144, v194, v145
	s_waitcnt vmcnt(17) lgkmcnt(2)
	v_pk_fma_f32 v[166:167], v[144:145], v[242:243], v[166:167] op_sel_hi:[0,1,1] neg_lo:[1,0,0] neg_hi:[1,0,0]
	s_waitcnt vmcnt(15) lgkmcnt(1)
	v_pk_fma_f32 v[168:169], v[144:145], v[244:245], v[168:169] op_sel_hi:[0,1,1] neg_lo:[1,0,0] neg_hi:[1,0,0]
	ds_read2_b32 v[242:243], v193 offset0:55 offset1:56
	ds_read2_b32 v[244:245], v193 offset0:57 offset1:58
	;; [unrolled: 1-line block ×4, first 2 shown]
	s_waitcnt vmcnt(13) lgkmcnt(4)
	v_pk_fma_f32 v[170:171], v[144:145], v[246:247], v[170:171] op_sel_hi:[0,1,1] neg_lo:[1,0,0] neg_hi:[1,0,0]
	s_waitcnt vmcnt(11) lgkmcnt(3)
	v_pk_fma_f32 v[164:165], v[144:145], v[242:243], v[164:165] op_sel_hi:[0,1,1] neg_lo:[1,0,0] neg_hi:[1,0,0]
	s_waitcnt vmcnt(9) lgkmcnt(2)
	v_pk_fma_f32 v[186:187], v[144:145], v[244:245], v[186:187] op_sel_hi:[0,1,1] neg_lo:[1,0,0] neg_hi:[1,0,0]
	s_waitcnt vmcnt(7) lgkmcnt(1)
	v_pk_fma_f32 v[188:189], v[144:145], v[248:249], v[188:189] op_sel_hi:[0,1,1] neg_lo:[1,0,0] neg_hi:[1,0,0]
	s_waitcnt vmcnt(5) lgkmcnt(0)
	v_pk_fma_f32 v[190:191], v[144:145], v[250:251], v[190:191] op_sel_hi:[0,1,1] neg_lo:[1,0,0] neg_hi:[1,0,0]
.LBB125_264:
	s_or_b64 exec, exec, s[2:3]
	v_cmp_ne_u32_e32 vcc, 48, v25
	s_waitcnt lgkmcnt(0)
	s_barrier
	s_and_saveexec_b64 s[2:3], vcc
	s_xor_b64 s[2:3], exec, s[2:3]
	s_andn2_saveexec_b64 s[2:3], s[2:3]
	s_cbranch_execz .LBB125_268
; %bb.265:
	s_waitcnt vmcnt(19)
	ds_write_b32 v192, v145
	s_waitcnt vmcnt(17)
	ds_write2_b32 v193, v166, v167 offset0:49 offset1:50
	s_waitcnt vmcnt(15)
	ds_write2_b32 v193, v168, v169 offset0:51 offset1:52
	;; [unrolled: 2-line block ×7, first 2 shown]
	ds_read_b32 v242, v192
	s_waitcnt lgkmcnt(0)
	v_cmp_neq_f32_e32 vcc, 0, v242
	s_and_saveexec_b64 s[4:5], vcc
	s_cbranch_execz .LBB125_267
; %bb.266:
	v_div_scale_f32 v194, s[10:11], v242, v242, 1.0
	v_rcp_f32_e32 v195, v194
	v_div_scale_f32 v196, vcc, 1.0, v242, 1.0
	v_fma_f32 v197, -v194, v195, 1.0
	v_fmac_f32_e32 v195, v197, v195
	v_mul_f32_e32 v197, v196, v195
	v_fma_f32 v243, -v194, v197, v196
	v_fmac_f32_e32 v197, v243, v195
	v_fma_f32 v194, -v194, v197, v196
	v_div_fmas_f32 v194, v194, v195, v197
	v_div_fixup_f32 v194, v194, v242, 1.0
	ds_write_b32 v192, v194
.LBB125_267:
	s_or_b64 exec, exec, s[4:5]
.LBB125_268:
	s_or_b64 exec, exec, s[2:3]
	s_waitcnt lgkmcnt(0)
	s_barrier
	ds_read_b32 v242, v192
	v_cmp_lt_u32_e32 vcc, 48, v25
	s_and_saveexec_b64 s[2:3], vcc
	s_cbranch_execz .LBB125_270
; %bb.269:
	ds_read2_b32 v[244:245], v193 offset0:49 offset1:50
	ds_read2_b32 v[246:247], v193 offset0:51 offset1:52
	s_waitcnt vmcnt(19) lgkmcnt(2)
	v_mul_f32_e32 v248, v242, v145
	ds_read2_b32 v[250:251], v193 offset0:53 offset1:54
	ds_read2_b32 v[252:253], v193 offset0:55 offset1:56
	v_mov_b32_e32 v145, v248
	s_waitcnt vmcnt(17) lgkmcnt(3)
	v_pk_fma_f32 v[166:167], v[248:249], v[244:245], v[166:167] op_sel_hi:[0,1,1] neg_lo:[1,0,0] neg_hi:[1,0,0]
	s_waitcnt vmcnt(15) lgkmcnt(2)
	v_pk_fma_f32 v[168:169], v[248:249], v[246:247], v[168:169] op_sel_hi:[0,1,1] neg_lo:[1,0,0] neg_hi:[1,0,0]
	ds_read2_b32 v[244:245], v193 offset0:57 offset1:58
	ds_read2_b32 v[246:247], v193 offset0:59 offset1:60
	;; [unrolled: 1-line block ×3, first 2 shown]
	s_waitcnt vmcnt(13) lgkmcnt(4)
	v_pk_fma_f32 v[170:171], v[248:249], v[250:251], v[170:171] op_sel_hi:[0,1,1] neg_lo:[1,0,0] neg_hi:[1,0,0]
	s_waitcnt vmcnt(11) lgkmcnt(3)
	v_pk_fma_f32 v[164:165], v[248:249], v[252:253], v[164:165] op_sel_hi:[0,1,1] neg_lo:[1,0,0] neg_hi:[1,0,0]
	s_waitcnt vmcnt(9) lgkmcnt(2)
	v_pk_fma_f32 v[186:187], v[248:249], v[244:245], v[186:187] op_sel_hi:[0,1,1] neg_lo:[1,0,0] neg_hi:[1,0,0]
	s_waitcnt vmcnt(7) lgkmcnt(1)
	v_pk_fma_f32 v[188:189], v[248:249], v[246:247], v[188:189] op_sel_hi:[0,1,1] neg_lo:[1,0,0] neg_hi:[1,0,0]
	s_waitcnt vmcnt(5) lgkmcnt(0)
	v_pk_fma_f32 v[190:191], v[248:249], v[254:255], v[190:191] op_sel_hi:[0,1,1] neg_lo:[1,0,0] neg_hi:[1,0,0]
.LBB125_270:
	s_or_b64 exec, exec, s[2:3]
	v_cmp_eq_u32_e32 vcc, 49, v25
	s_waitcnt lgkmcnt(0)
	s_barrier
	s_and_saveexec_b64 s[2:3], vcc
	s_cbranch_execz .LBB125_273
; %bb.271:
	s_waitcnt vmcnt(15)
	v_pk_mov_b32 v[244:245], v[166:167], v[168:169] op_sel:[1,0]
	ds_write_b32 v192, v166
	ds_write2_b32 v193, v244, v245 offset0:50 offset1:51
	s_waitcnt vmcnt(13)
	v_pk_mov_b32 v[244:245], v[168:169], v[170:171] op_sel:[1,0]
	ds_write2_b32 v193, v244, v245 offset0:52 offset1:53
	s_waitcnt vmcnt(11)
	v_pk_mov_b32 v[244:245], v[170:171], v[164:165] op_sel:[1,0]
	;; [unrolled: 3-line block ×5, first 2 shown]
	ds_write2_b32 v193, v244, v245 offset0:60 offset1:61
	ds_write_b32 v193, v191 offset:248
	ds_read_b32 v243, v192
	s_waitcnt lgkmcnt(0)
	v_cmp_neq_f32_e32 vcc, 0, v243
	s_and_b64 exec, exec, vcc
	s_cbranch_execz .LBB125_273
; %bb.272:
	v_div_scale_f32 v194, s[4:5], v243, v243, 1.0
	v_rcp_f32_e32 v195, v194
	v_div_scale_f32 v196, vcc, 1.0, v243, 1.0
	v_fma_f32 v197, -v194, v195, 1.0
	v_fmac_f32_e32 v195, v197, v195
	v_mul_f32_e32 v197, v196, v195
	v_fma_f32 v244, -v194, v197, v196
	v_fmac_f32_e32 v197, v244, v195
	v_fma_f32 v194, -v194, v197, v196
	v_div_fmas_f32 v194, v194, v195, v197
	v_div_fixup_f32 v194, v194, v243, 1.0
	ds_write_b32 v192, v194
.LBB125_273:
	s_or_b64 exec, exec, s[2:3]
	s_waitcnt lgkmcnt(0)
	s_barrier
	ds_read_b32 v243, v192
	v_cmp_lt_u32_e32 vcc, 49, v25
	s_and_saveexec_b64 s[2:3], vcc
	s_cbranch_execz .LBB125_275
; %bb.274:
	ds_read_b32 v194, v193 offset:200
	ds_read2_b32 v[244:245], v193 offset0:51 offset1:52
	s_waitcnt vmcnt(18) lgkmcnt(2)
	v_mul_f32_e32 v166, v243, v166
	ds_read2_b32 v[246:247], v193 offset0:53 offset1:54
	ds_read2_b32 v[248:249], v193 offset0:55 offset1:56
	s_waitcnt vmcnt(17) lgkmcnt(3)
	v_fma_f32 v167, -v166, v194, v167
	s_waitcnt vmcnt(15) lgkmcnt(2)
	v_pk_fma_f32 v[168:169], v[166:167], v[244:245], v[168:169] op_sel_hi:[0,1,1] neg_lo:[1,0,0] neg_hi:[1,0,0]
	ds_read2_b32 v[244:245], v193 offset0:57 offset1:58
	ds_read2_b32 v[250:251], v193 offset0:59 offset1:60
	;; [unrolled: 1-line block ×3, first 2 shown]
	s_waitcnt vmcnt(13) lgkmcnt(4)
	v_pk_fma_f32 v[170:171], v[166:167], v[246:247], v[170:171] op_sel_hi:[0,1,1] neg_lo:[1,0,0] neg_hi:[1,0,0]
	s_waitcnt vmcnt(11) lgkmcnt(3)
	v_pk_fma_f32 v[164:165], v[166:167], v[248:249], v[164:165] op_sel_hi:[0,1,1] neg_lo:[1,0,0] neg_hi:[1,0,0]
	;; [unrolled: 2-line block ×5, first 2 shown]
.LBB125_275:
	s_or_b64 exec, exec, s[2:3]
	v_cmp_ne_u32_e32 vcc, 50, v25
	s_waitcnt lgkmcnt(0)
	s_barrier
	s_and_saveexec_b64 s[2:3], vcc
	s_xor_b64 s[2:3], exec, s[2:3]
	s_andn2_saveexec_b64 s[2:3], s[2:3]
	s_cbranch_execz .LBB125_279
; %bb.276:
	s_waitcnt vmcnt(17)
	ds_write_b32 v192, v167
	s_waitcnt vmcnt(15)
	ds_write2_b32 v193, v168, v169 offset0:51 offset1:52
	s_waitcnt vmcnt(13)
	ds_write2_b32 v193, v170, v171 offset0:53 offset1:54
	;; [unrolled: 2-line block ×6, first 2 shown]
	ds_read_b32 v244, v192
	s_waitcnt lgkmcnt(0)
	v_cmp_neq_f32_e32 vcc, 0, v244
	s_and_saveexec_b64 s[4:5], vcc
	s_cbranch_execz .LBB125_278
; %bb.277:
	v_div_scale_f32 v194, s[10:11], v244, v244, 1.0
	v_rcp_f32_e32 v195, v194
	v_div_scale_f32 v196, vcc, 1.0, v244, 1.0
	v_fma_f32 v197, -v194, v195, 1.0
	v_fmac_f32_e32 v195, v197, v195
	v_mul_f32_e32 v197, v196, v195
	v_fma_f32 v245, -v194, v197, v196
	v_fmac_f32_e32 v197, v245, v195
	v_fma_f32 v194, -v194, v197, v196
	v_div_fmas_f32 v194, v194, v195, v197
	v_div_fixup_f32 v194, v194, v244, 1.0
	ds_write_b32 v192, v194
.LBB125_278:
	s_or_b64 exec, exec, s[4:5]
.LBB125_279:
	s_or_b64 exec, exec, s[2:3]
	s_waitcnt lgkmcnt(0)
	s_barrier
	ds_read_b32 v244, v192
	v_cmp_lt_u32_e32 vcc, 50, v25
	s_and_saveexec_b64 s[2:3], vcc
	s_cbranch_execz .LBB125_281
; %bb.280:
	ds_read2_b32 v[246:247], v193 offset0:51 offset1:52
	s_waitcnt vmcnt(17) lgkmcnt(1)
	v_mul_f32_e32 v248, v244, v167
	ds_read2_b32 v[250:251], v193 offset0:53 offset1:54
	ds_read2_b32 v[252:253], v193 offset0:55 offset1:56
	;; [unrolled: 1-line block ×3, first 2 shown]
	v_mov_b32_e32 v167, v248
	s_waitcnt vmcnt(13) lgkmcnt(2)
	v_pk_fma_f32 v[170:171], v[248:249], v[250:251], v[170:171] op_sel_hi:[0,1,1] neg_lo:[1,0,0] neg_hi:[1,0,0]
	v_pk_fma_f32 v[168:169], v[248:249], v[246:247], v[168:169] op_sel_hi:[0,1,1] neg_lo:[1,0,0] neg_hi:[1,0,0]
	ds_read2_b32 v[246:247], v193 offset0:59 offset1:60
	ds_read2_b32 v[194:195], v193 offset0:61 offset1:62
	s_waitcnt vmcnt(11) lgkmcnt(3)
	v_pk_fma_f32 v[164:165], v[248:249], v[252:253], v[164:165] op_sel_hi:[0,1,1] neg_lo:[1,0,0] neg_hi:[1,0,0]
	s_waitcnt vmcnt(9) lgkmcnt(2)
	v_pk_fma_f32 v[186:187], v[248:249], v[254:255], v[186:187] op_sel_hi:[0,1,1] neg_lo:[1,0,0] neg_hi:[1,0,0]
	;; [unrolled: 2-line block ×4, first 2 shown]
.LBB125_281:
	s_or_b64 exec, exec, s[2:3]
	v_cmp_eq_u32_e32 vcc, 51, v25
	s_waitcnt lgkmcnt(0)
	s_barrier
	s_and_saveexec_b64 s[2:3], vcc
	s_cbranch_execz .LBB125_284
; %bb.282:
	s_waitcnt vmcnt(13)
	v_pk_mov_b32 v[194:195], v[168:169], v[170:171] op_sel:[1,0]
	ds_write_b32 v192, v168
	ds_write2_b32 v193, v194, v195 offset0:52 offset1:53
	s_waitcnt vmcnt(11)
	v_pk_mov_b32 v[194:195], v[170:171], v[164:165] op_sel:[1,0]
	ds_write2_b32 v193, v194, v195 offset0:54 offset1:55
	s_waitcnt vmcnt(9)
	v_pk_mov_b32 v[194:195], v[164:165], v[186:187] op_sel:[1,0]
	;; [unrolled: 3-line block ×4, first 2 shown]
	ds_write2_b32 v193, v194, v195 offset0:60 offset1:61
	ds_write_b32 v193, v191 offset:248
	ds_read_b32 v245, v192
	s_waitcnt lgkmcnt(0)
	v_cmp_neq_f32_e32 vcc, 0, v245
	s_and_b64 exec, exec, vcc
	s_cbranch_execz .LBB125_284
; %bb.283:
	v_div_scale_f32 v194, s[4:5], v245, v245, 1.0
	v_rcp_f32_e32 v195, v194
	v_div_scale_f32 v196, vcc, 1.0, v245, 1.0
	v_fma_f32 v197, -v194, v195, 1.0
	v_fmac_f32_e32 v195, v197, v195
	v_mul_f32_e32 v197, v196, v195
	v_fma_f32 v246, -v194, v197, v196
	v_fmac_f32_e32 v197, v246, v195
	v_fma_f32 v194, -v194, v197, v196
	v_div_fmas_f32 v194, v194, v195, v197
	v_div_fixup_f32 v194, v194, v245, 1.0
	ds_write_b32 v192, v194
.LBB125_284:
	s_or_b64 exec, exec, s[2:3]
	s_waitcnt lgkmcnt(0)
	s_barrier
	ds_read_b32 v245, v192
	v_cmp_lt_u32_e32 vcc, 51, v25
	s_and_saveexec_b64 s[2:3], vcc
	s_cbranch_execz .LBB125_286
; %bb.285:
	ds_read_b32 v196, v193 offset:208
	ds_read2_b32 v[194:195], v193 offset0:53 offset1:54
	ds_read2_b32 v[246:247], v193 offset0:55 offset1:56
	;; [unrolled: 1-line block ×5, first 2 shown]
	s_waitcnt vmcnt(16) lgkmcnt(6)
	v_mul_f32_e32 v168, v245, v168
	s_waitcnt vmcnt(15) lgkmcnt(5)
	v_fma_f32 v169, -v168, v196, v169
	s_waitcnt vmcnt(13) lgkmcnt(4)
	v_pk_fma_f32 v[170:171], v[168:169], v[194:195], v[170:171] op_sel_hi:[0,1,1] neg_lo:[1,0,0] neg_hi:[1,0,0]
	s_waitcnt vmcnt(11) lgkmcnt(3)
	v_pk_fma_f32 v[164:165], v[168:169], v[246:247], v[164:165] op_sel_hi:[0,1,1] neg_lo:[1,0,0] neg_hi:[1,0,0]
	s_waitcnt vmcnt(9) lgkmcnt(2)
	v_pk_fma_f32 v[186:187], v[168:169], v[248:249], v[186:187] op_sel_hi:[0,1,1] neg_lo:[1,0,0] neg_hi:[1,0,0]
	s_waitcnt vmcnt(7) lgkmcnt(1)
	v_pk_fma_f32 v[188:189], v[168:169], v[250:251], v[188:189] op_sel_hi:[0,1,1] neg_lo:[1,0,0] neg_hi:[1,0,0]
	s_waitcnt vmcnt(5) lgkmcnt(0)
	v_pk_fma_f32 v[190:191], v[168:169], v[252:253], v[190:191] op_sel_hi:[0,1,1] neg_lo:[1,0,0] neg_hi:[1,0,0]
.LBB125_286:
	s_or_b64 exec, exec, s[2:3]
	v_cmp_ne_u32_e32 vcc, 52, v25
	s_waitcnt lgkmcnt(0)
	s_barrier
	s_and_saveexec_b64 s[2:3], vcc
	s_xor_b64 s[2:3], exec, s[2:3]
	s_andn2_saveexec_b64 s[2:3], s[2:3]
	s_cbranch_execz .LBB125_290
; %bb.287:
	s_waitcnt vmcnt(15)
	ds_write_b32 v192, v169
	s_waitcnt vmcnt(13)
	ds_write2_b32 v193, v170, v171 offset0:53 offset1:54
	s_waitcnt vmcnt(11)
	ds_write2_b32 v193, v164, v165 offset0:55 offset1:56
	;; [unrolled: 2-line block ×5, first 2 shown]
	ds_read_b32 v246, v192
	s_waitcnt lgkmcnt(0)
	v_cmp_neq_f32_e32 vcc, 0, v246
	s_and_saveexec_b64 s[4:5], vcc
	s_cbranch_execz .LBB125_289
; %bb.288:
	v_div_scale_f32 v194, s[10:11], v246, v246, 1.0
	v_rcp_f32_e32 v195, v194
	v_div_scale_f32 v196, vcc, 1.0, v246, 1.0
	v_fma_f32 v197, -v194, v195, 1.0
	v_fmac_f32_e32 v195, v197, v195
	v_mul_f32_e32 v197, v196, v195
	v_fma_f32 v247, -v194, v197, v196
	v_fmac_f32_e32 v197, v247, v195
	v_fma_f32 v194, -v194, v197, v196
	v_div_fmas_f32 v194, v194, v195, v197
	v_div_fixup_f32 v194, v194, v246, 1.0
	ds_write_b32 v192, v194
.LBB125_289:
	s_or_b64 exec, exec, s[4:5]
.LBB125_290:
	s_or_b64 exec, exec, s[2:3]
	s_waitcnt lgkmcnt(0)
	s_barrier
	ds_read_b32 v246, v192
	v_cmp_lt_u32_e32 vcc, 52, v25
	s_and_saveexec_b64 s[2:3], vcc
	s_cbranch_execz .LBB125_292
; %bb.291:
	ds_read2_b32 v[248:249], v193 offset0:53 offset1:54
	s_waitcnt vmcnt(15) lgkmcnt(1)
	v_mul_f32_e32 v194, v246, v169
	v_mov_b32_e32 v169, v194
	s_waitcnt vmcnt(13) lgkmcnt(0)
	v_pk_fma_f32 v[170:171], v[194:195], v[248:249], v[170:171] op_sel_hi:[0,1,1] neg_lo:[1,0,0] neg_hi:[1,0,0]
	ds_read2_b32 v[248:249], v193 offset0:55 offset1:56
	s_waitcnt vmcnt(11) lgkmcnt(0)
	v_pk_fma_f32 v[164:165], v[194:195], v[248:249], v[164:165] op_sel_hi:[0,1,1] neg_lo:[1,0,0] neg_hi:[1,0,0]
	ds_read2_b32 v[248:249], v193 offset0:57 offset1:58
	;; [unrolled: 3-line block ×4, first 2 shown]
	s_waitcnt vmcnt(5) lgkmcnt(0)
	v_pk_fma_f32 v[190:191], v[194:195], v[248:249], v[190:191] op_sel_hi:[0,1,1] neg_lo:[1,0,0] neg_hi:[1,0,0]
.LBB125_292:
	s_or_b64 exec, exec, s[2:3]
	v_cmp_eq_u32_e32 vcc, 53, v25
	s_waitcnt lgkmcnt(0)
	s_barrier
	s_and_saveexec_b64 s[2:3], vcc
	s_cbranch_execz .LBB125_295
; %bb.293:
	s_waitcnt vmcnt(11)
	v_pk_mov_b32 v[194:195], v[170:171], v[164:165] op_sel:[1,0]
	ds_write_b32 v192, v170
	ds_write2_b32 v193, v194, v195 offset0:54 offset1:55
	s_waitcnt vmcnt(9)
	v_pk_mov_b32 v[194:195], v[164:165], v[186:187] op_sel:[1,0]
	ds_write2_b32 v193, v194, v195 offset0:56 offset1:57
	s_waitcnt vmcnt(7)
	v_pk_mov_b32 v[194:195], v[186:187], v[188:189] op_sel:[1,0]
	;; [unrolled: 3-line block ×3, first 2 shown]
	ds_write2_b32 v193, v194, v195 offset0:60 offset1:61
	ds_write_b32 v193, v191 offset:248
	ds_read_b32 v247, v192
	s_waitcnt lgkmcnt(0)
	v_cmp_neq_f32_e32 vcc, 0, v247
	s_and_b64 exec, exec, vcc
	s_cbranch_execz .LBB125_295
; %bb.294:
	v_div_scale_f32 v194, s[4:5], v247, v247, 1.0
	v_rcp_f32_e32 v195, v194
	v_div_scale_f32 v196, vcc, 1.0, v247, 1.0
	v_fma_f32 v197, -v194, v195, 1.0
	v_fmac_f32_e32 v195, v197, v195
	v_mul_f32_e32 v197, v196, v195
	v_fma_f32 v248, -v194, v197, v196
	v_fmac_f32_e32 v197, v248, v195
	v_fma_f32 v194, -v194, v197, v196
	v_div_fmas_f32 v194, v194, v195, v197
	v_div_fixup_f32 v194, v194, v247, 1.0
	ds_write_b32 v192, v194
.LBB125_295:
	s_or_b64 exec, exec, s[2:3]
	s_waitcnt lgkmcnt(0)
	s_barrier
	ds_read_b32 v247, v192
	v_cmp_lt_u32_e32 vcc, 53, v25
	s_and_saveexec_b64 s[2:3], vcc
	s_cbranch_execz .LBB125_297
; %bb.296:
	ds_read_b32 v194, v193 offset:216
	s_waitcnt vmcnt(14) lgkmcnt(1)
	v_mul_f32_e32 v170, v247, v170
	s_waitcnt vmcnt(13) lgkmcnt(0)
	v_fma_f32 v171, -v170, v194, v171
	ds_read2_b32 v[194:195], v193 offset0:55 offset1:56
	s_waitcnt vmcnt(11) lgkmcnt(0)
	v_pk_fma_f32 v[164:165], v[170:171], v[194:195], v[164:165] op_sel_hi:[0,1,1] neg_lo:[1,0,0] neg_hi:[1,0,0]
	ds_read2_b32 v[194:195], v193 offset0:57 offset1:58
	s_waitcnt vmcnt(9) lgkmcnt(0)
	v_pk_fma_f32 v[186:187], v[170:171], v[194:195], v[186:187] op_sel_hi:[0,1,1] neg_lo:[1,0,0] neg_hi:[1,0,0]
	;; [unrolled: 3-line block ×4, first 2 shown]
.LBB125_297:
	s_or_b64 exec, exec, s[2:3]
	v_cmp_ne_u32_e32 vcc, 54, v25
	s_waitcnt lgkmcnt(0)
	s_barrier
	s_and_saveexec_b64 s[2:3], vcc
	s_xor_b64 s[2:3], exec, s[2:3]
	s_andn2_saveexec_b64 s[2:3], s[2:3]
	s_cbranch_execz .LBB125_301
; %bb.298:
	s_waitcnt vmcnt(13)
	ds_write_b32 v192, v171
	s_waitcnt vmcnt(11)
	ds_write2_b32 v193, v164, v165 offset0:55 offset1:56
	s_waitcnt vmcnt(9)
	ds_write2_b32 v193, v186, v187 offset0:57 offset1:58
	;; [unrolled: 2-line block ×4, first 2 shown]
	ds_read_b32 v248, v192
	s_waitcnt lgkmcnt(0)
	v_cmp_neq_f32_e32 vcc, 0, v248
	s_and_saveexec_b64 s[4:5], vcc
	s_cbranch_execz .LBB125_300
; %bb.299:
	v_div_scale_f32 v194, s[10:11], v248, v248, 1.0
	v_rcp_f32_e32 v195, v194
	v_div_scale_f32 v196, vcc, 1.0, v248, 1.0
	v_fma_f32 v197, -v194, v195, 1.0
	v_fmac_f32_e32 v195, v197, v195
	v_mul_f32_e32 v197, v196, v195
	v_fma_f32 v249, -v194, v197, v196
	v_fmac_f32_e32 v197, v249, v195
	v_fma_f32 v194, -v194, v197, v196
	v_div_fmas_f32 v194, v194, v195, v197
	v_div_fixup_f32 v194, v194, v248, 1.0
	ds_write_b32 v192, v194
.LBB125_300:
	s_or_b64 exec, exec, s[4:5]
.LBB125_301:
	s_or_b64 exec, exec, s[2:3]
	s_waitcnt lgkmcnt(0)
	s_barrier
	ds_read_b32 v248, v192
	v_cmp_lt_u32_e32 vcc, 54, v25
	s_and_saveexec_b64 s[2:3], vcc
	s_cbranch_execz .LBB125_303
; %bb.302:
	ds_read2_b32 v[250:251], v193 offset0:55 offset1:56
	s_waitcnt vmcnt(13) lgkmcnt(1)
	v_mul_f32_e32 v194, v248, v171
	v_mov_b32_e32 v171, v194
	s_waitcnt vmcnt(11) lgkmcnt(0)
	v_pk_fma_f32 v[164:165], v[194:195], v[250:251], v[164:165] op_sel_hi:[0,1,1] neg_lo:[1,0,0] neg_hi:[1,0,0]
	ds_read2_b32 v[250:251], v193 offset0:57 offset1:58
	s_waitcnt vmcnt(9) lgkmcnt(0)
	v_pk_fma_f32 v[186:187], v[194:195], v[250:251], v[186:187] op_sel_hi:[0,1,1] neg_lo:[1,0,0] neg_hi:[1,0,0]
	ds_read2_b32 v[250:251], v193 offset0:59 offset1:60
	;; [unrolled: 3-line block ×3, first 2 shown]
	s_waitcnt vmcnt(5) lgkmcnt(0)
	v_pk_fma_f32 v[190:191], v[194:195], v[250:251], v[190:191] op_sel_hi:[0,1,1] neg_lo:[1,0,0] neg_hi:[1,0,0]
.LBB125_303:
	s_or_b64 exec, exec, s[2:3]
	v_cmp_eq_u32_e32 vcc, 55, v25
	s_waitcnt lgkmcnt(0)
	s_barrier
	s_and_saveexec_b64 s[2:3], vcc
	s_cbranch_execz .LBB125_306
; %bb.304:
	s_waitcnt vmcnt(9)
	v_pk_mov_b32 v[194:195], v[164:165], v[186:187] op_sel:[1,0]
	ds_write_b32 v192, v164
	ds_write2_b32 v193, v194, v195 offset0:56 offset1:57
	s_waitcnt vmcnt(7)
	v_pk_mov_b32 v[194:195], v[186:187], v[188:189] op_sel:[1,0]
	ds_write2_b32 v193, v194, v195 offset0:58 offset1:59
	s_waitcnt vmcnt(5)
	v_pk_mov_b32 v[194:195], v[188:189], v[190:191] op_sel:[1,0]
	ds_write2_b32 v193, v194, v195 offset0:60 offset1:61
	ds_write_b32 v193, v191 offset:248
	ds_read_b32 v249, v192
	s_waitcnt lgkmcnt(0)
	v_cmp_neq_f32_e32 vcc, 0, v249
	s_and_b64 exec, exec, vcc
	s_cbranch_execz .LBB125_306
; %bb.305:
	v_div_scale_f32 v194, s[4:5], v249, v249, 1.0
	v_rcp_f32_e32 v195, v194
	v_div_scale_f32 v196, vcc, 1.0, v249, 1.0
	v_fma_f32 v197, -v194, v195, 1.0
	v_fmac_f32_e32 v195, v197, v195
	v_mul_f32_e32 v197, v196, v195
	v_fma_f32 v250, -v194, v197, v196
	v_fmac_f32_e32 v197, v250, v195
	v_fma_f32 v194, -v194, v197, v196
	v_div_fmas_f32 v194, v194, v195, v197
	v_div_fixup_f32 v194, v194, v249, 1.0
	ds_write_b32 v192, v194
.LBB125_306:
	s_or_b64 exec, exec, s[2:3]
	s_waitcnt lgkmcnt(0)
	s_barrier
	ds_read_b32 v249, v192
	v_cmp_lt_u32_e32 vcc, 55, v25
	s_and_saveexec_b64 s[2:3], vcc
	s_cbranch_execz .LBB125_308
; %bb.307:
	ds_read_b32 v194, v193 offset:224
	s_waitcnt vmcnt(12) lgkmcnt(1)
	v_mul_f32_e32 v164, v249, v164
	s_waitcnt vmcnt(11) lgkmcnt(0)
	v_fma_f32 v165, -v164, v194, v165
	ds_read2_b32 v[194:195], v193 offset0:57 offset1:58
	s_waitcnt vmcnt(9) lgkmcnt(0)
	v_pk_fma_f32 v[186:187], v[164:165], v[194:195], v[186:187] op_sel_hi:[0,1,1] neg_lo:[1,0,0] neg_hi:[1,0,0]
	ds_read2_b32 v[194:195], v193 offset0:59 offset1:60
	s_waitcnt vmcnt(7) lgkmcnt(0)
	v_pk_fma_f32 v[188:189], v[164:165], v[194:195], v[188:189] op_sel_hi:[0,1,1] neg_lo:[1,0,0] neg_hi:[1,0,0]
	;; [unrolled: 3-line block ×3, first 2 shown]
.LBB125_308:
	s_or_b64 exec, exec, s[2:3]
	v_cmp_ne_u32_e32 vcc, 56, v25
	s_waitcnt lgkmcnt(0)
	s_barrier
	s_and_saveexec_b64 s[2:3], vcc
	s_xor_b64 s[2:3], exec, s[2:3]
	s_andn2_saveexec_b64 s[2:3], s[2:3]
	s_cbranch_execz .LBB125_312
; %bb.309:
	s_waitcnt vmcnt(11)
	ds_write_b32 v192, v165
	s_waitcnt vmcnt(9)
	ds_write2_b32 v193, v186, v187 offset0:57 offset1:58
	s_waitcnt vmcnt(7)
	ds_write2_b32 v193, v188, v189 offset0:59 offset1:60
	;; [unrolled: 2-line block ×3, first 2 shown]
	ds_read_b32 v250, v192
	s_waitcnt lgkmcnt(0)
	v_cmp_neq_f32_e32 vcc, 0, v250
	s_and_saveexec_b64 s[4:5], vcc
	s_cbranch_execz .LBB125_311
; %bb.310:
	v_div_scale_f32 v194, s[10:11], v250, v250, 1.0
	v_rcp_f32_e32 v195, v194
	v_div_scale_f32 v196, vcc, 1.0, v250, 1.0
	v_fma_f32 v197, -v194, v195, 1.0
	v_fmac_f32_e32 v195, v197, v195
	v_mul_f32_e32 v197, v196, v195
	v_fma_f32 v251, -v194, v197, v196
	v_fmac_f32_e32 v197, v251, v195
	v_fma_f32 v194, -v194, v197, v196
	v_div_fmas_f32 v194, v194, v195, v197
	v_div_fixup_f32 v194, v194, v250, 1.0
	ds_write_b32 v192, v194
.LBB125_311:
	s_or_b64 exec, exec, s[4:5]
.LBB125_312:
	s_or_b64 exec, exec, s[2:3]
	s_waitcnt lgkmcnt(0)
	s_barrier
	ds_read_b32 v250, v192
	v_cmp_lt_u32_e32 vcc, 56, v25
	s_and_saveexec_b64 s[2:3], vcc
	s_cbranch_execz .LBB125_314
; %bb.313:
	ds_read2_b32 v[252:253], v193 offset0:57 offset1:58
	s_waitcnt vmcnt(11) lgkmcnt(1)
	v_mul_f32_e32 v194, v250, v165
	v_mov_b32_e32 v165, v194
	s_waitcnt vmcnt(9) lgkmcnt(0)
	v_pk_fma_f32 v[186:187], v[194:195], v[252:253], v[186:187] op_sel_hi:[0,1,1] neg_lo:[1,0,0] neg_hi:[1,0,0]
	ds_read2_b32 v[252:253], v193 offset0:59 offset1:60
	s_waitcnt vmcnt(7) lgkmcnt(0)
	v_pk_fma_f32 v[188:189], v[194:195], v[252:253], v[188:189] op_sel_hi:[0,1,1] neg_lo:[1,0,0] neg_hi:[1,0,0]
	ds_read2_b32 v[252:253], v193 offset0:61 offset1:62
	s_waitcnt vmcnt(5) lgkmcnt(0)
	v_pk_fma_f32 v[190:191], v[194:195], v[252:253], v[190:191] op_sel_hi:[0,1,1] neg_lo:[1,0,0] neg_hi:[1,0,0]
.LBB125_314:
	s_or_b64 exec, exec, s[2:3]
	v_cmp_eq_u32_e32 vcc, 57, v25
	s_waitcnt lgkmcnt(0)
	s_barrier
	s_and_saveexec_b64 s[2:3], vcc
	s_cbranch_execz .LBB125_317
; %bb.315:
	s_waitcnt vmcnt(7)
	v_pk_mov_b32 v[194:195], v[186:187], v[188:189] op_sel:[1,0]
	ds_write_b32 v192, v186
	ds_write2_b32 v193, v194, v195 offset0:58 offset1:59
	s_waitcnt vmcnt(5)
	v_pk_mov_b32 v[194:195], v[188:189], v[190:191] op_sel:[1,0]
	ds_write2_b32 v193, v194, v195 offset0:60 offset1:61
	ds_write_b32 v193, v191 offset:248
	ds_read_b32 v251, v192
	s_waitcnt lgkmcnt(0)
	v_cmp_neq_f32_e32 vcc, 0, v251
	s_and_b64 exec, exec, vcc
	s_cbranch_execz .LBB125_317
; %bb.316:
	v_div_scale_f32 v194, s[4:5], v251, v251, 1.0
	v_rcp_f32_e32 v195, v194
	v_div_scale_f32 v196, vcc, 1.0, v251, 1.0
	v_fma_f32 v197, -v194, v195, 1.0
	v_fmac_f32_e32 v195, v197, v195
	v_mul_f32_e32 v197, v196, v195
	v_fma_f32 v252, -v194, v197, v196
	v_fmac_f32_e32 v197, v252, v195
	v_fma_f32 v194, -v194, v197, v196
	v_div_fmas_f32 v194, v194, v195, v197
	v_div_fixup_f32 v194, v194, v251, 1.0
	ds_write_b32 v192, v194
.LBB125_317:
	s_or_b64 exec, exec, s[2:3]
	s_waitcnt lgkmcnt(0)
	s_barrier
	ds_read_b32 v251, v192
	v_cmp_lt_u32_e32 vcc, 57, v25
	s_and_saveexec_b64 s[2:3], vcc
	s_cbranch_execz .LBB125_319
; %bb.318:
	ds_read_b32 v194, v193 offset:232
	s_waitcnt vmcnt(10) lgkmcnt(1)
	v_mul_f32_e32 v186, v251, v186
	s_waitcnt vmcnt(9) lgkmcnt(0)
	v_fma_f32 v187, -v186, v194, v187
	ds_read2_b32 v[194:195], v193 offset0:59 offset1:60
	s_waitcnt vmcnt(7) lgkmcnt(0)
	v_pk_fma_f32 v[188:189], v[186:187], v[194:195], v[188:189] op_sel_hi:[0,1,1] neg_lo:[1,0,0] neg_hi:[1,0,0]
	ds_read2_b32 v[194:195], v193 offset0:61 offset1:62
	s_waitcnt vmcnt(5) lgkmcnt(0)
	v_pk_fma_f32 v[190:191], v[186:187], v[194:195], v[190:191] op_sel_hi:[0,1,1] neg_lo:[1,0,0] neg_hi:[1,0,0]
.LBB125_319:
	s_or_b64 exec, exec, s[2:3]
	v_cmp_ne_u32_e32 vcc, 58, v25
	s_waitcnt lgkmcnt(0)
	s_barrier
	s_and_saveexec_b64 s[2:3], vcc
	s_xor_b64 s[2:3], exec, s[2:3]
	s_andn2_saveexec_b64 s[2:3], s[2:3]
	s_cbranch_execz .LBB125_323
; %bb.320:
	s_waitcnt vmcnt(9)
	ds_write_b32 v192, v187
	s_waitcnt vmcnt(7)
	ds_write2_b32 v193, v188, v189 offset0:59 offset1:60
	s_waitcnt vmcnt(5)
	ds_write2_b32 v193, v190, v191 offset0:61 offset1:62
	ds_read_b32 v252, v192
	s_waitcnt lgkmcnt(0)
	v_cmp_neq_f32_e32 vcc, 0, v252
	s_and_saveexec_b64 s[4:5], vcc
	s_cbranch_execz .LBB125_322
; %bb.321:
	v_div_scale_f32 v194, s[10:11], v252, v252, 1.0
	v_rcp_f32_e32 v195, v194
	v_div_scale_f32 v196, vcc, 1.0, v252, 1.0
	v_fma_f32 v197, -v194, v195, 1.0
	v_fmac_f32_e32 v195, v197, v195
	v_mul_f32_e32 v197, v196, v195
	v_fma_f32 v253, -v194, v197, v196
	v_fmac_f32_e32 v197, v253, v195
	v_fma_f32 v194, -v194, v197, v196
	v_div_fmas_f32 v194, v194, v195, v197
	v_div_fixup_f32 v194, v194, v252, 1.0
	ds_write_b32 v192, v194
.LBB125_322:
	s_or_b64 exec, exec, s[4:5]
.LBB125_323:
	s_or_b64 exec, exec, s[2:3]
	s_waitcnt lgkmcnt(0)
	s_barrier
	ds_read_b32 v252, v192
	v_cmp_lt_u32_e32 vcc, 58, v25
	s_and_saveexec_b64 s[2:3], vcc
	s_cbranch_execz .LBB125_325
; %bb.324:
	ds_read2_b32 v[254:255], v193 offset0:59 offset1:60
	s_waitcnt vmcnt(9) lgkmcnt(1)
	v_mul_f32_e32 v194, v252, v187
	v_mov_b32_e32 v187, v194
	s_waitcnt vmcnt(7) lgkmcnt(0)
	v_pk_fma_f32 v[188:189], v[194:195], v[254:255], v[188:189] op_sel_hi:[0,1,1] neg_lo:[1,0,0] neg_hi:[1,0,0]
	ds_read2_b32 v[254:255], v193 offset0:61 offset1:62
	s_waitcnt vmcnt(5) lgkmcnt(0)
	v_pk_fma_f32 v[190:191], v[194:195], v[254:255], v[190:191] op_sel_hi:[0,1,1] neg_lo:[1,0,0] neg_hi:[1,0,0]
.LBB125_325:
	s_or_b64 exec, exec, s[2:3]
	v_cmp_eq_u32_e32 vcc, 59, v25
	s_waitcnt lgkmcnt(0)
	s_barrier
	s_and_saveexec_b64 s[2:3], vcc
	s_cbranch_execz .LBB125_328
; %bb.326:
	s_waitcnt vmcnt(5)
	v_pk_mov_b32 v[194:195], v[188:189], v[190:191] op_sel:[1,0]
	ds_write_b32 v192, v188
	ds_write2_b32 v193, v194, v195 offset0:60 offset1:61
	ds_write_b32 v193, v191 offset:248
	ds_read_b32 v253, v192
	s_waitcnt lgkmcnt(0)
	v_cmp_neq_f32_e32 vcc, 0, v253
	s_and_b64 exec, exec, vcc
	s_cbranch_execz .LBB125_328
; %bb.327:
	v_div_scale_f32 v194, s[4:5], v253, v253, 1.0
	v_rcp_f32_e32 v195, v194
	v_div_scale_f32 v196, vcc, 1.0, v253, 1.0
	v_fma_f32 v197, -v194, v195, 1.0
	v_fmac_f32_e32 v195, v197, v195
	v_mul_f32_e32 v197, v196, v195
	v_fma_f32 v254, -v194, v197, v196
	v_fmac_f32_e32 v197, v254, v195
	v_fma_f32 v194, -v194, v197, v196
	v_div_fmas_f32 v194, v194, v195, v197
	v_div_fixup_f32 v194, v194, v253, 1.0
	ds_write_b32 v192, v194
.LBB125_328:
	s_or_b64 exec, exec, s[2:3]
	s_waitcnt lgkmcnt(0)
	s_barrier
	ds_read_b32 v253, v192
	v_cmp_lt_u32_e32 vcc, 59, v25
	s_and_saveexec_b64 s[2:3], vcc
	s_cbranch_execz .LBB125_330
; %bb.329:
	ds_read_b32 v194, v193 offset:240
	s_waitcnt vmcnt(8) lgkmcnt(1)
	v_mul_f32_e32 v188, v253, v188
	s_waitcnt vmcnt(7) lgkmcnt(0)
	v_fma_f32 v189, -v188, v194, v189
	ds_read2_b32 v[194:195], v193 offset0:61 offset1:62
	s_waitcnt vmcnt(5) lgkmcnt(0)
	v_pk_fma_f32 v[190:191], v[188:189], v[194:195], v[190:191] op_sel_hi:[0,1,1] neg_lo:[1,0,0] neg_hi:[1,0,0]
.LBB125_330:
	s_or_b64 exec, exec, s[2:3]
	v_cmp_ne_u32_e32 vcc, 60, v25
	s_waitcnt lgkmcnt(0)
	s_barrier
	s_and_saveexec_b64 s[2:3], vcc
	s_xor_b64 s[2:3], exec, s[2:3]
	s_andn2_saveexec_b64 s[2:3], s[2:3]
	s_cbranch_execz .LBB125_334
; %bb.331:
	s_waitcnt vmcnt(7)
	ds_write_b32 v192, v189
	s_waitcnt vmcnt(5)
	ds_write2_b32 v193, v190, v191 offset0:61 offset1:62
	ds_read_b32 v254, v192
	s_waitcnt lgkmcnt(0)
	v_cmp_neq_f32_e32 vcc, 0, v254
	s_and_saveexec_b64 s[4:5], vcc
	s_cbranch_execz .LBB125_333
; %bb.332:
	v_div_scale_f32 v194, s[10:11], v254, v254, 1.0
	v_rcp_f32_e32 v195, v194
	v_div_scale_f32 v196, vcc, 1.0, v254, 1.0
	v_fma_f32 v197, -v194, v195, 1.0
	v_fmac_f32_e32 v195, v197, v195
	v_mul_f32_e32 v197, v196, v195
	v_fma_f32 v255, -v194, v197, v196
	v_fmac_f32_e32 v197, v255, v195
	v_fma_f32 v194, -v194, v197, v196
	v_div_fmas_f32 v194, v194, v195, v197
	v_div_fixup_f32 v194, v194, v254, 1.0
	ds_write_b32 v192, v194
.LBB125_333:
	s_or_b64 exec, exec, s[4:5]
.LBB125_334:
	s_or_b64 exec, exec, s[2:3]
	s_waitcnt lgkmcnt(0)
	s_barrier
	ds_read_b32 v254, v192
	v_cmp_lt_u32_e32 vcc, 60, v25
	s_and_saveexec_b64 s[2:3], vcc
	s_cbranch_execz .LBB125_336
; %bb.335:
	ds_read2_b32 v[196:197], v193 offset0:61 offset1:62
	s_waitcnt vmcnt(7) lgkmcnt(1)
	v_mul_f32_e32 v194, v254, v189
	v_mov_b32_e32 v189, v194
	s_waitcnt vmcnt(5) lgkmcnt(0)
	v_pk_fma_f32 v[190:191], v[194:195], v[196:197], v[190:191] op_sel_hi:[0,1,1] neg_lo:[1,0,0] neg_hi:[1,0,0]
.LBB125_336:
	s_or_b64 exec, exec, s[2:3]
	v_cmp_eq_u32_e32 vcc, 61, v25
	s_waitcnt lgkmcnt(0)
	s_barrier
	s_and_saveexec_b64 s[2:3], vcc
	s_cbranch_execz .LBB125_339
; %bb.337:
	s_waitcnt vmcnt(6)
	ds_write_b32 v192, v190
	s_waitcnt vmcnt(5)
	ds_write_b32 v193, v191 offset:248
	ds_read_b32 v255, v192
	s_waitcnt lgkmcnt(0)
	v_cmp_neq_f32_e32 vcc, 0, v255
	s_and_b64 exec, exec, vcc
	s_cbranch_execz .LBB125_339
; %bb.338:
	v_div_scale_f32 v194, s[4:5], v255, v255, 1.0
	v_rcp_f32_e32 v195, v194
	v_div_scale_f32 v196, vcc, 1.0, v255, 1.0
	v_mov_b32_e32 v204, v203
	v_fma_f32 v197, -v194, v195, 1.0
	v_fmac_f32_e32 v195, v197, v195
	v_mul_f32_e32 v197, v196, v195
	v_mov_b32_e32 v203, v202
	v_mov_b32_e32 v202, v201
	;; [unrolled: 1-line block ×5, first 2 shown]
	v_fma_f32 v198, -v194, v197, v196
	v_fmac_f32_e32 v197, v198, v195
	v_fma_f32 v194, -v194, v197, v196
	v_mov_b32_e32 v208, v205
	v_mov_b32_e32 v205, v206
	;; [unrolled: 1-line block ×3, first 2 shown]
	v_mov_b64_e32 v[206:207], v[184:185]
	v_mov_b64_e32 v[184:185], v[182:183]
	;; [unrolled: 1-line block ×59, first 2 shown]
	v_div_fmas_f32 v194, v194, v195, v197
	v_mov_b32_e32 v198, v199
	v_mov_b32_e32 v199, v200
	;; [unrolled: 1-line block ×6, first 2 shown]
	v_mov_b64_e32 v[8:9], v[10:11]
	v_mov_b64_e32 v[10:11], v[12:13]
	;; [unrolled: 1-line block ×59, first 2 shown]
	v_mov_b32_e32 v207, v209
	v_mov_b32_e32 v206, v205
	;; [unrolled: 1-line block ×3, first 2 shown]
	v_div_fixup_f32 v194, v194, v255, 1.0
	ds_write_b32 v192, v194
.LBB125_339:
	s_or_b64 exec, exec, s[2:3]
	s_waitcnt lgkmcnt(0)
	s_barrier
	ds_read_b32 v255, v192
	v_cmp_lt_u32_e32 vcc, 61, v25
	s_and_saveexec_b64 s[2:3], vcc
	s_cbranch_execz .LBB125_341
; %bb.340:
	ds_read_b32 v193, v193 offset:248
	s_waitcnt vmcnt(6) lgkmcnt(1)
	v_mul_f32_e32 v190, v255, v190
	s_waitcnt vmcnt(5) lgkmcnt(0)
	v_fma_f32 v191, -v190, v193, v191
.LBB125_341:
	s_or_b64 exec, exec, s[2:3]
	v_cmp_ne_u32_e32 vcc, 62, v25
	s_waitcnt lgkmcnt(0)
	s_barrier
	s_and_saveexec_b64 s[2:3], vcc
	s_xor_b64 s[2:3], exec, s[2:3]
	s_andn2_saveexec_b64 s[2:3], s[2:3]
	s_cbranch_execz .LBB125_345
; %bb.342:
	s_waitcnt vmcnt(5)
	v_cmp_neq_f32_e32 vcc, 0, v191
	ds_write_b32 v192, v191
	s_and_saveexec_b64 s[4:5], vcc
	s_cbranch_execz .LBB125_344
; %bb.343:
	v_div_scale_f32 v193, s[10:11], v191, v191, 1.0
	v_rcp_f32_e32 v194, v193
	v_div_scale_f32 v195, vcc, 1.0, v191, 1.0
	v_fma_f32 v196, -v193, v194, 1.0
	v_fmac_f32_e32 v194, v196, v194
	v_mul_f32_e32 v196, v195, v194
	v_fma_f32 v197, -v193, v196, v195
	v_fmac_f32_e32 v196, v197, v194
	v_fma_f32 v193, -v193, v196, v195
	v_div_fmas_f32 v193, v193, v194, v196
	v_div_fixup_f32 v193, v193, v191, 1.0
	ds_write_b32 v192, v193
.LBB125_344:
	s_or_b64 exec, exec, s[4:5]
.LBB125_345:
	s_or_b64 exec, exec, s[2:3]
	s_waitcnt lgkmcnt(0)
	s_barrier
	ds_read_b32 v192, v192
	s_waitcnt lgkmcnt(0)
	s_barrier
	s_and_saveexec_b64 s[2:3], s[0:1]
	s_cbranch_execz .LBB125_348
; %bb.346:
	scratch_load_dword v193, off, off       ; 4-byte Folded Reload
	scratch_load_dword v194, off, off offset:4 ; 4-byte Folded Reload
	v_mov_b32_e32 v195, s7
	s_waitcnt vmcnt(1)
	v_cmp_eq_f32_e32 vcc, 0, v193
	s_waitcnt vmcnt(0)
	v_cmp_neq_f32_e64 s[0:1], 0, v194
	scratch_load_dword v194, off, off offset:8 ; 4-byte Folded Reload
	v_cndmask_b32_e64 v193, 0, 1, vcc
	s_or_b64 vcc, s[0:1], vcc
	v_cndmask_b32_e32 v193, 2, v193, vcc
	v_cmp_eq_u32_e64 s[0:1], 0, v193
	s_waitcnt vmcnt(0)
	v_cmp_eq_f32_e32 vcc, 0, v194
	scratch_load_dword v194, off, off offset:12 ; 4-byte Folded Reload
	s_and_b64 s[0:1], vcc, s[0:1]
	v_cndmask_b32_e64 v193, v193, 3, s[0:1]
	v_cmp_eq_u32_e64 s[0:1], 0, v193
	s_waitcnt vmcnt(0)
	v_cmp_eq_f32_e32 vcc, 0, v194
	scratch_load_dword v194, off, off offset:16 ; 4-byte Folded Reload
	s_and_b64 s[0:1], vcc, s[0:1]
	v_cndmask_b32_e64 v193, v193, 4, s[0:1]
	v_cmp_eq_f32_e32 vcc, 0, v198
	v_cmp_eq_u32_e64 s[0:1], 0, v193
	s_and_b64 s[0:1], vcc, s[0:1]
	v_cmp_eq_f32_e32 vcc, 0, v199
	v_cndmask_b32_e64 v193, v193, 5, s[0:1]
	v_cmp_eq_u32_e64 s[0:1], 0, v193
	s_and_b64 s[0:1], vcc, s[0:1]
	v_cmp_eq_f32_e32 vcc, 0, v200
	v_cndmask_b32_e64 v193, v193, 6, s[0:1]
	v_cmp_eq_u32_e64 s[0:1], 0, v193
	s_and_b64 s[0:1], vcc, s[0:1]
	v_cmp_eq_f32_e32 vcc, 0, v201
	v_cndmask_b32_e64 v193, v193, 7, s[0:1]
	v_cmp_eq_u32_e64 s[0:1], 0, v193
	s_and_b64 s[0:1], vcc, s[0:1]
	v_cmp_eq_f32_e32 vcc, 0, v202
	v_cndmask_b32_e64 v193, v193, 8, s[0:1]
	v_cmp_eq_u32_e64 s[0:1], 0, v193
	s_and_b64 s[0:1], vcc, s[0:1]
	v_cmp_eq_f32_e32 vcc, 0, v203
	v_cndmask_b32_e64 v193, v193, 9, s[0:1]
	v_cmp_eq_u32_e64 s[0:1], 0, v193
	s_and_b64 s[0:1], vcc, s[0:1]
	v_cmp_eq_f32_e32 vcc, 0, v2
	v_cndmask_b32_e64 v193, v193, 10, s[0:1]
	v_cmp_eq_u32_e64 s[0:1], 0, v193
	s_and_b64 s[0:1], vcc, s[0:1]
	s_waitcnt vmcnt(0)
	v_cmp_eq_f32_e32 vcc, 0, v194
	v_cndmask_b32_e64 v193, v193, 11, s[0:1]
	v_cmp_eq_u32_e64 s[0:1], 0, v193
	s_and_b64 s[0:1], vcc, s[0:1]
	v_cmp_eq_f32_e32 vcc, 0, v205
	v_cndmask_b32_e64 v193, v193, 12, s[0:1]
	v_cmp_eq_u32_e64 s[0:1], 0, v193
	s_and_b64 s[0:1], vcc, s[0:1]
	;; [unrolled: 4-line block ×25, first 2 shown]
	v_mov_b32_e32 v194, s6
	v_cndmask_b32_e64 v193, v193, 36, s[0:1]
	v_cmp_eq_f32_e32 vcc, 0, v230
	v_cmp_eq_u32_e64 s[0:1], 0, v193
	v_lshl_add_u64 v[34:35], v[34:35], 2, v[194:195]
	s_and_b64 s[0:1], vcc, s[0:1]
	global_load_dword v194, v[34:35], off
	v_cndmask_b32_e64 v193, v193, 37, s[0:1]
	v_cmp_eq_f32_e32 vcc, 0, v231
	v_cmp_eq_u32_e64 s[0:1], 0, v193
	s_and_b64 s[0:1], vcc, s[0:1]
	v_cmp_eq_f32_e32 vcc, 0, v232
	v_cndmask_b32_e64 v193, v193, 38, s[0:1]
	v_cmp_eq_u32_e64 s[0:1], 0, v193
	s_and_b64 s[0:1], vcc, s[0:1]
	v_cmp_eq_f32_e32 vcc, 0, v233
	v_cndmask_b32_e64 v193, v193, 39, s[0:1]
	;; [unrolled: 4-line block ×25, first 2 shown]
	v_cmp_eq_u32_e64 s[0:1], 0, v193
	s_and_b64 s[0:1], vcc, s[0:1]
	s_waitcnt vmcnt(0)
	v_cmp_eq_u32_e32 vcc, 0, v194
	v_cndmask_b32_e64 v193, v193, 63, s[0:1]
	v_cmp_ne_u32_e64 s[0:1], 0, v193
	s_and_b64 s[0:1], vcc, s[0:1]
	s_and_b64 exec, exec, s[0:1]
	s_cbranch_execz .LBB125_348
; %bb.347:
	v_add_u32_e32 v193, s9, v193
	global_store_dword v[34:35], v193, off
.LBB125_348:
	s_or_b64 exec, exec, s[2:3]
	global_store_dword v[0:1], v24, off
	scratch_load_dwordx2 v[0:1], off, off offset:20 ; 8-byte Folded Reload
	s_waitcnt vmcnt(7)
	v_mul_f32_e32 v34, v192, v191
	v_cmp_lt_u32_e32 vcc, 62, v25
	s_nop 1
	v_cndmask_b32_e32 v25, v191, v34, vcc
	s_waitcnt vmcnt(0)
	global_store_dword v[0:1], v18, off
	global_store_dword v[4:5], v19, off
	;; [unrolled: 1-line block ×62, first 2 shown]
.LBB125_349:
	s_endpgm
	.section	.rodata,"a",@progbits
	.p2align	6, 0x0
	.amdhsa_kernel _ZN9rocsolver6v33100L23getf2_npvt_small_kernelILi63EfiiPfEEvT1_T3_lS3_lPT2_S3_S3_
		.amdhsa_group_segment_fixed_size 0
		.amdhsa_private_segment_fixed_size 32
		.amdhsa_kernarg_size 312
		.amdhsa_user_sgpr_count 2
		.amdhsa_user_sgpr_dispatch_ptr 0
		.amdhsa_user_sgpr_queue_ptr 0
		.amdhsa_user_sgpr_kernarg_segment_ptr 1
		.amdhsa_user_sgpr_dispatch_id 0
		.amdhsa_user_sgpr_kernarg_preload_length 0
		.amdhsa_user_sgpr_kernarg_preload_offset 0
		.amdhsa_user_sgpr_private_segment_size 0
		.amdhsa_uses_dynamic_stack 0
		.amdhsa_enable_private_segment 1
		.amdhsa_system_sgpr_workgroup_id_x 1
		.amdhsa_system_sgpr_workgroup_id_y 1
		.amdhsa_system_sgpr_workgroup_id_z 0
		.amdhsa_system_sgpr_workgroup_info 0
		.amdhsa_system_vgpr_workitem_id 1
		.amdhsa_next_free_vgpr 256
		.amdhsa_next_free_sgpr 16
		.amdhsa_accum_offset 256
		.amdhsa_reserve_vcc 1
		.amdhsa_float_round_mode_32 0
		.amdhsa_float_round_mode_16_64 0
		.amdhsa_float_denorm_mode_32 3
		.amdhsa_float_denorm_mode_16_64 3
		.amdhsa_dx10_clamp 1
		.amdhsa_ieee_mode 1
		.amdhsa_fp16_overflow 0
		.amdhsa_tg_split 0
		.amdhsa_exception_fp_ieee_invalid_op 0
		.amdhsa_exception_fp_denorm_src 0
		.amdhsa_exception_fp_ieee_div_zero 0
		.amdhsa_exception_fp_ieee_overflow 0
		.amdhsa_exception_fp_ieee_underflow 0
		.amdhsa_exception_fp_ieee_inexact 0
		.amdhsa_exception_int_div_zero 0
	.end_amdhsa_kernel
	.section	.text._ZN9rocsolver6v33100L23getf2_npvt_small_kernelILi63EfiiPfEEvT1_T3_lS3_lPT2_S3_S3_,"axG",@progbits,_ZN9rocsolver6v33100L23getf2_npvt_small_kernelILi63EfiiPfEEvT1_T3_lS3_lPT2_S3_S3_,comdat
.Lfunc_end125:
	.size	_ZN9rocsolver6v33100L23getf2_npvt_small_kernelILi63EfiiPfEEvT1_T3_lS3_lPT2_S3_S3_, .Lfunc_end125-_ZN9rocsolver6v33100L23getf2_npvt_small_kernelILi63EfiiPfEEvT1_T3_lS3_lPT2_S3_S3_
                                        ; -- End function
	.set _ZN9rocsolver6v33100L23getf2_npvt_small_kernelILi63EfiiPfEEvT1_T3_lS3_lPT2_S3_S3_.num_vgpr, 256
	.set _ZN9rocsolver6v33100L23getf2_npvt_small_kernelILi63EfiiPfEEvT1_T3_lS3_lPT2_S3_S3_.num_agpr, 0
	.set _ZN9rocsolver6v33100L23getf2_npvt_small_kernelILi63EfiiPfEEvT1_T3_lS3_lPT2_S3_S3_.numbered_sgpr, 16
	.set _ZN9rocsolver6v33100L23getf2_npvt_small_kernelILi63EfiiPfEEvT1_T3_lS3_lPT2_S3_S3_.num_named_barrier, 0
	.set _ZN9rocsolver6v33100L23getf2_npvt_small_kernelILi63EfiiPfEEvT1_T3_lS3_lPT2_S3_S3_.private_seg_size, 32
	.set _ZN9rocsolver6v33100L23getf2_npvt_small_kernelILi63EfiiPfEEvT1_T3_lS3_lPT2_S3_S3_.uses_vcc, 1
	.set _ZN9rocsolver6v33100L23getf2_npvt_small_kernelILi63EfiiPfEEvT1_T3_lS3_lPT2_S3_S3_.uses_flat_scratch, 0
	.set _ZN9rocsolver6v33100L23getf2_npvt_small_kernelILi63EfiiPfEEvT1_T3_lS3_lPT2_S3_S3_.has_dyn_sized_stack, 0
	.set _ZN9rocsolver6v33100L23getf2_npvt_small_kernelILi63EfiiPfEEvT1_T3_lS3_lPT2_S3_S3_.has_recursion, 0
	.set _ZN9rocsolver6v33100L23getf2_npvt_small_kernelILi63EfiiPfEEvT1_T3_lS3_lPT2_S3_S3_.has_indirect_call, 0
	.section	.AMDGPU.csdata,"",@progbits
; Kernel info:
; codeLenInByte = 51540
; TotalNumSgprs: 22
; NumVgprs: 256
; NumAgprs: 0
; TotalNumVgprs: 256
; ScratchSize: 32
; MemoryBound: 0
; FloatMode: 240
; IeeeMode: 1
; LDSByteSize: 0 bytes/workgroup (compile time only)
; SGPRBlocks: 2
; VGPRBlocks: 31
; NumSGPRsForWavesPerEU: 22
; NumVGPRsForWavesPerEU: 256
; AccumOffset: 256
; Occupancy: 2
; WaveLimiterHint : 0
; COMPUTE_PGM_RSRC2:SCRATCH_EN: 1
; COMPUTE_PGM_RSRC2:USER_SGPR: 2
; COMPUTE_PGM_RSRC2:TRAP_HANDLER: 0
; COMPUTE_PGM_RSRC2:TGID_X_EN: 1
; COMPUTE_PGM_RSRC2:TGID_Y_EN: 1
; COMPUTE_PGM_RSRC2:TGID_Z_EN: 0
; COMPUTE_PGM_RSRC2:TIDIG_COMP_CNT: 1
; COMPUTE_PGM_RSRC3_GFX90A:ACCUM_OFFSET: 63
; COMPUTE_PGM_RSRC3_GFX90A:TG_SPLIT: 0
	.section	.text._ZN9rocsolver6v33100L18getf2_small_kernelILi64EfiiPfEEvT1_T3_lS3_lPS3_llPT2_S3_S3_S5_l,"axG",@progbits,_ZN9rocsolver6v33100L18getf2_small_kernelILi64EfiiPfEEvT1_T3_lS3_lPS3_llPT2_S3_S3_S5_l,comdat
	.globl	_ZN9rocsolver6v33100L18getf2_small_kernelILi64EfiiPfEEvT1_T3_lS3_lPS3_llPT2_S3_S3_S5_l ; -- Begin function _ZN9rocsolver6v33100L18getf2_small_kernelILi64EfiiPfEEvT1_T3_lS3_lPS3_llPT2_S3_S3_S5_l
	.p2align	8
	.type	_ZN9rocsolver6v33100L18getf2_small_kernelILi64EfiiPfEEvT1_T3_lS3_lPS3_llPT2_S3_S3_S5_l,@function
_ZN9rocsolver6v33100L18getf2_small_kernelILi64EfiiPfEEvT1_T3_lS3_lPS3_llPT2_S3_S3_S5_l: ; @_ZN9rocsolver6v33100L18getf2_small_kernelILi64EfiiPfEEvT1_T3_lS3_lPS3_llPT2_S3_S3_S5_l
; %bb.0:
	s_load_dword s2, s[0:1], 0x6c
	s_load_dwordx2 s[18:19], s[0:1], 0x48
	v_bfe_u32 v67, v0, 10, 10
	s_waitcnt lgkmcnt(0)
	s_lshr_b32 s2, s2, 16
	s_mul_i32 s3, s3, s2
	v_add_u32_e32 v2, s3, v67
	v_cmp_gt_i32_e32 vcc, s18, v2
	s_and_saveexec_b64 s[2:3], vcc
	s_cbranch_execz .LBB126_1085
; %bb.1:
	s_load_dwordx4 s[4:7], s[0:1], 0x50
	v_ashrrev_i32_e32 v3, 31, v2
	v_mov_b64_e32 v[4:5], 0
	s_waitcnt lgkmcnt(0)
	s_cmp_eq_u64 s[4:5], 0
	s_cselect_b64 s[20:21], -1, 0
	s_and_b64 vcc, exec, s[20:21]
	s_cbranch_vccnz .LBB126_3
; %bb.2:
	v_mul_lo_u32 v1, s7, v2
	v_mul_lo_u32 v6, s6, v3
	v_mad_u64_u32 v[4:5], s[2:3], s6, v2, 0
	v_add3_u32 v5, v5, v6, v1
	v_lshl_add_u64 v[4:5], v[4:5], 2, s[4:5]
.LBB126_3:
	s_load_dwordx4 s[12:15], s[0:1], 0x8
	s_load_dwordx8 s[4:11], s[0:1], 0x20
	s_load_dword s16, s[0:1], 0x18
	s_load_dword s22, s[0:1], 0x0
	v_and_b32_e32 v71, 0x3ff, v0
	s_waitcnt lgkmcnt(0)
	v_mov_b32_e32 v6, s12
	v_mul_lo_u32 v1, s5, v2
	v_mul_lo_u32 v10, s4, v3
	v_mad_u64_u32 v[8:9], s[2:3], s4, v2, 0
	v_mov_b32_e32 v7, s13
	v_add3_u32 v9, v9, v10, v1
	s_add_i32 s18, s16, s16
	v_lshl_add_u64 v[6:7], v[8:9], 2, v[6:7]
	v_add_u32_e32 v0, s18, v71
	v_lshl_add_u64 v[6:7], s[14:15], 2, v[6:7]
	v_ashrrev_i32_e32 v1, 31, v0
	v_lshl_add_u64 v[72:73], v[0:1], 2, v[6:7]
	v_add_u32_e32 v0, s16, v0
	v_ashrrev_i32_e32 v1, 31, v0
	v_lshl_add_u64 v[74:75], v[0:1], 2, v[6:7]
	v_add_u32_e32 v0, s16, v0
	;; [unrolled: 3-line block ×14, first 2 shown]
	v_ashrrev_i32_e32 v1, 31, v0
	global_load_dword v60, v[8:9], off
	global_load_dword v61, v[10:11], off
	global_load_dword v56, v[12:13], off
	global_load_dword v57, v[14:15], off
	global_load_dword v50, v[16:17], off
	global_load_dword v51, v[18:19], off
	global_load_dword v42, v[20:21], off
	global_load_dword v43, v[22:23], off
	v_lshl_add_u64 v[8:9], v[0:1], 2, v[6:7]
	v_add_u32_e32 v0, s16, v0
	v_ashrrev_i32_e32 v1, 31, v0
	v_lshl_add_u64 v[10:11], v[0:1], 2, v[6:7]
	v_add_u32_e32 v0, s16, v0
	v_ashrrev_i32_e32 v1, 31, v0
	v_lshl_add_u64 v[12:13], v[0:1], 2, v[6:7]
	v_add_u32_e32 v0, s16, v0
	v_ashrrev_i32_e32 v1, 31, v0
	v_lshl_add_u64 v[14:15], v[0:1], 2, v[6:7]
	v_add_u32_e32 v0, s16, v0
	v_ashrrev_i32_e32 v1, 31, v0
	v_lshl_add_u64 v[16:17], v[0:1], 2, v[6:7]
	v_add_u32_e32 v0, s16, v0
	v_ashrrev_i32_e32 v1, 31, v0
	v_lshl_add_u64 v[18:19], v[0:1], 2, v[6:7]
	v_add_u32_e32 v0, s16, v0
	v_ashrrev_i32_e32 v1, 31, v0
	v_lshl_add_u64 v[20:21], v[0:1], 2, v[6:7]
	v_add_u32_e32 v0, s16, v0
	v_ashrrev_i32_e32 v1, 31, v0
	v_lshl_add_u64 v[22:23], v[0:1], 2, v[6:7]
	v_add_u32_e32 v0, s16, v0
	v_ashrrev_i32_e32 v1, 31, v0
	global_load_dword v58, v[8:9], off
	global_load_dword v59, v[10:11], off
	global_load_dword v52, v[12:13], off
	global_load_dword v53, v[14:15], off
	global_load_dword v44, v[16:17], off
	global_load_dword v45, v[18:19], off
	global_load_dword v34, v[20:21], off
	global_load_dword v35, v[22:23], off
	v_lshl_add_u64 v[8:9], v[0:1], 2, v[6:7]
	v_add_u32_e32 v0, s16, v0
	v_ashrrev_i32_e32 v1, 31, v0
	v_lshl_add_u64 v[10:11], v[0:1], 2, v[6:7]
	v_add_u32_e32 v0, s16, v0
	v_ashrrev_i32_e32 v1, 31, v0
	v_lshl_add_u64 v[12:13], v[0:1], 2, v[6:7]
	v_add_u32_e32 v0, s16, v0
	v_ashrrev_i32_e32 v1, 31, v0
	v_lshl_add_u64 v[14:15], v[0:1], 2, v[6:7]
	v_add_u32_e32 v0, s16, v0
	v_ashrrev_i32_e32 v1, 31, v0
	v_lshl_add_u64 v[16:17], v[0:1], 2, v[6:7]
	v_add_u32_e32 v0, s16, v0
	v_ashrrev_i32_e32 v1, 31, v0
	v_lshl_add_u64 v[18:19], v[0:1], 2, v[6:7]
	v_add_u32_e32 v0, s16, v0
	v_ashrrev_i32_e32 v1, 31, v0
	v_lshl_add_u64 v[20:21], v[0:1], 2, v[6:7]
	v_add_u32_e32 v0, s16, v0
	v_ashrrev_i32_e32 v1, 31, v0
	v_lshl_add_u64 v[22:23], v[0:1], 2, v[6:7]
	v_add_u32_e32 v0, s16, v0
	;; [unrolled: 32-line block ×4, first 2 shown]
	v_ashrrev_i32_e32 v1, 31, v0
	global_load_dword v40, v[8:9], off
	global_load_dword v41, v[10:11], off
	global_load_dword v30, v[14:15], off
	global_load_dword v31, v[16:17], off
	global_load_dword v20, v[22:23], off
	global_load_dword v21, v[28:29], off
	global_load_dword v12, v[32:33], off
	global_load_dword v13, v[62:63], off
	v_lshl_add_u64 v[8:9], v[0:1], 2, v[6:7]
	v_add_u32_e32 v0, s16, v0
	v_ashrrev_i32_e32 v1, 31, v0
	v_lshl_add_u64 v[10:11], v[0:1], 2, v[6:7]
	v_add_u32_e32 v0, s16, v0
	v_ashrrev_i32_e32 v1, 31, v0
	;; [unrolled: 3-line block ×5, first 2 shown]
	v_lshl_add_u64 v[64:65], v[0:1], 2, v[6:7]
	v_add_u32_e32 v0, s16, v0
	v_add_u32_e32 v84, s16, v0
	v_ashrrev_i32_e32 v1, 31, v0
	v_ashrrev_i32_e32 v85, 31, v84
	v_lshl_add_u64 v[68:69], v[0:1], 2, v[6:7]
	v_lshl_add_u64 v[86:87], v[84:85], 2, v[6:7]
	global_load_dword v32, v[8:9], off
	global_load_dword v33, v[10:11], off
	;; [unrolled: 1-line block ×8, first 2 shown]
	v_add_u32_e32 v8, s16, v84
	v_ashrrev_i32_e32 v9, 31, v8
	v_lshl_add_u64 v[62:63], v[8:9], 2, v[6:7]
	v_add_u32_e32 v8, s16, v8
	v_ashrrev_i32_e32 v9, 31, v8
	v_lshl_add_u64 v[64:65], v[8:9], 2, v[6:7]
	;; [unrolled: 3-line block ×7, first 2 shown]
	v_add_u32_e32 v8, s16, v8
	v_lshlrev_b32_e32 v84, 2, v71
	v_mov_b32_e32 v85, 0
	v_ashrrev_i32_e32 v9, 31, v8
	v_lshl_add_u64 v[96:97], v[6:7], 0, v[84:85]
	s_ashr_i32 s17, s16, 31
	v_lshl_add_u64 v[94:95], v[8:9], 2, v[6:7]
	global_load_dword v66, v[96:97], off
	global_load_dword v28, v[62:63], off
	global_load_dword v29, v[64:65], off
	global_load_dword v16, v[68:69], off
	global_load_dword v17, v[86:87], off
	global_load_dword v10, v[88:89], off
	global_load_dword v11, v[90:91], off
	global_load_dword v8, v[92:93], off
                                        ; kill: killed $vgpr86_vgpr87
                                        ; kill: killed $vgpr88_vgpr89
                                        ; kill: killed $vgpr90_vgpr91
                                        ; kill: killed $vgpr92_vgpr93
                                        ; kill: killed $vgpr62_vgpr63
                                        ; kill: killed $vgpr64_vgpr65
                                        ; kill: killed $vgpr68_vgpr69
	global_load_dword v9, v[94:95], off
	v_lshl_add_u64 v[86:87], s[16:17], 2, v[96:97]
	global_load_dword v68, v[72:73], off
	global_load_dword v69, v[74:75], off
	;; [unrolled: 1-line block ×7, first 2 shown]
	s_max_i32 s2, s22, 64
	v_mul_lo_u32 v73, s2, v67
	v_lshl_add_u32 v67, v73, 2, 0
	v_add_u32_e32 v72, v67, v84
	s_load_dwordx2 s[4:5], s[0:1], 0x40
	s_cmp_lt_i32 s22, 2
	v_lshlrev_b32_e32 v74, 2, v73
	s_waitcnt vmcnt(15)
	ds_write_b32 v72, v66
	s_waitcnt lgkmcnt(0)
	s_barrier
	ds_read_b32 v72, v67
	s_cbranch_scc1 .LBB126_6
; %bb.4:
	v_add3_u32 v73, v74, 0, 4
	v_mov_b32_e32 v85, 0
	s_mov_b32 s0, 1
.LBB126_5:                              ; =>This Inner Loop Header: Depth=1
	ds_read_b32 v75, v73
	v_mov_b32_e32 v76, s0
	s_add_i32 s0, s0, 1
	v_add_u32_e32 v73, 4, v73
	s_cmp_eq_u32 s22, s0
	s_waitcnt lgkmcnt(0)
	v_cmp_lt_f32_e64 vcc, |v72|, |v75|
	s_nop 1
	v_cndmask_b32_e32 v72, v72, v75, vcc
	v_cndmask_b32_e32 v85, v85, v76, vcc
	s_cbranch_scc0 .LBB126_5
.LBB126_6:
	v_cmp_ne_u32_e32 vcc, v71, v85
                                        ; implicit-def: $vgpr75
	s_and_saveexec_b64 s[0:1], vcc
	s_xor_b64 s[0:1], exec, s[0:1]
	s_cbranch_execz .LBB126_12
; %bb.7:
	v_cmp_eq_u32_e32 vcc, 0, v71
	s_and_saveexec_b64 s[2:3], vcc
	s_cbranch_execz .LBB126_11
; %bb.8:
	v_cmp_ne_u32_e32 vcc, 0, v85
	s_xor_b64 s[12:13], s[20:21], -1
	s_and_b64 s[14:15], s[12:13], vcc
	s_and_saveexec_b64 s[12:13], s[14:15]
	s_cbranch_execz .LBB126_10
; %bb.9:
	v_ashrrev_i32_e32 v77, 31, v85
	v_mov_b32_e32 v76, v85
	v_lshl_add_u64 v[76:77], v[76:77], 2, v[4:5]
	global_load_dword v71, v[76:77], off
	global_load_dword v73, v[4:5], off
	s_waitcnt vmcnt(1)
	global_store_dword v[4:5], v71, off
	s_waitcnt vmcnt(1)
	global_store_dword v[76:77], v73, off
.LBB126_10:
	s_or_b64 exec, exec, s[12:13]
	v_mov_b32_e32 v71, v85
.LBB126_11:
	s_or_b64 exec, exec, s[2:3]
	v_mov_b32_e32 v75, v71
                                        ; implicit-def: $vgpr71
.LBB126_12:
	s_or_saveexec_b64 s[0:1], s[0:1]
	v_mov_b32_e32 v73, v75
	s_xor_b64 exec, exec, s[0:1]
	s_cbranch_execz .LBB126_14
; %bb.13:
	v_mov_b32_e32 v75, 0
	v_mov_b32_e32 v73, v71
	s_waitcnt vmcnt(0)
	ds_write2_b32 v67, v70, v68 offset0:1 offset1:2
	ds_write2_b32 v67, v69, v64 offset0:3 offset1:4
	;; [unrolled: 1-line block ×31, first 2 shown]
	ds_write_b32 v67, v9 offset:252
.LBB126_14:
	s_or_b64 exec, exec, s[0:1]
	s_waitcnt lgkmcnt(0)
	v_cmp_eq_f32_e64 s[0:1], 0, v72
	v_cmp_lt_i32_e32 vcc, 0, v75
	s_barrier
	s_and_saveexec_b64 s[2:3], vcc
	s_cbranch_execz .LBB126_16
; %bb.15:
	v_div_scale_f32 v71, s[12:13], v72, v72, 1.0
	v_rcp_f32_e32 v76, v71
	v_div_scale_f32 v77, vcc, 1.0, v72, 1.0
	v_fma_f32 v78, -v71, v76, 1.0
	v_fmac_f32_e32 v76, v78, v76
	v_mul_f32_e32 v78, v77, v76
	v_fma_f32 v79, -v71, v78, v77
	v_fmac_f32_e32 v78, v79, v76
	v_fma_f32 v71, -v71, v78, v77
	v_div_fmas_f32 v71, v71, v76, v78
	v_div_fixup_f32 v71, v71, v72, 1.0
	v_cndmask_b32_e64 v71, v71, v72, s[0:1]
	ds_read_b32 v72, v67 offset:4
	ds_read2_b32 v[76:77], v67 offset0:2 offset1:3
	ds_read2_b32 v[78:79], v67 offset0:4 offset1:5
	v_mul_f32_e32 v66, v71, v66
	ds_read2_b32 v[80:81], v67 offset0:6 offset1:7
	s_waitcnt vmcnt(0) lgkmcnt(3)
	v_fma_f32 v70, -v66, v72, v70
	s_waitcnt lgkmcnt(2)
	v_pk_fma_f32 v[68:69], v[66:67], v[76:77], v[68:69] op_sel_hi:[0,1,1] neg_lo:[1,0,0] neg_hi:[1,0,0]
	s_waitcnt lgkmcnt(1)
	v_pk_fma_f32 v[64:65], v[66:67], v[78:79], v[64:65] op_sel_hi:[0,1,1] neg_lo:[1,0,0] neg_hi:[1,0,0]
	ds_read2_b32 v[76:77], v67 offset0:8 offset1:9
	ds_read2_b32 v[78:79], v67 offset0:10 offset1:11
	ds_read2_b32 v[82:83], v67 offset0:12 offset1:13
	s_waitcnt lgkmcnt(3)
	v_pk_fma_f32 v[62:63], v[66:67], v[80:81], v[62:63] op_sel_hi:[0,1,1] neg_lo:[1,0,0] neg_hi:[1,0,0]
	ds_read2_b32 v[80:81], v67 offset0:14 offset1:15
	s_waitcnt lgkmcnt(3)
	v_pk_fma_f32 v[60:61], v[66:67], v[76:77], v[60:61] op_sel_hi:[0,1,1] neg_lo:[1,0,0] neg_hi:[1,0,0]
	s_waitcnt lgkmcnt(2)
	v_pk_fma_f32 v[56:57], v[66:67], v[78:79], v[56:57] op_sel_hi:[0,1,1] neg_lo:[1,0,0] neg_hi:[1,0,0]
	s_waitcnt lgkmcnt(1)
	v_pk_fma_f32 v[50:51], v[66:67], v[82:83], v[50:51] op_sel_hi:[0,1,1] neg_lo:[1,0,0] neg_hi:[1,0,0]
	ds_read2_b32 v[76:77], v67 offset0:16 offset1:17
	ds_read2_b32 v[78:79], v67 offset0:18 offset1:19
	ds_read2_b32 v[82:83], v67 offset0:20 offset1:21
	s_waitcnt lgkmcnt(3)
	v_pk_fma_f32 v[42:43], v[66:67], v[80:81], v[42:43] op_sel_hi:[0,1,1] neg_lo:[1,0,0] neg_hi:[1,0,0]
	ds_read2_b32 v[80:81], v67 offset0:22 offset1:23
	s_waitcnt lgkmcnt(3)
	v_pk_fma_f32 v[58:59], v[66:67], v[76:77], v[58:59] op_sel_hi:[0,1,1] neg_lo:[1,0,0] neg_hi:[1,0,0]
	;; [unrolled: 12-line block ×6, first 2 shown]
	s_waitcnt lgkmcnt(2)
	v_pk_fma_f32 v[22:23], v[66:67], v[78:79], v[22:23] op_sel_hi:[0,1,1] neg_lo:[1,0,0] neg_hi:[1,0,0]
	s_waitcnt lgkmcnt(1)
	v_pk_fma_f32 v[14:15], v[66:67], v[82:83], v[14:15] op_sel_hi:[0,1,1] neg_lo:[1,0,0] neg_hi:[1,0,0]
	ds_read2_b32 v[76:77], v67 offset0:56 offset1:57
	ds_read2_b32 v[78:79], v67 offset0:58 offset1:59
	;; [unrolled: 1-line block ×4, first 2 shown]
	s_waitcnt lgkmcnt(4)
	v_pk_fma_f32 v[0:1], v[66:67], v[80:81], v[0:1] op_sel_hi:[0,1,1] neg_lo:[1,0,0] neg_hi:[1,0,0]
	s_waitcnt lgkmcnt(3)
	v_pk_fma_f32 v[28:29], v[66:67], v[76:77], v[28:29] op_sel_hi:[0,1,1] neg_lo:[1,0,0] neg_hi:[1,0,0]
	;; [unrolled: 2-line block ×5, first 2 shown]
.LBB126_16:
	s_or_b64 exec, exec, s[2:3]
	v_lshl_add_u32 v71, v75, 2, v67
	s_barrier
	s_waitcnt vmcnt(0)
	ds_write_b32 v71, v70
	s_waitcnt lgkmcnt(0)
	s_barrier
	ds_read_b32 v71, v67 offset:4
	s_mov_b32 s2, 2
	s_cmp_lt_i32 s22, 3
	v_mov_b32_e32 v72, 1
	s_cbranch_scc1 .LBB126_19
; %bb.17:
	v_add3_u32 v76, v74, 0, 8
	v_mov_b32_e32 v72, 1
.LBB126_18:                             ; =>This Inner Loop Header: Depth=1
	ds_read_b32 v77, v76
	v_mov_b32_e32 v78, s2
	s_add_i32 s2, s2, 1
	v_add_u32_e32 v76, 4, v76
	s_cmp_lg_u32 s22, s2
	s_waitcnt lgkmcnt(0)
	v_cmp_lt_f32_e64 vcc, |v71|, |v77|
	s_nop 1
	v_cndmask_b32_e32 v71, v71, v77, vcc
	v_cndmask_b32_e32 v72, v72, v78, vcc
	s_cbranch_scc1 .LBB126_18
.LBB126_19:
	v_cmp_ne_u32_e32 vcc, v75, v72
	s_and_saveexec_b64 s[2:3], vcc
	s_xor_b64 s[2:3], exec, s[2:3]
	s_cbranch_execz .LBB126_25
; %bb.20:
	v_cmp_eq_u32_e32 vcc, 1, v75
	s_and_saveexec_b64 s[12:13], vcc
	s_cbranch_execz .LBB126_24
; %bb.21:
	v_cmp_ne_u32_e32 vcc, 1, v72
	s_xor_b64 s[14:15], s[20:21], -1
	s_and_b64 s[24:25], s[14:15], vcc
	s_and_saveexec_b64 s[14:15], s[24:25]
	s_cbranch_execz .LBB126_23
; %bb.22:
	v_ashrrev_i32_e32 v73, 31, v72
	v_lshl_add_u64 v[76:77], v[72:73], 2, v[4:5]
	global_load_dword v73, v[76:77], off
	global_load_dword v75, v[4:5], off offset:4
	s_waitcnt vmcnt(1)
	global_store_dword v[4:5], v73, off offset:4
	s_waitcnt vmcnt(1)
	global_store_dword v[76:77], v75, off
.LBB126_23:
	s_or_b64 exec, exec, s[14:15]
	v_mov_b32_e32 v73, v72
	v_mov_b32_e32 v75, v72
.LBB126_24:
	s_or_b64 exec, exec, s[12:13]
.LBB126_25:
	s_andn2_saveexec_b64 s[2:3], s[2:3]
	s_cbranch_execz .LBB126_27
; %bb.26:
	v_mov_b32_e32 v75, 1
	ds_write2_b32 v67, v68, v69 offset0:2 offset1:3
	ds_write2_b32 v67, v64, v65 offset0:4 offset1:5
	;; [unrolled: 1-line block ×31, first 2 shown]
.LBB126_27:
	s_or_b64 exec, exec, s[2:3]
	s_waitcnt lgkmcnt(0)
	v_cmp_neq_f32_e64 s[2:3], 0, v71
	v_cmp_lt_i32_e32 vcc, 1, v75
	s_barrier
	s_and_saveexec_b64 s[12:13], vcc
	s_cbranch_execz .LBB126_29
; %bb.28:
	v_div_scale_f32 v72, s[14:15], v71, v71, 1.0
	v_rcp_f32_e32 v76, v72
	v_div_scale_f32 v77, vcc, 1.0, v71, 1.0
	v_fma_f32 v78, -v72, v76, 1.0
	v_fmac_f32_e32 v76, v78, v76
	v_mul_f32_e32 v78, v77, v76
	v_fma_f32 v79, -v72, v78, v77
	v_fmac_f32_e32 v78, v79, v76
	v_fma_f32 v72, -v72, v78, v77
	v_div_fmas_f32 v72, v72, v76, v78
	ds_read2_b32 v[76:77], v67 offset0:2 offset1:3
	ds_read2_b32 v[78:79], v67 offset0:4 offset1:5
	;; [unrolled: 1-line block ×3, first 2 shown]
	v_div_fixup_f32 v72, v72, v71, 1.0
	v_cndmask_b32_e64 v71, v71, v72, s[2:3]
	v_mul_f32_e32 v70, v71, v70
	ds_read2_b32 v[82:83], v67 offset0:8 offset1:9
	s_waitcnt lgkmcnt(3)
	v_pk_fma_f32 v[68:69], v[70:71], v[76:77], v[68:69] op_sel_hi:[0,1,1] neg_lo:[1,0,0] neg_hi:[1,0,0]
	s_waitcnt lgkmcnt(2)
	v_pk_fma_f32 v[64:65], v[70:71], v[78:79], v[64:65] op_sel_hi:[0,1,1] neg_lo:[1,0,0] neg_hi:[1,0,0]
	s_waitcnt lgkmcnt(1)
	v_pk_fma_f32 v[62:63], v[70:71], v[80:81], v[62:63] op_sel_hi:[0,1,1] neg_lo:[1,0,0] neg_hi:[1,0,0]
	ds_read2_b32 v[76:77], v67 offset0:10 offset1:11
	ds_read2_b32 v[78:79], v67 offset0:12 offset1:13
	ds_read2_b32 v[80:81], v67 offset0:14 offset1:15
	s_waitcnt lgkmcnt(3)
	v_pk_fma_f32 v[60:61], v[70:71], v[82:83], v[60:61] op_sel_hi:[0,1,1] neg_lo:[1,0,0] neg_hi:[1,0,0]
	ds_read2_b32 v[82:83], v67 offset0:16 offset1:17
	s_waitcnt lgkmcnt(3)
	v_pk_fma_f32 v[56:57], v[70:71], v[76:77], v[56:57] op_sel_hi:[0,1,1] neg_lo:[1,0,0] neg_hi:[1,0,0]
	s_waitcnt lgkmcnt(2)
	v_pk_fma_f32 v[50:51], v[70:71], v[78:79], v[50:51] op_sel_hi:[0,1,1] neg_lo:[1,0,0] neg_hi:[1,0,0]
	s_waitcnt lgkmcnt(1)
	v_pk_fma_f32 v[42:43], v[70:71], v[80:81], v[42:43] op_sel_hi:[0,1,1] neg_lo:[1,0,0] neg_hi:[1,0,0]
	ds_read2_b32 v[76:77], v67 offset0:18 offset1:19
	ds_read2_b32 v[78:79], v67 offset0:20 offset1:21
	ds_read2_b32 v[80:81], v67 offset0:22 offset1:23
	s_waitcnt lgkmcnt(3)
	v_pk_fma_f32 v[58:59], v[70:71], v[82:83], v[58:59] op_sel_hi:[0,1,1] neg_lo:[1,0,0] neg_hi:[1,0,0]
	;; [unrolled: 12-line block ×5, first 2 shown]
	ds_read2_b32 v[82:83], v67 offset0:48 offset1:49
	s_waitcnt lgkmcnt(3)
	v_pk_fma_f32 v[30:31], v[70:71], v[76:77], v[30:31] op_sel_hi:[0,1,1] neg_lo:[1,0,0] neg_hi:[1,0,0]
	s_waitcnt lgkmcnt(2)
	v_pk_fma_f32 v[20:21], v[70:71], v[78:79], v[20:21] op_sel_hi:[0,1,1] neg_lo:[1,0,0] neg_hi:[1,0,0]
	ds_read2_b32 v[76:77], v67 offset0:50 offset1:51
	ds_read2_b32 v[78:79], v67 offset0:52 offset1:53
	s_waitcnt lgkmcnt(3)
	v_pk_fma_f32 v[12:13], v[70:71], v[80:81], v[12:13] op_sel_hi:[0,1,1] neg_lo:[1,0,0] neg_hi:[1,0,0]
	s_waitcnt lgkmcnt(2)
	v_pk_fma_f32 v[32:33], v[70:71], v[82:83], v[32:33] op_sel_hi:[0,1,1] neg_lo:[1,0,0] neg_hi:[1,0,0]
	ds_read2_b32 v[80:81], v67 offset0:54 offset1:55
	;; [unrolled: 6-line block ×3, first 2 shown]
	ds_read2_b32 v[78:79], v67 offset0:60 offset1:61
	ds_read2_b32 v[84:85], v67 offset0:62 offset1:63
	s_waitcnt lgkmcnt(4)
	v_pk_fma_f32 v[0:1], v[70:71], v[80:81], v[0:1] op_sel_hi:[0,1,1] neg_lo:[1,0,0] neg_hi:[1,0,0]
	s_waitcnt lgkmcnt(3)
	v_pk_fma_f32 v[28:29], v[70:71], v[82:83], v[28:29] op_sel_hi:[0,1,1] neg_lo:[1,0,0] neg_hi:[1,0,0]
	;; [unrolled: 2-line block ×5, first 2 shown]
.LBB126_29:
	s_or_b64 exec, exec, s[12:13]
	v_lshl_add_u32 v71, v75, 2, v67
	s_barrier
	ds_write_b32 v71, v68
	s_waitcnt lgkmcnt(0)
	s_barrier
	ds_read_b32 v76, v67 offset:8
	s_cmp_lt_i32 s22, 4
	v_mov_b32_e32 v72, 2
	s_cbranch_scc1 .LBB126_32
; %bb.30:
	v_mov_b32_e32 v72, 2
	v_add3_u32 v71, v74, 0, 12
	s_mov_b32 s12, 3
.LBB126_31:                             ; =>This Inner Loop Header: Depth=1
	ds_read_b32 v77, v71
	v_mov_b32_e32 v78, s12
	s_add_i32 s12, s12, 1
	v_add_u32_e32 v71, 4, v71
	s_cmp_lg_u32 s22, s12
	s_waitcnt lgkmcnt(0)
	v_cmp_lt_f32_e64 vcc, |v76|, |v77|
	s_nop 1
	v_cndmask_b32_e32 v76, v76, v77, vcc
	v_cndmask_b32_e32 v72, v72, v78, vcc
	s_cbranch_scc1 .LBB126_31
.LBB126_32:
	v_cndmask_b32_e64 v71, 2, 1, s[0:1]
	v_cndmask_b32_e64 v77, 0, 1, s[0:1]
	;; [unrolled: 1-line block ×3, first 2 shown]
	s_waitcnt lgkmcnt(0)
	v_cmp_eq_f32_e32 vcc, 0, v76
	s_and_saveexec_b64 s[0:1], vcc
	s_xor_b64 s[0:1], exec, s[0:1]
; %bb.33:
	v_cmp_ne_u32_e32 vcc, 0, v71
	s_nop 1
	v_cndmask_b32_e32 v71, 3, v71, vcc
; %bb.34:
	s_andn2_saveexec_b64 s[0:1], s[0:1]
	s_cbranch_execz .LBB126_36
; %bb.35:
	v_div_scale_f32 v77, s[2:3], v76, v76, 1.0
	v_rcp_f32_e32 v78, v77
	v_div_scale_f32 v79, vcc, 1.0, v76, 1.0
	v_fma_f32 v80, -v77, v78, 1.0
	v_fmac_f32_e32 v78, v80, v78
	v_mul_f32_e32 v80, v79, v78
	v_fma_f32 v81, -v77, v80, v79
	v_fmac_f32_e32 v80, v81, v78
	v_fma_f32 v77, -v77, v80, v79
	v_div_fmas_f32 v77, v77, v78, v80
	v_div_fixup_f32 v76, v77, v76, 1.0
.LBB126_36:
	s_or_b64 exec, exec, s[0:1]
	v_cmp_ne_u32_e32 vcc, v75, v72
	s_and_saveexec_b64 s[0:1], vcc
	s_xor_b64 s[0:1], exec, s[0:1]
	s_cbranch_execz .LBB126_42
; %bb.37:
	v_cmp_eq_u32_e32 vcc, 2, v75
	s_and_saveexec_b64 s[2:3], vcc
	s_cbranch_execz .LBB126_41
; %bb.38:
	v_cmp_ne_u32_e32 vcc, 2, v72
	s_xor_b64 s[12:13], s[20:21], -1
	s_and_b64 s[14:15], s[12:13], vcc
	s_and_saveexec_b64 s[12:13], s[14:15]
	s_cbranch_execz .LBB126_40
; %bb.39:
	v_ashrrev_i32_e32 v73, 31, v72
	v_lshl_add_u64 v[78:79], v[72:73], 2, v[4:5]
	global_load_dword v73, v[78:79], off
	global_load_dword v75, v[4:5], off offset:8
	s_waitcnt vmcnt(1)
	global_store_dword v[4:5], v73, off offset:8
	s_waitcnt vmcnt(1)
	global_store_dword v[78:79], v75, off
.LBB126_40:
	s_or_b64 exec, exec, s[12:13]
	v_mov_b32_e32 v73, v72
	v_mov_b32_e32 v75, v72
.LBB126_41:
	s_or_b64 exec, exec, s[2:3]
.LBB126_42:
	s_andn2_saveexec_b64 s[0:1], s[0:1]
	s_cbranch_execz .LBB126_44
; %bb.43:
	v_pk_mov_b32 v[78:79], v[68:69], v[64:65] op_sel:[1,0]
	ds_write2_b32 v67, v78, v79 offset0:3 offset1:4
	v_pk_mov_b32 v[78:79], v[64:65], v[62:63] op_sel:[1,0]
	ds_write2_b32 v67, v78, v79 offset0:5 offset1:6
	v_pk_mov_b32 v[78:79], v[62:63], v[60:61] op_sel:[1,0]
	ds_write2_b32 v67, v78, v79 offset0:7 offset1:8
	v_pk_mov_b32 v[78:79], v[60:61], v[56:57] op_sel:[1,0]
	ds_write2_b32 v67, v78, v79 offset0:9 offset1:10
	v_pk_mov_b32 v[78:79], v[56:57], v[50:51] op_sel:[1,0]
	ds_write2_b32 v67, v78, v79 offset0:11 offset1:12
	v_pk_mov_b32 v[78:79], v[50:51], v[42:43] op_sel:[1,0]
	ds_write2_b32 v67, v78, v79 offset0:13 offset1:14
	v_pk_mov_b32 v[78:79], v[42:43], v[58:59] op_sel:[1,0]
	ds_write2_b32 v67, v78, v79 offset0:15 offset1:16
	v_pk_mov_b32 v[78:79], v[58:59], v[52:53] op_sel:[1,0]
	ds_write2_b32 v67, v78, v79 offset0:17 offset1:18
	v_pk_mov_b32 v[78:79], v[52:53], v[44:45] op_sel:[1,0]
	ds_write2_b32 v67, v78, v79 offset0:19 offset1:20
	v_pk_mov_b32 v[78:79], v[44:45], v[34:35] op_sel:[1,0]
	ds_write2_b32 v67, v78, v79 offset0:21 offset1:22
	v_pk_mov_b32 v[78:79], v[34:35], v[54:55] op_sel:[1,0]
	ds_write2_b32 v67, v78, v79 offset0:23 offset1:24
	v_pk_mov_b32 v[78:79], v[54:55], v[46:47] op_sel:[1,0]
	ds_write2_b32 v67, v78, v79 offset0:25 offset1:26
	v_pk_mov_b32 v[78:79], v[46:47], v[36:37] op_sel:[1,0]
	ds_write2_b32 v67, v78, v79 offset0:27 offset1:28
	v_pk_mov_b32 v[78:79], v[36:37], v[24:25] op_sel:[1,0]
	ds_write2_b32 v67, v78, v79 offset0:29 offset1:30
	v_pk_mov_b32 v[78:79], v[24:25], v[48:49] op_sel:[1,0]
	ds_write2_b32 v67, v78, v79 offset0:31 offset1:32
	v_pk_mov_b32 v[78:79], v[48:49], v[38:39] op_sel:[1,0]
	ds_write2_b32 v67, v78, v79 offset0:33 offset1:34
	v_pk_mov_b32 v[78:79], v[38:39], v[26:27] op_sel:[1,0]
	ds_write2_b32 v67, v78, v79 offset0:35 offset1:36
	v_pk_mov_b32 v[78:79], v[26:27], v[18:19] op_sel:[1,0]
	ds_write2_b32 v67, v78, v79 offset0:37 offset1:38
	v_pk_mov_b32 v[78:79], v[18:19], v[40:41] op_sel:[1,0]
	ds_write2_b32 v67, v78, v79 offset0:39 offset1:40
	v_pk_mov_b32 v[78:79], v[40:41], v[30:31] op_sel:[1,0]
	ds_write2_b32 v67, v78, v79 offset0:41 offset1:42
	v_pk_mov_b32 v[78:79], v[30:31], v[20:21] op_sel:[1,0]
	ds_write2_b32 v67, v78, v79 offset0:43 offset1:44
	v_pk_mov_b32 v[78:79], v[20:21], v[12:13] op_sel:[1,0]
	ds_write2_b32 v67, v78, v79 offset0:45 offset1:46
	v_pk_mov_b32 v[78:79], v[12:13], v[32:33] op_sel:[1,0]
	ds_write2_b32 v67, v78, v79 offset0:47 offset1:48
	v_pk_mov_b32 v[78:79], v[32:33], v[22:23] op_sel:[1,0]
	ds_write2_b32 v67, v78, v79 offset0:49 offset1:50
	v_pk_mov_b32 v[78:79], v[22:23], v[14:15] op_sel:[1,0]
	ds_write2_b32 v67, v78, v79 offset0:51 offset1:52
	v_pk_mov_b32 v[78:79], v[14:15], v[0:1] op_sel:[1,0]
	ds_write2_b32 v67, v78, v79 offset0:53 offset1:54
	v_pk_mov_b32 v[78:79], v[0:1], v[28:29] op_sel:[1,0]
	ds_write2_b32 v67, v78, v79 offset0:55 offset1:56
	v_pk_mov_b32 v[78:79], v[28:29], v[16:17] op_sel:[1,0]
	ds_write2_b32 v67, v78, v79 offset0:57 offset1:58
	v_pk_mov_b32 v[78:79], v[16:17], v[10:11] op_sel:[1,0]
	ds_write2_b32 v67, v78, v79 offset0:59 offset1:60
	v_pk_mov_b32 v[78:79], v[10:11], v[8:9] op_sel:[1,0]
	v_mov_b32_e32 v75, 2
	ds_write2_b32 v67, v78, v79 offset0:61 offset1:62
	ds_write_b32 v67, v9 offset:252
.LBB126_44:
	s_or_b64 exec, exec, s[0:1]
	v_cmp_lt_i32_e32 vcc, 2, v75
	s_waitcnt lgkmcnt(0)
	s_barrier
	s_and_saveexec_b64 s[0:1], vcc
	s_cbranch_execz .LBB126_46
; %bb.45:
	ds_read_b32 v72, v67 offset:12
	ds_read2_b32 v[78:79], v67 offset0:4 offset1:5
	ds_read2_b32 v[80:81], v67 offset0:6 offset1:7
	v_mul_f32_e32 v68, v76, v68
	ds_read2_b32 v[76:77], v67 offset0:8 offset1:9
	s_waitcnt lgkmcnt(3)
	v_fma_f32 v69, -v68, v72, v69
	s_waitcnt lgkmcnt(2)
	v_pk_fma_f32 v[64:65], v[68:69], v[78:79], v[64:65] op_sel_hi:[0,1,1] neg_lo:[1,0,0] neg_hi:[1,0,0]
	s_waitcnt lgkmcnt(1)
	v_pk_fma_f32 v[62:63], v[68:69], v[80:81], v[62:63] op_sel_hi:[0,1,1] neg_lo:[1,0,0] neg_hi:[1,0,0]
	ds_read2_b32 v[78:79], v67 offset0:10 offset1:11
	ds_read2_b32 v[80:81], v67 offset0:12 offset1:13
	ds_read2_b32 v[82:83], v67 offset0:14 offset1:15
	s_waitcnt lgkmcnt(3)
	v_pk_fma_f32 v[60:61], v[68:69], v[76:77], v[60:61] op_sel_hi:[0,1,1] neg_lo:[1,0,0] neg_hi:[1,0,0]
	ds_read2_b32 v[76:77], v67 offset0:16 offset1:17
	s_waitcnt lgkmcnt(3)
	v_pk_fma_f32 v[56:57], v[68:69], v[78:79], v[56:57] op_sel_hi:[0,1,1] neg_lo:[1,0,0] neg_hi:[1,0,0]
	s_waitcnt lgkmcnt(2)
	v_pk_fma_f32 v[50:51], v[68:69], v[80:81], v[50:51] op_sel_hi:[0,1,1] neg_lo:[1,0,0] neg_hi:[1,0,0]
	s_waitcnt lgkmcnt(1)
	v_pk_fma_f32 v[42:43], v[68:69], v[82:83], v[42:43] op_sel_hi:[0,1,1] neg_lo:[1,0,0] neg_hi:[1,0,0]
	ds_read2_b32 v[78:79], v67 offset0:18 offset1:19
	ds_read2_b32 v[80:81], v67 offset0:20 offset1:21
	ds_read2_b32 v[82:83], v67 offset0:22 offset1:23
	s_waitcnt lgkmcnt(3)
	v_pk_fma_f32 v[58:59], v[68:69], v[76:77], v[58:59] op_sel_hi:[0,1,1] neg_lo:[1,0,0] neg_hi:[1,0,0]
	ds_read2_b32 v[76:77], v67 offset0:24 offset1:25
	s_waitcnt lgkmcnt(3)
	v_pk_fma_f32 v[52:53], v[68:69], v[78:79], v[52:53] op_sel_hi:[0,1,1] neg_lo:[1,0,0] neg_hi:[1,0,0]
	;; [unrolled: 12-line block ×5, first 2 shown]
	s_waitcnt lgkmcnt(2)
	v_pk_fma_f32 v[20:21], v[68:69], v[80:81], v[20:21] op_sel_hi:[0,1,1] neg_lo:[1,0,0] neg_hi:[1,0,0]
	ds_read2_b32 v[78:79], v67 offset0:50 offset1:51
	ds_read2_b32 v[80:81], v67 offset0:52 offset1:53
	s_waitcnt lgkmcnt(3)
	v_pk_fma_f32 v[12:13], v[68:69], v[82:83], v[12:13] op_sel_hi:[0,1,1] neg_lo:[1,0,0] neg_hi:[1,0,0]
	s_waitcnt lgkmcnt(2)
	v_pk_fma_f32 v[32:33], v[68:69], v[76:77], v[32:33] op_sel_hi:[0,1,1] neg_lo:[1,0,0] neg_hi:[1,0,0]
	ds_read2_b32 v[76:77], v67 offset0:54 offset1:55
	ds_read2_b32 v[82:83], v67 offset0:56 offset1:57
	s_waitcnt lgkmcnt(3)
	v_pk_fma_f32 v[22:23], v[68:69], v[78:79], v[22:23] op_sel_hi:[0,1,1] neg_lo:[1,0,0] neg_hi:[1,0,0]
	s_waitcnt lgkmcnt(2)
	v_pk_fma_f32 v[14:15], v[68:69], v[80:81], v[14:15] op_sel_hi:[0,1,1] neg_lo:[1,0,0] neg_hi:[1,0,0]
	ds_read2_b32 v[78:79], v67 offset0:58 offset1:59
	ds_read2_b32 v[80:81], v67 offset0:60 offset1:61
	;; [unrolled: 1-line block ×3, first 2 shown]
	s_waitcnt lgkmcnt(4)
	v_pk_fma_f32 v[0:1], v[68:69], v[76:77], v[0:1] op_sel_hi:[0,1,1] neg_lo:[1,0,0] neg_hi:[1,0,0]
	s_waitcnt lgkmcnt(3)
	v_pk_fma_f32 v[28:29], v[68:69], v[82:83], v[28:29] op_sel_hi:[0,1,1] neg_lo:[1,0,0] neg_hi:[1,0,0]
	;; [unrolled: 2-line block ×5, first 2 shown]
.LBB126_46:
	s_or_b64 exec, exec, s[0:1]
	v_lshl_add_u32 v72, v75, 2, v67
	s_barrier
	ds_write_b32 v72, v69
	s_waitcnt lgkmcnt(0)
	s_barrier
	ds_read_b32 v76, v67 offset:12
	s_cmp_lt_i32 s22, 5
	v_mov_b32_e32 v72, 3
	s_cbranch_scc1 .LBB126_49
; %bb.47:
	v_add3_u32 v77, v74, 0, 16
	v_mov_b32_e32 v72, 3
	s_mov_b32 s0, 4
.LBB126_48:                             ; =>This Inner Loop Header: Depth=1
	ds_read_b32 v78, v77
	v_mov_b32_e32 v79, s0
	s_add_i32 s0, s0, 1
	v_add_u32_e32 v77, 4, v77
	s_cmp_lg_u32 s22, s0
	s_waitcnt lgkmcnt(0)
	v_cmp_lt_f32_e64 vcc, |v76|, |v78|
	s_nop 1
	v_cndmask_b32_e32 v76, v76, v78, vcc
	v_cndmask_b32_e32 v72, v72, v79, vcc
	s_cbranch_scc1 .LBB126_48
.LBB126_49:
	s_waitcnt lgkmcnt(0)
	v_cmp_eq_f32_e32 vcc, 0, v76
	s_and_saveexec_b64 s[0:1], vcc
	s_xor_b64 s[0:1], exec, s[0:1]
; %bb.50:
	v_cmp_ne_u32_e32 vcc, 0, v71
	s_nop 1
	v_cndmask_b32_e32 v71, 4, v71, vcc
; %bb.51:
	s_andn2_saveexec_b64 s[0:1], s[0:1]
	s_cbranch_execz .LBB126_53
; %bb.52:
	v_div_scale_f32 v77, s[2:3], v76, v76, 1.0
	v_rcp_f32_e32 v78, v77
	v_div_scale_f32 v79, vcc, 1.0, v76, 1.0
	v_fma_f32 v80, -v77, v78, 1.0
	v_fmac_f32_e32 v78, v80, v78
	v_mul_f32_e32 v80, v79, v78
	v_fma_f32 v81, -v77, v80, v79
	v_fmac_f32_e32 v80, v81, v78
	v_fma_f32 v77, -v77, v80, v79
	v_div_fmas_f32 v77, v77, v78, v80
	v_div_fixup_f32 v76, v77, v76, 1.0
.LBB126_53:
	s_or_b64 exec, exec, s[0:1]
	v_cmp_ne_u32_e32 vcc, v75, v72
	s_and_saveexec_b64 s[0:1], vcc
	s_xor_b64 s[0:1], exec, s[0:1]
	s_cbranch_execz .LBB126_59
; %bb.54:
	v_cmp_eq_u32_e32 vcc, 3, v75
	s_and_saveexec_b64 s[2:3], vcc
	s_cbranch_execz .LBB126_58
; %bb.55:
	v_cmp_ne_u32_e32 vcc, 3, v72
	s_xor_b64 s[12:13], s[20:21], -1
	s_and_b64 s[14:15], s[12:13], vcc
	s_and_saveexec_b64 s[12:13], s[14:15]
	s_cbranch_execz .LBB126_57
; %bb.56:
	v_ashrrev_i32_e32 v73, 31, v72
	v_lshl_add_u64 v[78:79], v[72:73], 2, v[4:5]
	global_load_dword v73, v[78:79], off
	global_load_dword v75, v[4:5], off offset:12
	s_waitcnt vmcnt(1)
	global_store_dword v[4:5], v73, off offset:12
	s_waitcnt vmcnt(1)
	global_store_dword v[78:79], v75, off
.LBB126_57:
	s_or_b64 exec, exec, s[12:13]
	v_mov_b32_e32 v73, v72
	v_mov_b32_e32 v75, v72
.LBB126_58:
	s_or_b64 exec, exec, s[2:3]
.LBB126_59:
	s_andn2_saveexec_b64 s[0:1], s[0:1]
	s_cbranch_execz .LBB126_61
; %bb.60:
	v_mov_b32_e32 v75, 3
	ds_write2_b32 v67, v64, v65 offset0:4 offset1:5
	ds_write2_b32 v67, v62, v63 offset0:6 offset1:7
	;; [unrolled: 1-line block ×30, first 2 shown]
.LBB126_61:
	s_or_b64 exec, exec, s[0:1]
	v_cmp_lt_i32_e32 vcc, 3, v75
	s_waitcnt lgkmcnt(0)
	s_barrier
	s_and_saveexec_b64 s[0:1], vcc
	s_cbranch_execz .LBB126_63
; %bb.62:
	ds_read2_b32 v[78:79], v67 offset0:4 offset1:5
	ds_read2_b32 v[80:81], v67 offset0:6 offset1:7
	;; [unrolled: 1-line block ×3, first 2 shown]
	v_mul_f32_e32 v72, v76, v69
	ds_read2_b32 v[76:77], v67 offset0:10 offset1:11
	s_waitcnt lgkmcnt(3)
	v_pk_fma_f32 v[64:65], v[72:73], v[78:79], v[64:65] op_sel_hi:[0,1,1] neg_lo:[1,0,0] neg_hi:[1,0,0]
	s_waitcnt lgkmcnt(2)
	v_pk_fma_f32 v[62:63], v[72:73], v[80:81], v[62:63] op_sel_hi:[0,1,1] neg_lo:[1,0,0] neg_hi:[1,0,0]
	s_waitcnt lgkmcnt(1)
	v_pk_fma_f32 v[60:61], v[72:73], v[82:83], v[60:61] op_sel_hi:[0,1,1] neg_lo:[1,0,0] neg_hi:[1,0,0]
	ds_read2_b32 v[78:79], v67 offset0:12 offset1:13
	ds_read2_b32 v[80:81], v67 offset0:14 offset1:15
	ds_read2_b32 v[82:83], v67 offset0:16 offset1:17
	s_waitcnt lgkmcnt(3)
	v_pk_fma_f32 v[56:57], v[72:73], v[76:77], v[56:57] op_sel_hi:[0,1,1] neg_lo:[1,0,0] neg_hi:[1,0,0]
	ds_read2_b32 v[76:77], v67 offset0:18 offset1:19
	s_waitcnt lgkmcnt(3)
	v_pk_fma_f32 v[50:51], v[72:73], v[78:79], v[50:51] op_sel_hi:[0,1,1] neg_lo:[1,0,0] neg_hi:[1,0,0]
	s_waitcnt lgkmcnt(2)
	v_pk_fma_f32 v[42:43], v[72:73], v[80:81], v[42:43] op_sel_hi:[0,1,1] neg_lo:[1,0,0] neg_hi:[1,0,0]
	s_waitcnt lgkmcnt(1)
	v_pk_fma_f32 v[58:59], v[72:73], v[82:83], v[58:59] op_sel_hi:[0,1,1] neg_lo:[1,0,0] neg_hi:[1,0,0]
	ds_read2_b32 v[78:79], v67 offset0:20 offset1:21
	ds_read2_b32 v[80:81], v67 offset0:22 offset1:23
	ds_read2_b32 v[82:83], v67 offset0:24 offset1:25
	s_waitcnt lgkmcnt(3)
	v_pk_fma_f32 v[52:53], v[72:73], v[76:77], v[52:53] op_sel_hi:[0,1,1] neg_lo:[1,0,0] neg_hi:[1,0,0]
	;; [unrolled: 12-line block ×5, first 2 shown]
	ds_read2_b32 v[76:77], v67 offset0:50 offset1:51
	s_waitcnt lgkmcnt(3)
	v_pk_fma_f32 v[20:21], v[72:73], v[78:79], v[20:21] op_sel_hi:[0,1,1] neg_lo:[1,0,0] neg_hi:[1,0,0]
	ds_read2_b32 v[78:79], v67 offset0:52 offset1:53
	s_waitcnt lgkmcnt(3)
	v_pk_fma_f32 v[12:13], v[72:73], v[80:81], v[12:13] op_sel_hi:[0,1,1] neg_lo:[1,0,0] neg_hi:[1,0,0]
	s_waitcnt lgkmcnt(2)
	v_pk_fma_f32 v[32:33], v[72:73], v[82:83], v[32:33] op_sel_hi:[0,1,1] neg_lo:[1,0,0] neg_hi:[1,0,0]
	;; [unrolled: 2-line block ×3, first 2 shown]
	ds_read2_b32 v[76:77], v67 offset0:54 offset1:55
	ds_read2_b32 v[80:81], v67 offset0:56 offset1:57
	ds_read2_b32 v[82:83], v67 offset0:58 offset1:59
	s_waitcnt lgkmcnt(3)
	v_pk_fma_f32 v[14:15], v[72:73], v[78:79], v[14:15] op_sel_hi:[0,1,1] neg_lo:[1,0,0] neg_hi:[1,0,0]
	ds_read2_b32 v[78:79], v67 offset0:60 offset1:61
	ds_read2_b32 v[84:85], v67 offset0:62 offset1:63
	s_waitcnt lgkmcnt(4)
	v_pk_fma_f32 v[0:1], v[72:73], v[76:77], v[0:1] op_sel_hi:[0,1,1] neg_lo:[1,0,0] neg_hi:[1,0,0]
	s_waitcnt lgkmcnt(3)
	v_pk_fma_f32 v[28:29], v[72:73], v[80:81], v[28:29] op_sel_hi:[0,1,1] neg_lo:[1,0,0] neg_hi:[1,0,0]
	;; [unrolled: 2-line block ×5, first 2 shown]
	v_mov_b32_e32 v69, v72
.LBB126_63:
	s_or_b64 exec, exec, s[0:1]
	v_lshl_add_u32 v72, v75, 2, v67
	s_barrier
	ds_write_b32 v72, v64
	s_waitcnt lgkmcnt(0)
	s_barrier
	ds_read_b32 v76, v67 offset:16
	s_cmp_lt_i32 s22, 6
	v_mov_b32_e32 v72, 4
	s_cbranch_scc1 .LBB126_66
; %bb.64:
	v_add3_u32 v77, v74, 0, 20
	v_mov_b32_e32 v72, 4
	s_mov_b32 s0, 5
.LBB126_65:                             ; =>This Inner Loop Header: Depth=1
	ds_read_b32 v78, v77
	v_mov_b32_e32 v79, s0
	s_add_i32 s0, s0, 1
	v_add_u32_e32 v77, 4, v77
	s_cmp_lg_u32 s22, s0
	s_waitcnt lgkmcnt(0)
	v_cmp_lt_f32_e64 vcc, |v76|, |v78|
	s_nop 1
	v_cndmask_b32_e32 v76, v76, v78, vcc
	v_cndmask_b32_e32 v72, v72, v79, vcc
	s_cbranch_scc1 .LBB126_65
.LBB126_66:
	s_waitcnt lgkmcnt(0)
	v_cmp_eq_f32_e32 vcc, 0, v76
	s_and_saveexec_b64 s[0:1], vcc
	s_xor_b64 s[0:1], exec, s[0:1]
; %bb.67:
	v_cmp_ne_u32_e32 vcc, 0, v71
	s_nop 1
	v_cndmask_b32_e32 v71, 5, v71, vcc
; %bb.68:
	s_andn2_saveexec_b64 s[0:1], s[0:1]
	s_cbranch_execz .LBB126_70
; %bb.69:
	v_div_scale_f32 v77, s[2:3], v76, v76, 1.0
	v_rcp_f32_e32 v78, v77
	v_div_scale_f32 v79, vcc, 1.0, v76, 1.0
	v_fma_f32 v80, -v77, v78, 1.0
	v_fmac_f32_e32 v78, v80, v78
	v_mul_f32_e32 v80, v79, v78
	v_fma_f32 v81, -v77, v80, v79
	v_fmac_f32_e32 v80, v81, v78
	v_fma_f32 v77, -v77, v80, v79
	v_div_fmas_f32 v77, v77, v78, v80
	v_div_fixup_f32 v76, v77, v76, 1.0
.LBB126_70:
	s_or_b64 exec, exec, s[0:1]
	v_cmp_ne_u32_e32 vcc, v75, v72
	s_and_saveexec_b64 s[0:1], vcc
	s_xor_b64 s[0:1], exec, s[0:1]
	s_cbranch_execz .LBB126_76
; %bb.71:
	v_cmp_eq_u32_e32 vcc, 4, v75
	s_and_saveexec_b64 s[2:3], vcc
	s_cbranch_execz .LBB126_75
; %bb.72:
	v_cmp_ne_u32_e32 vcc, 4, v72
	s_xor_b64 s[12:13], s[20:21], -1
	s_and_b64 s[14:15], s[12:13], vcc
	s_and_saveexec_b64 s[12:13], s[14:15]
	s_cbranch_execz .LBB126_74
; %bb.73:
	v_ashrrev_i32_e32 v73, 31, v72
	v_lshl_add_u64 v[78:79], v[72:73], 2, v[4:5]
	global_load_dword v73, v[78:79], off
	global_load_dword v75, v[4:5], off offset:16
	s_waitcnt vmcnt(1)
	global_store_dword v[4:5], v73, off offset:16
	s_waitcnt vmcnt(1)
	global_store_dword v[78:79], v75, off
.LBB126_74:
	s_or_b64 exec, exec, s[12:13]
	v_mov_b32_e32 v73, v72
	v_mov_b32_e32 v75, v72
.LBB126_75:
	s_or_b64 exec, exec, s[2:3]
.LBB126_76:
	s_andn2_saveexec_b64 s[0:1], s[0:1]
	s_cbranch_execz .LBB126_78
; %bb.77:
	v_pk_mov_b32 v[78:79], v[64:65], v[62:63] op_sel:[1,0]
	ds_write2_b32 v67, v78, v79 offset0:5 offset1:6
	v_pk_mov_b32 v[78:79], v[62:63], v[60:61] op_sel:[1,0]
	ds_write2_b32 v67, v78, v79 offset0:7 offset1:8
	v_pk_mov_b32 v[78:79], v[60:61], v[56:57] op_sel:[1,0]
	ds_write2_b32 v67, v78, v79 offset0:9 offset1:10
	v_pk_mov_b32 v[78:79], v[56:57], v[50:51] op_sel:[1,0]
	ds_write2_b32 v67, v78, v79 offset0:11 offset1:12
	v_pk_mov_b32 v[78:79], v[50:51], v[42:43] op_sel:[1,0]
	ds_write2_b32 v67, v78, v79 offset0:13 offset1:14
	v_pk_mov_b32 v[78:79], v[42:43], v[58:59] op_sel:[1,0]
	ds_write2_b32 v67, v78, v79 offset0:15 offset1:16
	v_pk_mov_b32 v[78:79], v[58:59], v[52:53] op_sel:[1,0]
	ds_write2_b32 v67, v78, v79 offset0:17 offset1:18
	v_pk_mov_b32 v[78:79], v[52:53], v[44:45] op_sel:[1,0]
	ds_write2_b32 v67, v78, v79 offset0:19 offset1:20
	v_pk_mov_b32 v[78:79], v[44:45], v[34:35] op_sel:[1,0]
	ds_write2_b32 v67, v78, v79 offset0:21 offset1:22
	v_pk_mov_b32 v[78:79], v[34:35], v[54:55] op_sel:[1,0]
	ds_write2_b32 v67, v78, v79 offset0:23 offset1:24
	v_pk_mov_b32 v[78:79], v[54:55], v[46:47] op_sel:[1,0]
	ds_write2_b32 v67, v78, v79 offset0:25 offset1:26
	v_pk_mov_b32 v[78:79], v[46:47], v[36:37] op_sel:[1,0]
	ds_write2_b32 v67, v78, v79 offset0:27 offset1:28
	v_pk_mov_b32 v[78:79], v[36:37], v[24:25] op_sel:[1,0]
	ds_write2_b32 v67, v78, v79 offset0:29 offset1:30
	v_pk_mov_b32 v[78:79], v[24:25], v[48:49] op_sel:[1,0]
	ds_write2_b32 v67, v78, v79 offset0:31 offset1:32
	v_pk_mov_b32 v[78:79], v[48:49], v[38:39] op_sel:[1,0]
	ds_write2_b32 v67, v78, v79 offset0:33 offset1:34
	v_pk_mov_b32 v[78:79], v[38:39], v[26:27] op_sel:[1,0]
	ds_write2_b32 v67, v78, v79 offset0:35 offset1:36
	v_pk_mov_b32 v[78:79], v[26:27], v[18:19] op_sel:[1,0]
	ds_write2_b32 v67, v78, v79 offset0:37 offset1:38
	v_pk_mov_b32 v[78:79], v[18:19], v[40:41] op_sel:[1,0]
	ds_write2_b32 v67, v78, v79 offset0:39 offset1:40
	v_pk_mov_b32 v[78:79], v[40:41], v[30:31] op_sel:[1,0]
	ds_write2_b32 v67, v78, v79 offset0:41 offset1:42
	v_pk_mov_b32 v[78:79], v[30:31], v[20:21] op_sel:[1,0]
	ds_write2_b32 v67, v78, v79 offset0:43 offset1:44
	v_pk_mov_b32 v[78:79], v[20:21], v[12:13] op_sel:[1,0]
	ds_write2_b32 v67, v78, v79 offset0:45 offset1:46
	v_pk_mov_b32 v[78:79], v[12:13], v[32:33] op_sel:[1,0]
	ds_write2_b32 v67, v78, v79 offset0:47 offset1:48
	v_pk_mov_b32 v[78:79], v[32:33], v[22:23] op_sel:[1,0]
	ds_write2_b32 v67, v78, v79 offset0:49 offset1:50
	v_pk_mov_b32 v[78:79], v[22:23], v[14:15] op_sel:[1,0]
	ds_write2_b32 v67, v78, v79 offset0:51 offset1:52
	v_pk_mov_b32 v[78:79], v[14:15], v[0:1] op_sel:[1,0]
	ds_write2_b32 v67, v78, v79 offset0:53 offset1:54
	v_pk_mov_b32 v[78:79], v[0:1], v[28:29] op_sel:[1,0]
	ds_write2_b32 v67, v78, v79 offset0:55 offset1:56
	v_pk_mov_b32 v[78:79], v[28:29], v[16:17] op_sel:[1,0]
	ds_write2_b32 v67, v78, v79 offset0:57 offset1:58
	v_pk_mov_b32 v[78:79], v[16:17], v[10:11] op_sel:[1,0]
	ds_write2_b32 v67, v78, v79 offset0:59 offset1:60
	v_pk_mov_b32 v[78:79], v[10:11], v[8:9] op_sel:[1,0]
	v_mov_b32_e32 v75, 4
	ds_write2_b32 v67, v78, v79 offset0:61 offset1:62
	ds_write_b32 v67, v9 offset:252
.LBB126_78:
	s_or_b64 exec, exec, s[0:1]
	v_cmp_lt_i32_e32 vcc, 4, v75
	s_waitcnt lgkmcnt(0)
	s_barrier
	s_and_saveexec_b64 s[0:1], vcc
	s_cbranch_execz .LBB126_80
; %bb.79:
	ds_read_b32 v72, v67 offset:20
	ds_read2_b32 v[78:79], v67 offset0:6 offset1:7
	ds_read2_b32 v[80:81], v67 offset0:8 offset1:9
	v_mul_f32_e32 v64, v76, v64
	ds_read2_b32 v[76:77], v67 offset0:10 offset1:11
	s_waitcnt lgkmcnt(3)
	v_fma_f32 v65, -v64, v72, v65
	s_waitcnt lgkmcnt(2)
	v_pk_fma_f32 v[62:63], v[64:65], v[78:79], v[62:63] op_sel_hi:[0,1,1] neg_lo:[1,0,0] neg_hi:[1,0,0]
	s_waitcnt lgkmcnt(1)
	v_pk_fma_f32 v[60:61], v[64:65], v[80:81], v[60:61] op_sel_hi:[0,1,1] neg_lo:[1,0,0] neg_hi:[1,0,0]
	ds_read2_b32 v[78:79], v67 offset0:12 offset1:13
	ds_read2_b32 v[80:81], v67 offset0:14 offset1:15
	ds_read2_b32 v[82:83], v67 offset0:16 offset1:17
	s_waitcnt lgkmcnt(3)
	v_pk_fma_f32 v[56:57], v[64:65], v[76:77], v[56:57] op_sel_hi:[0,1,1] neg_lo:[1,0,0] neg_hi:[1,0,0]
	ds_read2_b32 v[76:77], v67 offset0:18 offset1:19
	s_waitcnt lgkmcnt(3)
	v_pk_fma_f32 v[50:51], v[64:65], v[78:79], v[50:51] op_sel_hi:[0,1,1] neg_lo:[1,0,0] neg_hi:[1,0,0]
	s_waitcnt lgkmcnt(2)
	v_pk_fma_f32 v[42:43], v[64:65], v[80:81], v[42:43] op_sel_hi:[0,1,1] neg_lo:[1,0,0] neg_hi:[1,0,0]
	s_waitcnt lgkmcnt(1)
	v_pk_fma_f32 v[58:59], v[64:65], v[82:83], v[58:59] op_sel_hi:[0,1,1] neg_lo:[1,0,0] neg_hi:[1,0,0]
	ds_read2_b32 v[78:79], v67 offset0:20 offset1:21
	ds_read2_b32 v[80:81], v67 offset0:22 offset1:23
	ds_read2_b32 v[82:83], v67 offset0:24 offset1:25
	s_waitcnt lgkmcnt(3)
	v_pk_fma_f32 v[52:53], v[64:65], v[76:77], v[52:53] op_sel_hi:[0,1,1] neg_lo:[1,0,0] neg_hi:[1,0,0]
	ds_read2_b32 v[76:77], v67 offset0:26 offset1:27
	s_waitcnt lgkmcnt(3)
	v_pk_fma_f32 v[44:45], v[64:65], v[78:79], v[44:45] op_sel_hi:[0,1,1] neg_lo:[1,0,0] neg_hi:[1,0,0]
	;; [unrolled: 12-line block ×5, first 2 shown]
	ds_read2_b32 v[78:79], v67 offset0:52 offset1:53
	s_waitcnt lgkmcnt(3)
	v_pk_fma_f32 v[12:13], v[64:65], v[80:81], v[12:13] op_sel_hi:[0,1,1] neg_lo:[1,0,0] neg_hi:[1,0,0]
	s_waitcnt lgkmcnt(2)
	v_pk_fma_f32 v[32:33], v[64:65], v[82:83], v[32:33] op_sel_hi:[0,1,1] neg_lo:[1,0,0] neg_hi:[1,0,0]
	;; [unrolled: 2-line block ×3, first 2 shown]
	ds_read2_b32 v[76:77], v67 offset0:54 offset1:55
	ds_read2_b32 v[80:81], v67 offset0:56 offset1:57
	;; [unrolled: 1-line block ×3, first 2 shown]
	s_waitcnt lgkmcnt(3)
	v_pk_fma_f32 v[14:15], v[64:65], v[78:79], v[14:15] op_sel_hi:[0,1,1] neg_lo:[1,0,0] neg_hi:[1,0,0]
	ds_read2_b32 v[78:79], v67 offset0:60 offset1:61
	ds_read2_b32 v[84:85], v67 offset0:62 offset1:63
	s_waitcnt lgkmcnt(4)
	v_pk_fma_f32 v[0:1], v[64:65], v[76:77], v[0:1] op_sel_hi:[0,1,1] neg_lo:[1,0,0] neg_hi:[1,0,0]
	s_waitcnt lgkmcnt(3)
	v_pk_fma_f32 v[28:29], v[64:65], v[80:81], v[28:29] op_sel_hi:[0,1,1] neg_lo:[1,0,0] neg_hi:[1,0,0]
	s_waitcnt lgkmcnt(2)
	v_pk_fma_f32 v[16:17], v[64:65], v[82:83], v[16:17] op_sel_hi:[0,1,1] neg_lo:[1,0,0] neg_hi:[1,0,0]
	s_waitcnt lgkmcnt(1)
	v_pk_fma_f32 v[10:11], v[64:65], v[78:79], v[10:11] op_sel_hi:[0,1,1] neg_lo:[1,0,0] neg_hi:[1,0,0]
	s_waitcnt lgkmcnt(0)
	v_pk_fma_f32 v[8:9], v[64:65], v[84:85], v[8:9] op_sel_hi:[0,1,1] neg_lo:[1,0,0] neg_hi:[1,0,0]
.LBB126_80:
	s_or_b64 exec, exec, s[0:1]
	v_lshl_add_u32 v72, v75, 2, v67
	s_barrier
	ds_write_b32 v72, v65
	s_waitcnt lgkmcnt(0)
	s_barrier
	ds_read_b32 v76, v67 offset:20
	s_cmp_lt_i32 s22, 7
	v_mov_b32_e32 v72, 5
	s_cbranch_scc1 .LBB126_83
; %bb.81:
	v_add3_u32 v77, v74, 0, 24
	v_mov_b32_e32 v72, 5
	s_mov_b32 s0, 6
.LBB126_82:                             ; =>This Inner Loop Header: Depth=1
	ds_read_b32 v78, v77
	v_mov_b32_e32 v79, s0
	s_add_i32 s0, s0, 1
	v_add_u32_e32 v77, 4, v77
	s_cmp_lg_u32 s22, s0
	s_waitcnt lgkmcnt(0)
	v_cmp_lt_f32_e64 vcc, |v76|, |v78|
	s_nop 1
	v_cndmask_b32_e32 v76, v76, v78, vcc
	v_cndmask_b32_e32 v72, v72, v79, vcc
	s_cbranch_scc1 .LBB126_82
.LBB126_83:
	s_waitcnt lgkmcnt(0)
	v_cmp_eq_f32_e32 vcc, 0, v76
	s_and_saveexec_b64 s[0:1], vcc
	s_xor_b64 s[0:1], exec, s[0:1]
; %bb.84:
	v_cmp_ne_u32_e32 vcc, 0, v71
	s_nop 1
	v_cndmask_b32_e32 v71, 6, v71, vcc
; %bb.85:
	s_andn2_saveexec_b64 s[0:1], s[0:1]
	s_cbranch_execz .LBB126_87
; %bb.86:
	v_div_scale_f32 v77, s[2:3], v76, v76, 1.0
	v_rcp_f32_e32 v78, v77
	v_div_scale_f32 v79, vcc, 1.0, v76, 1.0
	v_fma_f32 v80, -v77, v78, 1.0
	v_fmac_f32_e32 v78, v80, v78
	v_mul_f32_e32 v80, v79, v78
	v_fma_f32 v81, -v77, v80, v79
	v_fmac_f32_e32 v80, v81, v78
	v_fma_f32 v77, -v77, v80, v79
	v_div_fmas_f32 v77, v77, v78, v80
	v_div_fixup_f32 v76, v77, v76, 1.0
.LBB126_87:
	s_or_b64 exec, exec, s[0:1]
	v_cmp_ne_u32_e32 vcc, v75, v72
	s_and_saveexec_b64 s[0:1], vcc
	s_xor_b64 s[0:1], exec, s[0:1]
	s_cbranch_execz .LBB126_93
; %bb.88:
	v_cmp_eq_u32_e32 vcc, 5, v75
	s_and_saveexec_b64 s[2:3], vcc
	s_cbranch_execz .LBB126_92
; %bb.89:
	v_cmp_ne_u32_e32 vcc, 5, v72
	s_xor_b64 s[12:13], s[20:21], -1
	s_and_b64 s[14:15], s[12:13], vcc
	s_and_saveexec_b64 s[12:13], s[14:15]
	s_cbranch_execz .LBB126_91
; %bb.90:
	v_ashrrev_i32_e32 v73, 31, v72
	v_lshl_add_u64 v[78:79], v[72:73], 2, v[4:5]
	global_load_dword v73, v[78:79], off
	global_load_dword v75, v[4:5], off offset:20
	s_waitcnt vmcnt(1)
	global_store_dword v[4:5], v73, off offset:20
	s_waitcnt vmcnt(1)
	global_store_dword v[78:79], v75, off
.LBB126_91:
	s_or_b64 exec, exec, s[12:13]
	v_mov_b32_e32 v73, v72
	v_mov_b32_e32 v75, v72
.LBB126_92:
	s_or_b64 exec, exec, s[2:3]
.LBB126_93:
	s_andn2_saveexec_b64 s[0:1], s[0:1]
	s_cbranch_execz .LBB126_95
; %bb.94:
	v_mov_b32_e32 v75, 5
	ds_write2_b32 v67, v62, v63 offset0:6 offset1:7
	ds_write2_b32 v67, v60, v61 offset0:8 offset1:9
	;; [unrolled: 1-line block ×29, first 2 shown]
.LBB126_95:
	s_or_b64 exec, exec, s[0:1]
	v_cmp_lt_i32_e32 vcc, 5, v75
	s_waitcnt lgkmcnt(0)
	s_barrier
	s_and_saveexec_b64 s[0:1], vcc
	s_cbranch_execz .LBB126_97
; %bb.96:
	ds_read2_b32 v[78:79], v67 offset0:6 offset1:7
	ds_read2_b32 v[80:81], v67 offset0:8 offset1:9
	;; [unrolled: 1-line block ×3, first 2 shown]
	v_mul_f32_e32 v72, v76, v65
	ds_read2_b32 v[76:77], v67 offset0:12 offset1:13
	s_waitcnt lgkmcnt(3)
	v_pk_fma_f32 v[62:63], v[72:73], v[78:79], v[62:63] op_sel_hi:[0,1,1] neg_lo:[1,0,0] neg_hi:[1,0,0]
	s_waitcnt lgkmcnt(2)
	v_pk_fma_f32 v[60:61], v[72:73], v[80:81], v[60:61] op_sel_hi:[0,1,1] neg_lo:[1,0,0] neg_hi:[1,0,0]
	s_waitcnt lgkmcnt(1)
	v_pk_fma_f32 v[56:57], v[72:73], v[82:83], v[56:57] op_sel_hi:[0,1,1] neg_lo:[1,0,0] neg_hi:[1,0,0]
	ds_read2_b32 v[78:79], v67 offset0:14 offset1:15
	ds_read2_b32 v[80:81], v67 offset0:16 offset1:17
	ds_read2_b32 v[82:83], v67 offset0:18 offset1:19
	s_waitcnt lgkmcnt(3)
	v_pk_fma_f32 v[50:51], v[72:73], v[76:77], v[50:51] op_sel_hi:[0,1,1] neg_lo:[1,0,0] neg_hi:[1,0,0]
	ds_read2_b32 v[76:77], v67 offset0:20 offset1:21
	s_waitcnt lgkmcnt(3)
	v_pk_fma_f32 v[42:43], v[72:73], v[78:79], v[42:43] op_sel_hi:[0,1,1] neg_lo:[1,0,0] neg_hi:[1,0,0]
	s_waitcnt lgkmcnt(2)
	v_pk_fma_f32 v[58:59], v[72:73], v[80:81], v[58:59] op_sel_hi:[0,1,1] neg_lo:[1,0,0] neg_hi:[1,0,0]
	s_waitcnt lgkmcnt(1)
	v_pk_fma_f32 v[52:53], v[72:73], v[82:83], v[52:53] op_sel_hi:[0,1,1] neg_lo:[1,0,0] neg_hi:[1,0,0]
	ds_read2_b32 v[78:79], v67 offset0:22 offset1:23
	ds_read2_b32 v[80:81], v67 offset0:24 offset1:25
	ds_read2_b32 v[82:83], v67 offset0:26 offset1:27
	s_waitcnt lgkmcnt(3)
	v_pk_fma_f32 v[44:45], v[72:73], v[76:77], v[44:45] op_sel_hi:[0,1,1] neg_lo:[1,0,0] neg_hi:[1,0,0]
	;; [unrolled: 12-line block ×4, first 2 shown]
	ds_read2_b32 v[76:77], v67 offset0:44 offset1:45
	s_waitcnt lgkmcnt(3)
	v_pk_fma_f32 v[18:19], v[72:73], v[78:79], v[18:19] op_sel_hi:[0,1,1] neg_lo:[1,0,0] neg_hi:[1,0,0]
	s_waitcnt lgkmcnt(2)
	v_pk_fma_f32 v[40:41], v[72:73], v[80:81], v[40:41] op_sel_hi:[0,1,1] neg_lo:[1,0,0] neg_hi:[1,0,0]
	;; [unrolled: 2-line block ×3, first 2 shown]
	ds_read2_b32 v[78:79], v67 offset0:46 offset1:47
	ds_read2_b32 v[80:81], v67 offset0:48 offset1:49
	ds_read2_b32 v[82:83], v67 offset0:50 offset1:51
	ds_read2_b32 v[84:85], v67 offset0:52 offset1:53
	s_waitcnt lgkmcnt(4)
	v_pk_fma_f32 v[20:21], v[72:73], v[76:77], v[20:21] op_sel_hi:[0,1,1] neg_lo:[1,0,0] neg_hi:[1,0,0]
	s_waitcnt lgkmcnt(3)
	v_pk_fma_f32 v[12:13], v[72:73], v[78:79], v[12:13] op_sel_hi:[0,1,1] neg_lo:[1,0,0] neg_hi:[1,0,0]
	;; [unrolled: 2-line block ×5, first 2 shown]
	ds_read2_b32 v[76:77], v67 offset0:54 offset1:55
	ds_read2_b32 v[78:79], v67 offset0:56 offset1:57
	;; [unrolled: 1-line block ×5, first 2 shown]
	s_waitcnt lgkmcnt(4)
	v_pk_fma_f32 v[0:1], v[72:73], v[76:77], v[0:1] op_sel_hi:[0,1,1] neg_lo:[1,0,0] neg_hi:[1,0,0]
	s_waitcnt lgkmcnt(3)
	v_pk_fma_f32 v[28:29], v[72:73], v[78:79], v[28:29] op_sel_hi:[0,1,1] neg_lo:[1,0,0] neg_hi:[1,0,0]
	;; [unrolled: 2-line block ×5, first 2 shown]
	v_mov_b32_e32 v65, v72
.LBB126_97:
	s_or_b64 exec, exec, s[0:1]
	v_lshl_add_u32 v72, v75, 2, v67
	s_barrier
	ds_write_b32 v72, v62
	s_waitcnt lgkmcnt(0)
	s_barrier
	ds_read_b32 v76, v67 offset:24
	s_cmp_lt_i32 s22, 8
	v_mov_b32_e32 v72, 6
	s_cbranch_scc1 .LBB126_100
; %bb.98:
	v_add3_u32 v77, v74, 0, 28
	v_mov_b32_e32 v72, 6
	s_mov_b32 s0, 7
.LBB126_99:                             ; =>This Inner Loop Header: Depth=1
	ds_read_b32 v78, v77
	v_mov_b32_e32 v79, s0
	s_add_i32 s0, s0, 1
	v_add_u32_e32 v77, 4, v77
	s_cmp_lg_u32 s22, s0
	s_waitcnt lgkmcnt(0)
	v_cmp_lt_f32_e64 vcc, |v76|, |v78|
	s_nop 1
	v_cndmask_b32_e32 v76, v76, v78, vcc
	v_cndmask_b32_e32 v72, v72, v79, vcc
	s_cbranch_scc1 .LBB126_99
.LBB126_100:
	s_waitcnt lgkmcnt(0)
	v_cmp_eq_f32_e32 vcc, 0, v76
	s_and_saveexec_b64 s[0:1], vcc
	s_xor_b64 s[0:1], exec, s[0:1]
; %bb.101:
	v_cmp_ne_u32_e32 vcc, 0, v71
	s_nop 1
	v_cndmask_b32_e32 v71, 7, v71, vcc
; %bb.102:
	s_andn2_saveexec_b64 s[0:1], s[0:1]
	s_cbranch_execz .LBB126_104
; %bb.103:
	v_div_scale_f32 v77, s[2:3], v76, v76, 1.0
	v_rcp_f32_e32 v78, v77
	v_div_scale_f32 v79, vcc, 1.0, v76, 1.0
	v_fma_f32 v80, -v77, v78, 1.0
	v_fmac_f32_e32 v78, v80, v78
	v_mul_f32_e32 v80, v79, v78
	v_fma_f32 v81, -v77, v80, v79
	v_fmac_f32_e32 v80, v81, v78
	v_fma_f32 v77, -v77, v80, v79
	v_div_fmas_f32 v77, v77, v78, v80
	v_div_fixup_f32 v76, v77, v76, 1.0
.LBB126_104:
	s_or_b64 exec, exec, s[0:1]
	v_cmp_ne_u32_e32 vcc, v75, v72
	s_and_saveexec_b64 s[0:1], vcc
	s_xor_b64 s[0:1], exec, s[0:1]
	s_cbranch_execz .LBB126_110
; %bb.105:
	v_cmp_eq_u32_e32 vcc, 6, v75
	s_and_saveexec_b64 s[2:3], vcc
	s_cbranch_execz .LBB126_109
; %bb.106:
	v_cmp_ne_u32_e32 vcc, 6, v72
	s_xor_b64 s[12:13], s[20:21], -1
	s_and_b64 s[14:15], s[12:13], vcc
	s_and_saveexec_b64 s[12:13], s[14:15]
	s_cbranch_execz .LBB126_108
; %bb.107:
	v_ashrrev_i32_e32 v73, 31, v72
	v_lshl_add_u64 v[78:79], v[72:73], 2, v[4:5]
	global_load_dword v73, v[78:79], off
	global_load_dword v75, v[4:5], off offset:24
	s_waitcnt vmcnt(1)
	global_store_dword v[4:5], v73, off offset:24
	s_waitcnt vmcnt(1)
	global_store_dword v[78:79], v75, off
.LBB126_108:
	s_or_b64 exec, exec, s[12:13]
	v_mov_b32_e32 v73, v72
	v_mov_b32_e32 v75, v72
.LBB126_109:
	s_or_b64 exec, exec, s[2:3]
.LBB126_110:
	s_andn2_saveexec_b64 s[0:1], s[0:1]
	s_cbranch_execz .LBB126_112
; %bb.111:
	v_pk_mov_b32 v[78:79], v[62:63], v[60:61] op_sel:[1,0]
	ds_write2_b32 v67, v78, v79 offset0:7 offset1:8
	v_pk_mov_b32 v[78:79], v[60:61], v[56:57] op_sel:[1,0]
	ds_write2_b32 v67, v78, v79 offset0:9 offset1:10
	;; [unrolled: 2-line block ×27, first 2 shown]
	v_pk_mov_b32 v[78:79], v[10:11], v[8:9] op_sel:[1,0]
	v_mov_b32_e32 v75, 6
	ds_write2_b32 v67, v78, v79 offset0:61 offset1:62
	ds_write_b32 v67, v9 offset:252
.LBB126_112:
	s_or_b64 exec, exec, s[0:1]
	v_cmp_lt_i32_e32 vcc, 6, v75
	s_waitcnt lgkmcnt(0)
	s_barrier
	s_and_saveexec_b64 s[0:1], vcc
	s_cbranch_execz .LBB126_114
; %bb.113:
	ds_read_b32 v72, v67 offset:28
	ds_read2_b32 v[78:79], v67 offset0:8 offset1:9
	ds_read2_b32 v[80:81], v67 offset0:10 offset1:11
	v_mul_f32_e32 v62, v76, v62
	ds_read2_b32 v[76:77], v67 offset0:12 offset1:13
	s_waitcnt lgkmcnt(3)
	v_fma_f32 v63, -v62, v72, v63
	s_waitcnt lgkmcnt(2)
	v_pk_fma_f32 v[60:61], v[62:63], v[78:79], v[60:61] op_sel_hi:[0,1,1] neg_lo:[1,0,0] neg_hi:[1,0,0]
	s_waitcnt lgkmcnt(1)
	v_pk_fma_f32 v[56:57], v[62:63], v[80:81], v[56:57] op_sel_hi:[0,1,1] neg_lo:[1,0,0] neg_hi:[1,0,0]
	ds_read2_b32 v[78:79], v67 offset0:14 offset1:15
	ds_read2_b32 v[80:81], v67 offset0:16 offset1:17
	ds_read2_b32 v[82:83], v67 offset0:18 offset1:19
	s_waitcnt lgkmcnt(3)
	v_pk_fma_f32 v[50:51], v[62:63], v[76:77], v[50:51] op_sel_hi:[0,1,1] neg_lo:[1,0,0] neg_hi:[1,0,0]
	ds_read2_b32 v[76:77], v67 offset0:20 offset1:21
	s_waitcnt lgkmcnt(3)
	v_pk_fma_f32 v[42:43], v[62:63], v[78:79], v[42:43] op_sel_hi:[0,1,1] neg_lo:[1,0,0] neg_hi:[1,0,0]
	s_waitcnt lgkmcnt(2)
	v_pk_fma_f32 v[58:59], v[62:63], v[80:81], v[58:59] op_sel_hi:[0,1,1] neg_lo:[1,0,0] neg_hi:[1,0,0]
	s_waitcnt lgkmcnt(1)
	v_pk_fma_f32 v[52:53], v[62:63], v[82:83], v[52:53] op_sel_hi:[0,1,1] neg_lo:[1,0,0] neg_hi:[1,0,0]
	ds_read2_b32 v[78:79], v67 offset0:22 offset1:23
	ds_read2_b32 v[80:81], v67 offset0:24 offset1:25
	ds_read2_b32 v[82:83], v67 offset0:26 offset1:27
	s_waitcnt lgkmcnt(3)
	v_pk_fma_f32 v[44:45], v[62:63], v[76:77], v[44:45] op_sel_hi:[0,1,1] neg_lo:[1,0,0] neg_hi:[1,0,0]
	ds_read2_b32 v[76:77], v67 offset0:28 offset1:29
	s_waitcnt lgkmcnt(3)
	v_pk_fma_f32 v[34:35], v[62:63], v[78:79], v[34:35] op_sel_hi:[0,1,1] neg_lo:[1,0,0] neg_hi:[1,0,0]
	;; [unrolled: 12-line block ×4, first 2 shown]
	s_waitcnt lgkmcnt(2)
	v_pk_fma_f32 v[40:41], v[62:63], v[80:81], v[40:41] op_sel_hi:[0,1,1] neg_lo:[1,0,0] neg_hi:[1,0,0]
	s_waitcnt lgkmcnt(1)
	v_pk_fma_f32 v[30:31], v[62:63], v[82:83], v[30:31] op_sel_hi:[0,1,1] neg_lo:[1,0,0] neg_hi:[1,0,0]
	ds_read2_b32 v[78:79], v67 offset0:46 offset1:47
	ds_read2_b32 v[80:81], v67 offset0:48 offset1:49
	;; [unrolled: 1-line block ×4, first 2 shown]
	s_waitcnt lgkmcnt(4)
	v_pk_fma_f32 v[20:21], v[62:63], v[76:77], v[20:21] op_sel_hi:[0,1,1] neg_lo:[1,0,0] neg_hi:[1,0,0]
	s_waitcnt lgkmcnt(3)
	v_pk_fma_f32 v[12:13], v[62:63], v[78:79], v[12:13] op_sel_hi:[0,1,1] neg_lo:[1,0,0] neg_hi:[1,0,0]
	;; [unrolled: 2-line block ×5, first 2 shown]
	ds_read2_b32 v[76:77], v67 offset0:54 offset1:55
	ds_read2_b32 v[78:79], v67 offset0:56 offset1:57
	ds_read2_b32 v[80:81], v67 offset0:58 offset1:59
	ds_read2_b32 v[82:83], v67 offset0:60 offset1:61
	ds_read2_b32 v[84:85], v67 offset0:62 offset1:63
	s_waitcnt lgkmcnt(4)
	v_pk_fma_f32 v[0:1], v[62:63], v[76:77], v[0:1] op_sel_hi:[0,1,1] neg_lo:[1,0,0] neg_hi:[1,0,0]
	s_waitcnt lgkmcnt(3)
	v_pk_fma_f32 v[28:29], v[62:63], v[78:79], v[28:29] op_sel_hi:[0,1,1] neg_lo:[1,0,0] neg_hi:[1,0,0]
	;; [unrolled: 2-line block ×5, first 2 shown]
.LBB126_114:
	s_or_b64 exec, exec, s[0:1]
	v_lshl_add_u32 v72, v75, 2, v67
	s_barrier
	ds_write_b32 v72, v63
	s_waitcnt lgkmcnt(0)
	s_barrier
	ds_read_b32 v76, v67 offset:28
	s_cmp_lt_i32 s22, 9
	v_mov_b32_e32 v72, 7
	s_cbranch_scc1 .LBB126_117
; %bb.115:
	v_add3_u32 v77, v74, 0, 32
	v_mov_b32_e32 v72, 7
	s_mov_b32 s0, 8
.LBB126_116:                            ; =>This Inner Loop Header: Depth=1
	ds_read_b32 v78, v77
	v_mov_b32_e32 v79, s0
	s_add_i32 s0, s0, 1
	v_add_u32_e32 v77, 4, v77
	s_cmp_lg_u32 s22, s0
	s_waitcnt lgkmcnt(0)
	v_cmp_lt_f32_e64 vcc, |v76|, |v78|
	s_nop 1
	v_cndmask_b32_e32 v76, v76, v78, vcc
	v_cndmask_b32_e32 v72, v72, v79, vcc
	s_cbranch_scc1 .LBB126_116
.LBB126_117:
	s_waitcnt lgkmcnt(0)
	v_cmp_eq_f32_e32 vcc, 0, v76
	s_and_saveexec_b64 s[0:1], vcc
	s_xor_b64 s[0:1], exec, s[0:1]
; %bb.118:
	v_cmp_ne_u32_e32 vcc, 0, v71
	s_nop 1
	v_cndmask_b32_e32 v71, 8, v71, vcc
; %bb.119:
	s_andn2_saveexec_b64 s[0:1], s[0:1]
	s_cbranch_execz .LBB126_121
; %bb.120:
	v_div_scale_f32 v77, s[2:3], v76, v76, 1.0
	v_rcp_f32_e32 v78, v77
	v_div_scale_f32 v79, vcc, 1.0, v76, 1.0
	v_fma_f32 v80, -v77, v78, 1.0
	v_fmac_f32_e32 v78, v80, v78
	v_mul_f32_e32 v80, v79, v78
	v_fma_f32 v81, -v77, v80, v79
	v_fmac_f32_e32 v80, v81, v78
	v_fma_f32 v77, -v77, v80, v79
	v_div_fmas_f32 v77, v77, v78, v80
	v_div_fixup_f32 v76, v77, v76, 1.0
.LBB126_121:
	s_or_b64 exec, exec, s[0:1]
	v_cmp_ne_u32_e32 vcc, v75, v72
	s_and_saveexec_b64 s[0:1], vcc
	s_xor_b64 s[0:1], exec, s[0:1]
	s_cbranch_execz .LBB126_127
; %bb.122:
	v_cmp_eq_u32_e32 vcc, 7, v75
	s_and_saveexec_b64 s[2:3], vcc
	s_cbranch_execz .LBB126_126
; %bb.123:
	v_cmp_ne_u32_e32 vcc, 7, v72
	s_xor_b64 s[12:13], s[20:21], -1
	s_and_b64 s[14:15], s[12:13], vcc
	s_and_saveexec_b64 s[12:13], s[14:15]
	s_cbranch_execz .LBB126_125
; %bb.124:
	v_ashrrev_i32_e32 v73, 31, v72
	v_lshl_add_u64 v[78:79], v[72:73], 2, v[4:5]
	global_load_dword v73, v[78:79], off
	global_load_dword v75, v[4:5], off offset:28
	s_waitcnt vmcnt(1)
	global_store_dword v[4:5], v73, off offset:28
	s_waitcnt vmcnt(1)
	global_store_dword v[78:79], v75, off
.LBB126_125:
	s_or_b64 exec, exec, s[12:13]
	v_mov_b32_e32 v73, v72
	v_mov_b32_e32 v75, v72
.LBB126_126:
	s_or_b64 exec, exec, s[2:3]
.LBB126_127:
	s_andn2_saveexec_b64 s[0:1], s[0:1]
	s_cbranch_execz .LBB126_129
; %bb.128:
	v_mov_b32_e32 v75, 7
	ds_write2_b32 v67, v60, v61 offset0:8 offset1:9
	ds_write2_b32 v67, v56, v57 offset0:10 offset1:11
	;; [unrolled: 1-line block ×28, first 2 shown]
.LBB126_129:
	s_or_b64 exec, exec, s[0:1]
	v_cmp_lt_i32_e32 vcc, 7, v75
	s_waitcnt lgkmcnt(0)
	s_barrier
	s_and_saveexec_b64 s[0:1], vcc
	s_cbranch_execz .LBB126_131
; %bb.130:
	ds_read2_b32 v[78:79], v67 offset0:8 offset1:9
	ds_read2_b32 v[80:81], v67 offset0:10 offset1:11
	;; [unrolled: 1-line block ×3, first 2 shown]
	v_mul_f32_e32 v72, v76, v63
	ds_read2_b32 v[76:77], v67 offset0:14 offset1:15
	s_waitcnt lgkmcnt(3)
	v_pk_fma_f32 v[60:61], v[72:73], v[78:79], v[60:61] op_sel_hi:[0,1,1] neg_lo:[1,0,0] neg_hi:[1,0,0]
	s_waitcnt lgkmcnt(2)
	v_pk_fma_f32 v[56:57], v[72:73], v[80:81], v[56:57] op_sel_hi:[0,1,1] neg_lo:[1,0,0] neg_hi:[1,0,0]
	s_waitcnt lgkmcnt(1)
	v_pk_fma_f32 v[50:51], v[72:73], v[82:83], v[50:51] op_sel_hi:[0,1,1] neg_lo:[1,0,0] neg_hi:[1,0,0]
	ds_read2_b32 v[78:79], v67 offset0:16 offset1:17
	ds_read2_b32 v[80:81], v67 offset0:18 offset1:19
	ds_read2_b32 v[82:83], v67 offset0:20 offset1:21
	s_waitcnt lgkmcnt(3)
	v_pk_fma_f32 v[42:43], v[72:73], v[76:77], v[42:43] op_sel_hi:[0,1,1] neg_lo:[1,0,0] neg_hi:[1,0,0]
	ds_read2_b32 v[76:77], v67 offset0:22 offset1:23
	s_waitcnt lgkmcnt(3)
	v_pk_fma_f32 v[58:59], v[72:73], v[78:79], v[58:59] op_sel_hi:[0,1,1] neg_lo:[1,0,0] neg_hi:[1,0,0]
	s_waitcnt lgkmcnt(2)
	v_pk_fma_f32 v[52:53], v[72:73], v[80:81], v[52:53] op_sel_hi:[0,1,1] neg_lo:[1,0,0] neg_hi:[1,0,0]
	s_waitcnt lgkmcnt(1)
	v_pk_fma_f32 v[44:45], v[72:73], v[82:83], v[44:45] op_sel_hi:[0,1,1] neg_lo:[1,0,0] neg_hi:[1,0,0]
	ds_read2_b32 v[78:79], v67 offset0:24 offset1:25
	ds_read2_b32 v[80:81], v67 offset0:26 offset1:27
	ds_read2_b32 v[82:83], v67 offset0:28 offset1:29
	s_waitcnt lgkmcnt(3)
	v_pk_fma_f32 v[34:35], v[72:73], v[76:77], v[34:35] op_sel_hi:[0,1,1] neg_lo:[1,0,0] neg_hi:[1,0,0]
	;; [unrolled: 12-line block ×5, first 2 shown]
	ds_read2_b32 v[76:77], v67 offset0:54 offset1:55
	s_waitcnt lgkmcnt(3)
	v_pk_fma_f32 v[32:33], v[72:73], v[78:79], v[32:33] op_sel_hi:[0,1,1] neg_lo:[1,0,0] neg_hi:[1,0,0]
	s_waitcnt lgkmcnt(2)
	v_pk_fma_f32 v[22:23], v[72:73], v[80:81], v[22:23] op_sel_hi:[0,1,1] neg_lo:[1,0,0] neg_hi:[1,0,0]
	;; [unrolled: 2-line block ×3, first 2 shown]
	ds_read2_b32 v[78:79], v67 offset0:56 offset1:57
	ds_read2_b32 v[80:81], v67 offset0:58 offset1:59
	;; [unrolled: 1-line block ×4, first 2 shown]
	s_waitcnt lgkmcnt(4)
	v_pk_fma_f32 v[0:1], v[72:73], v[76:77], v[0:1] op_sel_hi:[0,1,1] neg_lo:[1,0,0] neg_hi:[1,0,0]
	s_waitcnt lgkmcnt(3)
	v_pk_fma_f32 v[28:29], v[72:73], v[78:79], v[28:29] op_sel_hi:[0,1,1] neg_lo:[1,0,0] neg_hi:[1,0,0]
	s_waitcnt lgkmcnt(2)
	v_pk_fma_f32 v[16:17], v[72:73], v[80:81], v[16:17] op_sel_hi:[0,1,1] neg_lo:[1,0,0] neg_hi:[1,0,0]
	s_waitcnt lgkmcnt(1)
	v_pk_fma_f32 v[10:11], v[72:73], v[82:83], v[10:11] op_sel_hi:[0,1,1] neg_lo:[1,0,0] neg_hi:[1,0,0]
	s_waitcnt lgkmcnt(0)
	v_pk_fma_f32 v[8:9], v[72:73], v[84:85], v[8:9] op_sel_hi:[0,1,1] neg_lo:[1,0,0] neg_hi:[1,0,0]
	v_mov_b32_e32 v63, v72
.LBB126_131:
	s_or_b64 exec, exec, s[0:1]
	v_lshl_add_u32 v72, v75, 2, v67
	s_barrier
	ds_write_b32 v72, v60
	s_waitcnt lgkmcnt(0)
	s_barrier
	ds_read_b32 v76, v67 offset:32
	s_cmp_lt_i32 s22, 10
	v_mov_b32_e32 v72, 8
	s_cbranch_scc1 .LBB126_134
; %bb.132:
	v_add3_u32 v77, v74, 0, 36
	v_mov_b32_e32 v72, 8
	s_mov_b32 s0, 9
.LBB126_133:                            ; =>This Inner Loop Header: Depth=1
	ds_read_b32 v78, v77
	v_mov_b32_e32 v79, s0
	s_add_i32 s0, s0, 1
	v_add_u32_e32 v77, 4, v77
	s_cmp_lg_u32 s22, s0
	s_waitcnt lgkmcnt(0)
	v_cmp_lt_f32_e64 vcc, |v76|, |v78|
	s_nop 1
	v_cndmask_b32_e32 v76, v76, v78, vcc
	v_cndmask_b32_e32 v72, v72, v79, vcc
	s_cbranch_scc1 .LBB126_133
.LBB126_134:
	s_waitcnt lgkmcnt(0)
	v_cmp_eq_f32_e32 vcc, 0, v76
	s_and_saveexec_b64 s[0:1], vcc
	s_xor_b64 s[0:1], exec, s[0:1]
; %bb.135:
	v_cmp_ne_u32_e32 vcc, 0, v71
	s_nop 1
	v_cndmask_b32_e32 v71, 9, v71, vcc
; %bb.136:
	s_andn2_saveexec_b64 s[0:1], s[0:1]
	s_cbranch_execz .LBB126_138
; %bb.137:
	v_div_scale_f32 v77, s[2:3], v76, v76, 1.0
	v_rcp_f32_e32 v78, v77
	v_div_scale_f32 v79, vcc, 1.0, v76, 1.0
	v_fma_f32 v80, -v77, v78, 1.0
	v_fmac_f32_e32 v78, v80, v78
	v_mul_f32_e32 v80, v79, v78
	v_fma_f32 v81, -v77, v80, v79
	v_fmac_f32_e32 v80, v81, v78
	v_fma_f32 v77, -v77, v80, v79
	v_div_fmas_f32 v77, v77, v78, v80
	v_div_fixup_f32 v76, v77, v76, 1.0
.LBB126_138:
	s_or_b64 exec, exec, s[0:1]
	v_cmp_ne_u32_e32 vcc, v75, v72
	s_and_saveexec_b64 s[0:1], vcc
	s_xor_b64 s[0:1], exec, s[0:1]
	s_cbranch_execz .LBB126_144
; %bb.139:
	v_cmp_eq_u32_e32 vcc, 8, v75
	s_and_saveexec_b64 s[2:3], vcc
	s_cbranch_execz .LBB126_143
; %bb.140:
	v_cmp_ne_u32_e32 vcc, 8, v72
	s_xor_b64 s[12:13], s[20:21], -1
	s_and_b64 s[14:15], s[12:13], vcc
	s_and_saveexec_b64 s[12:13], s[14:15]
	s_cbranch_execz .LBB126_142
; %bb.141:
	v_ashrrev_i32_e32 v73, 31, v72
	v_lshl_add_u64 v[78:79], v[72:73], 2, v[4:5]
	global_load_dword v73, v[78:79], off
	global_load_dword v75, v[4:5], off offset:32
	s_waitcnt vmcnt(1)
	global_store_dword v[4:5], v73, off offset:32
	s_waitcnt vmcnt(1)
	global_store_dword v[78:79], v75, off
.LBB126_142:
	s_or_b64 exec, exec, s[12:13]
	v_mov_b32_e32 v73, v72
	v_mov_b32_e32 v75, v72
.LBB126_143:
	s_or_b64 exec, exec, s[2:3]
.LBB126_144:
	s_andn2_saveexec_b64 s[0:1], s[0:1]
	s_cbranch_execz .LBB126_146
; %bb.145:
	v_pk_mov_b32 v[78:79], v[60:61], v[56:57] op_sel:[1,0]
	ds_write2_b32 v67, v78, v79 offset0:9 offset1:10
	v_pk_mov_b32 v[78:79], v[56:57], v[50:51] op_sel:[1,0]
	ds_write2_b32 v67, v78, v79 offset0:11 offset1:12
	;; [unrolled: 2-line block ×26, first 2 shown]
	v_pk_mov_b32 v[78:79], v[10:11], v[8:9] op_sel:[1,0]
	v_mov_b32_e32 v75, 8
	ds_write2_b32 v67, v78, v79 offset0:61 offset1:62
	ds_write_b32 v67, v9 offset:252
.LBB126_146:
	s_or_b64 exec, exec, s[0:1]
	v_cmp_lt_i32_e32 vcc, 8, v75
	s_waitcnt lgkmcnt(0)
	s_barrier
	s_and_saveexec_b64 s[0:1], vcc
	s_cbranch_execz .LBB126_148
; %bb.147:
	ds_read_b32 v72, v67 offset:36
	ds_read2_b32 v[78:79], v67 offset0:10 offset1:11
	ds_read2_b32 v[80:81], v67 offset0:12 offset1:13
	v_mul_f32_e32 v60, v76, v60
	ds_read2_b32 v[76:77], v67 offset0:14 offset1:15
	s_waitcnt lgkmcnt(3)
	v_fma_f32 v61, -v60, v72, v61
	s_waitcnt lgkmcnt(2)
	v_pk_fma_f32 v[56:57], v[60:61], v[78:79], v[56:57] op_sel_hi:[0,1,1] neg_lo:[1,0,0] neg_hi:[1,0,0]
	s_waitcnt lgkmcnt(1)
	v_pk_fma_f32 v[50:51], v[60:61], v[80:81], v[50:51] op_sel_hi:[0,1,1] neg_lo:[1,0,0] neg_hi:[1,0,0]
	ds_read2_b32 v[78:79], v67 offset0:16 offset1:17
	ds_read2_b32 v[80:81], v67 offset0:18 offset1:19
	ds_read2_b32 v[82:83], v67 offset0:20 offset1:21
	s_waitcnt lgkmcnt(3)
	v_pk_fma_f32 v[42:43], v[60:61], v[76:77], v[42:43] op_sel_hi:[0,1,1] neg_lo:[1,0,0] neg_hi:[1,0,0]
	ds_read2_b32 v[76:77], v67 offset0:22 offset1:23
	s_waitcnt lgkmcnt(3)
	v_pk_fma_f32 v[58:59], v[60:61], v[78:79], v[58:59] op_sel_hi:[0,1,1] neg_lo:[1,0,0] neg_hi:[1,0,0]
	s_waitcnt lgkmcnt(2)
	v_pk_fma_f32 v[52:53], v[60:61], v[80:81], v[52:53] op_sel_hi:[0,1,1] neg_lo:[1,0,0] neg_hi:[1,0,0]
	s_waitcnt lgkmcnt(1)
	v_pk_fma_f32 v[44:45], v[60:61], v[82:83], v[44:45] op_sel_hi:[0,1,1] neg_lo:[1,0,0] neg_hi:[1,0,0]
	ds_read2_b32 v[78:79], v67 offset0:24 offset1:25
	ds_read2_b32 v[80:81], v67 offset0:26 offset1:27
	ds_read2_b32 v[82:83], v67 offset0:28 offset1:29
	s_waitcnt lgkmcnt(3)
	v_pk_fma_f32 v[34:35], v[60:61], v[76:77], v[34:35] op_sel_hi:[0,1,1] neg_lo:[1,0,0] neg_hi:[1,0,0]
	ds_read2_b32 v[76:77], v67 offset0:30 offset1:31
	s_waitcnt lgkmcnt(3)
	v_pk_fma_f32 v[54:55], v[60:61], v[78:79], v[54:55] op_sel_hi:[0,1,1] neg_lo:[1,0,0] neg_hi:[1,0,0]
	;; [unrolled: 12-line block ×5, first 2 shown]
	s_waitcnt lgkmcnt(2)
	v_pk_fma_f32 v[22:23], v[60:61], v[80:81], v[22:23] op_sel_hi:[0,1,1] neg_lo:[1,0,0] neg_hi:[1,0,0]
	s_waitcnt lgkmcnt(1)
	v_pk_fma_f32 v[14:15], v[60:61], v[82:83], v[14:15] op_sel_hi:[0,1,1] neg_lo:[1,0,0] neg_hi:[1,0,0]
	ds_read2_b32 v[78:79], v67 offset0:56 offset1:57
	ds_read2_b32 v[80:81], v67 offset0:58 offset1:59
	;; [unrolled: 1-line block ×4, first 2 shown]
	s_waitcnt lgkmcnt(4)
	v_pk_fma_f32 v[0:1], v[60:61], v[76:77], v[0:1] op_sel_hi:[0,1,1] neg_lo:[1,0,0] neg_hi:[1,0,0]
	s_waitcnt lgkmcnt(3)
	v_pk_fma_f32 v[28:29], v[60:61], v[78:79], v[28:29] op_sel_hi:[0,1,1] neg_lo:[1,0,0] neg_hi:[1,0,0]
	;; [unrolled: 2-line block ×5, first 2 shown]
.LBB126_148:
	s_or_b64 exec, exec, s[0:1]
	v_lshl_add_u32 v72, v75, 2, v67
	s_barrier
	ds_write_b32 v72, v61
	s_waitcnt lgkmcnt(0)
	s_barrier
	ds_read_b32 v76, v67 offset:36
	s_cmp_lt_i32 s22, 11
	v_mov_b32_e32 v72, 9
	s_cbranch_scc1 .LBB126_151
; %bb.149:
	v_add3_u32 v77, v74, 0, 40
	v_mov_b32_e32 v72, 9
	s_mov_b32 s0, 10
.LBB126_150:                            ; =>This Inner Loop Header: Depth=1
	ds_read_b32 v78, v77
	v_mov_b32_e32 v79, s0
	s_add_i32 s0, s0, 1
	v_add_u32_e32 v77, 4, v77
	s_cmp_lg_u32 s22, s0
	s_waitcnt lgkmcnt(0)
	v_cmp_lt_f32_e64 vcc, |v76|, |v78|
	s_nop 1
	v_cndmask_b32_e32 v76, v76, v78, vcc
	v_cndmask_b32_e32 v72, v72, v79, vcc
	s_cbranch_scc1 .LBB126_150
.LBB126_151:
	s_waitcnt lgkmcnt(0)
	v_cmp_eq_f32_e32 vcc, 0, v76
	s_and_saveexec_b64 s[0:1], vcc
	s_xor_b64 s[0:1], exec, s[0:1]
; %bb.152:
	v_cmp_ne_u32_e32 vcc, 0, v71
	s_nop 1
	v_cndmask_b32_e32 v71, 10, v71, vcc
; %bb.153:
	s_andn2_saveexec_b64 s[0:1], s[0:1]
	s_cbranch_execz .LBB126_155
; %bb.154:
	v_div_scale_f32 v77, s[2:3], v76, v76, 1.0
	v_rcp_f32_e32 v78, v77
	v_div_scale_f32 v79, vcc, 1.0, v76, 1.0
	v_fma_f32 v80, -v77, v78, 1.0
	v_fmac_f32_e32 v78, v80, v78
	v_mul_f32_e32 v80, v79, v78
	v_fma_f32 v81, -v77, v80, v79
	v_fmac_f32_e32 v80, v81, v78
	v_fma_f32 v77, -v77, v80, v79
	v_div_fmas_f32 v77, v77, v78, v80
	v_div_fixup_f32 v76, v77, v76, 1.0
.LBB126_155:
	s_or_b64 exec, exec, s[0:1]
	v_cmp_ne_u32_e32 vcc, v75, v72
	s_and_saveexec_b64 s[0:1], vcc
	s_xor_b64 s[0:1], exec, s[0:1]
	s_cbranch_execz .LBB126_161
; %bb.156:
	v_cmp_eq_u32_e32 vcc, 9, v75
	s_and_saveexec_b64 s[2:3], vcc
	s_cbranch_execz .LBB126_160
; %bb.157:
	v_cmp_ne_u32_e32 vcc, 9, v72
	s_xor_b64 s[12:13], s[20:21], -1
	s_and_b64 s[14:15], s[12:13], vcc
	s_and_saveexec_b64 s[12:13], s[14:15]
	s_cbranch_execz .LBB126_159
; %bb.158:
	v_ashrrev_i32_e32 v73, 31, v72
	v_lshl_add_u64 v[78:79], v[72:73], 2, v[4:5]
	global_load_dword v73, v[78:79], off
	global_load_dword v75, v[4:5], off offset:36
	s_waitcnt vmcnt(1)
	global_store_dword v[4:5], v73, off offset:36
	s_waitcnt vmcnt(1)
	global_store_dword v[78:79], v75, off
.LBB126_159:
	s_or_b64 exec, exec, s[12:13]
	v_mov_b32_e32 v73, v72
	v_mov_b32_e32 v75, v72
.LBB126_160:
	s_or_b64 exec, exec, s[2:3]
.LBB126_161:
	s_andn2_saveexec_b64 s[0:1], s[0:1]
	s_cbranch_execz .LBB126_163
; %bb.162:
	v_mov_b32_e32 v75, 9
	ds_write2_b32 v67, v56, v57 offset0:10 offset1:11
	ds_write2_b32 v67, v50, v51 offset0:12 offset1:13
	;; [unrolled: 1-line block ×27, first 2 shown]
.LBB126_163:
	s_or_b64 exec, exec, s[0:1]
	v_cmp_lt_i32_e32 vcc, 9, v75
	s_waitcnt lgkmcnt(0)
	s_barrier
	s_and_saveexec_b64 s[0:1], vcc
	s_cbranch_execz .LBB126_165
; %bb.164:
	ds_read2_b32 v[78:79], v67 offset0:10 offset1:11
	ds_read2_b32 v[80:81], v67 offset0:12 offset1:13
	;; [unrolled: 1-line block ×3, first 2 shown]
	v_mul_f32_e32 v72, v76, v61
	ds_read2_b32 v[76:77], v67 offset0:16 offset1:17
	s_waitcnt lgkmcnt(3)
	v_pk_fma_f32 v[56:57], v[72:73], v[78:79], v[56:57] op_sel_hi:[0,1,1] neg_lo:[1,0,0] neg_hi:[1,0,0]
	s_waitcnt lgkmcnt(2)
	v_pk_fma_f32 v[50:51], v[72:73], v[80:81], v[50:51] op_sel_hi:[0,1,1] neg_lo:[1,0,0] neg_hi:[1,0,0]
	s_waitcnt lgkmcnt(1)
	v_pk_fma_f32 v[42:43], v[72:73], v[82:83], v[42:43] op_sel_hi:[0,1,1] neg_lo:[1,0,0] neg_hi:[1,0,0]
	ds_read2_b32 v[78:79], v67 offset0:18 offset1:19
	ds_read2_b32 v[80:81], v67 offset0:20 offset1:21
	ds_read2_b32 v[82:83], v67 offset0:22 offset1:23
	s_waitcnt lgkmcnt(3)
	v_pk_fma_f32 v[58:59], v[72:73], v[76:77], v[58:59] op_sel_hi:[0,1,1] neg_lo:[1,0,0] neg_hi:[1,0,0]
	ds_read2_b32 v[76:77], v67 offset0:24 offset1:25
	s_waitcnt lgkmcnt(3)
	v_pk_fma_f32 v[52:53], v[72:73], v[78:79], v[52:53] op_sel_hi:[0,1,1] neg_lo:[1,0,0] neg_hi:[1,0,0]
	s_waitcnt lgkmcnt(2)
	v_pk_fma_f32 v[44:45], v[72:73], v[80:81], v[44:45] op_sel_hi:[0,1,1] neg_lo:[1,0,0] neg_hi:[1,0,0]
	s_waitcnt lgkmcnt(1)
	v_pk_fma_f32 v[34:35], v[72:73], v[82:83], v[34:35] op_sel_hi:[0,1,1] neg_lo:[1,0,0] neg_hi:[1,0,0]
	ds_read2_b32 v[78:79], v67 offset0:26 offset1:27
	ds_read2_b32 v[80:81], v67 offset0:28 offset1:29
	ds_read2_b32 v[82:83], v67 offset0:30 offset1:31
	s_waitcnt lgkmcnt(3)
	v_pk_fma_f32 v[54:55], v[72:73], v[76:77], v[54:55] op_sel_hi:[0,1,1] neg_lo:[1,0,0] neg_hi:[1,0,0]
	;; [unrolled: 12-line block ×4, first 2 shown]
	ds_read2_b32 v[76:77], v67 offset0:48 offset1:49
	s_waitcnt lgkmcnt(3)
	v_pk_fma_f32 v[30:31], v[72:73], v[78:79], v[30:31] op_sel_hi:[0,1,1] neg_lo:[1,0,0] neg_hi:[1,0,0]
	s_waitcnt lgkmcnt(2)
	v_pk_fma_f32 v[20:21], v[72:73], v[80:81], v[20:21] op_sel_hi:[0,1,1] neg_lo:[1,0,0] neg_hi:[1,0,0]
	ds_read2_b32 v[78:79], v67 offset0:50 offset1:51
	ds_read2_b32 v[80:81], v67 offset0:52 offset1:53
	s_waitcnt lgkmcnt(3)
	v_pk_fma_f32 v[12:13], v[72:73], v[82:83], v[12:13] op_sel_hi:[0,1,1] neg_lo:[1,0,0] neg_hi:[1,0,0]
	s_waitcnt lgkmcnt(2)
	v_pk_fma_f32 v[32:33], v[72:73], v[76:77], v[32:33] op_sel_hi:[0,1,1] neg_lo:[1,0,0] neg_hi:[1,0,0]
	ds_read2_b32 v[76:77], v67 offset0:54 offset1:55
	;; [unrolled: 6-line block ×3, first 2 shown]
	ds_read2_b32 v[80:81], v67 offset0:60 offset1:61
	ds_read2_b32 v[84:85], v67 offset0:62 offset1:63
	s_waitcnt lgkmcnt(4)
	v_pk_fma_f32 v[0:1], v[72:73], v[76:77], v[0:1] op_sel_hi:[0,1,1] neg_lo:[1,0,0] neg_hi:[1,0,0]
	s_waitcnt lgkmcnt(3)
	v_pk_fma_f32 v[28:29], v[72:73], v[82:83], v[28:29] op_sel_hi:[0,1,1] neg_lo:[1,0,0] neg_hi:[1,0,0]
	;; [unrolled: 2-line block ×5, first 2 shown]
	v_mov_b32_e32 v61, v72
.LBB126_165:
	s_or_b64 exec, exec, s[0:1]
	v_lshl_add_u32 v72, v75, 2, v67
	s_barrier
	ds_write_b32 v72, v56
	s_waitcnt lgkmcnt(0)
	s_barrier
	ds_read_b32 v76, v67 offset:40
	s_cmp_lt_i32 s22, 12
	v_mov_b32_e32 v72, 10
	s_cbranch_scc1 .LBB126_168
; %bb.166:
	v_add3_u32 v77, v74, 0, 44
	v_mov_b32_e32 v72, 10
	s_mov_b32 s0, 11
.LBB126_167:                            ; =>This Inner Loop Header: Depth=1
	ds_read_b32 v78, v77
	v_mov_b32_e32 v79, s0
	s_add_i32 s0, s0, 1
	v_add_u32_e32 v77, 4, v77
	s_cmp_lg_u32 s22, s0
	s_waitcnt lgkmcnt(0)
	v_cmp_lt_f32_e64 vcc, |v76|, |v78|
	s_nop 1
	v_cndmask_b32_e32 v76, v76, v78, vcc
	v_cndmask_b32_e32 v72, v72, v79, vcc
	s_cbranch_scc1 .LBB126_167
.LBB126_168:
	s_waitcnt lgkmcnt(0)
	v_cmp_eq_f32_e32 vcc, 0, v76
	s_and_saveexec_b64 s[0:1], vcc
	s_xor_b64 s[0:1], exec, s[0:1]
; %bb.169:
	v_cmp_ne_u32_e32 vcc, 0, v71
	s_nop 1
	v_cndmask_b32_e32 v71, 11, v71, vcc
; %bb.170:
	s_andn2_saveexec_b64 s[0:1], s[0:1]
	s_cbranch_execz .LBB126_172
; %bb.171:
	v_div_scale_f32 v77, s[2:3], v76, v76, 1.0
	v_rcp_f32_e32 v78, v77
	v_div_scale_f32 v79, vcc, 1.0, v76, 1.0
	v_fma_f32 v80, -v77, v78, 1.0
	v_fmac_f32_e32 v78, v80, v78
	v_mul_f32_e32 v80, v79, v78
	v_fma_f32 v81, -v77, v80, v79
	v_fmac_f32_e32 v80, v81, v78
	v_fma_f32 v77, -v77, v80, v79
	v_div_fmas_f32 v77, v77, v78, v80
	v_div_fixup_f32 v76, v77, v76, 1.0
.LBB126_172:
	s_or_b64 exec, exec, s[0:1]
	v_cmp_ne_u32_e32 vcc, v75, v72
	s_and_saveexec_b64 s[0:1], vcc
	s_xor_b64 s[0:1], exec, s[0:1]
	s_cbranch_execz .LBB126_178
; %bb.173:
	v_cmp_eq_u32_e32 vcc, 10, v75
	s_and_saveexec_b64 s[2:3], vcc
	s_cbranch_execz .LBB126_177
; %bb.174:
	v_cmp_ne_u32_e32 vcc, 10, v72
	s_xor_b64 s[12:13], s[20:21], -1
	s_and_b64 s[14:15], s[12:13], vcc
	s_and_saveexec_b64 s[12:13], s[14:15]
	s_cbranch_execz .LBB126_176
; %bb.175:
	v_ashrrev_i32_e32 v73, 31, v72
	v_lshl_add_u64 v[78:79], v[72:73], 2, v[4:5]
	global_load_dword v73, v[78:79], off
	global_load_dword v75, v[4:5], off offset:40
	s_waitcnt vmcnt(1)
	global_store_dword v[4:5], v73, off offset:40
	s_waitcnt vmcnt(1)
	global_store_dword v[78:79], v75, off
.LBB126_176:
	s_or_b64 exec, exec, s[12:13]
	v_mov_b32_e32 v73, v72
	v_mov_b32_e32 v75, v72
.LBB126_177:
	s_or_b64 exec, exec, s[2:3]
.LBB126_178:
	s_andn2_saveexec_b64 s[0:1], s[0:1]
	s_cbranch_execz .LBB126_180
; %bb.179:
	v_pk_mov_b32 v[78:79], v[56:57], v[50:51] op_sel:[1,0]
	ds_write2_b32 v67, v78, v79 offset0:11 offset1:12
	v_pk_mov_b32 v[78:79], v[50:51], v[42:43] op_sel:[1,0]
	ds_write2_b32 v67, v78, v79 offset0:13 offset1:14
	;; [unrolled: 2-line block ×25, first 2 shown]
	v_pk_mov_b32 v[78:79], v[10:11], v[8:9] op_sel:[1,0]
	v_mov_b32_e32 v75, 10
	ds_write2_b32 v67, v78, v79 offset0:61 offset1:62
	ds_write_b32 v67, v9 offset:252
.LBB126_180:
	s_or_b64 exec, exec, s[0:1]
	v_cmp_lt_i32_e32 vcc, 10, v75
	s_waitcnt lgkmcnt(0)
	s_barrier
	s_and_saveexec_b64 s[0:1], vcc
	s_cbranch_execz .LBB126_182
; %bb.181:
	ds_read_b32 v72, v67 offset:44
	ds_read2_b32 v[78:79], v67 offset0:12 offset1:13
	ds_read2_b32 v[80:81], v67 offset0:14 offset1:15
	v_mul_f32_e32 v56, v76, v56
	ds_read2_b32 v[76:77], v67 offset0:16 offset1:17
	s_waitcnt lgkmcnt(3)
	v_fma_f32 v57, -v56, v72, v57
	s_waitcnt lgkmcnt(2)
	v_pk_fma_f32 v[50:51], v[56:57], v[78:79], v[50:51] op_sel_hi:[0,1,1] neg_lo:[1,0,0] neg_hi:[1,0,0]
	s_waitcnt lgkmcnt(1)
	v_pk_fma_f32 v[42:43], v[56:57], v[80:81], v[42:43] op_sel_hi:[0,1,1] neg_lo:[1,0,0] neg_hi:[1,0,0]
	ds_read2_b32 v[78:79], v67 offset0:18 offset1:19
	ds_read2_b32 v[80:81], v67 offset0:20 offset1:21
	ds_read2_b32 v[82:83], v67 offset0:22 offset1:23
	s_waitcnt lgkmcnt(3)
	v_pk_fma_f32 v[58:59], v[56:57], v[76:77], v[58:59] op_sel_hi:[0,1,1] neg_lo:[1,0,0] neg_hi:[1,0,0]
	ds_read2_b32 v[76:77], v67 offset0:24 offset1:25
	s_waitcnt lgkmcnt(3)
	v_pk_fma_f32 v[52:53], v[56:57], v[78:79], v[52:53] op_sel_hi:[0,1,1] neg_lo:[1,0,0] neg_hi:[1,0,0]
	s_waitcnt lgkmcnt(2)
	v_pk_fma_f32 v[44:45], v[56:57], v[80:81], v[44:45] op_sel_hi:[0,1,1] neg_lo:[1,0,0] neg_hi:[1,0,0]
	s_waitcnt lgkmcnt(1)
	v_pk_fma_f32 v[34:35], v[56:57], v[82:83], v[34:35] op_sel_hi:[0,1,1] neg_lo:[1,0,0] neg_hi:[1,0,0]
	ds_read2_b32 v[78:79], v67 offset0:26 offset1:27
	ds_read2_b32 v[80:81], v67 offset0:28 offset1:29
	ds_read2_b32 v[82:83], v67 offset0:30 offset1:31
	s_waitcnt lgkmcnt(3)
	v_pk_fma_f32 v[54:55], v[56:57], v[76:77], v[54:55] op_sel_hi:[0,1,1] neg_lo:[1,0,0] neg_hi:[1,0,0]
	ds_read2_b32 v[76:77], v67 offset0:32 offset1:33
	s_waitcnt lgkmcnt(3)
	v_pk_fma_f32 v[46:47], v[56:57], v[78:79], v[46:47] op_sel_hi:[0,1,1] neg_lo:[1,0,0] neg_hi:[1,0,0]
	;; [unrolled: 12-line block ×4, first 2 shown]
	s_waitcnt lgkmcnt(2)
	v_pk_fma_f32 v[20:21], v[56:57], v[80:81], v[20:21] op_sel_hi:[0,1,1] neg_lo:[1,0,0] neg_hi:[1,0,0]
	ds_read2_b32 v[78:79], v67 offset0:50 offset1:51
	ds_read2_b32 v[80:81], v67 offset0:52 offset1:53
	s_waitcnt lgkmcnt(3)
	v_pk_fma_f32 v[12:13], v[56:57], v[82:83], v[12:13] op_sel_hi:[0,1,1] neg_lo:[1,0,0] neg_hi:[1,0,0]
	s_waitcnt lgkmcnt(2)
	v_pk_fma_f32 v[32:33], v[56:57], v[76:77], v[32:33] op_sel_hi:[0,1,1] neg_lo:[1,0,0] neg_hi:[1,0,0]
	ds_read2_b32 v[76:77], v67 offset0:54 offset1:55
	ds_read2_b32 v[82:83], v67 offset0:56 offset1:57
	s_waitcnt lgkmcnt(3)
	v_pk_fma_f32 v[22:23], v[56:57], v[78:79], v[22:23] op_sel_hi:[0,1,1] neg_lo:[1,0,0] neg_hi:[1,0,0]
	s_waitcnt lgkmcnt(2)
	v_pk_fma_f32 v[14:15], v[56:57], v[80:81], v[14:15] op_sel_hi:[0,1,1] neg_lo:[1,0,0] neg_hi:[1,0,0]
	ds_read2_b32 v[78:79], v67 offset0:58 offset1:59
	ds_read2_b32 v[80:81], v67 offset0:60 offset1:61
	ds_read2_b32 v[84:85], v67 offset0:62 offset1:63
	s_waitcnt lgkmcnt(4)
	v_pk_fma_f32 v[0:1], v[56:57], v[76:77], v[0:1] op_sel_hi:[0,1,1] neg_lo:[1,0,0] neg_hi:[1,0,0]
	s_waitcnt lgkmcnt(3)
	v_pk_fma_f32 v[28:29], v[56:57], v[82:83], v[28:29] op_sel_hi:[0,1,1] neg_lo:[1,0,0] neg_hi:[1,0,0]
	;; [unrolled: 2-line block ×5, first 2 shown]
.LBB126_182:
	s_or_b64 exec, exec, s[0:1]
	v_lshl_add_u32 v72, v75, 2, v67
	s_barrier
	ds_write_b32 v72, v57
	s_waitcnt lgkmcnt(0)
	s_barrier
	ds_read_b32 v76, v67 offset:44
	s_cmp_lt_i32 s22, 13
	v_mov_b32_e32 v72, 11
	s_cbranch_scc1 .LBB126_185
; %bb.183:
	v_add3_u32 v77, v74, 0, 48
	v_mov_b32_e32 v72, 11
	s_mov_b32 s0, 12
.LBB126_184:                            ; =>This Inner Loop Header: Depth=1
	ds_read_b32 v78, v77
	v_mov_b32_e32 v79, s0
	s_add_i32 s0, s0, 1
	v_add_u32_e32 v77, 4, v77
	s_cmp_lg_u32 s22, s0
	s_waitcnt lgkmcnt(0)
	v_cmp_lt_f32_e64 vcc, |v76|, |v78|
	s_nop 1
	v_cndmask_b32_e32 v76, v76, v78, vcc
	v_cndmask_b32_e32 v72, v72, v79, vcc
	s_cbranch_scc1 .LBB126_184
.LBB126_185:
	s_waitcnt lgkmcnt(0)
	v_cmp_eq_f32_e32 vcc, 0, v76
	s_and_saveexec_b64 s[0:1], vcc
	s_xor_b64 s[0:1], exec, s[0:1]
; %bb.186:
	v_cmp_ne_u32_e32 vcc, 0, v71
	s_nop 1
	v_cndmask_b32_e32 v71, 12, v71, vcc
; %bb.187:
	s_andn2_saveexec_b64 s[0:1], s[0:1]
	s_cbranch_execz .LBB126_189
; %bb.188:
	v_div_scale_f32 v77, s[2:3], v76, v76, 1.0
	v_rcp_f32_e32 v78, v77
	v_div_scale_f32 v79, vcc, 1.0, v76, 1.0
	v_fma_f32 v80, -v77, v78, 1.0
	v_fmac_f32_e32 v78, v80, v78
	v_mul_f32_e32 v80, v79, v78
	v_fma_f32 v81, -v77, v80, v79
	v_fmac_f32_e32 v80, v81, v78
	v_fma_f32 v77, -v77, v80, v79
	v_div_fmas_f32 v77, v77, v78, v80
	v_div_fixup_f32 v76, v77, v76, 1.0
.LBB126_189:
	s_or_b64 exec, exec, s[0:1]
	v_cmp_ne_u32_e32 vcc, v75, v72
	s_and_saveexec_b64 s[0:1], vcc
	s_xor_b64 s[0:1], exec, s[0:1]
	s_cbranch_execz .LBB126_195
; %bb.190:
	v_cmp_eq_u32_e32 vcc, 11, v75
	s_and_saveexec_b64 s[2:3], vcc
	s_cbranch_execz .LBB126_194
; %bb.191:
	v_cmp_ne_u32_e32 vcc, 11, v72
	s_xor_b64 s[12:13], s[20:21], -1
	s_and_b64 s[14:15], s[12:13], vcc
	s_and_saveexec_b64 s[12:13], s[14:15]
	s_cbranch_execz .LBB126_193
; %bb.192:
	v_ashrrev_i32_e32 v73, 31, v72
	v_lshl_add_u64 v[78:79], v[72:73], 2, v[4:5]
	global_load_dword v73, v[78:79], off
	global_load_dword v75, v[4:5], off offset:44
	s_waitcnt vmcnt(1)
	global_store_dword v[4:5], v73, off offset:44
	s_waitcnt vmcnt(1)
	global_store_dword v[78:79], v75, off
.LBB126_193:
	s_or_b64 exec, exec, s[12:13]
	v_mov_b32_e32 v73, v72
	v_mov_b32_e32 v75, v72
.LBB126_194:
	s_or_b64 exec, exec, s[2:3]
.LBB126_195:
	s_andn2_saveexec_b64 s[0:1], s[0:1]
	s_cbranch_execz .LBB126_197
; %bb.196:
	v_mov_b32_e32 v75, 11
	ds_write2_b32 v67, v50, v51 offset0:12 offset1:13
	ds_write2_b32 v67, v42, v43 offset0:14 offset1:15
	;; [unrolled: 1-line block ×26, first 2 shown]
.LBB126_197:
	s_or_b64 exec, exec, s[0:1]
	v_cmp_lt_i32_e32 vcc, 11, v75
	s_waitcnt lgkmcnt(0)
	s_barrier
	s_and_saveexec_b64 s[0:1], vcc
	s_cbranch_execz .LBB126_199
; %bb.198:
	ds_read2_b32 v[78:79], v67 offset0:12 offset1:13
	ds_read2_b32 v[80:81], v67 offset0:14 offset1:15
	;; [unrolled: 1-line block ×3, first 2 shown]
	v_mul_f32_e32 v72, v76, v57
	ds_read2_b32 v[76:77], v67 offset0:18 offset1:19
	s_waitcnt lgkmcnt(3)
	v_pk_fma_f32 v[50:51], v[72:73], v[78:79], v[50:51] op_sel_hi:[0,1,1] neg_lo:[1,0,0] neg_hi:[1,0,0]
	s_waitcnt lgkmcnt(2)
	v_pk_fma_f32 v[42:43], v[72:73], v[80:81], v[42:43] op_sel_hi:[0,1,1] neg_lo:[1,0,0] neg_hi:[1,0,0]
	s_waitcnt lgkmcnt(1)
	v_pk_fma_f32 v[58:59], v[72:73], v[82:83], v[58:59] op_sel_hi:[0,1,1] neg_lo:[1,0,0] neg_hi:[1,0,0]
	ds_read2_b32 v[78:79], v67 offset0:20 offset1:21
	ds_read2_b32 v[80:81], v67 offset0:22 offset1:23
	ds_read2_b32 v[82:83], v67 offset0:24 offset1:25
	s_waitcnt lgkmcnt(3)
	v_pk_fma_f32 v[52:53], v[72:73], v[76:77], v[52:53] op_sel_hi:[0,1,1] neg_lo:[1,0,0] neg_hi:[1,0,0]
	ds_read2_b32 v[76:77], v67 offset0:26 offset1:27
	s_waitcnt lgkmcnt(3)
	v_pk_fma_f32 v[44:45], v[72:73], v[78:79], v[44:45] op_sel_hi:[0,1,1] neg_lo:[1,0,0] neg_hi:[1,0,0]
	s_waitcnt lgkmcnt(2)
	v_pk_fma_f32 v[34:35], v[72:73], v[80:81], v[34:35] op_sel_hi:[0,1,1] neg_lo:[1,0,0] neg_hi:[1,0,0]
	s_waitcnt lgkmcnt(1)
	v_pk_fma_f32 v[54:55], v[72:73], v[82:83], v[54:55] op_sel_hi:[0,1,1] neg_lo:[1,0,0] neg_hi:[1,0,0]
	ds_read2_b32 v[78:79], v67 offset0:28 offset1:29
	ds_read2_b32 v[80:81], v67 offset0:30 offset1:31
	ds_read2_b32 v[82:83], v67 offset0:32 offset1:33
	s_waitcnt lgkmcnt(3)
	v_pk_fma_f32 v[46:47], v[72:73], v[76:77], v[46:47] op_sel_hi:[0,1,1] neg_lo:[1,0,0] neg_hi:[1,0,0]
	;; [unrolled: 12-line block ×4, first 2 shown]
	ds_read2_b32 v[76:77], v67 offset0:50 offset1:51
	s_waitcnt lgkmcnt(3)
	v_pk_fma_f32 v[20:21], v[72:73], v[78:79], v[20:21] op_sel_hi:[0,1,1] neg_lo:[1,0,0] neg_hi:[1,0,0]
	ds_read2_b32 v[78:79], v67 offset0:52 offset1:53
	s_waitcnt lgkmcnt(3)
	v_pk_fma_f32 v[12:13], v[72:73], v[80:81], v[12:13] op_sel_hi:[0,1,1] neg_lo:[1,0,0] neg_hi:[1,0,0]
	s_waitcnt lgkmcnt(2)
	v_pk_fma_f32 v[32:33], v[72:73], v[82:83], v[32:33] op_sel_hi:[0,1,1] neg_lo:[1,0,0] neg_hi:[1,0,0]
	;; [unrolled: 2-line block ×3, first 2 shown]
	ds_read2_b32 v[76:77], v67 offset0:54 offset1:55
	ds_read2_b32 v[80:81], v67 offset0:56 offset1:57
	;; [unrolled: 1-line block ×3, first 2 shown]
	s_waitcnt lgkmcnt(3)
	v_pk_fma_f32 v[14:15], v[72:73], v[78:79], v[14:15] op_sel_hi:[0,1,1] neg_lo:[1,0,0] neg_hi:[1,0,0]
	ds_read2_b32 v[78:79], v67 offset0:60 offset1:61
	ds_read2_b32 v[84:85], v67 offset0:62 offset1:63
	s_waitcnt lgkmcnt(4)
	v_pk_fma_f32 v[0:1], v[72:73], v[76:77], v[0:1] op_sel_hi:[0,1,1] neg_lo:[1,0,0] neg_hi:[1,0,0]
	s_waitcnt lgkmcnt(3)
	v_pk_fma_f32 v[28:29], v[72:73], v[80:81], v[28:29] op_sel_hi:[0,1,1] neg_lo:[1,0,0] neg_hi:[1,0,0]
	;; [unrolled: 2-line block ×5, first 2 shown]
	v_mov_b32_e32 v57, v72
.LBB126_199:
	s_or_b64 exec, exec, s[0:1]
	v_lshl_add_u32 v72, v75, 2, v67
	s_barrier
	ds_write_b32 v72, v50
	s_waitcnt lgkmcnt(0)
	s_barrier
	ds_read_b32 v76, v67 offset:48
	s_cmp_lt_i32 s22, 14
	v_mov_b32_e32 v72, 12
	s_cbranch_scc1 .LBB126_202
; %bb.200:
	v_add3_u32 v77, v74, 0, 52
	v_mov_b32_e32 v72, 12
	s_mov_b32 s0, 13
.LBB126_201:                            ; =>This Inner Loop Header: Depth=1
	ds_read_b32 v78, v77
	v_mov_b32_e32 v79, s0
	s_add_i32 s0, s0, 1
	v_add_u32_e32 v77, 4, v77
	s_cmp_lg_u32 s22, s0
	s_waitcnt lgkmcnt(0)
	v_cmp_lt_f32_e64 vcc, |v76|, |v78|
	s_nop 1
	v_cndmask_b32_e32 v76, v76, v78, vcc
	v_cndmask_b32_e32 v72, v72, v79, vcc
	s_cbranch_scc1 .LBB126_201
.LBB126_202:
	s_waitcnt lgkmcnt(0)
	v_cmp_eq_f32_e32 vcc, 0, v76
	s_and_saveexec_b64 s[0:1], vcc
	s_xor_b64 s[0:1], exec, s[0:1]
; %bb.203:
	v_cmp_ne_u32_e32 vcc, 0, v71
	s_nop 1
	v_cndmask_b32_e32 v71, 13, v71, vcc
; %bb.204:
	s_andn2_saveexec_b64 s[0:1], s[0:1]
	s_cbranch_execz .LBB126_206
; %bb.205:
	v_div_scale_f32 v77, s[2:3], v76, v76, 1.0
	v_rcp_f32_e32 v78, v77
	v_div_scale_f32 v79, vcc, 1.0, v76, 1.0
	v_fma_f32 v80, -v77, v78, 1.0
	v_fmac_f32_e32 v78, v80, v78
	v_mul_f32_e32 v80, v79, v78
	v_fma_f32 v81, -v77, v80, v79
	v_fmac_f32_e32 v80, v81, v78
	v_fma_f32 v77, -v77, v80, v79
	v_div_fmas_f32 v77, v77, v78, v80
	v_div_fixup_f32 v76, v77, v76, 1.0
.LBB126_206:
	s_or_b64 exec, exec, s[0:1]
	v_cmp_ne_u32_e32 vcc, v75, v72
	s_and_saveexec_b64 s[0:1], vcc
	s_xor_b64 s[0:1], exec, s[0:1]
	s_cbranch_execz .LBB126_212
; %bb.207:
	v_cmp_eq_u32_e32 vcc, 12, v75
	s_and_saveexec_b64 s[2:3], vcc
	s_cbranch_execz .LBB126_211
; %bb.208:
	v_cmp_ne_u32_e32 vcc, 12, v72
	s_xor_b64 s[12:13], s[20:21], -1
	s_and_b64 s[14:15], s[12:13], vcc
	s_and_saveexec_b64 s[12:13], s[14:15]
	s_cbranch_execz .LBB126_210
; %bb.209:
	v_ashrrev_i32_e32 v73, 31, v72
	v_lshl_add_u64 v[78:79], v[72:73], 2, v[4:5]
	global_load_dword v73, v[78:79], off
	global_load_dword v75, v[4:5], off offset:48
	s_waitcnt vmcnt(1)
	global_store_dword v[4:5], v73, off offset:48
	s_waitcnt vmcnt(1)
	global_store_dword v[78:79], v75, off
.LBB126_210:
	s_or_b64 exec, exec, s[12:13]
	v_mov_b32_e32 v73, v72
	v_mov_b32_e32 v75, v72
.LBB126_211:
	s_or_b64 exec, exec, s[2:3]
.LBB126_212:
	s_andn2_saveexec_b64 s[0:1], s[0:1]
	s_cbranch_execz .LBB126_214
; %bb.213:
	v_pk_mov_b32 v[78:79], v[50:51], v[42:43] op_sel:[1,0]
	ds_write2_b32 v67, v78, v79 offset0:13 offset1:14
	v_pk_mov_b32 v[78:79], v[42:43], v[58:59] op_sel:[1,0]
	ds_write2_b32 v67, v78, v79 offset0:15 offset1:16
	;; [unrolled: 2-line block ×24, first 2 shown]
	v_pk_mov_b32 v[78:79], v[10:11], v[8:9] op_sel:[1,0]
	v_mov_b32_e32 v75, 12
	ds_write2_b32 v67, v78, v79 offset0:61 offset1:62
	ds_write_b32 v67, v9 offset:252
.LBB126_214:
	s_or_b64 exec, exec, s[0:1]
	v_cmp_lt_i32_e32 vcc, 12, v75
	s_waitcnt lgkmcnt(0)
	s_barrier
	s_and_saveexec_b64 s[0:1], vcc
	s_cbranch_execz .LBB126_216
; %bb.215:
	ds_read_b32 v72, v67 offset:52
	ds_read2_b32 v[78:79], v67 offset0:14 offset1:15
	ds_read2_b32 v[80:81], v67 offset0:16 offset1:17
	v_mul_f32_e32 v50, v76, v50
	ds_read2_b32 v[76:77], v67 offset0:18 offset1:19
	s_waitcnt lgkmcnt(3)
	v_fma_f32 v51, -v50, v72, v51
	s_waitcnt lgkmcnt(2)
	v_pk_fma_f32 v[42:43], v[50:51], v[78:79], v[42:43] op_sel_hi:[0,1,1] neg_lo:[1,0,0] neg_hi:[1,0,0]
	s_waitcnt lgkmcnt(1)
	v_pk_fma_f32 v[58:59], v[50:51], v[80:81], v[58:59] op_sel_hi:[0,1,1] neg_lo:[1,0,0] neg_hi:[1,0,0]
	ds_read2_b32 v[78:79], v67 offset0:20 offset1:21
	ds_read2_b32 v[80:81], v67 offset0:22 offset1:23
	ds_read2_b32 v[82:83], v67 offset0:24 offset1:25
	s_waitcnt lgkmcnt(3)
	v_pk_fma_f32 v[52:53], v[50:51], v[76:77], v[52:53] op_sel_hi:[0,1,1] neg_lo:[1,0,0] neg_hi:[1,0,0]
	ds_read2_b32 v[76:77], v67 offset0:26 offset1:27
	s_waitcnt lgkmcnt(3)
	v_pk_fma_f32 v[44:45], v[50:51], v[78:79], v[44:45] op_sel_hi:[0,1,1] neg_lo:[1,0,0] neg_hi:[1,0,0]
	s_waitcnt lgkmcnt(2)
	v_pk_fma_f32 v[34:35], v[50:51], v[80:81], v[34:35] op_sel_hi:[0,1,1] neg_lo:[1,0,0] neg_hi:[1,0,0]
	s_waitcnt lgkmcnt(1)
	v_pk_fma_f32 v[54:55], v[50:51], v[82:83], v[54:55] op_sel_hi:[0,1,1] neg_lo:[1,0,0] neg_hi:[1,0,0]
	ds_read2_b32 v[78:79], v67 offset0:28 offset1:29
	ds_read2_b32 v[80:81], v67 offset0:30 offset1:31
	ds_read2_b32 v[82:83], v67 offset0:32 offset1:33
	s_waitcnt lgkmcnt(3)
	v_pk_fma_f32 v[46:47], v[50:51], v[76:77], v[46:47] op_sel_hi:[0,1,1] neg_lo:[1,0,0] neg_hi:[1,0,0]
	ds_read2_b32 v[76:77], v67 offset0:34 offset1:35
	s_waitcnt lgkmcnt(3)
	v_pk_fma_f32 v[36:37], v[50:51], v[78:79], v[36:37] op_sel_hi:[0,1,1] neg_lo:[1,0,0] neg_hi:[1,0,0]
	;; [unrolled: 12-line block ×4, first 2 shown]
	ds_read2_b32 v[78:79], v67 offset0:52 offset1:53
	s_waitcnt lgkmcnt(3)
	v_pk_fma_f32 v[12:13], v[50:51], v[80:81], v[12:13] op_sel_hi:[0,1,1] neg_lo:[1,0,0] neg_hi:[1,0,0]
	s_waitcnt lgkmcnt(2)
	v_pk_fma_f32 v[32:33], v[50:51], v[82:83], v[32:33] op_sel_hi:[0,1,1] neg_lo:[1,0,0] neg_hi:[1,0,0]
	;; [unrolled: 2-line block ×3, first 2 shown]
	ds_read2_b32 v[76:77], v67 offset0:54 offset1:55
	ds_read2_b32 v[80:81], v67 offset0:56 offset1:57
	;; [unrolled: 1-line block ×3, first 2 shown]
	s_waitcnt lgkmcnt(3)
	v_pk_fma_f32 v[14:15], v[50:51], v[78:79], v[14:15] op_sel_hi:[0,1,1] neg_lo:[1,0,0] neg_hi:[1,0,0]
	ds_read2_b32 v[78:79], v67 offset0:60 offset1:61
	ds_read2_b32 v[84:85], v67 offset0:62 offset1:63
	s_waitcnt lgkmcnt(4)
	v_pk_fma_f32 v[0:1], v[50:51], v[76:77], v[0:1] op_sel_hi:[0,1,1] neg_lo:[1,0,0] neg_hi:[1,0,0]
	s_waitcnt lgkmcnt(3)
	v_pk_fma_f32 v[28:29], v[50:51], v[80:81], v[28:29] op_sel_hi:[0,1,1] neg_lo:[1,0,0] neg_hi:[1,0,0]
	;; [unrolled: 2-line block ×5, first 2 shown]
.LBB126_216:
	s_or_b64 exec, exec, s[0:1]
	v_lshl_add_u32 v72, v75, 2, v67
	s_barrier
	ds_write_b32 v72, v51
	s_waitcnt lgkmcnt(0)
	s_barrier
	ds_read_b32 v76, v67 offset:52
	s_cmp_lt_i32 s22, 15
	v_mov_b32_e32 v72, 13
	s_cbranch_scc1 .LBB126_219
; %bb.217:
	v_add3_u32 v77, v74, 0, 56
	v_mov_b32_e32 v72, 13
	s_mov_b32 s0, 14
.LBB126_218:                            ; =>This Inner Loop Header: Depth=1
	ds_read_b32 v78, v77
	v_mov_b32_e32 v79, s0
	s_add_i32 s0, s0, 1
	v_add_u32_e32 v77, 4, v77
	s_cmp_lg_u32 s22, s0
	s_waitcnt lgkmcnt(0)
	v_cmp_lt_f32_e64 vcc, |v76|, |v78|
	s_nop 1
	v_cndmask_b32_e32 v76, v76, v78, vcc
	v_cndmask_b32_e32 v72, v72, v79, vcc
	s_cbranch_scc1 .LBB126_218
.LBB126_219:
	s_waitcnt lgkmcnt(0)
	v_cmp_eq_f32_e32 vcc, 0, v76
	s_and_saveexec_b64 s[0:1], vcc
	s_xor_b64 s[0:1], exec, s[0:1]
; %bb.220:
	v_cmp_ne_u32_e32 vcc, 0, v71
	s_nop 1
	v_cndmask_b32_e32 v71, 14, v71, vcc
; %bb.221:
	s_andn2_saveexec_b64 s[0:1], s[0:1]
	s_cbranch_execz .LBB126_223
; %bb.222:
	v_div_scale_f32 v77, s[2:3], v76, v76, 1.0
	v_rcp_f32_e32 v78, v77
	v_div_scale_f32 v79, vcc, 1.0, v76, 1.0
	v_fma_f32 v80, -v77, v78, 1.0
	v_fmac_f32_e32 v78, v80, v78
	v_mul_f32_e32 v80, v79, v78
	v_fma_f32 v81, -v77, v80, v79
	v_fmac_f32_e32 v80, v81, v78
	v_fma_f32 v77, -v77, v80, v79
	v_div_fmas_f32 v77, v77, v78, v80
	v_div_fixup_f32 v76, v77, v76, 1.0
.LBB126_223:
	s_or_b64 exec, exec, s[0:1]
	v_cmp_ne_u32_e32 vcc, v75, v72
	s_and_saveexec_b64 s[0:1], vcc
	s_xor_b64 s[0:1], exec, s[0:1]
	s_cbranch_execz .LBB126_229
; %bb.224:
	v_cmp_eq_u32_e32 vcc, 13, v75
	s_and_saveexec_b64 s[2:3], vcc
	s_cbranch_execz .LBB126_228
; %bb.225:
	v_cmp_ne_u32_e32 vcc, 13, v72
	s_xor_b64 s[12:13], s[20:21], -1
	s_and_b64 s[14:15], s[12:13], vcc
	s_and_saveexec_b64 s[12:13], s[14:15]
	s_cbranch_execz .LBB126_227
; %bb.226:
	v_ashrrev_i32_e32 v73, 31, v72
	v_lshl_add_u64 v[78:79], v[72:73], 2, v[4:5]
	global_load_dword v73, v[78:79], off
	global_load_dword v75, v[4:5], off offset:52
	s_waitcnt vmcnt(1)
	global_store_dword v[4:5], v73, off offset:52
	s_waitcnt vmcnt(1)
	global_store_dword v[78:79], v75, off
.LBB126_227:
	s_or_b64 exec, exec, s[12:13]
	v_mov_b32_e32 v73, v72
	v_mov_b32_e32 v75, v72
.LBB126_228:
	s_or_b64 exec, exec, s[2:3]
.LBB126_229:
	s_andn2_saveexec_b64 s[0:1], s[0:1]
	s_cbranch_execz .LBB126_231
; %bb.230:
	v_mov_b32_e32 v75, 13
	ds_write2_b32 v67, v42, v43 offset0:14 offset1:15
	ds_write2_b32 v67, v58, v59 offset0:16 offset1:17
	;; [unrolled: 1-line block ×25, first 2 shown]
.LBB126_231:
	s_or_b64 exec, exec, s[0:1]
	v_cmp_lt_i32_e32 vcc, 13, v75
	s_waitcnt lgkmcnt(0)
	s_barrier
	s_and_saveexec_b64 s[0:1], vcc
	s_cbranch_execz .LBB126_233
; %bb.232:
	ds_read2_b32 v[78:79], v67 offset0:14 offset1:15
	ds_read2_b32 v[80:81], v67 offset0:16 offset1:17
	;; [unrolled: 1-line block ×3, first 2 shown]
	v_mul_f32_e32 v72, v76, v51
	ds_read2_b32 v[76:77], v67 offset0:20 offset1:21
	s_waitcnt lgkmcnt(3)
	v_pk_fma_f32 v[42:43], v[72:73], v[78:79], v[42:43] op_sel_hi:[0,1,1] neg_lo:[1,0,0] neg_hi:[1,0,0]
	s_waitcnt lgkmcnt(2)
	v_pk_fma_f32 v[58:59], v[72:73], v[80:81], v[58:59] op_sel_hi:[0,1,1] neg_lo:[1,0,0] neg_hi:[1,0,0]
	s_waitcnt lgkmcnt(1)
	v_pk_fma_f32 v[52:53], v[72:73], v[82:83], v[52:53] op_sel_hi:[0,1,1] neg_lo:[1,0,0] neg_hi:[1,0,0]
	ds_read2_b32 v[78:79], v67 offset0:22 offset1:23
	ds_read2_b32 v[80:81], v67 offset0:24 offset1:25
	ds_read2_b32 v[82:83], v67 offset0:26 offset1:27
	s_waitcnt lgkmcnt(3)
	v_pk_fma_f32 v[44:45], v[72:73], v[76:77], v[44:45] op_sel_hi:[0,1,1] neg_lo:[1,0,0] neg_hi:[1,0,0]
	ds_read2_b32 v[76:77], v67 offset0:28 offset1:29
	s_waitcnt lgkmcnt(3)
	v_pk_fma_f32 v[34:35], v[72:73], v[78:79], v[34:35] op_sel_hi:[0,1,1] neg_lo:[1,0,0] neg_hi:[1,0,0]
	s_waitcnt lgkmcnt(2)
	v_pk_fma_f32 v[54:55], v[72:73], v[80:81], v[54:55] op_sel_hi:[0,1,1] neg_lo:[1,0,0] neg_hi:[1,0,0]
	s_waitcnt lgkmcnt(1)
	v_pk_fma_f32 v[46:47], v[72:73], v[82:83], v[46:47] op_sel_hi:[0,1,1] neg_lo:[1,0,0] neg_hi:[1,0,0]
	ds_read2_b32 v[78:79], v67 offset0:30 offset1:31
	ds_read2_b32 v[80:81], v67 offset0:32 offset1:33
	ds_read2_b32 v[82:83], v67 offset0:34 offset1:35
	s_waitcnt lgkmcnt(3)
	v_pk_fma_f32 v[36:37], v[72:73], v[76:77], v[36:37] op_sel_hi:[0,1,1] neg_lo:[1,0,0] neg_hi:[1,0,0]
	;; [unrolled: 12-line block ×3, first 2 shown]
	ds_read2_b32 v[76:77], v67 offset0:44 offset1:45
	s_waitcnt lgkmcnt(3)
	v_pk_fma_f32 v[18:19], v[72:73], v[78:79], v[18:19] op_sel_hi:[0,1,1] neg_lo:[1,0,0] neg_hi:[1,0,0]
	s_waitcnt lgkmcnt(2)
	v_pk_fma_f32 v[40:41], v[72:73], v[80:81], v[40:41] op_sel_hi:[0,1,1] neg_lo:[1,0,0] neg_hi:[1,0,0]
	s_waitcnt lgkmcnt(1)
	v_pk_fma_f32 v[30:31], v[72:73], v[82:83], v[30:31] op_sel_hi:[0,1,1] neg_lo:[1,0,0] neg_hi:[1,0,0]
	ds_read2_b32 v[78:79], v67 offset0:46 offset1:47
	ds_read2_b32 v[80:81], v67 offset0:48 offset1:49
	;; [unrolled: 1-line block ×4, first 2 shown]
	s_waitcnt lgkmcnt(4)
	v_pk_fma_f32 v[20:21], v[72:73], v[76:77], v[20:21] op_sel_hi:[0,1,1] neg_lo:[1,0,0] neg_hi:[1,0,0]
	s_waitcnt lgkmcnt(3)
	v_pk_fma_f32 v[12:13], v[72:73], v[78:79], v[12:13] op_sel_hi:[0,1,1] neg_lo:[1,0,0] neg_hi:[1,0,0]
	;; [unrolled: 2-line block ×5, first 2 shown]
	ds_read2_b32 v[76:77], v67 offset0:54 offset1:55
	ds_read2_b32 v[78:79], v67 offset0:56 offset1:57
	;; [unrolled: 1-line block ×5, first 2 shown]
	s_waitcnt lgkmcnt(4)
	v_pk_fma_f32 v[0:1], v[72:73], v[76:77], v[0:1] op_sel_hi:[0,1,1] neg_lo:[1,0,0] neg_hi:[1,0,0]
	s_waitcnt lgkmcnt(3)
	v_pk_fma_f32 v[28:29], v[72:73], v[78:79], v[28:29] op_sel_hi:[0,1,1] neg_lo:[1,0,0] neg_hi:[1,0,0]
	;; [unrolled: 2-line block ×5, first 2 shown]
	v_mov_b32_e32 v51, v72
.LBB126_233:
	s_or_b64 exec, exec, s[0:1]
	v_lshl_add_u32 v72, v75, 2, v67
	s_barrier
	ds_write_b32 v72, v42
	s_waitcnt lgkmcnt(0)
	s_barrier
	ds_read_b32 v76, v67 offset:56
	s_cmp_lt_i32 s22, 16
	v_mov_b32_e32 v72, 14
	s_cbranch_scc1 .LBB126_236
; %bb.234:
	v_add3_u32 v77, v74, 0, 60
	v_mov_b32_e32 v72, 14
	s_mov_b32 s0, 15
.LBB126_235:                            ; =>This Inner Loop Header: Depth=1
	ds_read_b32 v78, v77
	v_mov_b32_e32 v79, s0
	s_add_i32 s0, s0, 1
	v_add_u32_e32 v77, 4, v77
	s_cmp_lg_u32 s22, s0
	s_waitcnt lgkmcnt(0)
	v_cmp_lt_f32_e64 vcc, |v76|, |v78|
	s_nop 1
	v_cndmask_b32_e32 v76, v76, v78, vcc
	v_cndmask_b32_e32 v72, v72, v79, vcc
	s_cbranch_scc1 .LBB126_235
.LBB126_236:
	s_waitcnt lgkmcnt(0)
	v_cmp_eq_f32_e32 vcc, 0, v76
	s_and_saveexec_b64 s[0:1], vcc
	s_xor_b64 s[0:1], exec, s[0:1]
; %bb.237:
	v_cmp_ne_u32_e32 vcc, 0, v71
	s_nop 1
	v_cndmask_b32_e32 v71, 15, v71, vcc
; %bb.238:
	s_andn2_saveexec_b64 s[0:1], s[0:1]
	s_cbranch_execz .LBB126_240
; %bb.239:
	v_div_scale_f32 v77, s[2:3], v76, v76, 1.0
	v_rcp_f32_e32 v78, v77
	v_div_scale_f32 v79, vcc, 1.0, v76, 1.0
	v_fma_f32 v80, -v77, v78, 1.0
	v_fmac_f32_e32 v78, v80, v78
	v_mul_f32_e32 v80, v79, v78
	v_fma_f32 v81, -v77, v80, v79
	v_fmac_f32_e32 v80, v81, v78
	v_fma_f32 v77, -v77, v80, v79
	v_div_fmas_f32 v77, v77, v78, v80
	v_div_fixup_f32 v76, v77, v76, 1.0
.LBB126_240:
	s_or_b64 exec, exec, s[0:1]
	v_cmp_ne_u32_e32 vcc, v75, v72
	s_and_saveexec_b64 s[0:1], vcc
	s_xor_b64 s[0:1], exec, s[0:1]
	s_cbranch_execz .LBB126_246
; %bb.241:
	v_cmp_eq_u32_e32 vcc, 14, v75
	s_and_saveexec_b64 s[2:3], vcc
	s_cbranch_execz .LBB126_245
; %bb.242:
	v_cmp_ne_u32_e32 vcc, 14, v72
	s_xor_b64 s[12:13], s[20:21], -1
	s_and_b64 s[14:15], s[12:13], vcc
	s_and_saveexec_b64 s[12:13], s[14:15]
	s_cbranch_execz .LBB126_244
; %bb.243:
	v_ashrrev_i32_e32 v73, 31, v72
	v_lshl_add_u64 v[78:79], v[72:73], 2, v[4:5]
	global_load_dword v73, v[78:79], off
	global_load_dword v75, v[4:5], off offset:56
	s_waitcnt vmcnt(1)
	global_store_dword v[4:5], v73, off offset:56
	s_waitcnt vmcnt(1)
	global_store_dword v[78:79], v75, off
.LBB126_244:
	s_or_b64 exec, exec, s[12:13]
	v_mov_b32_e32 v73, v72
	v_mov_b32_e32 v75, v72
.LBB126_245:
	s_or_b64 exec, exec, s[2:3]
.LBB126_246:
	s_andn2_saveexec_b64 s[0:1], s[0:1]
	s_cbranch_execz .LBB126_248
; %bb.247:
	v_pk_mov_b32 v[78:79], v[42:43], v[58:59] op_sel:[1,0]
	ds_write2_b32 v67, v78, v79 offset0:15 offset1:16
	v_pk_mov_b32 v[78:79], v[58:59], v[52:53] op_sel:[1,0]
	ds_write2_b32 v67, v78, v79 offset0:17 offset1:18
	;; [unrolled: 2-line block ×23, first 2 shown]
	v_pk_mov_b32 v[78:79], v[10:11], v[8:9] op_sel:[1,0]
	v_mov_b32_e32 v75, 14
	ds_write2_b32 v67, v78, v79 offset0:61 offset1:62
	ds_write_b32 v67, v9 offset:252
.LBB126_248:
	s_or_b64 exec, exec, s[0:1]
	v_cmp_lt_i32_e32 vcc, 14, v75
	s_waitcnt lgkmcnt(0)
	s_barrier
	s_and_saveexec_b64 s[0:1], vcc
	s_cbranch_execz .LBB126_250
; %bb.249:
	ds_read_b32 v72, v67 offset:60
	ds_read2_b32 v[78:79], v67 offset0:16 offset1:17
	ds_read2_b32 v[80:81], v67 offset0:18 offset1:19
	v_mul_f32_e32 v42, v76, v42
	ds_read2_b32 v[76:77], v67 offset0:20 offset1:21
	s_waitcnt lgkmcnt(3)
	v_fma_f32 v43, -v42, v72, v43
	s_waitcnt lgkmcnt(2)
	v_pk_fma_f32 v[58:59], v[42:43], v[78:79], v[58:59] op_sel_hi:[0,1,1] neg_lo:[1,0,0] neg_hi:[1,0,0]
	s_waitcnt lgkmcnt(1)
	v_pk_fma_f32 v[52:53], v[42:43], v[80:81], v[52:53] op_sel_hi:[0,1,1] neg_lo:[1,0,0] neg_hi:[1,0,0]
	ds_read2_b32 v[78:79], v67 offset0:22 offset1:23
	ds_read2_b32 v[80:81], v67 offset0:24 offset1:25
	ds_read2_b32 v[82:83], v67 offset0:26 offset1:27
	s_waitcnt lgkmcnt(3)
	v_pk_fma_f32 v[44:45], v[42:43], v[76:77], v[44:45] op_sel_hi:[0,1,1] neg_lo:[1,0,0] neg_hi:[1,0,0]
	ds_read2_b32 v[76:77], v67 offset0:28 offset1:29
	s_waitcnt lgkmcnt(3)
	v_pk_fma_f32 v[34:35], v[42:43], v[78:79], v[34:35] op_sel_hi:[0,1,1] neg_lo:[1,0,0] neg_hi:[1,0,0]
	s_waitcnt lgkmcnt(2)
	v_pk_fma_f32 v[54:55], v[42:43], v[80:81], v[54:55] op_sel_hi:[0,1,1] neg_lo:[1,0,0] neg_hi:[1,0,0]
	s_waitcnt lgkmcnt(1)
	v_pk_fma_f32 v[46:47], v[42:43], v[82:83], v[46:47] op_sel_hi:[0,1,1] neg_lo:[1,0,0] neg_hi:[1,0,0]
	ds_read2_b32 v[78:79], v67 offset0:30 offset1:31
	ds_read2_b32 v[80:81], v67 offset0:32 offset1:33
	ds_read2_b32 v[82:83], v67 offset0:34 offset1:35
	s_waitcnt lgkmcnt(3)
	v_pk_fma_f32 v[36:37], v[42:43], v[76:77], v[36:37] op_sel_hi:[0,1,1] neg_lo:[1,0,0] neg_hi:[1,0,0]
	ds_read2_b32 v[76:77], v67 offset0:36 offset1:37
	s_waitcnt lgkmcnt(3)
	v_pk_fma_f32 v[24:25], v[42:43], v[78:79], v[24:25] op_sel_hi:[0,1,1] neg_lo:[1,0,0] neg_hi:[1,0,0]
	s_waitcnt lgkmcnt(2)
	v_pk_fma_f32 v[48:49], v[42:43], v[80:81], v[48:49] op_sel_hi:[0,1,1] neg_lo:[1,0,0] neg_hi:[1,0,0]
	s_waitcnt lgkmcnt(1)
	v_pk_fma_f32 v[38:39], v[42:43], v[82:83], v[38:39] op_sel_hi:[0,1,1] neg_lo:[1,0,0] neg_hi:[1,0,0]
	ds_read2_b32 v[78:79], v67 offset0:38 offset1:39
	ds_read2_b32 v[80:81], v67 offset0:40 offset1:41
	ds_read2_b32 v[82:83], v67 offset0:42 offset1:43
	s_waitcnt lgkmcnt(3)
	v_pk_fma_f32 v[26:27], v[42:43], v[76:77], v[26:27] op_sel_hi:[0,1,1] neg_lo:[1,0,0] neg_hi:[1,0,0]
	ds_read2_b32 v[76:77], v67 offset0:44 offset1:45
	s_waitcnt lgkmcnt(3)
	v_pk_fma_f32 v[18:19], v[42:43], v[78:79], v[18:19] op_sel_hi:[0,1,1] neg_lo:[1,0,0] neg_hi:[1,0,0]
	s_waitcnt lgkmcnt(2)
	v_pk_fma_f32 v[40:41], v[42:43], v[80:81], v[40:41] op_sel_hi:[0,1,1] neg_lo:[1,0,0] neg_hi:[1,0,0]
	s_waitcnt lgkmcnt(1)
	v_pk_fma_f32 v[30:31], v[42:43], v[82:83], v[30:31] op_sel_hi:[0,1,1] neg_lo:[1,0,0] neg_hi:[1,0,0]
	ds_read2_b32 v[78:79], v67 offset0:46 offset1:47
	ds_read2_b32 v[80:81], v67 offset0:48 offset1:49
	;; [unrolled: 1-line block ×4, first 2 shown]
	s_waitcnt lgkmcnt(4)
	v_pk_fma_f32 v[20:21], v[42:43], v[76:77], v[20:21] op_sel_hi:[0,1,1] neg_lo:[1,0,0] neg_hi:[1,0,0]
	s_waitcnt lgkmcnt(3)
	v_pk_fma_f32 v[12:13], v[42:43], v[78:79], v[12:13] op_sel_hi:[0,1,1] neg_lo:[1,0,0] neg_hi:[1,0,0]
	;; [unrolled: 2-line block ×5, first 2 shown]
	ds_read2_b32 v[76:77], v67 offset0:54 offset1:55
	ds_read2_b32 v[78:79], v67 offset0:56 offset1:57
	;; [unrolled: 1-line block ×5, first 2 shown]
	s_waitcnt lgkmcnt(4)
	v_pk_fma_f32 v[0:1], v[42:43], v[76:77], v[0:1] op_sel_hi:[0,1,1] neg_lo:[1,0,0] neg_hi:[1,0,0]
	s_waitcnt lgkmcnt(3)
	v_pk_fma_f32 v[28:29], v[42:43], v[78:79], v[28:29] op_sel_hi:[0,1,1] neg_lo:[1,0,0] neg_hi:[1,0,0]
	s_waitcnt lgkmcnt(2)
	v_pk_fma_f32 v[16:17], v[42:43], v[80:81], v[16:17] op_sel_hi:[0,1,1] neg_lo:[1,0,0] neg_hi:[1,0,0]
	s_waitcnt lgkmcnt(1)
	v_pk_fma_f32 v[10:11], v[42:43], v[82:83], v[10:11] op_sel_hi:[0,1,1] neg_lo:[1,0,0] neg_hi:[1,0,0]
	s_waitcnt lgkmcnt(0)
	v_pk_fma_f32 v[8:9], v[42:43], v[84:85], v[8:9] op_sel_hi:[0,1,1] neg_lo:[1,0,0] neg_hi:[1,0,0]
.LBB126_250:
	s_or_b64 exec, exec, s[0:1]
	v_lshl_add_u32 v72, v75, 2, v67
	s_barrier
	ds_write_b32 v72, v43
	s_waitcnt lgkmcnt(0)
	s_barrier
	ds_read_b32 v76, v67 offset:60
	s_cmp_lt_i32 s22, 17
	v_mov_b32_e32 v72, 15
	s_cbranch_scc1 .LBB126_253
; %bb.251:
	v_add3_u32 v74, v74, 0, 64
	v_mov_b32_e32 v72, 15
	s_mov_b32 s0, 16
.LBB126_252:                            ; =>This Inner Loop Header: Depth=1
	ds_read_b32 v77, v74
	v_mov_b32_e32 v78, s0
	s_add_i32 s0, s0, 1
	v_add_u32_e32 v74, 4, v74
	s_cmp_lg_u32 s22, s0
	s_waitcnt lgkmcnt(0)
	v_cmp_lt_f32_e64 vcc, |v76|, |v77|
	s_nop 1
	v_cndmask_b32_e32 v76, v76, v77, vcc
	v_cndmask_b32_e32 v72, v72, v78, vcc
	s_cbranch_scc1 .LBB126_252
.LBB126_253:
	s_waitcnt lgkmcnt(0)
	v_cmp_eq_f32_e32 vcc, 0, v76
	s_and_saveexec_b64 s[0:1], vcc
	s_xor_b64 s[0:1], exec, s[0:1]
; %bb.254:
	v_cmp_ne_u32_e32 vcc, 0, v71
	s_nop 1
	v_cndmask_b32_e32 v71, 16, v71, vcc
; %bb.255:
	s_andn2_saveexec_b64 s[0:1], s[0:1]
	s_cbranch_execz .LBB126_257
; %bb.256:
	v_div_scale_f32 v74, s[2:3], v76, v76, 1.0
	v_rcp_f32_e32 v77, v74
	v_div_scale_f32 v78, vcc, 1.0, v76, 1.0
	v_fma_f32 v79, -v74, v77, 1.0
	v_fmac_f32_e32 v77, v79, v77
	v_mul_f32_e32 v79, v78, v77
	v_fma_f32 v80, -v74, v79, v78
	v_fmac_f32_e32 v79, v80, v77
	v_fma_f32 v74, -v74, v79, v78
	v_div_fmas_f32 v74, v74, v77, v79
	v_div_fixup_f32 v76, v74, v76, 1.0
.LBB126_257:
	s_or_b64 exec, exec, s[0:1]
	v_cmp_ne_u32_e32 vcc, v75, v72
	s_and_saveexec_b64 s[0:1], vcc
	s_xor_b64 s[0:1], exec, s[0:1]
	s_cbranch_execz .LBB126_263
; %bb.258:
	v_cmp_eq_u32_e32 vcc, 15, v75
	s_and_saveexec_b64 s[2:3], vcc
	s_cbranch_execz .LBB126_262
; %bb.259:
	v_cmp_ne_u32_e32 vcc, 15, v72
	s_xor_b64 s[12:13], s[20:21], -1
	s_and_b64 s[14:15], s[12:13], vcc
	s_and_saveexec_b64 s[12:13], s[14:15]
	s_cbranch_execz .LBB126_261
; %bb.260:
	v_ashrrev_i32_e32 v73, 31, v72
	v_lshl_add_u64 v[74:75], v[72:73], 2, v[4:5]
	global_load_dword v73, v[74:75], off
	global_load_dword v77, v[4:5], off offset:60
	s_waitcnt vmcnt(1)
	global_store_dword v[4:5], v73, off offset:60
	s_waitcnt vmcnt(1)
	global_store_dword v[74:75], v77, off
.LBB126_261:
	s_or_b64 exec, exec, s[12:13]
	v_mov_b32_e32 v73, v72
	v_mov_b32_e32 v75, v72
.LBB126_262:
	s_or_b64 exec, exec, s[2:3]
.LBB126_263:
	s_andn2_saveexec_b64 s[0:1], s[0:1]
	s_cbranch_execz .LBB126_265
; %bb.264:
	v_mov_b32_e32 v75, 15
	ds_write2_b32 v67, v58, v59 offset0:16 offset1:17
	ds_write2_b32 v67, v52, v53 offset0:18 offset1:19
	ds_write2_b32 v67, v44, v45 offset0:20 offset1:21
	ds_write2_b32 v67, v34, v35 offset0:22 offset1:23
	ds_write2_b32 v67, v54, v55 offset0:24 offset1:25
	ds_write2_b32 v67, v46, v47 offset0:26 offset1:27
	ds_write2_b32 v67, v36, v37 offset0:28 offset1:29
	ds_write2_b32 v67, v24, v25 offset0:30 offset1:31
	ds_write2_b32 v67, v48, v49 offset0:32 offset1:33
	ds_write2_b32 v67, v38, v39 offset0:34 offset1:35
	ds_write2_b32 v67, v26, v27 offset0:36 offset1:37
	ds_write2_b32 v67, v18, v19 offset0:38 offset1:39
	ds_write2_b32 v67, v40, v41 offset0:40 offset1:41
	ds_write2_b32 v67, v30, v31 offset0:42 offset1:43
	ds_write2_b32 v67, v20, v21 offset0:44 offset1:45
	ds_write2_b32 v67, v12, v13 offset0:46 offset1:47
	ds_write2_b32 v67, v32, v33 offset0:48 offset1:49
	ds_write2_b32 v67, v22, v23 offset0:50 offset1:51
	ds_write2_b32 v67, v14, v15 offset0:52 offset1:53
	ds_write2_b32 v67, v0, v1 offset0:54 offset1:55
	ds_write2_b32 v67, v28, v29 offset0:56 offset1:57
	ds_write2_b32 v67, v16, v17 offset0:58 offset1:59
	ds_write2_b32 v67, v10, v11 offset0:60 offset1:61
	ds_write2_b32 v67, v8, v9 offset0:62 offset1:63
.LBB126_265:
	s_or_b64 exec, exec, s[0:1]
	v_cmp_lt_i32_e32 vcc, 15, v75
	s_waitcnt lgkmcnt(0)
	s_barrier
	s_and_saveexec_b64 s[0:1], vcc
	s_cbranch_execz .LBB126_267
; %bb.266:
	ds_read2_b32 v[78:79], v67 offset0:16 offset1:17
	ds_read2_b32 v[80:81], v67 offset0:18 offset1:19
	;; [unrolled: 1-line block ×3, first 2 shown]
	v_mul_f32_e32 v72, v76, v43
	ds_read2_b32 v[76:77], v67 offset0:22 offset1:23
	s_waitcnt lgkmcnt(3)
	v_pk_fma_f32 v[58:59], v[72:73], v[78:79], v[58:59] op_sel_hi:[0,1,1] neg_lo:[1,0,0] neg_hi:[1,0,0]
	s_waitcnt lgkmcnt(2)
	v_pk_fma_f32 v[52:53], v[72:73], v[80:81], v[52:53] op_sel_hi:[0,1,1] neg_lo:[1,0,0] neg_hi:[1,0,0]
	s_waitcnt lgkmcnt(1)
	v_pk_fma_f32 v[44:45], v[72:73], v[82:83], v[44:45] op_sel_hi:[0,1,1] neg_lo:[1,0,0] neg_hi:[1,0,0]
	ds_read2_b32 v[78:79], v67 offset0:24 offset1:25
	ds_read2_b32 v[80:81], v67 offset0:26 offset1:27
	ds_read2_b32 v[82:83], v67 offset0:28 offset1:29
	s_waitcnt lgkmcnt(3)
	v_pk_fma_f32 v[34:35], v[72:73], v[76:77], v[34:35] op_sel_hi:[0,1,1] neg_lo:[1,0,0] neg_hi:[1,0,0]
	ds_read2_b32 v[76:77], v67 offset0:30 offset1:31
	s_waitcnt lgkmcnt(3)
	v_pk_fma_f32 v[54:55], v[72:73], v[78:79], v[54:55] op_sel_hi:[0,1,1] neg_lo:[1,0,0] neg_hi:[1,0,0]
	s_waitcnt lgkmcnt(2)
	v_pk_fma_f32 v[46:47], v[72:73], v[80:81], v[46:47] op_sel_hi:[0,1,1] neg_lo:[1,0,0] neg_hi:[1,0,0]
	s_waitcnt lgkmcnt(1)
	v_pk_fma_f32 v[36:37], v[72:73], v[82:83], v[36:37] op_sel_hi:[0,1,1] neg_lo:[1,0,0] neg_hi:[1,0,0]
	ds_read2_b32 v[78:79], v67 offset0:32 offset1:33
	ds_read2_b32 v[80:81], v67 offset0:34 offset1:35
	ds_read2_b32 v[82:83], v67 offset0:36 offset1:37
	s_waitcnt lgkmcnt(3)
	v_pk_fma_f32 v[24:25], v[72:73], v[76:77], v[24:25] op_sel_hi:[0,1,1] neg_lo:[1,0,0] neg_hi:[1,0,0]
	;; [unrolled: 12-line block ×4, first 2 shown]
	ds_read2_b32 v[76:77], v67 offset0:54 offset1:55
	s_waitcnt lgkmcnt(3)
	v_pk_fma_f32 v[32:33], v[72:73], v[78:79], v[32:33] op_sel_hi:[0,1,1] neg_lo:[1,0,0] neg_hi:[1,0,0]
	s_waitcnt lgkmcnt(2)
	v_pk_fma_f32 v[22:23], v[72:73], v[80:81], v[22:23] op_sel_hi:[0,1,1] neg_lo:[1,0,0] neg_hi:[1,0,0]
	;; [unrolled: 2-line block ×3, first 2 shown]
	ds_read2_b32 v[78:79], v67 offset0:56 offset1:57
	ds_read2_b32 v[80:81], v67 offset0:58 offset1:59
	;; [unrolled: 1-line block ×4, first 2 shown]
	s_waitcnt lgkmcnt(4)
	v_pk_fma_f32 v[0:1], v[72:73], v[76:77], v[0:1] op_sel_hi:[0,1,1] neg_lo:[1,0,0] neg_hi:[1,0,0]
	s_waitcnt lgkmcnt(3)
	v_pk_fma_f32 v[28:29], v[72:73], v[78:79], v[28:29] op_sel_hi:[0,1,1] neg_lo:[1,0,0] neg_hi:[1,0,0]
	;; [unrolled: 2-line block ×5, first 2 shown]
	v_mov_b32_e32 v43, v72
.LBB126_267:
	s_or_b64 exec, exec, s[0:1]
	v_lshl_add_u32 v72, v75, 2, v67
	s_barrier
	ds_write_b32 v72, v58
	s_waitcnt lgkmcnt(0)
	s_barrier
	ds_read_b32 v74, v67 offset:64
	s_cmp_lt_i32 s22, 18
	v_mov_b32_e32 v72, 16
	s_cbranch_scc1 .LBB126_270
; %bb.268:
	v_add_u32_e32 v76, 0x44, v67
	v_mov_b32_e32 v72, 16
	s_mov_b32 s0, 17
.LBB126_269:                            ; =>This Inner Loop Header: Depth=1
	ds_read_b32 v77, v76
	v_mov_b32_e32 v78, s0
	s_add_i32 s0, s0, 1
	v_add_u32_e32 v76, 4, v76
	s_cmp_lg_u32 s22, s0
	s_waitcnt lgkmcnt(0)
	v_cmp_lt_f32_e64 vcc, |v74|, |v77|
	s_nop 1
	v_cndmask_b32_e32 v74, v74, v77, vcc
	v_cndmask_b32_e32 v72, v72, v78, vcc
	s_cbranch_scc1 .LBB126_269
.LBB126_270:
	s_waitcnt lgkmcnt(0)
	v_cmp_eq_f32_e32 vcc, 0, v74
	s_and_saveexec_b64 s[0:1], vcc
	s_xor_b64 s[0:1], exec, s[0:1]
; %bb.271:
	v_cmp_ne_u32_e32 vcc, 0, v71
	s_nop 1
	v_cndmask_b32_e32 v71, 17, v71, vcc
; %bb.272:
	s_andn2_saveexec_b64 s[0:1], s[0:1]
	s_cbranch_execz .LBB126_274
; %bb.273:
	v_div_scale_f32 v76, s[2:3], v74, v74, 1.0
	v_rcp_f32_e32 v77, v76
	v_div_scale_f32 v78, vcc, 1.0, v74, 1.0
	v_fma_f32 v79, -v76, v77, 1.0
	v_fmac_f32_e32 v77, v79, v77
	v_mul_f32_e32 v79, v78, v77
	v_fma_f32 v80, -v76, v79, v78
	v_fmac_f32_e32 v79, v80, v77
	v_fma_f32 v76, -v76, v79, v78
	v_div_fmas_f32 v76, v76, v77, v79
	v_div_fixup_f32 v74, v76, v74, 1.0
.LBB126_274:
	s_or_b64 exec, exec, s[0:1]
	v_cmp_ne_u32_e32 vcc, v75, v72
	s_and_saveexec_b64 s[0:1], vcc
	s_xor_b64 s[0:1], exec, s[0:1]
	s_cbranch_execz .LBB126_280
; %bb.275:
	v_cmp_eq_u32_e32 vcc, 16, v75
	s_and_saveexec_b64 s[2:3], vcc
	s_cbranch_execz .LBB126_279
; %bb.276:
	v_cmp_ne_u32_e32 vcc, 16, v72
	s_xor_b64 s[12:13], s[20:21], -1
	s_and_b64 s[14:15], s[12:13], vcc
	s_and_saveexec_b64 s[12:13], s[14:15]
	s_cbranch_execz .LBB126_278
; %bb.277:
	v_ashrrev_i32_e32 v73, 31, v72
	v_lshl_add_u64 v[76:77], v[72:73], 2, v[4:5]
	global_load_dword v73, v[76:77], off
	global_load_dword v75, v[4:5], off offset:64
	s_waitcnt vmcnt(1)
	global_store_dword v[4:5], v73, off offset:64
	s_waitcnt vmcnt(1)
	global_store_dword v[76:77], v75, off
.LBB126_278:
	s_or_b64 exec, exec, s[12:13]
	v_mov_b32_e32 v73, v72
	v_mov_b32_e32 v75, v72
.LBB126_279:
	s_or_b64 exec, exec, s[2:3]
.LBB126_280:
	s_andn2_saveexec_b64 s[0:1], s[0:1]
	s_cbranch_execz .LBB126_282
; %bb.281:
	v_pk_mov_b32 v[76:77], v[58:59], v[52:53] op_sel:[1,0]
	ds_write2_b32 v67, v76, v77 offset0:17 offset1:18
	v_pk_mov_b32 v[76:77], v[52:53], v[44:45] op_sel:[1,0]
	ds_write2_b32 v67, v76, v77 offset0:19 offset1:20
	;; [unrolled: 2-line block ×22, first 2 shown]
	v_pk_mov_b32 v[76:77], v[10:11], v[8:9] op_sel:[1,0]
	v_mov_b32_e32 v75, 16
	ds_write2_b32 v67, v76, v77 offset0:61 offset1:62
	ds_write_b32 v67, v9 offset:252
.LBB126_282:
	s_or_b64 exec, exec, s[0:1]
	v_cmp_lt_i32_e32 vcc, 16, v75
	s_waitcnt lgkmcnt(0)
	s_barrier
	s_and_saveexec_b64 s[0:1], vcc
	s_cbranch_execz .LBB126_284
; %bb.283:
	ds_read_b32 v72, v67 offset:68
	ds_read2_b32 v[76:77], v67 offset0:18 offset1:19
	ds_read2_b32 v[78:79], v67 offset0:20 offset1:21
	v_mul_f32_e32 v58, v74, v58
	ds_read2_b32 v[80:81], v67 offset0:22 offset1:23
	s_waitcnt lgkmcnt(3)
	v_fma_f32 v59, -v58, v72, v59
	s_waitcnt lgkmcnt(2)
	v_pk_fma_f32 v[52:53], v[58:59], v[76:77], v[52:53] op_sel_hi:[0,1,1] neg_lo:[1,0,0] neg_hi:[1,0,0]
	s_waitcnt lgkmcnt(1)
	v_pk_fma_f32 v[44:45], v[58:59], v[78:79], v[44:45] op_sel_hi:[0,1,1] neg_lo:[1,0,0] neg_hi:[1,0,0]
	ds_read2_b32 v[76:77], v67 offset0:24 offset1:25
	ds_read2_b32 v[78:79], v67 offset0:26 offset1:27
	ds_read2_b32 v[82:83], v67 offset0:28 offset1:29
	s_waitcnt lgkmcnt(3)
	v_pk_fma_f32 v[34:35], v[58:59], v[80:81], v[34:35] op_sel_hi:[0,1,1] neg_lo:[1,0,0] neg_hi:[1,0,0]
	ds_read2_b32 v[80:81], v67 offset0:30 offset1:31
	s_waitcnt lgkmcnt(3)
	v_pk_fma_f32 v[54:55], v[58:59], v[76:77], v[54:55] op_sel_hi:[0,1,1] neg_lo:[1,0,0] neg_hi:[1,0,0]
	s_waitcnt lgkmcnt(2)
	v_pk_fma_f32 v[46:47], v[58:59], v[78:79], v[46:47] op_sel_hi:[0,1,1] neg_lo:[1,0,0] neg_hi:[1,0,0]
	s_waitcnt lgkmcnt(1)
	v_pk_fma_f32 v[36:37], v[58:59], v[82:83], v[36:37] op_sel_hi:[0,1,1] neg_lo:[1,0,0] neg_hi:[1,0,0]
	ds_read2_b32 v[76:77], v67 offset0:32 offset1:33
	ds_read2_b32 v[78:79], v67 offset0:34 offset1:35
	ds_read2_b32 v[82:83], v67 offset0:36 offset1:37
	s_waitcnt lgkmcnt(3)
	v_pk_fma_f32 v[24:25], v[58:59], v[80:81], v[24:25] op_sel_hi:[0,1,1] neg_lo:[1,0,0] neg_hi:[1,0,0]
	ds_read2_b32 v[80:81], v67 offset0:38 offset1:39
	s_waitcnt lgkmcnt(3)
	v_pk_fma_f32 v[48:49], v[58:59], v[76:77], v[48:49] op_sel_hi:[0,1,1] neg_lo:[1,0,0] neg_hi:[1,0,0]
	s_waitcnt lgkmcnt(2)
	v_pk_fma_f32 v[38:39], v[58:59], v[78:79], v[38:39] op_sel_hi:[0,1,1] neg_lo:[1,0,0] neg_hi:[1,0,0]
	s_waitcnt lgkmcnt(1)
	v_pk_fma_f32 v[26:27], v[58:59], v[82:83], v[26:27] op_sel_hi:[0,1,1] neg_lo:[1,0,0] neg_hi:[1,0,0]
	ds_read2_b32 v[76:77], v67 offset0:40 offset1:41
	ds_read2_b32 v[78:79], v67 offset0:42 offset1:43
	ds_read2_b32 v[82:83], v67 offset0:44 offset1:45
	s_waitcnt lgkmcnt(3)
	v_pk_fma_f32 v[18:19], v[58:59], v[80:81], v[18:19] op_sel_hi:[0,1,1] neg_lo:[1,0,0] neg_hi:[1,0,0]
	ds_read2_b32 v[80:81], v67 offset0:46 offset1:47
	s_waitcnt lgkmcnt(3)
	v_pk_fma_f32 v[40:41], v[58:59], v[76:77], v[40:41] op_sel_hi:[0,1,1] neg_lo:[1,0,0] neg_hi:[1,0,0]
	s_waitcnt lgkmcnt(2)
	v_pk_fma_f32 v[30:31], v[58:59], v[78:79], v[30:31] op_sel_hi:[0,1,1] neg_lo:[1,0,0] neg_hi:[1,0,0]
	s_waitcnt lgkmcnt(1)
	v_pk_fma_f32 v[20:21], v[58:59], v[82:83], v[20:21] op_sel_hi:[0,1,1] neg_lo:[1,0,0] neg_hi:[1,0,0]
	ds_read2_b32 v[76:77], v67 offset0:48 offset1:49
	ds_read2_b32 v[78:79], v67 offset0:50 offset1:51
	ds_read2_b32 v[82:83], v67 offset0:52 offset1:53
	s_waitcnt lgkmcnt(3)
	v_pk_fma_f32 v[12:13], v[58:59], v[80:81], v[12:13] op_sel_hi:[0,1,1] neg_lo:[1,0,0] neg_hi:[1,0,0]
	ds_read2_b32 v[80:81], v67 offset0:54 offset1:55
	s_waitcnt lgkmcnt(3)
	v_pk_fma_f32 v[32:33], v[58:59], v[76:77], v[32:33] op_sel_hi:[0,1,1] neg_lo:[1,0,0] neg_hi:[1,0,0]
	s_waitcnt lgkmcnt(2)
	v_pk_fma_f32 v[22:23], v[58:59], v[78:79], v[22:23] op_sel_hi:[0,1,1] neg_lo:[1,0,0] neg_hi:[1,0,0]
	s_waitcnt lgkmcnt(1)
	v_pk_fma_f32 v[14:15], v[58:59], v[82:83], v[14:15] op_sel_hi:[0,1,1] neg_lo:[1,0,0] neg_hi:[1,0,0]
	ds_read2_b32 v[76:77], v67 offset0:56 offset1:57
	ds_read2_b32 v[78:79], v67 offset0:58 offset1:59
	;; [unrolled: 1-line block ×4, first 2 shown]
	s_waitcnt lgkmcnt(4)
	v_pk_fma_f32 v[0:1], v[58:59], v[80:81], v[0:1] op_sel_hi:[0,1,1] neg_lo:[1,0,0] neg_hi:[1,0,0]
	s_waitcnt lgkmcnt(3)
	v_pk_fma_f32 v[28:29], v[58:59], v[76:77], v[28:29] op_sel_hi:[0,1,1] neg_lo:[1,0,0] neg_hi:[1,0,0]
	;; [unrolled: 2-line block ×5, first 2 shown]
.LBB126_284:
	s_or_b64 exec, exec, s[0:1]
	v_lshl_add_u32 v72, v75, 2, v67
	s_barrier
	ds_write_b32 v72, v59
	s_waitcnt lgkmcnt(0)
	s_barrier
	ds_read_b32 v74, v67 offset:68
	s_cmp_lt_i32 s22, 19
	v_mov_b32_e32 v72, 17
	s_cbranch_scc1 .LBB126_287
; %bb.285:
	v_add_u32_e32 v76, 0x48, v67
	v_mov_b32_e32 v72, 17
	s_mov_b32 s0, 18
.LBB126_286:                            ; =>This Inner Loop Header: Depth=1
	ds_read_b32 v77, v76
	v_mov_b32_e32 v78, s0
	s_add_i32 s0, s0, 1
	v_add_u32_e32 v76, 4, v76
	s_cmp_lg_u32 s22, s0
	s_waitcnt lgkmcnt(0)
	v_cmp_lt_f32_e64 vcc, |v74|, |v77|
	s_nop 1
	v_cndmask_b32_e32 v74, v74, v77, vcc
	v_cndmask_b32_e32 v72, v72, v78, vcc
	s_cbranch_scc1 .LBB126_286
.LBB126_287:
	s_waitcnt lgkmcnt(0)
	v_cmp_eq_f32_e32 vcc, 0, v74
	s_and_saveexec_b64 s[0:1], vcc
	s_xor_b64 s[0:1], exec, s[0:1]
; %bb.288:
	v_cmp_ne_u32_e32 vcc, 0, v71
	s_nop 1
	v_cndmask_b32_e32 v71, 18, v71, vcc
; %bb.289:
	s_andn2_saveexec_b64 s[0:1], s[0:1]
	s_cbranch_execz .LBB126_291
; %bb.290:
	v_div_scale_f32 v76, s[2:3], v74, v74, 1.0
	v_rcp_f32_e32 v77, v76
	v_div_scale_f32 v78, vcc, 1.0, v74, 1.0
	v_fma_f32 v79, -v76, v77, 1.0
	v_fmac_f32_e32 v77, v79, v77
	v_mul_f32_e32 v79, v78, v77
	v_fma_f32 v80, -v76, v79, v78
	v_fmac_f32_e32 v79, v80, v77
	v_fma_f32 v76, -v76, v79, v78
	v_div_fmas_f32 v76, v76, v77, v79
	v_div_fixup_f32 v74, v76, v74, 1.0
.LBB126_291:
	s_or_b64 exec, exec, s[0:1]
	v_cmp_ne_u32_e32 vcc, v75, v72
	s_and_saveexec_b64 s[0:1], vcc
	s_xor_b64 s[0:1], exec, s[0:1]
	s_cbranch_execz .LBB126_297
; %bb.292:
	v_cmp_eq_u32_e32 vcc, 17, v75
	s_and_saveexec_b64 s[2:3], vcc
	s_cbranch_execz .LBB126_296
; %bb.293:
	v_cmp_ne_u32_e32 vcc, 17, v72
	s_xor_b64 s[12:13], s[20:21], -1
	s_and_b64 s[14:15], s[12:13], vcc
	s_and_saveexec_b64 s[12:13], s[14:15]
	s_cbranch_execz .LBB126_295
; %bb.294:
	v_ashrrev_i32_e32 v73, 31, v72
	v_lshl_add_u64 v[76:77], v[72:73], 2, v[4:5]
	global_load_dword v73, v[76:77], off
	global_load_dword v75, v[4:5], off offset:68
	s_waitcnt vmcnt(1)
	global_store_dword v[4:5], v73, off offset:68
	s_waitcnt vmcnt(1)
	global_store_dword v[76:77], v75, off
.LBB126_295:
	s_or_b64 exec, exec, s[12:13]
	v_mov_b32_e32 v73, v72
	v_mov_b32_e32 v75, v72
.LBB126_296:
	s_or_b64 exec, exec, s[2:3]
.LBB126_297:
	s_andn2_saveexec_b64 s[0:1], s[0:1]
	s_cbranch_execz .LBB126_299
; %bb.298:
	v_mov_b32_e32 v75, 17
	ds_write2_b32 v67, v52, v53 offset0:18 offset1:19
	ds_write2_b32 v67, v44, v45 offset0:20 offset1:21
	;; [unrolled: 1-line block ×23, first 2 shown]
.LBB126_299:
	s_or_b64 exec, exec, s[0:1]
	v_cmp_lt_i32_e32 vcc, 17, v75
	s_waitcnt lgkmcnt(0)
	s_barrier
	s_and_saveexec_b64 s[0:1], vcc
	s_cbranch_execz .LBB126_301
; %bb.300:
	ds_read2_b32 v[76:77], v67 offset0:18 offset1:19
	ds_read2_b32 v[78:79], v67 offset0:20 offset1:21
	;; [unrolled: 1-line block ×3, first 2 shown]
	v_mul_f32_e32 v72, v74, v59
	ds_read2_b32 v[82:83], v67 offset0:24 offset1:25
	s_waitcnt lgkmcnt(3)
	v_pk_fma_f32 v[52:53], v[72:73], v[76:77], v[52:53] op_sel_hi:[0,1,1] neg_lo:[1,0,0] neg_hi:[1,0,0]
	s_waitcnt lgkmcnt(2)
	v_pk_fma_f32 v[44:45], v[72:73], v[78:79], v[44:45] op_sel_hi:[0,1,1] neg_lo:[1,0,0] neg_hi:[1,0,0]
	s_waitcnt lgkmcnt(1)
	v_pk_fma_f32 v[34:35], v[72:73], v[80:81], v[34:35] op_sel_hi:[0,1,1] neg_lo:[1,0,0] neg_hi:[1,0,0]
	ds_read2_b32 v[76:77], v67 offset0:26 offset1:27
	ds_read2_b32 v[78:79], v67 offset0:28 offset1:29
	ds_read2_b32 v[80:81], v67 offset0:30 offset1:31
	s_waitcnt lgkmcnt(3)
	v_pk_fma_f32 v[54:55], v[72:73], v[82:83], v[54:55] op_sel_hi:[0,1,1] neg_lo:[1,0,0] neg_hi:[1,0,0]
	ds_read2_b32 v[82:83], v67 offset0:32 offset1:33
	s_waitcnt lgkmcnt(3)
	v_pk_fma_f32 v[46:47], v[72:73], v[76:77], v[46:47] op_sel_hi:[0,1,1] neg_lo:[1,0,0] neg_hi:[1,0,0]
	s_waitcnt lgkmcnt(2)
	v_pk_fma_f32 v[36:37], v[72:73], v[78:79], v[36:37] op_sel_hi:[0,1,1] neg_lo:[1,0,0] neg_hi:[1,0,0]
	s_waitcnt lgkmcnt(1)
	v_pk_fma_f32 v[24:25], v[72:73], v[80:81], v[24:25] op_sel_hi:[0,1,1] neg_lo:[1,0,0] neg_hi:[1,0,0]
	ds_read2_b32 v[76:77], v67 offset0:34 offset1:35
	ds_read2_b32 v[78:79], v67 offset0:36 offset1:37
	ds_read2_b32 v[80:81], v67 offset0:38 offset1:39
	s_waitcnt lgkmcnt(3)
	v_pk_fma_f32 v[48:49], v[72:73], v[82:83], v[48:49] op_sel_hi:[0,1,1] neg_lo:[1,0,0] neg_hi:[1,0,0]
	;; [unrolled: 12-line block ×3, first 2 shown]
	ds_read2_b32 v[82:83], v67 offset0:48 offset1:49
	s_waitcnt lgkmcnt(3)
	v_pk_fma_f32 v[30:31], v[72:73], v[76:77], v[30:31] op_sel_hi:[0,1,1] neg_lo:[1,0,0] neg_hi:[1,0,0]
	s_waitcnt lgkmcnt(2)
	v_pk_fma_f32 v[20:21], v[72:73], v[78:79], v[20:21] op_sel_hi:[0,1,1] neg_lo:[1,0,0] neg_hi:[1,0,0]
	ds_read2_b32 v[76:77], v67 offset0:50 offset1:51
	ds_read2_b32 v[78:79], v67 offset0:52 offset1:53
	s_waitcnt lgkmcnt(3)
	v_pk_fma_f32 v[12:13], v[72:73], v[80:81], v[12:13] op_sel_hi:[0,1,1] neg_lo:[1,0,0] neg_hi:[1,0,0]
	s_waitcnt lgkmcnt(2)
	v_pk_fma_f32 v[32:33], v[72:73], v[82:83], v[32:33] op_sel_hi:[0,1,1] neg_lo:[1,0,0] neg_hi:[1,0,0]
	ds_read2_b32 v[80:81], v67 offset0:54 offset1:55
	;; [unrolled: 6-line block ×3, first 2 shown]
	ds_read2_b32 v[78:79], v67 offset0:60 offset1:61
	ds_read2_b32 v[84:85], v67 offset0:62 offset1:63
	s_waitcnt lgkmcnt(4)
	v_pk_fma_f32 v[0:1], v[72:73], v[80:81], v[0:1] op_sel_hi:[0,1,1] neg_lo:[1,0,0] neg_hi:[1,0,0]
	s_waitcnt lgkmcnt(3)
	v_pk_fma_f32 v[28:29], v[72:73], v[82:83], v[28:29] op_sel_hi:[0,1,1] neg_lo:[1,0,0] neg_hi:[1,0,0]
	;; [unrolled: 2-line block ×5, first 2 shown]
	v_mov_b32_e32 v59, v72
.LBB126_301:
	s_or_b64 exec, exec, s[0:1]
	v_lshl_add_u32 v72, v75, 2, v67
	s_barrier
	ds_write_b32 v72, v52
	s_waitcnt lgkmcnt(0)
	s_barrier
	ds_read_b32 v74, v67 offset:72
	s_cmp_lt_i32 s22, 20
	v_mov_b32_e32 v72, 18
	s_cbranch_scc1 .LBB126_304
; %bb.302:
	v_add_u32_e32 v76, 0x4c, v67
	v_mov_b32_e32 v72, 18
	s_mov_b32 s0, 19
.LBB126_303:                            ; =>This Inner Loop Header: Depth=1
	ds_read_b32 v77, v76
	v_mov_b32_e32 v78, s0
	s_add_i32 s0, s0, 1
	v_add_u32_e32 v76, 4, v76
	s_cmp_lg_u32 s22, s0
	s_waitcnt lgkmcnt(0)
	v_cmp_lt_f32_e64 vcc, |v74|, |v77|
	s_nop 1
	v_cndmask_b32_e32 v74, v74, v77, vcc
	v_cndmask_b32_e32 v72, v72, v78, vcc
	s_cbranch_scc1 .LBB126_303
.LBB126_304:
	s_waitcnt lgkmcnt(0)
	v_cmp_eq_f32_e32 vcc, 0, v74
	s_and_saveexec_b64 s[0:1], vcc
	s_xor_b64 s[0:1], exec, s[0:1]
; %bb.305:
	v_cmp_ne_u32_e32 vcc, 0, v71
	s_nop 1
	v_cndmask_b32_e32 v71, 19, v71, vcc
; %bb.306:
	s_andn2_saveexec_b64 s[0:1], s[0:1]
	s_cbranch_execz .LBB126_308
; %bb.307:
	v_div_scale_f32 v76, s[2:3], v74, v74, 1.0
	v_rcp_f32_e32 v77, v76
	v_div_scale_f32 v78, vcc, 1.0, v74, 1.0
	v_fma_f32 v79, -v76, v77, 1.0
	v_fmac_f32_e32 v77, v79, v77
	v_mul_f32_e32 v79, v78, v77
	v_fma_f32 v80, -v76, v79, v78
	v_fmac_f32_e32 v79, v80, v77
	v_fma_f32 v76, -v76, v79, v78
	v_div_fmas_f32 v76, v76, v77, v79
	v_div_fixup_f32 v74, v76, v74, 1.0
.LBB126_308:
	s_or_b64 exec, exec, s[0:1]
	v_cmp_ne_u32_e32 vcc, v75, v72
	s_and_saveexec_b64 s[0:1], vcc
	s_xor_b64 s[0:1], exec, s[0:1]
	s_cbranch_execz .LBB126_314
; %bb.309:
	v_cmp_eq_u32_e32 vcc, 18, v75
	s_and_saveexec_b64 s[2:3], vcc
	s_cbranch_execz .LBB126_313
; %bb.310:
	v_cmp_ne_u32_e32 vcc, 18, v72
	s_xor_b64 s[12:13], s[20:21], -1
	s_and_b64 s[14:15], s[12:13], vcc
	s_and_saveexec_b64 s[12:13], s[14:15]
	s_cbranch_execz .LBB126_312
; %bb.311:
	v_ashrrev_i32_e32 v73, 31, v72
	v_lshl_add_u64 v[76:77], v[72:73], 2, v[4:5]
	global_load_dword v73, v[76:77], off
	global_load_dword v75, v[4:5], off offset:72
	s_waitcnt vmcnt(1)
	global_store_dword v[4:5], v73, off offset:72
	s_waitcnt vmcnt(1)
	global_store_dword v[76:77], v75, off
.LBB126_312:
	s_or_b64 exec, exec, s[12:13]
	v_mov_b32_e32 v73, v72
	v_mov_b32_e32 v75, v72
.LBB126_313:
	s_or_b64 exec, exec, s[2:3]
.LBB126_314:
	s_andn2_saveexec_b64 s[0:1], s[0:1]
	s_cbranch_execz .LBB126_316
; %bb.315:
	v_pk_mov_b32 v[76:77], v[52:53], v[44:45] op_sel:[1,0]
	ds_write2_b32 v67, v76, v77 offset0:19 offset1:20
	v_pk_mov_b32 v[76:77], v[44:45], v[34:35] op_sel:[1,0]
	ds_write2_b32 v67, v76, v77 offset0:21 offset1:22
	v_pk_mov_b32 v[76:77], v[34:35], v[54:55] op_sel:[1,0]
	ds_write2_b32 v67, v76, v77 offset0:23 offset1:24
	v_pk_mov_b32 v[76:77], v[54:55], v[46:47] op_sel:[1,0]
	ds_write2_b32 v67, v76, v77 offset0:25 offset1:26
	v_pk_mov_b32 v[76:77], v[46:47], v[36:37] op_sel:[1,0]
	ds_write2_b32 v67, v76, v77 offset0:27 offset1:28
	v_pk_mov_b32 v[76:77], v[36:37], v[24:25] op_sel:[1,0]
	ds_write2_b32 v67, v76, v77 offset0:29 offset1:30
	v_pk_mov_b32 v[76:77], v[24:25], v[48:49] op_sel:[1,0]
	ds_write2_b32 v67, v76, v77 offset0:31 offset1:32
	v_pk_mov_b32 v[76:77], v[48:49], v[38:39] op_sel:[1,0]
	ds_write2_b32 v67, v76, v77 offset0:33 offset1:34
	v_pk_mov_b32 v[76:77], v[38:39], v[26:27] op_sel:[1,0]
	ds_write2_b32 v67, v76, v77 offset0:35 offset1:36
	v_pk_mov_b32 v[76:77], v[26:27], v[18:19] op_sel:[1,0]
	ds_write2_b32 v67, v76, v77 offset0:37 offset1:38
	v_pk_mov_b32 v[76:77], v[18:19], v[40:41] op_sel:[1,0]
	ds_write2_b32 v67, v76, v77 offset0:39 offset1:40
	v_pk_mov_b32 v[76:77], v[40:41], v[30:31] op_sel:[1,0]
	ds_write2_b32 v67, v76, v77 offset0:41 offset1:42
	v_pk_mov_b32 v[76:77], v[30:31], v[20:21] op_sel:[1,0]
	ds_write2_b32 v67, v76, v77 offset0:43 offset1:44
	v_pk_mov_b32 v[76:77], v[20:21], v[12:13] op_sel:[1,0]
	ds_write2_b32 v67, v76, v77 offset0:45 offset1:46
	v_pk_mov_b32 v[76:77], v[12:13], v[32:33] op_sel:[1,0]
	ds_write2_b32 v67, v76, v77 offset0:47 offset1:48
	v_pk_mov_b32 v[76:77], v[32:33], v[22:23] op_sel:[1,0]
	ds_write2_b32 v67, v76, v77 offset0:49 offset1:50
	v_pk_mov_b32 v[76:77], v[22:23], v[14:15] op_sel:[1,0]
	ds_write2_b32 v67, v76, v77 offset0:51 offset1:52
	v_pk_mov_b32 v[76:77], v[14:15], v[0:1] op_sel:[1,0]
	ds_write2_b32 v67, v76, v77 offset0:53 offset1:54
	v_pk_mov_b32 v[76:77], v[0:1], v[28:29] op_sel:[1,0]
	ds_write2_b32 v67, v76, v77 offset0:55 offset1:56
	v_pk_mov_b32 v[76:77], v[28:29], v[16:17] op_sel:[1,0]
	ds_write2_b32 v67, v76, v77 offset0:57 offset1:58
	v_pk_mov_b32 v[76:77], v[16:17], v[10:11] op_sel:[1,0]
	ds_write2_b32 v67, v76, v77 offset0:59 offset1:60
	v_pk_mov_b32 v[76:77], v[10:11], v[8:9] op_sel:[1,0]
	v_mov_b32_e32 v75, 18
	ds_write2_b32 v67, v76, v77 offset0:61 offset1:62
	ds_write_b32 v67, v9 offset:252
.LBB126_316:
	s_or_b64 exec, exec, s[0:1]
	v_cmp_lt_i32_e32 vcc, 18, v75
	s_waitcnt lgkmcnt(0)
	s_barrier
	s_and_saveexec_b64 s[0:1], vcc
	s_cbranch_execz .LBB126_318
; %bb.317:
	ds_read_b32 v72, v67 offset:76
	ds_read2_b32 v[76:77], v67 offset0:20 offset1:21
	ds_read2_b32 v[78:79], v67 offset0:22 offset1:23
	v_mul_f32_e32 v52, v74, v52
	ds_read2_b32 v[80:81], v67 offset0:24 offset1:25
	s_waitcnt lgkmcnt(3)
	v_fma_f32 v53, -v52, v72, v53
	s_waitcnt lgkmcnt(2)
	v_pk_fma_f32 v[44:45], v[52:53], v[76:77], v[44:45] op_sel_hi:[0,1,1] neg_lo:[1,0,0] neg_hi:[1,0,0]
	s_waitcnt lgkmcnt(1)
	v_pk_fma_f32 v[34:35], v[52:53], v[78:79], v[34:35] op_sel_hi:[0,1,1] neg_lo:[1,0,0] neg_hi:[1,0,0]
	ds_read2_b32 v[76:77], v67 offset0:26 offset1:27
	ds_read2_b32 v[78:79], v67 offset0:28 offset1:29
	ds_read2_b32 v[82:83], v67 offset0:30 offset1:31
	s_waitcnt lgkmcnt(3)
	v_pk_fma_f32 v[54:55], v[52:53], v[80:81], v[54:55] op_sel_hi:[0,1,1] neg_lo:[1,0,0] neg_hi:[1,0,0]
	ds_read2_b32 v[80:81], v67 offset0:32 offset1:33
	s_waitcnt lgkmcnt(3)
	v_pk_fma_f32 v[46:47], v[52:53], v[76:77], v[46:47] op_sel_hi:[0,1,1] neg_lo:[1,0,0] neg_hi:[1,0,0]
	s_waitcnt lgkmcnt(2)
	v_pk_fma_f32 v[36:37], v[52:53], v[78:79], v[36:37] op_sel_hi:[0,1,1] neg_lo:[1,0,0] neg_hi:[1,0,0]
	s_waitcnt lgkmcnt(1)
	v_pk_fma_f32 v[24:25], v[52:53], v[82:83], v[24:25] op_sel_hi:[0,1,1] neg_lo:[1,0,0] neg_hi:[1,0,0]
	ds_read2_b32 v[76:77], v67 offset0:34 offset1:35
	ds_read2_b32 v[78:79], v67 offset0:36 offset1:37
	ds_read2_b32 v[82:83], v67 offset0:38 offset1:39
	s_waitcnt lgkmcnt(3)
	v_pk_fma_f32 v[48:49], v[52:53], v[80:81], v[48:49] op_sel_hi:[0,1,1] neg_lo:[1,0,0] neg_hi:[1,0,0]
	ds_read2_b32 v[80:81], v67 offset0:40 offset1:41
	s_waitcnt lgkmcnt(3)
	v_pk_fma_f32 v[38:39], v[52:53], v[76:77], v[38:39] op_sel_hi:[0,1,1] neg_lo:[1,0,0] neg_hi:[1,0,0]
	;; [unrolled: 12-line block ×3, first 2 shown]
	s_waitcnt lgkmcnt(2)
	v_pk_fma_f32 v[20:21], v[52:53], v[78:79], v[20:21] op_sel_hi:[0,1,1] neg_lo:[1,0,0] neg_hi:[1,0,0]
	ds_read2_b32 v[76:77], v67 offset0:50 offset1:51
	ds_read2_b32 v[78:79], v67 offset0:52 offset1:53
	s_waitcnt lgkmcnt(3)
	v_pk_fma_f32 v[12:13], v[52:53], v[82:83], v[12:13] op_sel_hi:[0,1,1] neg_lo:[1,0,0] neg_hi:[1,0,0]
	s_waitcnt lgkmcnt(2)
	v_pk_fma_f32 v[32:33], v[52:53], v[80:81], v[32:33] op_sel_hi:[0,1,1] neg_lo:[1,0,0] neg_hi:[1,0,0]
	ds_read2_b32 v[80:81], v67 offset0:54 offset1:55
	ds_read2_b32 v[82:83], v67 offset0:56 offset1:57
	s_waitcnt lgkmcnt(3)
	v_pk_fma_f32 v[22:23], v[52:53], v[76:77], v[22:23] op_sel_hi:[0,1,1] neg_lo:[1,0,0] neg_hi:[1,0,0]
	s_waitcnt lgkmcnt(2)
	v_pk_fma_f32 v[14:15], v[52:53], v[78:79], v[14:15] op_sel_hi:[0,1,1] neg_lo:[1,0,0] neg_hi:[1,0,0]
	ds_read2_b32 v[76:77], v67 offset0:58 offset1:59
	ds_read2_b32 v[78:79], v67 offset0:60 offset1:61
	;; [unrolled: 1-line block ×3, first 2 shown]
	s_waitcnt lgkmcnt(4)
	v_pk_fma_f32 v[0:1], v[52:53], v[80:81], v[0:1] op_sel_hi:[0,1,1] neg_lo:[1,0,0] neg_hi:[1,0,0]
	s_waitcnt lgkmcnt(3)
	v_pk_fma_f32 v[28:29], v[52:53], v[82:83], v[28:29] op_sel_hi:[0,1,1] neg_lo:[1,0,0] neg_hi:[1,0,0]
	;; [unrolled: 2-line block ×5, first 2 shown]
.LBB126_318:
	s_or_b64 exec, exec, s[0:1]
	v_lshl_add_u32 v72, v75, 2, v67
	s_barrier
	ds_write_b32 v72, v53
	s_waitcnt lgkmcnt(0)
	s_barrier
	ds_read_b32 v74, v67 offset:76
	s_cmp_lt_i32 s22, 21
	v_mov_b32_e32 v72, 19
	s_cbranch_scc1 .LBB126_321
; %bb.319:
	v_add_u32_e32 v76, 0x50, v67
	v_mov_b32_e32 v72, 19
	s_mov_b32 s0, 20
.LBB126_320:                            ; =>This Inner Loop Header: Depth=1
	ds_read_b32 v77, v76
	v_mov_b32_e32 v78, s0
	s_add_i32 s0, s0, 1
	v_add_u32_e32 v76, 4, v76
	s_cmp_lg_u32 s22, s0
	s_waitcnt lgkmcnt(0)
	v_cmp_lt_f32_e64 vcc, |v74|, |v77|
	s_nop 1
	v_cndmask_b32_e32 v74, v74, v77, vcc
	v_cndmask_b32_e32 v72, v72, v78, vcc
	s_cbranch_scc1 .LBB126_320
.LBB126_321:
	s_waitcnt lgkmcnt(0)
	v_cmp_eq_f32_e32 vcc, 0, v74
	s_and_saveexec_b64 s[0:1], vcc
	s_xor_b64 s[0:1], exec, s[0:1]
; %bb.322:
	v_cmp_ne_u32_e32 vcc, 0, v71
	s_nop 1
	v_cndmask_b32_e32 v71, 20, v71, vcc
; %bb.323:
	s_andn2_saveexec_b64 s[0:1], s[0:1]
	s_cbranch_execz .LBB126_325
; %bb.324:
	v_div_scale_f32 v76, s[2:3], v74, v74, 1.0
	v_rcp_f32_e32 v77, v76
	v_div_scale_f32 v78, vcc, 1.0, v74, 1.0
	v_fma_f32 v79, -v76, v77, 1.0
	v_fmac_f32_e32 v77, v79, v77
	v_mul_f32_e32 v79, v78, v77
	v_fma_f32 v80, -v76, v79, v78
	v_fmac_f32_e32 v79, v80, v77
	v_fma_f32 v76, -v76, v79, v78
	v_div_fmas_f32 v76, v76, v77, v79
	v_div_fixup_f32 v74, v76, v74, 1.0
.LBB126_325:
	s_or_b64 exec, exec, s[0:1]
	v_cmp_ne_u32_e32 vcc, v75, v72
	s_and_saveexec_b64 s[0:1], vcc
	s_xor_b64 s[0:1], exec, s[0:1]
	s_cbranch_execz .LBB126_331
; %bb.326:
	v_cmp_eq_u32_e32 vcc, 19, v75
	s_and_saveexec_b64 s[2:3], vcc
	s_cbranch_execz .LBB126_330
; %bb.327:
	v_cmp_ne_u32_e32 vcc, 19, v72
	s_xor_b64 s[12:13], s[20:21], -1
	s_and_b64 s[14:15], s[12:13], vcc
	s_and_saveexec_b64 s[12:13], s[14:15]
	s_cbranch_execz .LBB126_329
; %bb.328:
	v_ashrrev_i32_e32 v73, 31, v72
	v_lshl_add_u64 v[76:77], v[72:73], 2, v[4:5]
	global_load_dword v73, v[76:77], off
	global_load_dword v75, v[4:5], off offset:76
	s_waitcnt vmcnt(1)
	global_store_dword v[4:5], v73, off offset:76
	s_waitcnt vmcnt(1)
	global_store_dword v[76:77], v75, off
.LBB126_329:
	s_or_b64 exec, exec, s[12:13]
	v_mov_b32_e32 v73, v72
	v_mov_b32_e32 v75, v72
.LBB126_330:
	s_or_b64 exec, exec, s[2:3]
.LBB126_331:
	s_andn2_saveexec_b64 s[0:1], s[0:1]
	s_cbranch_execz .LBB126_333
; %bb.332:
	v_mov_b32_e32 v75, 19
	ds_write2_b32 v67, v44, v45 offset0:20 offset1:21
	ds_write2_b32 v67, v34, v35 offset0:22 offset1:23
	;; [unrolled: 1-line block ×22, first 2 shown]
.LBB126_333:
	s_or_b64 exec, exec, s[0:1]
	v_cmp_lt_i32_e32 vcc, 19, v75
	s_waitcnt lgkmcnt(0)
	s_barrier
	s_and_saveexec_b64 s[0:1], vcc
	s_cbranch_execz .LBB126_335
; %bb.334:
	ds_read2_b32 v[76:77], v67 offset0:20 offset1:21
	ds_read2_b32 v[78:79], v67 offset0:22 offset1:23
	;; [unrolled: 1-line block ×4, first 2 shown]
	v_mul_f32_e32 v72, v74, v53
	s_waitcnt lgkmcnt(3)
	v_pk_fma_f32 v[44:45], v[72:73], v[76:77], v[44:45] op_sel_hi:[0,1,1] neg_lo:[1,0,0] neg_hi:[1,0,0]
	s_waitcnt lgkmcnt(2)
	v_pk_fma_f32 v[34:35], v[72:73], v[78:79], v[34:35] op_sel_hi:[0,1,1] neg_lo:[1,0,0] neg_hi:[1,0,0]
	s_waitcnt lgkmcnt(1)
	v_pk_fma_f32 v[54:55], v[72:73], v[80:81], v[54:55] op_sel_hi:[0,1,1] neg_lo:[1,0,0] neg_hi:[1,0,0]
	ds_read2_b32 v[76:77], v67 offset0:28 offset1:29
	ds_read2_b32 v[78:79], v67 offset0:30 offset1:31
	ds_read2_b32 v[80:81], v67 offset0:32 offset1:33
	s_waitcnt lgkmcnt(3)
	v_pk_fma_f32 v[46:47], v[72:73], v[82:83], v[46:47] op_sel_hi:[0,1,1] neg_lo:[1,0,0] neg_hi:[1,0,0]
	ds_read2_b32 v[82:83], v67 offset0:34 offset1:35
	s_waitcnt lgkmcnt(3)
	v_pk_fma_f32 v[36:37], v[72:73], v[76:77], v[36:37] op_sel_hi:[0,1,1] neg_lo:[1,0,0] neg_hi:[1,0,0]
	s_waitcnt lgkmcnt(2)
	v_pk_fma_f32 v[24:25], v[72:73], v[78:79], v[24:25] op_sel_hi:[0,1,1] neg_lo:[1,0,0] neg_hi:[1,0,0]
	s_waitcnt lgkmcnt(1)
	v_pk_fma_f32 v[48:49], v[72:73], v[80:81], v[48:49] op_sel_hi:[0,1,1] neg_lo:[1,0,0] neg_hi:[1,0,0]
	ds_read2_b32 v[76:77], v67 offset0:36 offset1:37
	ds_read2_b32 v[78:79], v67 offset0:38 offset1:39
	ds_read2_b32 v[80:81], v67 offset0:40 offset1:41
	s_waitcnt lgkmcnt(3)
	v_pk_fma_f32 v[38:39], v[72:73], v[82:83], v[38:39] op_sel_hi:[0,1,1] neg_lo:[1,0,0] neg_hi:[1,0,0]
	ds_read2_b32 v[82:83], v67 offset0:42 offset1:43
	;; [unrolled: 12-line block ×3, first 2 shown]
	s_waitcnt lgkmcnt(3)
	v_pk_fma_f32 v[20:21], v[72:73], v[76:77], v[20:21] op_sel_hi:[0,1,1] neg_lo:[1,0,0] neg_hi:[1,0,0]
	ds_read2_b32 v[76:77], v67 offset0:52 offset1:53
	s_waitcnt lgkmcnt(3)
	v_pk_fma_f32 v[12:13], v[72:73], v[78:79], v[12:13] op_sel_hi:[0,1,1] neg_lo:[1,0,0] neg_hi:[1,0,0]
	s_waitcnt lgkmcnt(2)
	v_pk_fma_f32 v[32:33], v[72:73], v[80:81], v[32:33] op_sel_hi:[0,1,1] neg_lo:[1,0,0] neg_hi:[1,0,0]
	;; [unrolled: 2-line block ×3, first 2 shown]
	ds_read2_b32 v[78:79], v67 offset0:54 offset1:55
	ds_read2_b32 v[80:81], v67 offset0:56 offset1:57
	;; [unrolled: 1-line block ×3, first 2 shown]
	s_waitcnt lgkmcnt(3)
	v_pk_fma_f32 v[14:15], v[72:73], v[76:77], v[14:15] op_sel_hi:[0,1,1] neg_lo:[1,0,0] neg_hi:[1,0,0]
	ds_read2_b32 v[76:77], v67 offset0:60 offset1:61
	ds_read2_b32 v[84:85], v67 offset0:62 offset1:63
	s_waitcnt lgkmcnt(4)
	v_pk_fma_f32 v[0:1], v[72:73], v[78:79], v[0:1] op_sel_hi:[0,1,1] neg_lo:[1,0,0] neg_hi:[1,0,0]
	s_waitcnt lgkmcnt(3)
	v_pk_fma_f32 v[28:29], v[72:73], v[80:81], v[28:29] op_sel_hi:[0,1,1] neg_lo:[1,0,0] neg_hi:[1,0,0]
	;; [unrolled: 2-line block ×5, first 2 shown]
	v_mov_b32_e32 v53, v72
.LBB126_335:
	s_or_b64 exec, exec, s[0:1]
	v_lshl_add_u32 v72, v75, 2, v67
	s_barrier
	ds_write_b32 v72, v44
	s_waitcnt lgkmcnt(0)
	s_barrier
	ds_read_b32 v74, v67 offset:80
	s_cmp_lt_i32 s22, 22
	v_mov_b32_e32 v72, 20
	s_cbranch_scc1 .LBB126_338
; %bb.336:
	v_add_u32_e32 v76, 0x54, v67
	v_mov_b32_e32 v72, 20
	s_mov_b32 s0, 21
.LBB126_337:                            ; =>This Inner Loop Header: Depth=1
	ds_read_b32 v77, v76
	v_mov_b32_e32 v78, s0
	s_add_i32 s0, s0, 1
	v_add_u32_e32 v76, 4, v76
	s_cmp_lg_u32 s22, s0
	s_waitcnt lgkmcnt(0)
	v_cmp_lt_f32_e64 vcc, |v74|, |v77|
	s_nop 1
	v_cndmask_b32_e32 v74, v74, v77, vcc
	v_cndmask_b32_e32 v72, v72, v78, vcc
	s_cbranch_scc1 .LBB126_337
.LBB126_338:
	s_waitcnt lgkmcnt(0)
	v_cmp_eq_f32_e32 vcc, 0, v74
	s_and_saveexec_b64 s[0:1], vcc
	s_xor_b64 s[0:1], exec, s[0:1]
; %bb.339:
	v_cmp_ne_u32_e32 vcc, 0, v71
	s_nop 1
	v_cndmask_b32_e32 v71, 21, v71, vcc
; %bb.340:
	s_andn2_saveexec_b64 s[0:1], s[0:1]
	s_cbranch_execz .LBB126_342
; %bb.341:
	v_div_scale_f32 v76, s[2:3], v74, v74, 1.0
	v_rcp_f32_e32 v77, v76
	v_div_scale_f32 v78, vcc, 1.0, v74, 1.0
	v_fma_f32 v79, -v76, v77, 1.0
	v_fmac_f32_e32 v77, v79, v77
	v_mul_f32_e32 v79, v78, v77
	v_fma_f32 v80, -v76, v79, v78
	v_fmac_f32_e32 v79, v80, v77
	v_fma_f32 v76, -v76, v79, v78
	v_div_fmas_f32 v76, v76, v77, v79
	v_div_fixup_f32 v74, v76, v74, 1.0
.LBB126_342:
	s_or_b64 exec, exec, s[0:1]
	v_cmp_ne_u32_e32 vcc, v75, v72
	s_and_saveexec_b64 s[0:1], vcc
	s_xor_b64 s[0:1], exec, s[0:1]
	s_cbranch_execz .LBB126_348
; %bb.343:
	v_cmp_eq_u32_e32 vcc, 20, v75
	s_and_saveexec_b64 s[2:3], vcc
	s_cbranch_execz .LBB126_347
; %bb.344:
	v_cmp_ne_u32_e32 vcc, 20, v72
	s_xor_b64 s[12:13], s[20:21], -1
	s_and_b64 s[14:15], s[12:13], vcc
	s_and_saveexec_b64 s[12:13], s[14:15]
	s_cbranch_execz .LBB126_346
; %bb.345:
	v_ashrrev_i32_e32 v73, 31, v72
	v_lshl_add_u64 v[76:77], v[72:73], 2, v[4:5]
	global_load_dword v73, v[76:77], off
	global_load_dword v75, v[4:5], off offset:80
	s_waitcnt vmcnt(1)
	global_store_dword v[4:5], v73, off offset:80
	s_waitcnt vmcnt(1)
	global_store_dword v[76:77], v75, off
.LBB126_346:
	s_or_b64 exec, exec, s[12:13]
	v_mov_b32_e32 v73, v72
	v_mov_b32_e32 v75, v72
.LBB126_347:
	s_or_b64 exec, exec, s[2:3]
.LBB126_348:
	s_andn2_saveexec_b64 s[0:1], s[0:1]
	s_cbranch_execz .LBB126_350
; %bb.349:
	v_pk_mov_b32 v[76:77], v[44:45], v[34:35] op_sel:[1,0]
	ds_write2_b32 v67, v76, v77 offset0:21 offset1:22
	v_pk_mov_b32 v[76:77], v[34:35], v[54:55] op_sel:[1,0]
	ds_write2_b32 v67, v76, v77 offset0:23 offset1:24
	;; [unrolled: 2-line block ×20, first 2 shown]
	v_pk_mov_b32 v[76:77], v[10:11], v[8:9] op_sel:[1,0]
	v_mov_b32_e32 v75, 20
	ds_write2_b32 v67, v76, v77 offset0:61 offset1:62
	ds_write_b32 v67, v9 offset:252
.LBB126_350:
	s_or_b64 exec, exec, s[0:1]
	v_cmp_lt_i32_e32 vcc, 20, v75
	s_waitcnt lgkmcnt(0)
	s_barrier
	s_and_saveexec_b64 s[0:1], vcc
	s_cbranch_execz .LBB126_352
; %bb.351:
	ds_read_b32 v72, v67 offset:84
	ds_read2_b32 v[76:77], v67 offset0:22 offset1:23
	ds_read2_b32 v[78:79], v67 offset0:24 offset1:25
	v_mul_f32_e32 v44, v74, v44
	ds_read2_b32 v[80:81], v67 offset0:26 offset1:27
	s_waitcnt lgkmcnt(3)
	v_fma_f32 v45, -v44, v72, v45
	s_waitcnt lgkmcnt(2)
	v_pk_fma_f32 v[34:35], v[44:45], v[76:77], v[34:35] op_sel_hi:[0,1,1] neg_lo:[1,0,0] neg_hi:[1,0,0]
	s_waitcnt lgkmcnt(1)
	v_pk_fma_f32 v[54:55], v[44:45], v[78:79], v[54:55] op_sel_hi:[0,1,1] neg_lo:[1,0,0] neg_hi:[1,0,0]
	ds_read2_b32 v[76:77], v67 offset0:28 offset1:29
	ds_read2_b32 v[78:79], v67 offset0:30 offset1:31
	ds_read2_b32 v[82:83], v67 offset0:32 offset1:33
	s_waitcnt lgkmcnt(3)
	v_pk_fma_f32 v[46:47], v[44:45], v[80:81], v[46:47] op_sel_hi:[0,1,1] neg_lo:[1,0,0] neg_hi:[1,0,0]
	ds_read2_b32 v[80:81], v67 offset0:34 offset1:35
	s_waitcnt lgkmcnt(3)
	v_pk_fma_f32 v[36:37], v[44:45], v[76:77], v[36:37] op_sel_hi:[0,1,1] neg_lo:[1,0,0] neg_hi:[1,0,0]
	s_waitcnt lgkmcnt(2)
	v_pk_fma_f32 v[24:25], v[44:45], v[78:79], v[24:25] op_sel_hi:[0,1,1] neg_lo:[1,0,0] neg_hi:[1,0,0]
	s_waitcnt lgkmcnt(1)
	v_pk_fma_f32 v[48:49], v[44:45], v[82:83], v[48:49] op_sel_hi:[0,1,1] neg_lo:[1,0,0] neg_hi:[1,0,0]
	ds_read2_b32 v[76:77], v67 offset0:36 offset1:37
	ds_read2_b32 v[78:79], v67 offset0:38 offset1:39
	ds_read2_b32 v[82:83], v67 offset0:40 offset1:41
	s_waitcnt lgkmcnt(3)
	v_pk_fma_f32 v[38:39], v[44:45], v[80:81], v[38:39] op_sel_hi:[0,1,1] neg_lo:[1,0,0] neg_hi:[1,0,0]
	ds_read2_b32 v[80:81], v67 offset0:42 offset1:43
	s_waitcnt lgkmcnt(3)
	v_pk_fma_f32 v[26:27], v[44:45], v[76:77], v[26:27] op_sel_hi:[0,1,1] neg_lo:[1,0,0] neg_hi:[1,0,0]
	;; [unrolled: 12-line block ×3, first 2 shown]
	ds_read2_b32 v[76:77], v67 offset0:52 offset1:53
	s_waitcnt lgkmcnt(3)
	v_pk_fma_f32 v[12:13], v[44:45], v[78:79], v[12:13] op_sel_hi:[0,1,1] neg_lo:[1,0,0] neg_hi:[1,0,0]
	s_waitcnt lgkmcnt(2)
	v_pk_fma_f32 v[32:33], v[44:45], v[82:83], v[32:33] op_sel_hi:[0,1,1] neg_lo:[1,0,0] neg_hi:[1,0,0]
	;; [unrolled: 2-line block ×3, first 2 shown]
	ds_read2_b32 v[78:79], v67 offset0:54 offset1:55
	ds_read2_b32 v[80:81], v67 offset0:56 offset1:57
	;; [unrolled: 1-line block ×3, first 2 shown]
	s_waitcnt lgkmcnt(3)
	v_pk_fma_f32 v[14:15], v[44:45], v[76:77], v[14:15] op_sel_hi:[0,1,1] neg_lo:[1,0,0] neg_hi:[1,0,0]
	ds_read2_b32 v[76:77], v67 offset0:60 offset1:61
	ds_read2_b32 v[84:85], v67 offset0:62 offset1:63
	s_waitcnt lgkmcnt(4)
	v_pk_fma_f32 v[0:1], v[44:45], v[78:79], v[0:1] op_sel_hi:[0,1,1] neg_lo:[1,0,0] neg_hi:[1,0,0]
	s_waitcnt lgkmcnt(3)
	v_pk_fma_f32 v[28:29], v[44:45], v[80:81], v[28:29] op_sel_hi:[0,1,1] neg_lo:[1,0,0] neg_hi:[1,0,0]
	;; [unrolled: 2-line block ×5, first 2 shown]
.LBB126_352:
	s_or_b64 exec, exec, s[0:1]
	v_lshl_add_u32 v72, v75, 2, v67
	s_barrier
	ds_write_b32 v72, v45
	s_waitcnt lgkmcnt(0)
	s_barrier
	ds_read_b32 v74, v67 offset:84
	s_cmp_lt_i32 s22, 23
	v_mov_b32_e32 v72, 21
	s_cbranch_scc1 .LBB126_355
; %bb.353:
	v_add_u32_e32 v76, 0x58, v67
	v_mov_b32_e32 v72, 21
	s_mov_b32 s0, 22
.LBB126_354:                            ; =>This Inner Loop Header: Depth=1
	ds_read_b32 v77, v76
	v_mov_b32_e32 v78, s0
	s_add_i32 s0, s0, 1
	v_add_u32_e32 v76, 4, v76
	s_cmp_lg_u32 s22, s0
	s_waitcnt lgkmcnt(0)
	v_cmp_lt_f32_e64 vcc, |v74|, |v77|
	s_nop 1
	v_cndmask_b32_e32 v74, v74, v77, vcc
	v_cndmask_b32_e32 v72, v72, v78, vcc
	s_cbranch_scc1 .LBB126_354
.LBB126_355:
	s_waitcnt lgkmcnt(0)
	v_cmp_eq_f32_e32 vcc, 0, v74
	s_and_saveexec_b64 s[0:1], vcc
	s_xor_b64 s[0:1], exec, s[0:1]
; %bb.356:
	v_cmp_ne_u32_e32 vcc, 0, v71
	s_nop 1
	v_cndmask_b32_e32 v71, 22, v71, vcc
; %bb.357:
	s_andn2_saveexec_b64 s[0:1], s[0:1]
	s_cbranch_execz .LBB126_359
; %bb.358:
	v_div_scale_f32 v76, s[2:3], v74, v74, 1.0
	v_rcp_f32_e32 v77, v76
	v_div_scale_f32 v78, vcc, 1.0, v74, 1.0
	v_fma_f32 v79, -v76, v77, 1.0
	v_fmac_f32_e32 v77, v79, v77
	v_mul_f32_e32 v79, v78, v77
	v_fma_f32 v80, -v76, v79, v78
	v_fmac_f32_e32 v79, v80, v77
	v_fma_f32 v76, -v76, v79, v78
	v_div_fmas_f32 v76, v76, v77, v79
	v_div_fixup_f32 v74, v76, v74, 1.0
.LBB126_359:
	s_or_b64 exec, exec, s[0:1]
	v_cmp_ne_u32_e32 vcc, v75, v72
	s_and_saveexec_b64 s[0:1], vcc
	s_xor_b64 s[0:1], exec, s[0:1]
	s_cbranch_execz .LBB126_365
; %bb.360:
	v_cmp_eq_u32_e32 vcc, 21, v75
	s_and_saveexec_b64 s[2:3], vcc
	s_cbranch_execz .LBB126_364
; %bb.361:
	v_cmp_ne_u32_e32 vcc, 21, v72
	s_xor_b64 s[12:13], s[20:21], -1
	s_and_b64 s[14:15], s[12:13], vcc
	s_and_saveexec_b64 s[12:13], s[14:15]
	s_cbranch_execz .LBB126_363
; %bb.362:
	v_ashrrev_i32_e32 v73, 31, v72
	v_lshl_add_u64 v[76:77], v[72:73], 2, v[4:5]
	global_load_dword v73, v[76:77], off
	global_load_dword v75, v[4:5], off offset:84
	s_waitcnt vmcnt(1)
	global_store_dword v[4:5], v73, off offset:84
	s_waitcnt vmcnt(1)
	global_store_dword v[76:77], v75, off
.LBB126_363:
	s_or_b64 exec, exec, s[12:13]
	v_mov_b32_e32 v73, v72
	v_mov_b32_e32 v75, v72
.LBB126_364:
	s_or_b64 exec, exec, s[2:3]
.LBB126_365:
	s_andn2_saveexec_b64 s[0:1], s[0:1]
	s_cbranch_execz .LBB126_367
; %bb.366:
	v_mov_b32_e32 v75, 21
	ds_write2_b32 v67, v34, v35 offset0:22 offset1:23
	ds_write2_b32 v67, v54, v55 offset0:24 offset1:25
	ds_write2_b32 v67, v46, v47 offset0:26 offset1:27
	ds_write2_b32 v67, v36, v37 offset0:28 offset1:29
	ds_write2_b32 v67, v24, v25 offset0:30 offset1:31
	ds_write2_b32 v67, v48, v49 offset0:32 offset1:33
	ds_write2_b32 v67, v38, v39 offset0:34 offset1:35
	ds_write2_b32 v67, v26, v27 offset0:36 offset1:37
	ds_write2_b32 v67, v18, v19 offset0:38 offset1:39
	ds_write2_b32 v67, v40, v41 offset0:40 offset1:41
	ds_write2_b32 v67, v30, v31 offset0:42 offset1:43
	ds_write2_b32 v67, v20, v21 offset0:44 offset1:45
	ds_write2_b32 v67, v12, v13 offset0:46 offset1:47
	ds_write2_b32 v67, v32, v33 offset0:48 offset1:49
	ds_write2_b32 v67, v22, v23 offset0:50 offset1:51
	ds_write2_b32 v67, v14, v15 offset0:52 offset1:53
	ds_write2_b32 v67, v0, v1 offset0:54 offset1:55
	ds_write2_b32 v67, v28, v29 offset0:56 offset1:57
	ds_write2_b32 v67, v16, v17 offset0:58 offset1:59
	ds_write2_b32 v67, v10, v11 offset0:60 offset1:61
	ds_write2_b32 v67, v8, v9 offset0:62 offset1:63
.LBB126_367:
	s_or_b64 exec, exec, s[0:1]
	v_cmp_lt_i32_e32 vcc, 21, v75
	s_waitcnt lgkmcnt(0)
	s_barrier
	s_and_saveexec_b64 s[0:1], vcc
	s_cbranch_execz .LBB126_369
; %bb.368:
	ds_read2_b32 v[76:77], v67 offset0:22 offset1:23
	ds_read2_b32 v[78:79], v67 offset0:24 offset1:25
	;; [unrolled: 1-line block ×3, first 2 shown]
	v_mul_f32_e32 v72, v74, v45
	ds_read2_b32 v[82:83], v67 offset0:28 offset1:29
	s_waitcnt lgkmcnt(3)
	v_pk_fma_f32 v[34:35], v[72:73], v[76:77], v[34:35] op_sel_hi:[0,1,1] neg_lo:[1,0,0] neg_hi:[1,0,0]
	s_waitcnt lgkmcnt(2)
	v_pk_fma_f32 v[54:55], v[72:73], v[78:79], v[54:55] op_sel_hi:[0,1,1] neg_lo:[1,0,0] neg_hi:[1,0,0]
	;; [unrolled: 2-line block ×3, first 2 shown]
	ds_read2_b32 v[76:77], v67 offset0:30 offset1:31
	ds_read2_b32 v[78:79], v67 offset0:32 offset1:33
	;; [unrolled: 1-line block ×3, first 2 shown]
	s_waitcnt lgkmcnt(3)
	v_pk_fma_f32 v[36:37], v[72:73], v[82:83], v[36:37] op_sel_hi:[0,1,1] neg_lo:[1,0,0] neg_hi:[1,0,0]
	ds_read2_b32 v[82:83], v67 offset0:36 offset1:37
	s_waitcnt lgkmcnt(3)
	v_pk_fma_f32 v[24:25], v[72:73], v[76:77], v[24:25] op_sel_hi:[0,1,1] neg_lo:[1,0,0] neg_hi:[1,0,0]
	s_waitcnt lgkmcnt(2)
	v_pk_fma_f32 v[48:49], v[72:73], v[78:79], v[48:49] op_sel_hi:[0,1,1] neg_lo:[1,0,0] neg_hi:[1,0,0]
	;; [unrolled: 2-line block ×3, first 2 shown]
	ds_read2_b32 v[76:77], v67 offset0:38 offset1:39
	ds_read2_b32 v[78:79], v67 offset0:40 offset1:41
	;; [unrolled: 1-line block ×3, first 2 shown]
	s_waitcnt lgkmcnt(3)
	v_pk_fma_f32 v[26:27], v[72:73], v[82:83], v[26:27] op_sel_hi:[0,1,1] neg_lo:[1,0,0] neg_hi:[1,0,0]
	ds_read2_b32 v[82:83], v67 offset0:44 offset1:45
	s_waitcnt lgkmcnt(3)
	v_pk_fma_f32 v[18:19], v[72:73], v[76:77], v[18:19] op_sel_hi:[0,1,1] neg_lo:[1,0,0] neg_hi:[1,0,0]
	s_waitcnt lgkmcnt(2)
	v_pk_fma_f32 v[40:41], v[72:73], v[78:79], v[40:41] op_sel_hi:[0,1,1] neg_lo:[1,0,0] neg_hi:[1,0,0]
	;; [unrolled: 2-line block ×3, first 2 shown]
	ds_read2_b32 v[76:77], v67 offset0:46 offset1:47
	ds_read2_b32 v[78:79], v67 offset0:48 offset1:49
	;; [unrolled: 1-line block ×4, first 2 shown]
	s_waitcnt lgkmcnt(4)
	v_pk_fma_f32 v[20:21], v[72:73], v[82:83], v[20:21] op_sel_hi:[0,1,1] neg_lo:[1,0,0] neg_hi:[1,0,0]
	s_waitcnt lgkmcnt(3)
	v_pk_fma_f32 v[12:13], v[72:73], v[76:77], v[12:13] op_sel_hi:[0,1,1] neg_lo:[1,0,0] neg_hi:[1,0,0]
	;; [unrolled: 2-line block ×5, first 2 shown]
	ds_read2_b32 v[76:77], v67 offset0:54 offset1:55
	ds_read2_b32 v[78:79], v67 offset0:56 offset1:57
	;; [unrolled: 1-line block ×5, first 2 shown]
	s_waitcnt lgkmcnt(4)
	v_pk_fma_f32 v[0:1], v[72:73], v[76:77], v[0:1] op_sel_hi:[0,1,1] neg_lo:[1,0,0] neg_hi:[1,0,0]
	s_waitcnt lgkmcnt(3)
	v_pk_fma_f32 v[28:29], v[72:73], v[78:79], v[28:29] op_sel_hi:[0,1,1] neg_lo:[1,0,0] neg_hi:[1,0,0]
	;; [unrolled: 2-line block ×5, first 2 shown]
	v_mov_b32_e32 v45, v72
.LBB126_369:
	s_or_b64 exec, exec, s[0:1]
	v_lshl_add_u32 v72, v75, 2, v67
	s_barrier
	ds_write_b32 v72, v34
	s_waitcnt lgkmcnt(0)
	s_barrier
	ds_read_b32 v74, v67 offset:88
	s_cmp_lt_i32 s22, 24
	v_mov_b32_e32 v72, 22
	s_cbranch_scc1 .LBB126_372
; %bb.370:
	v_add_u32_e32 v76, 0x5c, v67
	v_mov_b32_e32 v72, 22
	s_mov_b32 s0, 23
.LBB126_371:                            ; =>This Inner Loop Header: Depth=1
	ds_read_b32 v77, v76
	v_mov_b32_e32 v78, s0
	s_add_i32 s0, s0, 1
	v_add_u32_e32 v76, 4, v76
	s_cmp_lg_u32 s22, s0
	s_waitcnt lgkmcnt(0)
	v_cmp_lt_f32_e64 vcc, |v74|, |v77|
	s_nop 1
	v_cndmask_b32_e32 v74, v74, v77, vcc
	v_cndmask_b32_e32 v72, v72, v78, vcc
	s_cbranch_scc1 .LBB126_371
.LBB126_372:
	s_waitcnt lgkmcnt(0)
	v_cmp_eq_f32_e32 vcc, 0, v74
	s_and_saveexec_b64 s[0:1], vcc
	s_xor_b64 s[0:1], exec, s[0:1]
; %bb.373:
	v_cmp_ne_u32_e32 vcc, 0, v71
	s_nop 1
	v_cndmask_b32_e32 v71, 23, v71, vcc
; %bb.374:
	s_andn2_saveexec_b64 s[0:1], s[0:1]
	s_cbranch_execz .LBB126_376
; %bb.375:
	v_div_scale_f32 v76, s[2:3], v74, v74, 1.0
	v_rcp_f32_e32 v77, v76
	v_div_scale_f32 v78, vcc, 1.0, v74, 1.0
	v_fma_f32 v79, -v76, v77, 1.0
	v_fmac_f32_e32 v77, v79, v77
	v_mul_f32_e32 v79, v78, v77
	v_fma_f32 v80, -v76, v79, v78
	v_fmac_f32_e32 v79, v80, v77
	v_fma_f32 v76, -v76, v79, v78
	v_div_fmas_f32 v76, v76, v77, v79
	v_div_fixup_f32 v74, v76, v74, 1.0
.LBB126_376:
	s_or_b64 exec, exec, s[0:1]
	v_cmp_ne_u32_e32 vcc, v75, v72
	s_and_saveexec_b64 s[0:1], vcc
	s_xor_b64 s[0:1], exec, s[0:1]
	s_cbranch_execz .LBB126_382
; %bb.377:
	v_cmp_eq_u32_e32 vcc, 22, v75
	s_and_saveexec_b64 s[2:3], vcc
	s_cbranch_execz .LBB126_381
; %bb.378:
	v_cmp_ne_u32_e32 vcc, 22, v72
	s_xor_b64 s[12:13], s[20:21], -1
	s_and_b64 s[14:15], s[12:13], vcc
	s_and_saveexec_b64 s[12:13], s[14:15]
	s_cbranch_execz .LBB126_380
; %bb.379:
	v_ashrrev_i32_e32 v73, 31, v72
	v_lshl_add_u64 v[76:77], v[72:73], 2, v[4:5]
	global_load_dword v73, v[76:77], off
	global_load_dword v75, v[4:5], off offset:88
	s_waitcnt vmcnt(1)
	global_store_dword v[4:5], v73, off offset:88
	s_waitcnt vmcnt(1)
	global_store_dword v[76:77], v75, off
.LBB126_380:
	s_or_b64 exec, exec, s[12:13]
	v_mov_b32_e32 v73, v72
	v_mov_b32_e32 v75, v72
.LBB126_381:
	s_or_b64 exec, exec, s[2:3]
.LBB126_382:
	s_andn2_saveexec_b64 s[0:1], s[0:1]
	s_cbranch_execz .LBB126_384
; %bb.383:
	v_pk_mov_b32 v[76:77], v[34:35], v[54:55] op_sel:[1,0]
	ds_write2_b32 v67, v76, v77 offset0:23 offset1:24
	v_pk_mov_b32 v[76:77], v[54:55], v[46:47] op_sel:[1,0]
	ds_write2_b32 v67, v76, v77 offset0:25 offset1:26
	;; [unrolled: 2-line block ×19, first 2 shown]
	v_pk_mov_b32 v[76:77], v[10:11], v[8:9] op_sel:[1,0]
	v_mov_b32_e32 v75, 22
	ds_write2_b32 v67, v76, v77 offset0:61 offset1:62
	ds_write_b32 v67, v9 offset:252
.LBB126_384:
	s_or_b64 exec, exec, s[0:1]
	v_cmp_lt_i32_e32 vcc, 22, v75
	s_waitcnt lgkmcnt(0)
	s_barrier
	s_and_saveexec_b64 s[0:1], vcc
	s_cbranch_execz .LBB126_386
; %bb.385:
	ds_read_b32 v72, v67 offset:92
	ds_read2_b32 v[76:77], v67 offset0:24 offset1:25
	ds_read2_b32 v[78:79], v67 offset0:26 offset1:27
	v_mul_f32_e32 v34, v74, v34
	ds_read2_b32 v[80:81], v67 offset0:28 offset1:29
	s_waitcnt lgkmcnt(3)
	v_fma_f32 v35, -v34, v72, v35
	s_waitcnt lgkmcnt(2)
	v_pk_fma_f32 v[54:55], v[34:35], v[76:77], v[54:55] op_sel_hi:[0,1,1] neg_lo:[1,0,0] neg_hi:[1,0,0]
	s_waitcnt lgkmcnt(1)
	v_pk_fma_f32 v[46:47], v[34:35], v[78:79], v[46:47] op_sel_hi:[0,1,1] neg_lo:[1,0,0] neg_hi:[1,0,0]
	ds_read2_b32 v[76:77], v67 offset0:30 offset1:31
	ds_read2_b32 v[78:79], v67 offset0:32 offset1:33
	;; [unrolled: 1-line block ×3, first 2 shown]
	s_waitcnt lgkmcnt(3)
	v_pk_fma_f32 v[36:37], v[34:35], v[80:81], v[36:37] op_sel_hi:[0,1,1] neg_lo:[1,0,0] neg_hi:[1,0,0]
	ds_read2_b32 v[80:81], v67 offset0:36 offset1:37
	s_waitcnt lgkmcnt(3)
	v_pk_fma_f32 v[24:25], v[34:35], v[76:77], v[24:25] op_sel_hi:[0,1,1] neg_lo:[1,0,0] neg_hi:[1,0,0]
	s_waitcnt lgkmcnt(2)
	v_pk_fma_f32 v[48:49], v[34:35], v[78:79], v[48:49] op_sel_hi:[0,1,1] neg_lo:[1,0,0] neg_hi:[1,0,0]
	;; [unrolled: 2-line block ×3, first 2 shown]
	ds_read2_b32 v[76:77], v67 offset0:38 offset1:39
	ds_read2_b32 v[78:79], v67 offset0:40 offset1:41
	;; [unrolled: 1-line block ×3, first 2 shown]
	s_waitcnt lgkmcnt(3)
	v_pk_fma_f32 v[26:27], v[34:35], v[80:81], v[26:27] op_sel_hi:[0,1,1] neg_lo:[1,0,0] neg_hi:[1,0,0]
	ds_read2_b32 v[80:81], v67 offset0:44 offset1:45
	s_waitcnt lgkmcnt(3)
	v_pk_fma_f32 v[18:19], v[34:35], v[76:77], v[18:19] op_sel_hi:[0,1,1] neg_lo:[1,0,0] neg_hi:[1,0,0]
	s_waitcnt lgkmcnt(2)
	v_pk_fma_f32 v[40:41], v[34:35], v[78:79], v[40:41] op_sel_hi:[0,1,1] neg_lo:[1,0,0] neg_hi:[1,0,0]
	;; [unrolled: 2-line block ×3, first 2 shown]
	ds_read2_b32 v[76:77], v67 offset0:46 offset1:47
	ds_read2_b32 v[78:79], v67 offset0:48 offset1:49
	;; [unrolled: 1-line block ×4, first 2 shown]
	s_waitcnt lgkmcnt(4)
	v_pk_fma_f32 v[20:21], v[34:35], v[80:81], v[20:21] op_sel_hi:[0,1,1] neg_lo:[1,0,0] neg_hi:[1,0,0]
	s_waitcnt lgkmcnt(3)
	v_pk_fma_f32 v[12:13], v[34:35], v[76:77], v[12:13] op_sel_hi:[0,1,1] neg_lo:[1,0,0] neg_hi:[1,0,0]
	;; [unrolled: 2-line block ×5, first 2 shown]
	ds_read2_b32 v[76:77], v67 offset0:54 offset1:55
	ds_read2_b32 v[78:79], v67 offset0:56 offset1:57
	;; [unrolled: 1-line block ×5, first 2 shown]
	s_waitcnt lgkmcnt(4)
	v_pk_fma_f32 v[0:1], v[34:35], v[76:77], v[0:1] op_sel_hi:[0,1,1] neg_lo:[1,0,0] neg_hi:[1,0,0]
	s_waitcnt lgkmcnt(3)
	v_pk_fma_f32 v[28:29], v[34:35], v[78:79], v[28:29] op_sel_hi:[0,1,1] neg_lo:[1,0,0] neg_hi:[1,0,0]
	;; [unrolled: 2-line block ×5, first 2 shown]
.LBB126_386:
	s_or_b64 exec, exec, s[0:1]
	v_lshl_add_u32 v72, v75, 2, v67
	s_barrier
	ds_write_b32 v72, v35
	s_waitcnt lgkmcnt(0)
	s_barrier
	ds_read_b32 v74, v67 offset:92
	s_cmp_lt_i32 s22, 25
	v_mov_b32_e32 v72, 23
	s_cbranch_scc1 .LBB126_389
; %bb.387:
	v_add_u32_e32 v76, 0x60, v67
	v_mov_b32_e32 v72, 23
	s_mov_b32 s0, 24
.LBB126_388:                            ; =>This Inner Loop Header: Depth=1
	ds_read_b32 v77, v76
	v_mov_b32_e32 v78, s0
	s_add_i32 s0, s0, 1
	v_add_u32_e32 v76, 4, v76
	s_cmp_lg_u32 s22, s0
	s_waitcnt lgkmcnt(0)
	v_cmp_lt_f32_e64 vcc, |v74|, |v77|
	s_nop 1
	v_cndmask_b32_e32 v74, v74, v77, vcc
	v_cndmask_b32_e32 v72, v72, v78, vcc
	s_cbranch_scc1 .LBB126_388
.LBB126_389:
	s_waitcnt lgkmcnt(0)
	v_cmp_eq_f32_e32 vcc, 0, v74
	s_and_saveexec_b64 s[0:1], vcc
	s_xor_b64 s[0:1], exec, s[0:1]
; %bb.390:
	v_cmp_ne_u32_e32 vcc, 0, v71
	s_nop 1
	v_cndmask_b32_e32 v71, 24, v71, vcc
; %bb.391:
	s_andn2_saveexec_b64 s[0:1], s[0:1]
	s_cbranch_execz .LBB126_393
; %bb.392:
	v_div_scale_f32 v76, s[2:3], v74, v74, 1.0
	v_rcp_f32_e32 v77, v76
	v_div_scale_f32 v78, vcc, 1.0, v74, 1.0
	v_fma_f32 v79, -v76, v77, 1.0
	v_fmac_f32_e32 v77, v79, v77
	v_mul_f32_e32 v79, v78, v77
	v_fma_f32 v80, -v76, v79, v78
	v_fmac_f32_e32 v79, v80, v77
	v_fma_f32 v76, -v76, v79, v78
	v_div_fmas_f32 v76, v76, v77, v79
	v_div_fixup_f32 v74, v76, v74, 1.0
.LBB126_393:
	s_or_b64 exec, exec, s[0:1]
	v_cmp_ne_u32_e32 vcc, v75, v72
	s_and_saveexec_b64 s[0:1], vcc
	s_xor_b64 s[0:1], exec, s[0:1]
	s_cbranch_execz .LBB126_399
; %bb.394:
	v_cmp_eq_u32_e32 vcc, 23, v75
	s_and_saveexec_b64 s[2:3], vcc
	s_cbranch_execz .LBB126_398
; %bb.395:
	v_cmp_ne_u32_e32 vcc, 23, v72
	s_xor_b64 s[12:13], s[20:21], -1
	s_and_b64 s[14:15], s[12:13], vcc
	s_and_saveexec_b64 s[12:13], s[14:15]
	s_cbranch_execz .LBB126_397
; %bb.396:
	v_ashrrev_i32_e32 v73, 31, v72
	v_lshl_add_u64 v[76:77], v[72:73], 2, v[4:5]
	global_load_dword v73, v[76:77], off
	global_load_dword v75, v[4:5], off offset:92
	s_waitcnt vmcnt(1)
	global_store_dword v[4:5], v73, off offset:92
	s_waitcnt vmcnt(1)
	global_store_dword v[76:77], v75, off
.LBB126_397:
	s_or_b64 exec, exec, s[12:13]
	v_mov_b32_e32 v73, v72
	v_mov_b32_e32 v75, v72
.LBB126_398:
	s_or_b64 exec, exec, s[2:3]
.LBB126_399:
	s_andn2_saveexec_b64 s[0:1], s[0:1]
	s_cbranch_execz .LBB126_401
; %bb.400:
	v_mov_b32_e32 v75, 23
	ds_write2_b32 v67, v54, v55 offset0:24 offset1:25
	ds_write2_b32 v67, v46, v47 offset0:26 offset1:27
	;; [unrolled: 1-line block ×20, first 2 shown]
.LBB126_401:
	s_or_b64 exec, exec, s[0:1]
	v_cmp_lt_i32_e32 vcc, 23, v75
	s_waitcnt lgkmcnt(0)
	s_barrier
	s_and_saveexec_b64 s[0:1], vcc
	s_cbranch_execz .LBB126_403
; %bb.402:
	ds_read2_b32 v[76:77], v67 offset0:24 offset1:25
	ds_read2_b32 v[78:79], v67 offset0:26 offset1:27
	;; [unrolled: 1-line block ×3, first 2 shown]
	v_mul_f32_e32 v72, v74, v35
	ds_read2_b32 v[82:83], v67 offset0:30 offset1:31
	s_waitcnt lgkmcnt(3)
	v_pk_fma_f32 v[54:55], v[72:73], v[76:77], v[54:55] op_sel_hi:[0,1,1] neg_lo:[1,0,0] neg_hi:[1,0,0]
	s_waitcnt lgkmcnt(2)
	v_pk_fma_f32 v[46:47], v[72:73], v[78:79], v[46:47] op_sel_hi:[0,1,1] neg_lo:[1,0,0] neg_hi:[1,0,0]
	s_waitcnt lgkmcnt(1)
	v_pk_fma_f32 v[36:37], v[72:73], v[80:81], v[36:37] op_sel_hi:[0,1,1] neg_lo:[1,0,0] neg_hi:[1,0,0]
	ds_read2_b32 v[76:77], v67 offset0:32 offset1:33
	ds_read2_b32 v[78:79], v67 offset0:34 offset1:35
	ds_read2_b32 v[80:81], v67 offset0:36 offset1:37
	s_waitcnt lgkmcnt(3)
	v_pk_fma_f32 v[24:25], v[72:73], v[82:83], v[24:25] op_sel_hi:[0,1,1] neg_lo:[1,0,0] neg_hi:[1,0,0]
	ds_read2_b32 v[82:83], v67 offset0:38 offset1:39
	s_waitcnt lgkmcnt(3)
	v_pk_fma_f32 v[48:49], v[72:73], v[76:77], v[48:49] op_sel_hi:[0,1,1] neg_lo:[1,0,0] neg_hi:[1,0,0]
	s_waitcnt lgkmcnt(2)
	v_pk_fma_f32 v[38:39], v[72:73], v[78:79], v[38:39] op_sel_hi:[0,1,1] neg_lo:[1,0,0] neg_hi:[1,0,0]
	s_waitcnt lgkmcnt(1)
	v_pk_fma_f32 v[26:27], v[72:73], v[80:81], v[26:27] op_sel_hi:[0,1,1] neg_lo:[1,0,0] neg_hi:[1,0,0]
	ds_read2_b32 v[76:77], v67 offset0:40 offset1:41
	ds_read2_b32 v[78:79], v67 offset0:42 offset1:43
	ds_read2_b32 v[80:81], v67 offset0:44 offset1:45
	s_waitcnt lgkmcnt(3)
	v_pk_fma_f32 v[18:19], v[72:73], v[82:83], v[18:19] op_sel_hi:[0,1,1] neg_lo:[1,0,0] neg_hi:[1,0,0]
	ds_read2_b32 v[82:83], v67 offset0:46 offset1:47
	s_waitcnt lgkmcnt(3)
	v_pk_fma_f32 v[40:41], v[72:73], v[76:77], v[40:41] op_sel_hi:[0,1,1] neg_lo:[1,0,0] neg_hi:[1,0,0]
	s_waitcnt lgkmcnt(2)
	v_pk_fma_f32 v[30:31], v[72:73], v[78:79], v[30:31] op_sel_hi:[0,1,1] neg_lo:[1,0,0] neg_hi:[1,0,0]
	s_waitcnt lgkmcnt(1)
	v_pk_fma_f32 v[20:21], v[72:73], v[80:81], v[20:21] op_sel_hi:[0,1,1] neg_lo:[1,0,0] neg_hi:[1,0,0]
	ds_read2_b32 v[76:77], v67 offset0:48 offset1:49
	ds_read2_b32 v[78:79], v67 offset0:50 offset1:51
	ds_read2_b32 v[80:81], v67 offset0:52 offset1:53
	s_waitcnt lgkmcnt(3)
	v_pk_fma_f32 v[12:13], v[72:73], v[82:83], v[12:13] op_sel_hi:[0,1,1] neg_lo:[1,0,0] neg_hi:[1,0,0]
	ds_read2_b32 v[82:83], v67 offset0:54 offset1:55
	s_waitcnt lgkmcnt(3)
	v_pk_fma_f32 v[32:33], v[72:73], v[76:77], v[32:33] op_sel_hi:[0,1,1] neg_lo:[1,0,0] neg_hi:[1,0,0]
	s_waitcnt lgkmcnt(2)
	v_pk_fma_f32 v[22:23], v[72:73], v[78:79], v[22:23] op_sel_hi:[0,1,1] neg_lo:[1,0,0] neg_hi:[1,0,0]
	;; [unrolled: 2-line block ×3, first 2 shown]
	ds_read2_b32 v[76:77], v67 offset0:56 offset1:57
	ds_read2_b32 v[78:79], v67 offset0:58 offset1:59
	;; [unrolled: 1-line block ×4, first 2 shown]
	s_waitcnt lgkmcnt(4)
	v_pk_fma_f32 v[0:1], v[72:73], v[82:83], v[0:1] op_sel_hi:[0,1,1] neg_lo:[1,0,0] neg_hi:[1,0,0]
	s_waitcnt lgkmcnt(3)
	v_pk_fma_f32 v[28:29], v[72:73], v[76:77], v[28:29] op_sel_hi:[0,1,1] neg_lo:[1,0,0] neg_hi:[1,0,0]
	;; [unrolled: 2-line block ×5, first 2 shown]
	v_mov_b32_e32 v35, v72
.LBB126_403:
	s_or_b64 exec, exec, s[0:1]
	v_lshl_add_u32 v72, v75, 2, v67
	s_barrier
	ds_write_b32 v72, v54
	s_waitcnt lgkmcnt(0)
	s_barrier
	ds_read_b32 v74, v67 offset:96
	s_cmp_lt_i32 s22, 26
	v_mov_b32_e32 v72, 24
	s_cbranch_scc1 .LBB126_406
; %bb.404:
	v_add_u32_e32 v76, 0x64, v67
	v_mov_b32_e32 v72, 24
	s_mov_b32 s0, 25
.LBB126_405:                            ; =>This Inner Loop Header: Depth=1
	ds_read_b32 v77, v76
	v_mov_b32_e32 v78, s0
	s_add_i32 s0, s0, 1
	v_add_u32_e32 v76, 4, v76
	s_cmp_lg_u32 s22, s0
	s_waitcnt lgkmcnt(0)
	v_cmp_lt_f32_e64 vcc, |v74|, |v77|
	s_nop 1
	v_cndmask_b32_e32 v74, v74, v77, vcc
	v_cndmask_b32_e32 v72, v72, v78, vcc
	s_cbranch_scc1 .LBB126_405
.LBB126_406:
	s_waitcnt lgkmcnt(0)
	v_cmp_eq_f32_e32 vcc, 0, v74
	s_and_saveexec_b64 s[0:1], vcc
	s_xor_b64 s[0:1], exec, s[0:1]
; %bb.407:
	v_cmp_ne_u32_e32 vcc, 0, v71
	s_nop 1
	v_cndmask_b32_e32 v71, 25, v71, vcc
; %bb.408:
	s_andn2_saveexec_b64 s[0:1], s[0:1]
	s_cbranch_execz .LBB126_410
; %bb.409:
	v_div_scale_f32 v76, s[2:3], v74, v74, 1.0
	v_rcp_f32_e32 v77, v76
	v_div_scale_f32 v78, vcc, 1.0, v74, 1.0
	v_fma_f32 v79, -v76, v77, 1.0
	v_fmac_f32_e32 v77, v79, v77
	v_mul_f32_e32 v79, v78, v77
	v_fma_f32 v80, -v76, v79, v78
	v_fmac_f32_e32 v79, v80, v77
	v_fma_f32 v76, -v76, v79, v78
	v_div_fmas_f32 v76, v76, v77, v79
	v_div_fixup_f32 v74, v76, v74, 1.0
.LBB126_410:
	s_or_b64 exec, exec, s[0:1]
	v_cmp_ne_u32_e32 vcc, v75, v72
	s_and_saveexec_b64 s[0:1], vcc
	s_xor_b64 s[0:1], exec, s[0:1]
	s_cbranch_execz .LBB126_416
; %bb.411:
	v_cmp_eq_u32_e32 vcc, 24, v75
	s_and_saveexec_b64 s[2:3], vcc
	s_cbranch_execz .LBB126_415
; %bb.412:
	v_cmp_ne_u32_e32 vcc, 24, v72
	s_xor_b64 s[12:13], s[20:21], -1
	s_and_b64 s[14:15], s[12:13], vcc
	s_and_saveexec_b64 s[12:13], s[14:15]
	s_cbranch_execz .LBB126_414
; %bb.413:
	v_ashrrev_i32_e32 v73, 31, v72
	v_lshl_add_u64 v[76:77], v[72:73], 2, v[4:5]
	global_load_dword v73, v[76:77], off
	global_load_dword v75, v[4:5], off offset:96
	s_waitcnt vmcnt(1)
	global_store_dword v[4:5], v73, off offset:96
	s_waitcnt vmcnt(1)
	global_store_dword v[76:77], v75, off
.LBB126_414:
	s_or_b64 exec, exec, s[12:13]
	v_mov_b32_e32 v73, v72
	v_mov_b32_e32 v75, v72
.LBB126_415:
	s_or_b64 exec, exec, s[2:3]
.LBB126_416:
	s_andn2_saveexec_b64 s[0:1], s[0:1]
	s_cbranch_execz .LBB126_418
; %bb.417:
	v_pk_mov_b32 v[76:77], v[54:55], v[46:47] op_sel:[1,0]
	ds_write2_b32 v67, v76, v77 offset0:25 offset1:26
	v_pk_mov_b32 v[76:77], v[46:47], v[36:37] op_sel:[1,0]
	ds_write2_b32 v67, v76, v77 offset0:27 offset1:28
	;; [unrolled: 2-line block ×18, first 2 shown]
	v_pk_mov_b32 v[76:77], v[10:11], v[8:9] op_sel:[1,0]
	v_mov_b32_e32 v75, 24
	ds_write2_b32 v67, v76, v77 offset0:61 offset1:62
	ds_write_b32 v67, v9 offset:252
.LBB126_418:
	s_or_b64 exec, exec, s[0:1]
	v_cmp_lt_i32_e32 vcc, 24, v75
	s_waitcnt lgkmcnt(0)
	s_barrier
	s_and_saveexec_b64 s[0:1], vcc
	s_cbranch_execz .LBB126_420
; %bb.419:
	ds_read_b32 v72, v67 offset:100
	ds_read2_b32 v[76:77], v67 offset0:26 offset1:27
	ds_read2_b32 v[78:79], v67 offset0:28 offset1:29
	v_mul_f32_e32 v54, v74, v54
	ds_read2_b32 v[80:81], v67 offset0:30 offset1:31
	s_waitcnt lgkmcnt(3)
	v_fma_f32 v55, -v54, v72, v55
	s_waitcnt lgkmcnt(2)
	v_pk_fma_f32 v[46:47], v[54:55], v[76:77], v[46:47] op_sel_hi:[0,1,1] neg_lo:[1,0,0] neg_hi:[1,0,0]
	s_waitcnt lgkmcnt(1)
	v_pk_fma_f32 v[36:37], v[54:55], v[78:79], v[36:37] op_sel_hi:[0,1,1] neg_lo:[1,0,0] neg_hi:[1,0,0]
	ds_read2_b32 v[76:77], v67 offset0:32 offset1:33
	ds_read2_b32 v[78:79], v67 offset0:34 offset1:35
	ds_read2_b32 v[82:83], v67 offset0:36 offset1:37
	s_waitcnt lgkmcnt(3)
	v_pk_fma_f32 v[24:25], v[54:55], v[80:81], v[24:25] op_sel_hi:[0,1,1] neg_lo:[1,0,0] neg_hi:[1,0,0]
	ds_read2_b32 v[80:81], v67 offset0:38 offset1:39
	s_waitcnt lgkmcnt(3)
	v_pk_fma_f32 v[48:49], v[54:55], v[76:77], v[48:49] op_sel_hi:[0,1,1] neg_lo:[1,0,0] neg_hi:[1,0,0]
	s_waitcnt lgkmcnt(2)
	v_pk_fma_f32 v[38:39], v[54:55], v[78:79], v[38:39] op_sel_hi:[0,1,1] neg_lo:[1,0,0] neg_hi:[1,0,0]
	s_waitcnt lgkmcnt(1)
	v_pk_fma_f32 v[26:27], v[54:55], v[82:83], v[26:27] op_sel_hi:[0,1,1] neg_lo:[1,0,0] neg_hi:[1,0,0]
	ds_read2_b32 v[76:77], v67 offset0:40 offset1:41
	ds_read2_b32 v[78:79], v67 offset0:42 offset1:43
	ds_read2_b32 v[82:83], v67 offset0:44 offset1:45
	s_waitcnt lgkmcnt(3)
	v_pk_fma_f32 v[18:19], v[54:55], v[80:81], v[18:19] op_sel_hi:[0,1,1] neg_lo:[1,0,0] neg_hi:[1,0,0]
	ds_read2_b32 v[80:81], v67 offset0:46 offset1:47
	s_waitcnt lgkmcnt(3)
	v_pk_fma_f32 v[40:41], v[54:55], v[76:77], v[40:41] op_sel_hi:[0,1,1] neg_lo:[1,0,0] neg_hi:[1,0,0]
	;; [unrolled: 12-line block ×3, first 2 shown]
	s_waitcnt lgkmcnt(2)
	v_pk_fma_f32 v[22:23], v[54:55], v[78:79], v[22:23] op_sel_hi:[0,1,1] neg_lo:[1,0,0] neg_hi:[1,0,0]
	s_waitcnt lgkmcnt(1)
	v_pk_fma_f32 v[14:15], v[54:55], v[82:83], v[14:15] op_sel_hi:[0,1,1] neg_lo:[1,0,0] neg_hi:[1,0,0]
	ds_read2_b32 v[76:77], v67 offset0:56 offset1:57
	ds_read2_b32 v[78:79], v67 offset0:58 offset1:59
	;; [unrolled: 1-line block ×4, first 2 shown]
	s_waitcnt lgkmcnt(4)
	v_pk_fma_f32 v[0:1], v[54:55], v[80:81], v[0:1] op_sel_hi:[0,1,1] neg_lo:[1,0,0] neg_hi:[1,0,0]
	s_waitcnt lgkmcnt(3)
	v_pk_fma_f32 v[28:29], v[54:55], v[76:77], v[28:29] op_sel_hi:[0,1,1] neg_lo:[1,0,0] neg_hi:[1,0,0]
	;; [unrolled: 2-line block ×5, first 2 shown]
.LBB126_420:
	s_or_b64 exec, exec, s[0:1]
	v_lshl_add_u32 v72, v75, 2, v67
	s_barrier
	ds_write_b32 v72, v55
	s_waitcnt lgkmcnt(0)
	s_barrier
	ds_read_b32 v74, v67 offset:100
	s_cmp_lt_i32 s22, 27
	v_mov_b32_e32 v72, 25
	s_cbranch_scc1 .LBB126_423
; %bb.421:
	v_add_u32_e32 v76, 0x68, v67
	v_mov_b32_e32 v72, 25
	s_mov_b32 s0, 26
.LBB126_422:                            ; =>This Inner Loop Header: Depth=1
	ds_read_b32 v77, v76
	v_mov_b32_e32 v78, s0
	s_add_i32 s0, s0, 1
	v_add_u32_e32 v76, 4, v76
	s_cmp_lg_u32 s22, s0
	s_waitcnt lgkmcnt(0)
	v_cmp_lt_f32_e64 vcc, |v74|, |v77|
	s_nop 1
	v_cndmask_b32_e32 v74, v74, v77, vcc
	v_cndmask_b32_e32 v72, v72, v78, vcc
	s_cbranch_scc1 .LBB126_422
.LBB126_423:
	s_waitcnt lgkmcnt(0)
	v_cmp_eq_f32_e32 vcc, 0, v74
	s_and_saveexec_b64 s[0:1], vcc
	s_xor_b64 s[0:1], exec, s[0:1]
; %bb.424:
	v_cmp_ne_u32_e32 vcc, 0, v71
	s_nop 1
	v_cndmask_b32_e32 v71, 26, v71, vcc
; %bb.425:
	s_andn2_saveexec_b64 s[0:1], s[0:1]
	s_cbranch_execz .LBB126_427
; %bb.426:
	v_div_scale_f32 v76, s[2:3], v74, v74, 1.0
	v_rcp_f32_e32 v77, v76
	v_div_scale_f32 v78, vcc, 1.0, v74, 1.0
	v_fma_f32 v79, -v76, v77, 1.0
	v_fmac_f32_e32 v77, v79, v77
	v_mul_f32_e32 v79, v78, v77
	v_fma_f32 v80, -v76, v79, v78
	v_fmac_f32_e32 v79, v80, v77
	v_fma_f32 v76, -v76, v79, v78
	v_div_fmas_f32 v76, v76, v77, v79
	v_div_fixup_f32 v74, v76, v74, 1.0
.LBB126_427:
	s_or_b64 exec, exec, s[0:1]
	v_cmp_ne_u32_e32 vcc, v75, v72
	s_and_saveexec_b64 s[0:1], vcc
	s_xor_b64 s[0:1], exec, s[0:1]
	s_cbranch_execz .LBB126_433
; %bb.428:
	v_cmp_eq_u32_e32 vcc, 25, v75
	s_and_saveexec_b64 s[2:3], vcc
	s_cbranch_execz .LBB126_432
; %bb.429:
	v_cmp_ne_u32_e32 vcc, 25, v72
	s_xor_b64 s[12:13], s[20:21], -1
	s_and_b64 s[14:15], s[12:13], vcc
	s_and_saveexec_b64 s[12:13], s[14:15]
	s_cbranch_execz .LBB126_431
; %bb.430:
	v_ashrrev_i32_e32 v73, 31, v72
	v_lshl_add_u64 v[76:77], v[72:73], 2, v[4:5]
	global_load_dword v73, v[76:77], off
	global_load_dword v75, v[4:5], off offset:100
	s_waitcnt vmcnt(1)
	global_store_dword v[4:5], v73, off offset:100
	s_waitcnt vmcnt(1)
	global_store_dword v[76:77], v75, off
.LBB126_431:
	s_or_b64 exec, exec, s[12:13]
	v_mov_b32_e32 v73, v72
	v_mov_b32_e32 v75, v72
.LBB126_432:
	s_or_b64 exec, exec, s[2:3]
.LBB126_433:
	s_andn2_saveexec_b64 s[0:1], s[0:1]
	s_cbranch_execz .LBB126_435
; %bb.434:
	v_mov_b32_e32 v75, 25
	ds_write2_b32 v67, v46, v47 offset0:26 offset1:27
	ds_write2_b32 v67, v36, v37 offset0:28 offset1:29
	;; [unrolled: 1-line block ×19, first 2 shown]
.LBB126_435:
	s_or_b64 exec, exec, s[0:1]
	v_cmp_lt_i32_e32 vcc, 25, v75
	s_waitcnt lgkmcnt(0)
	s_barrier
	s_and_saveexec_b64 s[0:1], vcc
	s_cbranch_execz .LBB126_437
; %bb.436:
	ds_read2_b32 v[76:77], v67 offset0:26 offset1:27
	ds_read2_b32 v[78:79], v67 offset0:28 offset1:29
	;; [unrolled: 1-line block ×3, first 2 shown]
	v_mul_f32_e32 v72, v74, v55
	ds_read2_b32 v[82:83], v67 offset0:32 offset1:33
	s_waitcnt lgkmcnt(3)
	v_pk_fma_f32 v[46:47], v[72:73], v[76:77], v[46:47] op_sel_hi:[0,1,1] neg_lo:[1,0,0] neg_hi:[1,0,0]
	s_waitcnt lgkmcnt(2)
	v_pk_fma_f32 v[36:37], v[72:73], v[78:79], v[36:37] op_sel_hi:[0,1,1] neg_lo:[1,0,0] neg_hi:[1,0,0]
	;; [unrolled: 2-line block ×3, first 2 shown]
	ds_read2_b32 v[76:77], v67 offset0:34 offset1:35
	ds_read2_b32 v[78:79], v67 offset0:36 offset1:37
	;; [unrolled: 1-line block ×3, first 2 shown]
	s_waitcnt lgkmcnt(3)
	v_pk_fma_f32 v[48:49], v[72:73], v[82:83], v[48:49] op_sel_hi:[0,1,1] neg_lo:[1,0,0] neg_hi:[1,0,0]
	ds_read2_b32 v[82:83], v67 offset0:40 offset1:41
	s_waitcnt lgkmcnt(3)
	v_pk_fma_f32 v[38:39], v[72:73], v[76:77], v[38:39] op_sel_hi:[0,1,1] neg_lo:[1,0,0] neg_hi:[1,0,0]
	s_waitcnt lgkmcnt(2)
	v_pk_fma_f32 v[26:27], v[72:73], v[78:79], v[26:27] op_sel_hi:[0,1,1] neg_lo:[1,0,0] neg_hi:[1,0,0]
	;; [unrolled: 2-line block ×3, first 2 shown]
	ds_read2_b32 v[76:77], v67 offset0:42 offset1:43
	ds_read2_b32 v[78:79], v67 offset0:44 offset1:45
	;; [unrolled: 1-line block ×3, first 2 shown]
	s_waitcnt lgkmcnt(3)
	v_pk_fma_f32 v[40:41], v[72:73], v[82:83], v[40:41] op_sel_hi:[0,1,1] neg_lo:[1,0,0] neg_hi:[1,0,0]
	ds_read2_b32 v[82:83], v67 offset0:48 offset1:49
	s_waitcnt lgkmcnt(3)
	v_pk_fma_f32 v[30:31], v[72:73], v[76:77], v[30:31] op_sel_hi:[0,1,1] neg_lo:[1,0,0] neg_hi:[1,0,0]
	s_waitcnt lgkmcnt(2)
	v_pk_fma_f32 v[20:21], v[72:73], v[78:79], v[20:21] op_sel_hi:[0,1,1] neg_lo:[1,0,0] neg_hi:[1,0,0]
	ds_read2_b32 v[76:77], v67 offset0:50 offset1:51
	ds_read2_b32 v[78:79], v67 offset0:52 offset1:53
	s_waitcnt lgkmcnt(3)
	v_pk_fma_f32 v[12:13], v[72:73], v[80:81], v[12:13] op_sel_hi:[0,1,1] neg_lo:[1,0,0] neg_hi:[1,0,0]
	s_waitcnt lgkmcnt(2)
	v_pk_fma_f32 v[32:33], v[72:73], v[82:83], v[32:33] op_sel_hi:[0,1,1] neg_lo:[1,0,0] neg_hi:[1,0,0]
	ds_read2_b32 v[80:81], v67 offset0:54 offset1:55
	;; [unrolled: 6-line block ×3, first 2 shown]
	ds_read2_b32 v[78:79], v67 offset0:60 offset1:61
	ds_read2_b32 v[84:85], v67 offset0:62 offset1:63
	s_waitcnt lgkmcnt(4)
	v_pk_fma_f32 v[0:1], v[72:73], v[80:81], v[0:1] op_sel_hi:[0,1,1] neg_lo:[1,0,0] neg_hi:[1,0,0]
	s_waitcnt lgkmcnt(3)
	v_pk_fma_f32 v[28:29], v[72:73], v[82:83], v[28:29] op_sel_hi:[0,1,1] neg_lo:[1,0,0] neg_hi:[1,0,0]
	s_waitcnt lgkmcnt(2)
	v_pk_fma_f32 v[16:17], v[72:73], v[76:77], v[16:17] op_sel_hi:[0,1,1] neg_lo:[1,0,0] neg_hi:[1,0,0]
	s_waitcnt lgkmcnt(1)
	v_pk_fma_f32 v[10:11], v[72:73], v[78:79], v[10:11] op_sel_hi:[0,1,1] neg_lo:[1,0,0] neg_hi:[1,0,0]
	s_waitcnt lgkmcnt(0)
	v_pk_fma_f32 v[8:9], v[72:73], v[84:85], v[8:9] op_sel_hi:[0,1,1] neg_lo:[1,0,0] neg_hi:[1,0,0]
	v_mov_b32_e32 v55, v72
.LBB126_437:
	s_or_b64 exec, exec, s[0:1]
	v_lshl_add_u32 v72, v75, 2, v67
	s_barrier
	ds_write_b32 v72, v46
	s_waitcnt lgkmcnt(0)
	s_barrier
	ds_read_b32 v74, v67 offset:104
	s_cmp_lt_i32 s22, 28
	v_mov_b32_e32 v72, 26
	s_cbranch_scc1 .LBB126_440
; %bb.438:
	v_add_u32_e32 v76, 0x6c, v67
	v_mov_b32_e32 v72, 26
	s_mov_b32 s0, 27
.LBB126_439:                            ; =>This Inner Loop Header: Depth=1
	ds_read_b32 v77, v76
	v_mov_b32_e32 v78, s0
	s_add_i32 s0, s0, 1
	v_add_u32_e32 v76, 4, v76
	s_cmp_lg_u32 s22, s0
	s_waitcnt lgkmcnt(0)
	v_cmp_lt_f32_e64 vcc, |v74|, |v77|
	s_nop 1
	v_cndmask_b32_e32 v74, v74, v77, vcc
	v_cndmask_b32_e32 v72, v72, v78, vcc
	s_cbranch_scc1 .LBB126_439
.LBB126_440:
	s_waitcnt lgkmcnt(0)
	v_cmp_eq_f32_e32 vcc, 0, v74
	s_and_saveexec_b64 s[0:1], vcc
	s_xor_b64 s[0:1], exec, s[0:1]
; %bb.441:
	v_cmp_ne_u32_e32 vcc, 0, v71
	s_nop 1
	v_cndmask_b32_e32 v71, 27, v71, vcc
; %bb.442:
	s_andn2_saveexec_b64 s[0:1], s[0:1]
	s_cbranch_execz .LBB126_444
; %bb.443:
	v_div_scale_f32 v76, s[2:3], v74, v74, 1.0
	v_rcp_f32_e32 v77, v76
	v_div_scale_f32 v78, vcc, 1.0, v74, 1.0
	v_fma_f32 v79, -v76, v77, 1.0
	v_fmac_f32_e32 v77, v79, v77
	v_mul_f32_e32 v79, v78, v77
	v_fma_f32 v80, -v76, v79, v78
	v_fmac_f32_e32 v79, v80, v77
	v_fma_f32 v76, -v76, v79, v78
	v_div_fmas_f32 v76, v76, v77, v79
	v_div_fixup_f32 v74, v76, v74, 1.0
.LBB126_444:
	s_or_b64 exec, exec, s[0:1]
	v_cmp_ne_u32_e32 vcc, v75, v72
	s_and_saveexec_b64 s[0:1], vcc
	s_xor_b64 s[0:1], exec, s[0:1]
	s_cbranch_execz .LBB126_450
; %bb.445:
	v_cmp_eq_u32_e32 vcc, 26, v75
	s_and_saveexec_b64 s[2:3], vcc
	s_cbranch_execz .LBB126_449
; %bb.446:
	v_cmp_ne_u32_e32 vcc, 26, v72
	s_xor_b64 s[12:13], s[20:21], -1
	s_and_b64 s[14:15], s[12:13], vcc
	s_and_saveexec_b64 s[12:13], s[14:15]
	s_cbranch_execz .LBB126_448
; %bb.447:
	v_ashrrev_i32_e32 v73, 31, v72
	v_lshl_add_u64 v[76:77], v[72:73], 2, v[4:5]
	global_load_dword v73, v[76:77], off
	global_load_dword v75, v[4:5], off offset:104
	s_waitcnt vmcnt(1)
	global_store_dword v[4:5], v73, off offset:104
	s_waitcnt vmcnt(1)
	global_store_dword v[76:77], v75, off
.LBB126_448:
	s_or_b64 exec, exec, s[12:13]
	v_mov_b32_e32 v73, v72
	v_mov_b32_e32 v75, v72
.LBB126_449:
	s_or_b64 exec, exec, s[2:3]
.LBB126_450:
	s_andn2_saveexec_b64 s[0:1], s[0:1]
	s_cbranch_execz .LBB126_452
; %bb.451:
	v_pk_mov_b32 v[76:77], v[46:47], v[36:37] op_sel:[1,0]
	ds_write2_b32 v67, v76, v77 offset0:27 offset1:28
	v_pk_mov_b32 v[76:77], v[36:37], v[24:25] op_sel:[1,0]
	ds_write2_b32 v67, v76, v77 offset0:29 offset1:30
	;; [unrolled: 2-line block ×17, first 2 shown]
	v_pk_mov_b32 v[76:77], v[10:11], v[8:9] op_sel:[1,0]
	v_mov_b32_e32 v75, 26
	ds_write2_b32 v67, v76, v77 offset0:61 offset1:62
	ds_write_b32 v67, v9 offset:252
.LBB126_452:
	s_or_b64 exec, exec, s[0:1]
	v_cmp_lt_i32_e32 vcc, 26, v75
	s_waitcnt lgkmcnt(0)
	s_barrier
	s_and_saveexec_b64 s[0:1], vcc
	s_cbranch_execz .LBB126_454
; %bb.453:
	ds_read_b32 v72, v67 offset:108
	ds_read2_b32 v[76:77], v67 offset0:28 offset1:29
	ds_read2_b32 v[78:79], v67 offset0:30 offset1:31
	v_mul_f32_e32 v46, v74, v46
	ds_read2_b32 v[80:81], v67 offset0:32 offset1:33
	s_waitcnt lgkmcnt(3)
	v_fma_f32 v47, -v46, v72, v47
	s_waitcnt lgkmcnt(2)
	v_pk_fma_f32 v[36:37], v[46:47], v[76:77], v[36:37] op_sel_hi:[0,1,1] neg_lo:[1,0,0] neg_hi:[1,0,0]
	s_waitcnt lgkmcnt(1)
	v_pk_fma_f32 v[24:25], v[46:47], v[78:79], v[24:25] op_sel_hi:[0,1,1] neg_lo:[1,0,0] neg_hi:[1,0,0]
	ds_read2_b32 v[76:77], v67 offset0:34 offset1:35
	ds_read2_b32 v[78:79], v67 offset0:36 offset1:37
	;; [unrolled: 1-line block ×3, first 2 shown]
	s_waitcnt lgkmcnt(3)
	v_pk_fma_f32 v[48:49], v[46:47], v[80:81], v[48:49] op_sel_hi:[0,1,1] neg_lo:[1,0,0] neg_hi:[1,0,0]
	ds_read2_b32 v[80:81], v67 offset0:40 offset1:41
	s_waitcnt lgkmcnt(3)
	v_pk_fma_f32 v[38:39], v[46:47], v[76:77], v[38:39] op_sel_hi:[0,1,1] neg_lo:[1,0,0] neg_hi:[1,0,0]
	s_waitcnt lgkmcnt(2)
	v_pk_fma_f32 v[26:27], v[46:47], v[78:79], v[26:27] op_sel_hi:[0,1,1] neg_lo:[1,0,0] neg_hi:[1,0,0]
	;; [unrolled: 2-line block ×3, first 2 shown]
	ds_read2_b32 v[76:77], v67 offset0:42 offset1:43
	ds_read2_b32 v[78:79], v67 offset0:44 offset1:45
	;; [unrolled: 1-line block ×3, first 2 shown]
	s_waitcnt lgkmcnt(3)
	v_pk_fma_f32 v[40:41], v[46:47], v[80:81], v[40:41] op_sel_hi:[0,1,1] neg_lo:[1,0,0] neg_hi:[1,0,0]
	ds_read2_b32 v[80:81], v67 offset0:48 offset1:49
	s_waitcnt lgkmcnt(3)
	v_pk_fma_f32 v[30:31], v[46:47], v[76:77], v[30:31] op_sel_hi:[0,1,1] neg_lo:[1,0,0] neg_hi:[1,0,0]
	s_waitcnt lgkmcnt(2)
	v_pk_fma_f32 v[20:21], v[46:47], v[78:79], v[20:21] op_sel_hi:[0,1,1] neg_lo:[1,0,0] neg_hi:[1,0,0]
	ds_read2_b32 v[76:77], v67 offset0:50 offset1:51
	ds_read2_b32 v[78:79], v67 offset0:52 offset1:53
	s_waitcnt lgkmcnt(3)
	v_pk_fma_f32 v[12:13], v[46:47], v[82:83], v[12:13] op_sel_hi:[0,1,1] neg_lo:[1,0,0] neg_hi:[1,0,0]
	s_waitcnt lgkmcnt(2)
	v_pk_fma_f32 v[32:33], v[46:47], v[80:81], v[32:33] op_sel_hi:[0,1,1] neg_lo:[1,0,0] neg_hi:[1,0,0]
	ds_read2_b32 v[80:81], v67 offset0:54 offset1:55
	;; [unrolled: 6-line block ×3, first 2 shown]
	ds_read2_b32 v[78:79], v67 offset0:60 offset1:61
	ds_read2_b32 v[84:85], v67 offset0:62 offset1:63
	s_waitcnt lgkmcnt(4)
	v_pk_fma_f32 v[0:1], v[46:47], v[80:81], v[0:1] op_sel_hi:[0,1,1] neg_lo:[1,0,0] neg_hi:[1,0,0]
	s_waitcnt lgkmcnt(3)
	v_pk_fma_f32 v[28:29], v[46:47], v[82:83], v[28:29] op_sel_hi:[0,1,1] neg_lo:[1,0,0] neg_hi:[1,0,0]
	s_waitcnt lgkmcnt(2)
	v_pk_fma_f32 v[16:17], v[46:47], v[76:77], v[16:17] op_sel_hi:[0,1,1] neg_lo:[1,0,0] neg_hi:[1,0,0]
	s_waitcnt lgkmcnt(1)
	v_pk_fma_f32 v[10:11], v[46:47], v[78:79], v[10:11] op_sel_hi:[0,1,1] neg_lo:[1,0,0] neg_hi:[1,0,0]
	s_waitcnt lgkmcnt(0)
	v_pk_fma_f32 v[8:9], v[46:47], v[84:85], v[8:9] op_sel_hi:[0,1,1] neg_lo:[1,0,0] neg_hi:[1,0,0]
.LBB126_454:
	s_or_b64 exec, exec, s[0:1]
	v_lshl_add_u32 v72, v75, 2, v67
	s_barrier
	ds_write_b32 v72, v47
	s_waitcnt lgkmcnt(0)
	s_barrier
	ds_read_b32 v74, v67 offset:108
	s_cmp_lt_i32 s22, 29
	v_mov_b32_e32 v72, 27
	s_cbranch_scc1 .LBB126_457
; %bb.455:
	v_add_u32_e32 v76, 0x70, v67
	v_mov_b32_e32 v72, 27
	s_mov_b32 s0, 28
.LBB126_456:                            ; =>This Inner Loop Header: Depth=1
	ds_read_b32 v77, v76
	v_mov_b32_e32 v78, s0
	s_add_i32 s0, s0, 1
	v_add_u32_e32 v76, 4, v76
	s_cmp_lg_u32 s22, s0
	s_waitcnt lgkmcnt(0)
	v_cmp_lt_f32_e64 vcc, |v74|, |v77|
	s_nop 1
	v_cndmask_b32_e32 v74, v74, v77, vcc
	v_cndmask_b32_e32 v72, v72, v78, vcc
	s_cbranch_scc1 .LBB126_456
.LBB126_457:
	s_waitcnt lgkmcnt(0)
	v_cmp_eq_f32_e32 vcc, 0, v74
	s_and_saveexec_b64 s[0:1], vcc
	s_xor_b64 s[0:1], exec, s[0:1]
; %bb.458:
	v_cmp_ne_u32_e32 vcc, 0, v71
	s_nop 1
	v_cndmask_b32_e32 v71, 28, v71, vcc
; %bb.459:
	s_andn2_saveexec_b64 s[0:1], s[0:1]
	s_cbranch_execz .LBB126_461
; %bb.460:
	v_div_scale_f32 v76, s[2:3], v74, v74, 1.0
	v_rcp_f32_e32 v77, v76
	v_div_scale_f32 v78, vcc, 1.0, v74, 1.0
	v_fma_f32 v79, -v76, v77, 1.0
	v_fmac_f32_e32 v77, v79, v77
	v_mul_f32_e32 v79, v78, v77
	v_fma_f32 v80, -v76, v79, v78
	v_fmac_f32_e32 v79, v80, v77
	v_fma_f32 v76, -v76, v79, v78
	v_div_fmas_f32 v76, v76, v77, v79
	v_div_fixup_f32 v74, v76, v74, 1.0
.LBB126_461:
	s_or_b64 exec, exec, s[0:1]
	v_cmp_ne_u32_e32 vcc, v75, v72
	s_and_saveexec_b64 s[0:1], vcc
	s_xor_b64 s[0:1], exec, s[0:1]
	s_cbranch_execz .LBB126_467
; %bb.462:
	v_cmp_eq_u32_e32 vcc, 27, v75
	s_and_saveexec_b64 s[2:3], vcc
	s_cbranch_execz .LBB126_466
; %bb.463:
	v_cmp_ne_u32_e32 vcc, 27, v72
	s_xor_b64 s[12:13], s[20:21], -1
	s_and_b64 s[14:15], s[12:13], vcc
	s_and_saveexec_b64 s[12:13], s[14:15]
	s_cbranch_execz .LBB126_465
; %bb.464:
	v_ashrrev_i32_e32 v73, 31, v72
	v_lshl_add_u64 v[76:77], v[72:73], 2, v[4:5]
	global_load_dword v73, v[76:77], off
	global_load_dword v75, v[4:5], off offset:108
	s_waitcnt vmcnt(1)
	global_store_dword v[4:5], v73, off offset:108
	s_waitcnt vmcnt(1)
	global_store_dword v[76:77], v75, off
.LBB126_465:
	s_or_b64 exec, exec, s[12:13]
	v_mov_b32_e32 v73, v72
	v_mov_b32_e32 v75, v72
.LBB126_466:
	s_or_b64 exec, exec, s[2:3]
.LBB126_467:
	s_andn2_saveexec_b64 s[0:1], s[0:1]
	s_cbranch_execz .LBB126_469
; %bb.468:
	v_mov_b32_e32 v75, 27
	ds_write2_b32 v67, v36, v37 offset0:28 offset1:29
	ds_write2_b32 v67, v24, v25 offset0:30 offset1:31
	;; [unrolled: 1-line block ×18, first 2 shown]
.LBB126_469:
	s_or_b64 exec, exec, s[0:1]
	v_cmp_lt_i32_e32 vcc, 27, v75
	s_waitcnt lgkmcnt(0)
	s_barrier
	s_and_saveexec_b64 s[0:1], vcc
	s_cbranch_execz .LBB126_471
; %bb.470:
	ds_read2_b32 v[76:77], v67 offset0:28 offset1:29
	ds_read2_b32 v[78:79], v67 offset0:30 offset1:31
	ds_read2_b32 v[80:81], v67 offset0:32 offset1:33
	ds_read2_b32 v[82:83], v67 offset0:34 offset1:35
	v_mul_f32_e32 v72, v74, v47
	s_waitcnt lgkmcnt(3)
	v_pk_fma_f32 v[36:37], v[72:73], v[76:77], v[36:37] op_sel_hi:[0,1,1] neg_lo:[1,0,0] neg_hi:[1,0,0]
	s_waitcnt lgkmcnt(2)
	v_pk_fma_f32 v[24:25], v[72:73], v[78:79], v[24:25] op_sel_hi:[0,1,1] neg_lo:[1,0,0] neg_hi:[1,0,0]
	s_waitcnt lgkmcnt(1)
	v_pk_fma_f32 v[48:49], v[72:73], v[80:81], v[48:49] op_sel_hi:[0,1,1] neg_lo:[1,0,0] neg_hi:[1,0,0]
	ds_read2_b32 v[76:77], v67 offset0:36 offset1:37
	ds_read2_b32 v[78:79], v67 offset0:38 offset1:39
	;; [unrolled: 1-line block ×3, first 2 shown]
	s_waitcnt lgkmcnt(3)
	v_pk_fma_f32 v[38:39], v[72:73], v[82:83], v[38:39] op_sel_hi:[0,1,1] neg_lo:[1,0,0] neg_hi:[1,0,0]
	ds_read2_b32 v[82:83], v67 offset0:42 offset1:43
	s_waitcnt lgkmcnt(3)
	v_pk_fma_f32 v[26:27], v[72:73], v[76:77], v[26:27] op_sel_hi:[0,1,1] neg_lo:[1,0,0] neg_hi:[1,0,0]
	s_waitcnt lgkmcnt(2)
	v_pk_fma_f32 v[18:19], v[72:73], v[78:79], v[18:19] op_sel_hi:[0,1,1] neg_lo:[1,0,0] neg_hi:[1,0,0]
	;; [unrolled: 2-line block ×3, first 2 shown]
	ds_read2_b32 v[76:77], v67 offset0:44 offset1:45
	ds_read2_b32 v[78:79], v67 offset0:46 offset1:47
	;; [unrolled: 1-line block ×3, first 2 shown]
	s_waitcnt lgkmcnt(3)
	v_pk_fma_f32 v[30:31], v[72:73], v[82:83], v[30:31] op_sel_hi:[0,1,1] neg_lo:[1,0,0] neg_hi:[1,0,0]
	ds_read2_b32 v[82:83], v67 offset0:50 offset1:51
	s_waitcnt lgkmcnt(3)
	v_pk_fma_f32 v[20:21], v[72:73], v[76:77], v[20:21] op_sel_hi:[0,1,1] neg_lo:[1,0,0] neg_hi:[1,0,0]
	ds_read2_b32 v[76:77], v67 offset0:52 offset1:53
	s_waitcnt lgkmcnt(3)
	v_pk_fma_f32 v[12:13], v[72:73], v[78:79], v[12:13] op_sel_hi:[0,1,1] neg_lo:[1,0,0] neg_hi:[1,0,0]
	s_waitcnt lgkmcnt(2)
	v_pk_fma_f32 v[32:33], v[72:73], v[80:81], v[32:33] op_sel_hi:[0,1,1] neg_lo:[1,0,0] neg_hi:[1,0,0]
	;; [unrolled: 2-line block ×3, first 2 shown]
	ds_read2_b32 v[78:79], v67 offset0:54 offset1:55
	ds_read2_b32 v[80:81], v67 offset0:56 offset1:57
	;; [unrolled: 1-line block ×3, first 2 shown]
	s_waitcnt lgkmcnt(3)
	v_pk_fma_f32 v[14:15], v[72:73], v[76:77], v[14:15] op_sel_hi:[0,1,1] neg_lo:[1,0,0] neg_hi:[1,0,0]
	ds_read2_b32 v[76:77], v67 offset0:60 offset1:61
	ds_read2_b32 v[84:85], v67 offset0:62 offset1:63
	s_waitcnt lgkmcnt(4)
	v_pk_fma_f32 v[0:1], v[72:73], v[78:79], v[0:1] op_sel_hi:[0,1,1] neg_lo:[1,0,0] neg_hi:[1,0,0]
	s_waitcnt lgkmcnt(3)
	v_pk_fma_f32 v[28:29], v[72:73], v[80:81], v[28:29] op_sel_hi:[0,1,1] neg_lo:[1,0,0] neg_hi:[1,0,0]
	;; [unrolled: 2-line block ×5, first 2 shown]
	v_mov_b32_e32 v47, v72
.LBB126_471:
	s_or_b64 exec, exec, s[0:1]
	v_lshl_add_u32 v72, v75, 2, v67
	s_barrier
	ds_write_b32 v72, v36
	s_waitcnt lgkmcnt(0)
	s_barrier
	ds_read_b32 v74, v67 offset:112
	s_cmp_lt_i32 s22, 30
	v_mov_b32_e32 v72, 28
	s_cbranch_scc1 .LBB126_474
; %bb.472:
	v_add_u32_e32 v76, 0x74, v67
	v_mov_b32_e32 v72, 28
	s_mov_b32 s0, 29
.LBB126_473:                            ; =>This Inner Loop Header: Depth=1
	ds_read_b32 v77, v76
	v_mov_b32_e32 v78, s0
	s_add_i32 s0, s0, 1
	v_add_u32_e32 v76, 4, v76
	s_cmp_lg_u32 s22, s0
	s_waitcnt lgkmcnt(0)
	v_cmp_lt_f32_e64 vcc, |v74|, |v77|
	s_nop 1
	v_cndmask_b32_e32 v74, v74, v77, vcc
	v_cndmask_b32_e32 v72, v72, v78, vcc
	s_cbranch_scc1 .LBB126_473
.LBB126_474:
	s_waitcnt lgkmcnt(0)
	v_cmp_eq_f32_e32 vcc, 0, v74
	s_and_saveexec_b64 s[0:1], vcc
	s_xor_b64 s[0:1], exec, s[0:1]
; %bb.475:
	v_cmp_ne_u32_e32 vcc, 0, v71
	s_nop 1
	v_cndmask_b32_e32 v71, 29, v71, vcc
; %bb.476:
	s_andn2_saveexec_b64 s[0:1], s[0:1]
	s_cbranch_execz .LBB126_478
; %bb.477:
	v_div_scale_f32 v76, s[2:3], v74, v74, 1.0
	v_rcp_f32_e32 v77, v76
	v_div_scale_f32 v78, vcc, 1.0, v74, 1.0
	v_fma_f32 v79, -v76, v77, 1.0
	v_fmac_f32_e32 v77, v79, v77
	v_mul_f32_e32 v79, v78, v77
	v_fma_f32 v80, -v76, v79, v78
	v_fmac_f32_e32 v79, v80, v77
	v_fma_f32 v76, -v76, v79, v78
	v_div_fmas_f32 v76, v76, v77, v79
	v_div_fixup_f32 v74, v76, v74, 1.0
.LBB126_478:
	s_or_b64 exec, exec, s[0:1]
	v_cmp_ne_u32_e32 vcc, v75, v72
	s_and_saveexec_b64 s[0:1], vcc
	s_xor_b64 s[0:1], exec, s[0:1]
	s_cbranch_execz .LBB126_484
; %bb.479:
	v_cmp_eq_u32_e32 vcc, 28, v75
	s_and_saveexec_b64 s[2:3], vcc
	s_cbranch_execz .LBB126_483
; %bb.480:
	v_cmp_ne_u32_e32 vcc, 28, v72
	s_xor_b64 s[12:13], s[20:21], -1
	s_and_b64 s[14:15], s[12:13], vcc
	s_and_saveexec_b64 s[12:13], s[14:15]
	s_cbranch_execz .LBB126_482
; %bb.481:
	v_ashrrev_i32_e32 v73, 31, v72
	v_lshl_add_u64 v[76:77], v[72:73], 2, v[4:5]
	global_load_dword v73, v[76:77], off
	global_load_dword v75, v[4:5], off offset:112
	s_waitcnt vmcnt(1)
	global_store_dword v[4:5], v73, off offset:112
	s_waitcnt vmcnt(1)
	global_store_dword v[76:77], v75, off
.LBB126_482:
	s_or_b64 exec, exec, s[12:13]
	v_mov_b32_e32 v73, v72
	v_mov_b32_e32 v75, v72
.LBB126_483:
	s_or_b64 exec, exec, s[2:3]
.LBB126_484:
	s_andn2_saveexec_b64 s[0:1], s[0:1]
	s_cbranch_execz .LBB126_486
; %bb.485:
	v_pk_mov_b32 v[76:77], v[36:37], v[24:25] op_sel:[1,0]
	ds_write2_b32 v67, v76, v77 offset0:29 offset1:30
	v_pk_mov_b32 v[76:77], v[24:25], v[48:49] op_sel:[1,0]
	ds_write2_b32 v67, v76, v77 offset0:31 offset1:32
	;; [unrolled: 2-line block ×16, first 2 shown]
	v_pk_mov_b32 v[76:77], v[10:11], v[8:9] op_sel:[1,0]
	v_mov_b32_e32 v75, 28
	ds_write2_b32 v67, v76, v77 offset0:61 offset1:62
	ds_write_b32 v67, v9 offset:252
.LBB126_486:
	s_or_b64 exec, exec, s[0:1]
	v_cmp_lt_i32_e32 vcc, 28, v75
	s_waitcnt lgkmcnt(0)
	s_barrier
	s_and_saveexec_b64 s[0:1], vcc
	s_cbranch_execz .LBB126_488
; %bb.487:
	ds_read_b32 v72, v67 offset:116
	ds_read2_b32 v[76:77], v67 offset0:30 offset1:31
	ds_read2_b32 v[78:79], v67 offset0:32 offset1:33
	v_mul_f32_e32 v36, v74, v36
	ds_read2_b32 v[80:81], v67 offset0:34 offset1:35
	s_waitcnt lgkmcnt(3)
	v_fma_f32 v37, -v36, v72, v37
	s_waitcnt lgkmcnt(2)
	v_pk_fma_f32 v[24:25], v[36:37], v[76:77], v[24:25] op_sel_hi:[0,1,1] neg_lo:[1,0,0] neg_hi:[1,0,0]
	s_waitcnt lgkmcnt(1)
	v_pk_fma_f32 v[48:49], v[36:37], v[78:79], v[48:49] op_sel_hi:[0,1,1] neg_lo:[1,0,0] neg_hi:[1,0,0]
	ds_read2_b32 v[76:77], v67 offset0:36 offset1:37
	ds_read2_b32 v[78:79], v67 offset0:38 offset1:39
	;; [unrolled: 1-line block ×3, first 2 shown]
	s_waitcnt lgkmcnt(3)
	v_pk_fma_f32 v[38:39], v[36:37], v[80:81], v[38:39] op_sel_hi:[0,1,1] neg_lo:[1,0,0] neg_hi:[1,0,0]
	ds_read2_b32 v[80:81], v67 offset0:42 offset1:43
	s_waitcnt lgkmcnt(3)
	v_pk_fma_f32 v[26:27], v[36:37], v[76:77], v[26:27] op_sel_hi:[0,1,1] neg_lo:[1,0,0] neg_hi:[1,0,0]
	s_waitcnt lgkmcnt(2)
	v_pk_fma_f32 v[18:19], v[36:37], v[78:79], v[18:19] op_sel_hi:[0,1,1] neg_lo:[1,0,0] neg_hi:[1,0,0]
	;; [unrolled: 2-line block ×3, first 2 shown]
	ds_read2_b32 v[76:77], v67 offset0:44 offset1:45
	ds_read2_b32 v[78:79], v67 offset0:46 offset1:47
	ds_read2_b32 v[82:83], v67 offset0:48 offset1:49
	s_waitcnt lgkmcnt(3)
	v_pk_fma_f32 v[30:31], v[36:37], v[80:81], v[30:31] op_sel_hi:[0,1,1] neg_lo:[1,0,0] neg_hi:[1,0,0]
	ds_read2_b32 v[80:81], v67 offset0:50 offset1:51
	s_waitcnt lgkmcnt(3)
	v_pk_fma_f32 v[20:21], v[36:37], v[76:77], v[20:21] op_sel_hi:[0,1,1] neg_lo:[1,0,0] neg_hi:[1,0,0]
	ds_read2_b32 v[76:77], v67 offset0:52 offset1:53
	s_waitcnt lgkmcnt(3)
	v_pk_fma_f32 v[12:13], v[36:37], v[78:79], v[12:13] op_sel_hi:[0,1,1] neg_lo:[1,0,0] neg_hi:[1,0,0]
	s_waitcnt lgkmcnt(2)
	v_pk_fma_f32 v[32:33], v[36:37], v[82:83], v[32:33] op_sel_hi:[0,1,1] neg_lo:[1,0,0] neg_hi:[1,0,0]
	;; [unrolled: 2-line block ×3, first 2 shown]
	ds_read2_b32 v[78:79], v67 offset0:54 offset1:55
	ds_read2_b32 v[80:81], v67 offset0:56 offset1:57
	;; [unrolled: 1-line block ×3, first 2 shown]
	s_waitcnt lgkmcnt(3)
	v_pk_fma_f32 v[14:15], v[36:37], v[76:77], v[14:15] op_sel_hi:[0,1,1] neg_lo:[1,0,0] neg_hi:[1,0,0]
	ds_read2_b32 v[76:77], v67 offset0:60 offset1:61
	ds_read2_b32 v[84:85], v67 offset0:62 offset1:63
	s_waitcnt lgkmcnt(4)
	v_pk_fma_f32 v[0:1], v[36:37], v[78:79], v[0:1] op_sel_hi:[0,1,1] neg_lo:[1,0,0] neg_hi:[1,0,0]
	s_waitcnt lgkmcnt(3)
	v_pk_fma_f32 v[28:29], v[36:37], v[80:81], v[28:29] op_sel_hi:[0,1,1] neg_lo:[1,0,0] neg_hi:[1,0,0]
	;; [unrolled: 2-line block ×5, first 2 shown]
.LBB126_488:
	s_or_b64 exec, exec, s[0:1]
	v_lshl_add_u32 v72, v75, 2, v67
	s_barrier
	ds_write_b32 v72, v37
	s_waitcnt lgkmcnt(0)
	s_barrier
	ds_read_b32 v74, v67 offset:116
	s_cmp_lt_i32 s22, 31
	v_mov_b32_e32 v72, 29
	s_cbranch_scc1 .LBB126_491
; %bb.489:
	v_add_u32_e32 v76, 0x78, v67
	v_mov_b32_e32 v72, 29
	s_mov_b32 s0, 30
.LBB126_490:                            ; =>This Inner Loop Header: Depth=1
	ds_read_b32 v77, v76
	v_mov_b32_e32 v78, s0
	s_add_i32 s0, s0, 1
	v_add_u32_e32 v76, 4, v76
	s_cmp_lg_u32 s22, s0
	s_waitcnt lgkmcnt(0)
	v_cmp_lt_f32_e64 vcc, |v74|, |v77|
	s_nop 1
	v_cndmask_b32_e32 v74, v74, v77, vcc
	v_cndmask_b32_e32 v72, v72, v78, vcc
	s_cbranch_scc1 .LBB126_490
.LBB126_491:
	s_waitcnt lgkmcnt(0)
	v_cmp_eq_f32_e32 vcc, 0, v74
	s_and_saveexec_b64 s[0:1], vcc
	s_xor_b64 s[0:1], exec, s[0:1]
; %bb.492:
	v_cmp_ne_u32_e32 vcc, 0, v71
	s_nop 1
	v_cndmask_b32_e32 v71, 30, v71, vcc
; %bb.493:
	s_andn2_saveexec_b64 s[0:1], s[0:1]
	s_cbranch_execz .LBB126_495
; %bb.494:
	v_div_scale_f32 v76, s[2:3], v74, v74, 1.0
	v_rcp_f32_e32 v77, v76
	v_div_scale_f32 v78, vcc, 1.0, v74, 1.0
	v_fma_f32 v79, -v76, v77, 1.0
	v_fmac_f32_e32 v77, v79, v77
	v_mul_f32_e32 v79, v78, v77
	v_fma_f32 v80, -v76, v79, v78
	v_fmac_f32_e32 v79, v80, v77
	v_fma_f32 v76, -v76, v79, v78
	v_div_fmas_f32 v76, v76, v77, v79
	v_div_fixup_f32 v74, v76, v74, 1.0
.LBB126_495:
	s_or_b64 exec, exec, s[0:1]
	v_cmp_ne_u32_e32 vcc, v75, v72
	s_and_saveexec_b64 s[0:1], vcc
	s_xor_b64 s[0:1], exec, s[0:1]
	s_cbranch_execz .LBB126_501
; %bb.496:
	v_cmp_eq_u32_e32 vcc, 29, v75
	s_and_saveexec_b64 s[2:3], vcc
	s_cbranch_execz .LBB126_500
; %bb.497:
	v_cmp_ne_u32_e32 vcc, 29, v72
	s_xor_b64 s[12:13], s[20:21], -1
	s_and_b64 s[14:15], s[12:13], vcc
	s_and_saveexec_b64 s[12:13], s[14:15]
	s_cbranch_execz .LBB126_499
; %bb.498:
	v_ashrrev_i32_e32 v73, 31, v72
	v_lshl_add_u64 v[76:77], v[72:73], 2, v[4:5]
	global_load_dword v73, v[76:77], off
	global_load_dword v75, v[4:5], off offset:116
	s_waitcnt vmcnt(1)
	global_store_dword v[4:5], v73, off offset:116
	s_waitcnt vmcnt(1)
	global_store_dword v[76:77], v75, off
.LBB126_499:
	s_or_b64 exec, exec, s[12:13]
	v_mov_b32_e32 v73, v72
	v_mov_b32_e32 v75, v72
.LBB126_500:
	s_or_b64 exec, exec, s[2:3]
.LBB126_501:
	s_andn2_saveexec_b64 s[0:1], s[0:1]
	s_cbranch_execz .LBB126_503
; %bb.502:
	v_mov_b32_e32 v75, 29
	ds_write2_b32 v67, v24, v25 offset0:30 offset1:31
	ds_write2_b32 v67, v48, v49 offset0:32 offset1:33
	;; [unrolled: 1-line block ×17, first 2 shown]
.LBB126_503:
	s_or_b64 exec, exec, s[0:1]
	v_cmp_lt_i32_e32 vcc, 29, v75
	s_waitcnt lgkmcnt(0)
	s_barrier
	s_and_saveexec_b64 s[0:1], vcc
	s_cbranch_execz .LBB126_505
; %bb.504:
	ds_read2_b32 v[76:77], v67 offset0:30 offset1:31
	ds_read2_b32 v[78:79], v67 offset0:32 offset1:33
	;; [unrolled: 1-line block ×3, first 2 shown]
	v_mul_f32_e32 v72, v74, v37
	ds_read2_b32 v[82:83], v67 offset0:36 offset1:37
	s_waitcnt lgkmcnt(3)
	v_pk_fma_f32 v[24:25], v[72:73], v[76:77], v[24:25] op_sel_hi:[0,1,1] neg_lo:[1,0,0] neg_hi:[1,0,0]
	s_waitcnt lgkmcnt(2)
	v_pk_fma_f32 v[48:49], v[72:73], v[78:79], v[48:49] op_sel_hi:[0,1,1] neg_lo:[1,0,0] neg_hi:[1,0,0]
	;; [unrolled: 2-line block ×3, first 2 shown]
	ds_read2_b32 v[76:77], v67 offset0:38 offset1:39
	ds_read2_b32 v[78:79], v67 offset0:40 offset1:41
	;; [unrolled: 1-line block ×3, first 2 shown]
	s_waitcnt lgkmcnt(3)
	v_pk_fma_f32 v[26:27], v[72:73], v[82:83], v[26:27] op_sel_hi:[0,1,1] neg_lo:[1,0,0] neg_hi:[1,0,0]
	ds_read2_b32 v[82:83], v67 offset0:44 offset1:45
	s_waitcnt lgkmcnt(3)
	v_pk_fma_f32 v[18:19], v[72:73], v[76:77], v[18:19] op_sel_hi:[0,1,1] neg_lo:[1,0,0] neg_hi:[1,0,0]
	s_waitcnt lgkmcnt(2)
	v_pk_fma_f32 v[40:41], v[72:73], v[78:79], v[40:41] op_sel_hi:[0,1,1] neg_lo:[1,0,0] neg_hi:[1,0,0]
	;; [unrolled: 2-line block ×3, first 2 shown]
	ds_read2_b32 v[76:77], v67 offset0:46 offset1:47
	ds_read2_b32 v[78:79], v67 offset0:48 offset1:49
	;; [unrolled: 1-line block ×4, first 2 shown]
	s_waitcnt lgkmcnt(4)
	v_pk_fma_f32 v[20:21], v[72:73], v[82:83], v[20:21] op_sel_hi:[0,1,1] neg_lo:[1,0,0] neg_hi:[1,0,0]
	s_waitcnt lgkmcnt(3)
	v_pk_fma_f32 v[12:13], v[72:73], v[76:77], v[12:13] op_sel_hi:[0,1,1] neg_lo:[1,0,0] neg_hi:[1,0,0]
	s_waitcnt lgkmcnt(2)
	v_pk_fma_f32 v[32:33], v[72:73], v[78:79], v[32:33] op_sel_hi:[0,1,1] neg_lo:[1,0,0] neg_hi:[1,0,0]
	s_waitcnt lgkmcnt(1)
	v_pk_fma_f32 v[22:23], v[72:73], v[80:81], v[22:23] op_sel_hi:[0,1,1] neg_lo:[1,0,0] neg_hi:[1,0,0]
	s_waitcnt lgkmcnt(0)
	v_pk_fma_f32 v[14:15], v[72:73], v[84:85], v[14:15] op_sel_hi:[0,1,1] neg_lo:[1,0,0] neg_hi:[1,0,0]
	ds_read2_b32 v[76:77], v67 offset0:54 offset1:55
	ds_read2_b32 v[78:79], v67 offset0:56 offset1:57
	;; [unrolled: 1-line block ×5, first 2 shown]
	s_waitcnt lgkmcnt(4)
	v_pk_fma_f32 v[0:1], v[72:73], v[76:77], v[0:1] op_sel_hi:[0,1,1] neg_lo:[1,0,0] neg_hi:[1,0,0]
	s_waitcnt lgkmcnt(3)
	v_pk_fma_f32 v[28:29], v[72:73], v[78:79], v[28:29] op_sel_hi:[0,1,1] neg_lo:[1,0,0] neg_hi:[1,0,0]
	;; [unrolled: 2-line block ×5, first 2 shown]
	v_mov_b32_e32 v37, v72
.LBB126_505:
	s_or_b64 exec, exec, s[0:1]
	v_lshl_add_u32 v72, v75, 2, v67
	s_barrier
	ds_write_b32 v72, v24
	s_waitcnt lgkmcnt(0)
	s_barrier
	ds_read_b32 v74, v67 offset:120
	s_cmp_lt_i32 s22, 32
	v_mov_b32_e32 v72, 30
	s_cbranch_scc1 .LBB126_508
; %bb.506:
	v_add_u32_e32 v76, 0x7c, v67
	v_mov_b32_e32 v72, 30
	s_mov_b32 s0, 31
.LBB126_507:                            ; =>This Inner Loop Header: Depth=1
	ds_read_b32 v77, v76
	v_mov_b32_e32 v78, s0
	s_add_i32 s0, s0, 1
	v_add_u32_e32 v76, 4, v76
	s_cmp_lg_u32 s22, s0
	s_waitcnt lgkmcnt(0)
	v_cmp_lt_f32_e64 vcc, |v74|, |v77|
	s_nop 1
	v_cndmask_b32_e32 v74, v74, v77, vcc
	v_cndmask_b32_e32 v72, v72, v78, vcc
	s_cbranch_scc1 .LBB126_507
.LBB126_508:
	s_waitcnt lgkmcnt(0)
	v_cmp_eq_f32_e32 vcc, 0, v74
	s_and_saveexec_b64 s[0:1], vcc
	s_xor_b64 s[0:1], exec, s[0:1]
; %bb.509:
	v_cmp_ne_u32_e32 vcc, 0, v71
	s_nop 1
	v_cndmask_b32_e32 v71, 31, v71, vcc
; %bb.510:
	s_andn2_saveexec_b64 s[0:1], s[0:1]
	s_cbranch_execz .LBB126_512
; %bb.511:
	v_div_scale_f32 v76, s[2:3], v74, v74, 1.0
	v_rcp_f32_e32 v77, v76
	v_div_scale_f32 v78, vcc, 1.0, v74, 1.0
	v_fma_f32 v79, -v76, v77, 1.0
	v_fmac_f32_e32 v77, v79, v77
	v_mul_f32_e32 v79, v78, v77
	v_fma_f32 v80, -v76, v79, v78
	v_fmac_f32_e32 v79, v80, v77
	v_fma_f32 v76, -v76, v79, v78
	v_div_fmas_f32 v76, v76, v77, v79
	v_div_fixup_f32 v74, v76, v74, 1.0
.LBB126_512:
	s_or_b64 exec, exec, s[0:1]
	v_cmp_ne_u32_e32 vcc, v75, v72
	s_and_saveexec_b64 s[0:1], vcc
	s_xor_b64 s[0:1], exec, s[0:1]
	s_cbranch_execz .LBB126_518
; %bb.513:
	v_cmp_eq_u32_e32 vcc, 30, v75
	s_and_saveexec_b64 s[2:3], vcc
	s_cbranch_execz .LBB126_517
; %bb.514:
	v_cmp_ne_u32_e32 vcc, 30, v72
	s_xor_b64 s[12:13], s[20:21], -1
	s_and_b64 s[14:15], s[12:13], vcc
	s_and_saveexec_b64 s[12:13], s[14:15]
	s_cbranch_execz .LBB126_516
; %bb.515:
	v_ashrrev_i32_e32 v73, 31, v72
	v_lshl_add_u64 v[76:77], v[72:73], 2, v[4:5]
	global_load_dword v73, v[76:77], off
	global_load_dword v75, v[4:5], off offset:120
	s_waitcnt vmcnt(1)
	global_store_dword v[4:5], v73, off offset:120
	s_waitcnt vmcnt(1)
	global_store_dword v[76:77], v75, off
.LBB126_516:
	s_or_b64 exec, exec, s[12:13]
	v_mov_b32_e32 v73, v72
	v_mov_b32_e32 v75, v72
.LBB126_517:
	s_or_b64 exec, exec, s[2:3]
.LBB126_518:
	s_andn2_saveexec_b64 s[0:1], s[0:1]
	s_cbranch_execz .LBB126_520
; %bb.519:
	v_pk_mov_b32 v[76:77], v[24:25], v[48:49] op_sel:[1,0]
	ds_write2_b32 v67, v76, v77 offset0:31 offset1:32
	v_pk_mov_b32 v[76:77], v[48:49], v[38:39] op_sel:[1,0]
	ds_write2_b32 v67, v76, v77 offset0:33 offset1:34
	;; [unrolled: 2-line block ×15, first 2 shown]
	v_pk_mov_b32 v[76:77], v[10:11], v[8:9] op_sel:[1,0]
	v_mov_b32_e32 v75, 30
	ds_write2_b32 v67, v76, v77 offset0:61 offset1:62
	ds_write_b32 v67, v9 offset:252
.LBB126_520:
	s_or_b64 exec, exec, s[0:1]
	v_cmp_lt_i32_e32 vcc, 30, v75
	s_waitcnt lgkmcnt(0)
	s_barrier
	s_and_saveexec_b64 s[0:1], vcc
	s_cbranch_execz .LBB126_522
; %bb.521:
	ds_read_b32 v72, v67 offset:124
	ds_read2_b32 v[76:77], v67 offset0:32 offset1:33
	ds_read2_b32 v[78:79], v67 offset0:34 offset1:35
	v_mul_f32_e32 v24, v74, v24
	ds_read2_b32 v[80:81], v67 offset0:36 offset1:37
	s_waitcnt lgkmcnt(3)
	v_fma_f32 v25, -v24, v72, v25
	s_waitcnt lgkmcnt(2)
	v_pk_fma_f32 v[48:49], v[24:25], v[76:77], v[48:49] op_sel_hi:[0,1,1] neg_lo:[1,0,0] neg_hi:[1,0,0]
	s_waitcnt lgkmcnt(1)
	v_pk_fma_f32 v[38:39], v[24:25], v[78:79], v[38:39] op_sel_hi:[0,1,1] neg_lo:[1,0,0] neg_hi:[1,0,0]
	ds_read2_b32 v[76:77], v67 offset0:38 offset1:39
	ds_read2_b32 v[78:79], v67 offset0:40 offset1:41
	;; [unrolled: 1-line block ×3, first 2 shown]
	s_waitcnt lgkmcnt(3)
	v_pk_fma_f32 v[26:27], v[24:25], v[80:81], v[26:27] op_sel_hi:[0,1,1] neg_lo:[1,0,0] neg_hi:[1,0,0]
	ds_read2_b32 v[80:81], v67 offset0:44 offset1:45
	s_waitcnt lgkmcnt(3)
	v_pk_fma_f32 v[18:19], v[24:25], v[76:77], v[18:19] op_sel_hi:[0,1,1] neg_lo:[1,0,0] neg_hi:[1,0,0]
	s_waitcnt lgkmcnt(2)
	v_pk_fma_f32 v[40:41], v[24:25], v[78:79], v[40:41] op_sel_hi:[0,1,1] neg_lo:[1,0,0] neg_hi:[1,0,0]
	;; [unrolled: 2-line block ×3, first 2 shown]
	ds_read2_b32 v[76:77], v67 offset0:46 offset1:47
	ds_read2_b32 v[78:79], v67 offset0:48 offset1:49
	;; [unrolled: 1-line block ×4, first 2 shown]
	s_waitcnt lgkmcnt(4)
	v_pk_fma_f32 v[20:21], v[24:25], v[80:81], v[20:21] op_sel_hi:[0,1,1] neg_lo:[1,0,0] neg_hi:[1,0,0]
	s_waitcnt lgkmcnt(3)
	v_pk_fma_f32 v[12:13], v[24:25], v[76:77], v[12:13] op_sel_hi:[0,1,1] neg_lo:[1,0,0] neg_hi:[1,0,0]
	;; [unrolled: 2-line block ×5, first 2 shown]
	ds_read2_b32 v[76:77], v67 offset0:54 offset1:55
	ds_read2_b32 v[78:79], v67 offset0:56 offset1:57
	ds_read2_b32 v[80:81], v67 offset0:58 offset1:59
	ds_read2_b32 v[82:83], v67 offset0:60 offset1:61
	ds_read2_b32 v[84:85], v67 offset0:62 offset1:63
	s_waitcnt lgkmcnt(4)
	v_pk_fma_f32 v[0:1], v[24:25], v[76:77], v[0:1] op_sel_hi:[0,1,1] neg_lo:[1,0,0] neg_hi:[1,0,0]
	s_waitcnt lgkmcnt(3)
	v_pk_fma_f32 v[28:29], v[24:25], v[78:79], v[28:29] op_sel_hi:[0,1,1] neg_lo:[1,0,0] neg_hi:[1,0,0]
	;; [unrolled: 2-line block ×5, first 2 shown]
.LBB126_522:
	s_or_b64 exec, exec, s[0:1]
	v_lshl_add_u32 v72, v75, 2, v67
	s_barrier
	ds_write_b32 v72, v25
	s_waitcnt lgkmcnt(0)
	s_barrier
	ds_read_b32 v74, v67 offset:124
	s_cmp_lt_i32 s22, 33
	v_mov_b32_e32 v72, 31
	s_cbranch_scc1 .LBB126_525
; %bb.523:
	v_add_u32_e32 v76, 0x80, v67
	v_mov_b32_e32 v72, 31
	s_mov_b32 s0, 32
.LBB126_524:                            ; =>This Inner Loop Header: Depth=1
	ds_read_b32 v77, v76
	v_mov_b32_e32 v78, s0
	s_add_i32 s0, s0, 1
	v_add_u32_e32 v76, 4, v76
	s_cmp_lg_u32 s22, s0
	s_waitcnt lgkmcnt(0)
	v_cmp_lt_f32_e64 vcc, |v74|, |v77|
	s_nop 1
	v_cndmask_b32_e32 v74, v74, v77, vcc
	v_cndmask_b32_e32 v72, v72, v78, vcc
	s_cbranch_scc1 .LBB126_524
.LBB126_525:
	s_waitcnt lgkmcnt(0)
	v_cmp_eq_f32_e32 vcc, 0, v74
	s_and_saveexec_b64 s[0:1], vcc
	s_xor_b64 s[0:1], exec, s[0:1]
; %bb.526:
	v_cmp_ne_u32_e32 vcc, 0, v71
	s_nop 1
	v_cndmask_b32_e32 v71, 32, v71, vcc
; %bb.527:
	s_andn2_saveexec_b64 s[0:1], s[0:1]
	s_cbranch_execz .LBB126_529
; %bb.528:
	v_div_scale_f32 v76, s[2:3], v74, v74, 1.0
	v_rcp_f32_e32 v77, v76
	v_div_scale_f32 v78, vcc, 1.0, v74, 1.0
	v_fma_f32 v79, -v76, v77, 1.0
	v_fmac_f32_e32 v77, v79, v77
	v_mul_f32_e32 v79, v78, v77
	v_fma_f32 v80, -v76, v79, v78
	v_fmac_f32_e32 v79, v80, v77
	v_fma_f32 v76, -v76, v79, v78
	v_div_fmas_f32 v76, v76, v77, v79
	v_div_fixup_f32 v74, v76, v74, 1.0
.LBB126_529:
	s_or_b64 exec, exec, s[0:1]
	v_cmp_ne_u32_e32 vcc, v75, v72
	s_and_saveexec_b64 s[0:1], vcc
	s_xor_b64 s[0:1], exec, s[0:1]
	s_cbranch_execz .LBB126_535
; %bb.530:
	v_cmp_eq_u32_e32 vcc, 31, v75
	s_and_saveexec_b64 s[2:3], vcc
	s_cbranch_execz .LBB126_534
; %bb.531:
	v_cmp_ne_u32_e32 vcc, 31, v72
	s_xor_b64 s[12:13], s[20:21], -1
	s_and_b64 s[14:15], s[12:13], vcc
	s_and_saveexec_b64 s[12:13], s[14:15]
	s_cbranch_execz .LBB126_533
; %bb.532:
	v_ashrrev_i32_e32 v73, 31, v72
	v_lshl_add_u64 v[76:77], v[72:73], 2, v[4:5]
	global_load_dword v73, v[76:77], off
	global_load_dword v75, v[4:5], off offset:124
	s_waitcnt vmcnt(1)
	global_store_dword v[4:5], v73, off offset:124
	s_waitcnt vmcnt(1)
	global_store_dword v[76:77], v75, off
.LBB126_533:
	s_or_b64 exec, exec, s[12:13]
	v_mov_b32_e32 v73, v72
	v_mov_b32_e32 v75, v72
.LBB126_534:
	s_or_b64 exec, exec, s[2:3]
.LBB126_535:
	s_andn2_saveexec_b64 s[0:1], s[0:1]
	s_cbranch_execz .LBB126_537
; %bb.536:
	v_mov_b32_e32 v75, 31
	ds_write2_b32 v67, v48, v49 offset0:32 offset1:33
	ds_write2_b32 v67, v38, v39 offset0:34 offset1:35
	;; [unrolled: 1-line block ×16, first 2 shown]
.LBB126_537:
	s_or_b64 exec, exec, s[0:1]
	v_cmp_lt_i32_e32 vcc, 31, v75
	s_waitcnt lgkmcnt(0)
	s_barrier
	s_and_saveexec_b64 s[0:1], vcc
	s_cbranch_execz .LBB126_539
; %bb.538:
	ds_read2_b32 v[76:77], v67 offset0:32 offset1:33
	ds_read2_b32 v[78:79], v67 offset0:34 offset1:35
	;; [unrolled: 1-line block ×3, first 2 shown]
	v_mul_f32_e32 v72, v74, v25
	ds_read2_b32 v[82:83], v67 offset0:38 offset1:39
	s_waitcnt lgkmcnt(3)
	v_pk_fma_f32 v[48:49], v[72:73], v[76:77], v[48:49] op_sel_hi:[0,1,1] neg_lo:[1,0,0] neg_hi:[1,0,0]
	s_waitcnt lgkmcnt(2)
	v_pk_fma_f32 v[38:39], v[72:73], v[78:79], v[38:39] op_sel_hi:[0,1,1] neg_lo:[1,0,0] neg_hi:[1,0,0]
	;; [unrolled: 2-line block ×3, first 2 shown]
	ds_read2_b32 v[76:77], v67 offset0:40 offset1:41
	ds_read2_b32 v[78:79], v67 offset0:42 offset1:43
	;; [unrolled: 1-line block ×3, first 2 shown]
	s_waitcnt lgkmcnt(3)
	v_pk_fma_f32 v[18:19], v[72:73], v[82:83], v[18:19] op_sel_hi:[0,1,1] neg_lo:[1,0,0] neg_hi:[1,0,0]
	ds_read2_b32 v[82:83], v67 offset0:46 offset1:47
	s_waitcnt lgkmcnt(3)
	v_pk_fma_f32 v[40:41], v[72:73], v[76:77], v[40:41] op_sel_hi:[0,1,1] neg_lo:[1,0,0] neg_hi:[1,0,0]
	s_waitcnt lgkmcnt(2)
	v_pk_fma_f32 v[30:31], v[72:73], v[78:79], v[30:31] op_sel_hi:[0,1,1] neg_lo:[1,0,0] neg_hi:[1,0,0]
	;; [unrolled: 2-line block ×3, first 2 shown]
	ds_read2_b32 v[76:77], v67 offset0:48 offset1:49
	ds_read2_b32 v[78:79], v67 offset0:50 offset1:51
	;; [unrolled: 1-line block ×3, first 2 shown]
	s_waitcnt lgkmcnt(3)
	v_pk_fma_f32 v[12:13], v[72:73], v[82:83], v[12:13] op_sel_hi:[0,1,1] neg_lo:[1,0,0] neg_hi:[1,0,0]
	ds_read2_b32 v[82:83], v67 offset0:54 offset1:55
	s_waitcnt lgkmcnt(3)
	v_pk_fma_f32 v[32:33], v[72:73], v[76:77], v[32:33] op_sel_hi:[0,1,1] neg_lo:[1,0,0] neg_hi:[1,0,0]
	s_waitcnt lgkmcnt(2)
	v_pk_fma_f32 v[22:23], v[72:73], v[78:79], v[22:23] op_sel_hi:[0,1,1] neg_lo:[1,0,0] neg_hi:[1,0,0]
	;; [unrolled: 2-line block ×3, first 2 shown]
	ds_read2_b32 v[76:77], v67 offset0:56 offset1:57
	ds_read2_b32 v[78:79], v67 offset0:58 offset1:59
	;; [unrolled: 1-line block ×4, first 2 shown]
	s_waitcnt lgkmcnt(4)
	v_pk_fma_f32 v[0:1], v[72:73], v[82:83], v[0:1] op_sel_hi:[0,1,1] neg_lo:[1,0,0] neg_hi:[1,0,0]
	s_waitcnt lgkmcnt(3)
	v_pk_fma_f32 v[28:29], v[72:73], v[76:77], v[28:29] op_sel_hi:[0,1,1] neg_lo:[1,0,0] neg_hi:[1,0,0]
	;; [unrolled: 2-line block ×5, first 2 shown]
	v_mov_b32_e32 v25, v72
.LBB126_539:
	s_or_b64 exec, exec, s[0:1]
	v_lshl_add_u32 v72, v75, 2, v67
	s_barrier
	ds_write_b32 v72, v48
	s_waitcnt lgkmcnt(0)
	s_barrier
	ds_read_b32 v74, v67 offset:128
	s_cmp_lt_i32 s22, 34
	v_mov_b32_e32 v72, 32
	s_cbranch_scc1 .LBB126_542
; %bb.540:
	v_add_u32_e32 v76, 0x84, v67
	v_mov_b32_e32 v72, 32
	s_mov_b32 s0, 33
.LBB126_541:                            ; =>This Inner Loop Header: Depth=1
	ds_read_b32 v77, v76
	v_mov_b32_e32 v78, s0
	s_add_i32 s0, s0, 1
	v_add_u32_e32 v76, 4, v76
	s_cmp_lg_u32 s22, s0
	s_waitcnt lgkmcnt(0)
	v_cmp_lt_f32_e64 vcc, |v74|, |v77|
	s_nop 1
	v_cndmask_b32_e32 v74, v74, v77, vcc
	v_cndmask_b32_e32 v72, v72, v78, vcc
	s_cbranch_scc1 .LBB126_541
.LBB126_542:
	s_waitcnt lgkmcnt(0)
	v_cmp_eq_f32_e32 vcc, 0, v74
	s_and_saveexec_b64 s[0:1], vcc
	s_xor_b64 s[0:1], exec, s[0:1]
; %bb.543:
	v_cmp_ne_u32_e32 vcc, 0, v71
	s_nop 1
	v_cndmask_b32_e32 v71, 33, v71, vcc
; %bb.544:
	s_andn2_saveexec_b64 s[0:1], s[0:1]
	s_cbranch_execz .LBB126_546
; %bb.545:
	v_div_scale_f32 v76, s[2:3], v74, v74, 1.0
	v_rcp_f32_e32 v77, v76
	v_div_scale_f32 v78, vcc, 1.0, v74, 1.0
	v_fma_f32 v79, -v76, v77, 1.0
	v_fmac_f32_e32 v77, v79, v77
	v_mul_f32_e32 v79, v78, v77
	v_fma_f32 v80, -v76, v79, v78
	v_fmac_f32_e32 v79, v80, v77
	v_fma_f32 v76, -v76, v79, v78
	v_div_fmas_f32 v76, v76, v77, v79
	v_div_fixup_f32 v74, v76, v74, 1.0
.LBB126_546:
	s_or_b64 exec, exec, s[0:1]
	v_cmp_ne_u32_e32 vcc, v75, v72
	s_and_saveexec_b64 s[0:1], vcc
	s_xor_b64 s[0:1], exec, s[0:1]
	s_cbranch_execz .LBB126_552
; %bb.547:
	v_cmp_eq_u32_e32 vcc, 32, v75
	s_and_saveexec_b64 s[2:3], vcc
	s_cbranch_execz .LBB126_551
; %bb.548:
	v_cmp_ne_u32_e32 vcc, 32, v72
	s_xor_b64 s[12:13], s[20:21], -1
	s_and_b64 s[14:15], s[12:13], vcc
	s_and_saveexec_b64 s[12:13], s[14:15]
	s_cbranch_execz .LBB126_550
; %bb.549:
	v_ashrrev_i32_e32 v73, 31, v72
	v_lshl_add_u64 v[76:77], v[72:73], 2, v[4:5]
	global_load_dword v73, v[76:77], off
	global_load_dword v75, v[4:5], off offset:128
	s_waitcnt vmcnt(1)
	global_store_dword v[4:5], v73, off offset:128
	s_waitcnt vmcnt(1)
	global_store_dword v[76:77], v75, off
.LBB126_550:
	s_or_b64 exec, exec, s[12:13]
	v_mov_b32_e32 v73, v72
	v_mov_b32_e32 v75, v72
.LBB126_551:
	s_or_b64 exec, exec, s[2:3]
.LBB126_552:
	s_andn2_saveexec_b64 s[0:1], s[0:1]
	s_cbranch_execz .LBB126_554
; %bb.553:
	v_pk_mov_b32 v[76:77], v[48:49], v[38:39] op_sel:[1,0]
	ds_write2_b32 v67, v76, v77 offset0:33 offset1:34
	v_pk_mov_b32 v[76:77], v[38:39], v[26:27] op_sel:[1,0]
	ds_write2_b32 v67, v76, v77 offset0:35 offset1:36
	;; [unrolled: 2-line block ×14, first 2 shown]
	v_pk_mov_b32 v[76:77], v[10:11], v[8:9] op_sel:[1,0]
	v_mov_b32_e32 v75, 32
	ds_write2_b32 v67, v76, v77 offset0:61 offset1:62
	ds_write_b32 v67, v9 offset:252
.LBB126_554:
	s_or_b64 exec, exec, s[0:1]
	v_cmp_lt_i32_e32 vcc, 32, v75
	s_waitcnt lgkmcnt(0)
	s_barrier
	s_and_saveexec_b64 s[0:1], vcc
	s_cbranch_execz .LBB126_556
; %bb.555:
	ds_read_b32 v72, v67 offset:132
	ds_read2_b32 v[76:77], v67 offset0:34 offset1:35
	ds_read2_b32 v[78:79], v67 offset0:36 offset1:37
	v_mul_f32_e32 v48, v74, v48
	ds_read2_b32 v[80:81], v67 offset0:38 offset1:39
	s_waitcnt lgkmcnt(3)
	v_fma_f32 v49, -v48, v72, v49
	s_waitcnt lgkmcnt(2)
	v_pk_fma_f32 v[38:39], v[48:49], v[76:77], v[38:39] op_sel_hi:[0,1,1] neg_lo:[1,0,0] neg_hi:[1,0,0]
	s_waitcnt lgkmcnt(1)
	v_pk_fma_f32 v[26:27], v[48:49], v[78:79], v[26:27] op_sel_hi:[0,1,1] neg_lo:[1,0,0] neg_hi:[1,0,0]
	ds_read2_b32 v[76:77], v67 offset0:40 offset1:41
	ds_read2_b32 v[78:79], v67 offset0:42 offset1:43
	ds_read2_b32 v[82:83], v67 offset0:44 offset1:45
	s_waitcnt lgkmcnt(3)
	v_pk_fma_f32 v[18:19], v[48:49], v[80:81], v[18:19] op_sel_hi:[0,1,1] neg_lo:[1,0,0] neg_hi:[1,0,0]
	ds_read2_b32 v[80:81], v67 offset0:46 offset1:47
	s_waitcnt lgkmcnt(3)
	v_pk_fma_f32 v[40:41], v[48:49], v[76:77], v[40:41] op_sel_hi:[0,1,1] neg_lo:[1,0,0] neg_hi:[1,0,0]
	s_waitcnt lgkmcnt(2)
	v_pk_fma_f32 v[30:31], v[48:49], v[78:79], v[30:31] op_sel_hi:[0,1,1] neg_lo:[1,0,0] neg_hi:[1,0,0]
	;; [unrolled: 2-line block ×3, first 2 shown]
	ds_read2_b32 v[76:77], v67 offset0:48 offset1:49
	ds_read2_b32 v[78:79], v67 offset0:50 offset1:51
	;; [unrolled: 1-line block ×3, first 2 shown]
	s_waitcnt lgkmcnt(3)
	v_pk_fma_f32 v[12:13], v[48:49], v[80:81], v[12:13] op_sel_hi:[0,1,1] neg_lo:[1,0,0] neg_hi:[1,0,0]
	ds_read2_b32 v[80:81], v67 offset0:54 offset1:55
	s_waitcnt lgkmcnt(3)
	v_pk_fma_f32 v[32:33], v[48:49], v[76:77], v[32:33] op_sel_hi:[0,1,1] neg_lo:[1,0,0] neg_hi:[1,0,0]
	s_waitcnt lgkmcnt(2)
	v_pk_fma_f32 v[22:23], v[48:49], v[78:79], v[22:23] op_sel_hi:[0,1,1] neg_lo:[1,0,0] neg_hi:[1,0,0]
	;; [unrolled: 2-line block ×3, first 2 shown]
	ds_read2_b32 v[76:77], v67 offset0:56 offset1:57
	ds_read2_b32 v[78:79], v67 offset0:58 offset1:59
	;; [unrolled: 1-line block ×4, first 2 shown]
	s_waitcnt lgkmcnt(4)
	v_pk_fma_f32 v[0:1], v[48:49], v[80:81], v[0:1] op_sel_hi:[0,1,1] neg_lo:[1,0,0] neg_hi:[1,0,0]
	s_waitcnt lgkmcnt(3)
	v_pk_fma_f32 v[28:29], v[48:49], v[76:77], v[28:29] op_sel_hi:[0,1,1] neg_lo:[1,0,0] neg_hi:[1,0,0]
	;; [unrolled: 2-line block ×5, first 2 shown]
.LBB126_556:
	s_or_b64 exec, exec, s[0:1]
	v_lshl_add_u32 v72, v75, 2, v67
	s_barrier
	ds_write_b32 v72, v49
	s_waitcnt lgkmcnt(0)
	s_barrier
	ds_read_b32 v74, v67 offset:132
	s_cmp_lt_i32 s22, 35
	v_mov_b32_e32 v72, 33
	s_cbranch_scc1 .LBB126_559
; %bb.557:
	v_add_u32_e32 v76, 0x88, v67
	v_mov_b32_e32 v72, 33
	s_mov_b32 s0, 34
.LBB126_558:                            ; =>This Inner Loop Header: Depth=1
	ds_read_b32 v77, v76
	v_mov_b32_e32 v78, s0
	s_add_i32 s0, s0, 1
	v_add_u32_e32 v76, 4, v76
	s_cmp_lg_u32 s22, s0
	s_waitcnt lgkmcnt(0)
	v_cmp_lt_f32_e64 vcc, |v74|, |v77|
	s_nop 1
	v_cndmask_b32_e32 v74, v74, v77, vcc
	v_cndmask_b32_e32 v72, v72, v78, vcc
	s_cbranch_scc1 .LBB126_558
.LBB126_559:
	s_waitcnt lgkmcnt(0)
	v_cmp_eq_f32_e32 vcc, 0, v74
	s_and_saveexec_b64 s[0:1], vcc
	s_xor_b64 s[0:1], exec, s[0:1]
; %bb.560:
	v_cmp_ne_u32_e32 vcc, 0, v71
	s_nop 1
	v_cndmask_b32_e32 v71, 34, v71, vcc
; %bb.561:
	s_andn2_saveexec_b64 s[0:1], s[0:1]
	s_cbranch_execz .LBB126_563
; %bb.562:
	v_div_scale_f32 v76, s[2:3], v74, v74, 1.0
	v_rcp_f32_e32 v77, v76
	v_div_scale_f32 v78, vcc, 1.0, v74, 1.0
	v_fma_f32 v79, -v76, v77, 1.0
	v_fmac_f32_e32 v77, v79, v77
	v_mul_f32_e32 v79, v78, v77
	v_fma_f32 v80, -v76, v79, v78
	v_fmac_f32_e32 v79, v80, v77
	v_fma_f32 v76, -v76, v79, v78
	v_div_fmas_f32 v76, v76, v77, v79
	v_div_fixup_f32 v74, v76, v74, 1.0
.LBB126_563:
	s_or_b64 exec, exec, s[0:1]
	v_cmp_ne_u32_e32 vcc, v75, v72
	s_and_saveexec_b64 s[0:1], vcc
	s_xor_b64 s[0:1], exec, s[0:1]
	s_cbranch_execz .LBB126_569
; %bb.564:
	v_cmp_eq_u32_e32 vcc, 33, v75
	s_and_saveexec_b64 s[2:3], vcc
	s_cbranch_execz .LBB126_568
; %bb.565:
	v_cmp_ne_u32_e32 vcc, 33, v72
	s_xor_b64 s[12:13], s[20:21], -1
	s_and_b64 s[14:15], s[12:13], vcc
	s_and_saveexec_b64 s[12:13], s[14:15]
	s_cbranch_execz .LBB126_567
; %bb.566:
	v_ashrrev_i32_e32 v73, 31, v72
	v_lshl_add_u64 v[76:77], v[72:73], 2, v[4:5]
	global_load_dword v73, v[76:77], off
	global_load_dword v75, v[4:5], off offset:132
	s_waitcnt vmcnt(1)
	global_store_dword v[4:5], v73, off offset:132
	s_waitcnt vmcnt(1)
	global_store_dword v[76:77], v75, off
.LBB126_567:
	s_or_b64 exec, exec, s[12:13]
	v_mov_b32_e32 v73, v72
	v_mov_b32_e32 v75, v72
.LBB126_568:
	s_or_b64 exec, exec, s[2:3]
.LBB126_569:
	s_andn2_saveexec_b64 s[0:1], s[0:1]
	s_cbranch_execz .LBB126_571
; %bb.570:
	v_mov_b32_e32 v75, 33
	ds_write2_b32 v67, v38, v39 offset0:34 offset1:35
	ds_write2_b32 v67, v26, v27 offset0:36 offset1:37
	;; [unrolled: 1-line block ×15, first 2 shown]
.LBB126_571:
	s_or_b64 exec, exec, s[0:1]
	v_cmp_lt_i32_e32 vcc, 33, v75
	s_waitcnt lgkmcnt(0)
	s_barrier
	s_and_saveexec_b64 s[0:1], vcc
	s_cbranch_execz .LBB126_573
; %bb.572:
	ds_read2_b32 v[76:77], v67 offset0:34 offset1:35
	ds_read2_b32 v[78:79], v67 offset0:36 offset1:37
	;; [unrolled: 1-line block ×3, first 2 shown]
	v_mul_f32_e32 v72, v74, v49
	ds_read2_b32 v[82:83], v67 offset0:40 offset1:41
	s_waitcnt lgkmcnt(3)
	v_pk_fma_f32 v[38:39], v[72:73], v[76:77], v[38:39] op_sel_hi:[0,1,1] neg_lo:[1,0,0] neg_hi:[1,0,0]
	s_waitcnt lgkmcnt(2)
	v_pk_fma_f32 v[26:27], v[72:73], v[78:79], v[26:27] op_sel_hi:[0,1,1] neg_lo:[1,0,0] neg_hi:[1,0,0]
	;; [unrolled: 2-line block ×3, first 2 shown]
	ds_read2_b32 v[76:77], v67 offset0:42 offset1:43
	ds_read2_b32 v[78:79], v67 offset0:44 offset1:45
	;; [unrolled: 1-line block ×3, first 2 shown]
	s_waitcnt lgkmcnt(3)
	v_pk_fma_f32 v[40:41], v[72:73], v[82:83], v[40:41] op_sel_hi:[0,1,1] neg_lo:[1,0,0] neg_hi:[1,0,0]
	ds_read2_b32 v[82:83], v67 offset0:48 offset1:49
	s_waitcnt lgkmcnt(3)
	v_pk_fma_f32 v[30:31], v[72:73], v[76:77], v[30:31] op_sel_hi:[0,1,1] neg_lo:[1,0,0] neg_hi:[1,0,0]
	s_waitcnt lgkmcnt(2)
	v_pk_fma_f32 v[20:21], v[72:73], v[78:79], v[20:21] op_sel_hi:[0,1,1] neg_lo:[1,0,0] neg_hi:[1,0,0]
	ds_read2_b32 v[76:77], v67 offset0:50 offset1:51
	ds_read2_b32 v[78:79], v67 offset0:52 offset1:53
	s_waitcnt lgkmcnt(3)
	v_pk_fma_f32 v[12:13], v[72:73], v[80:81], v[12:13] op_sel_hi:[0,1,1] neg_lo:[1,0,0] neg_hi:[1,0,0]
	s_waitcnt lgkmcnt(2)
	v_pk_fma_f32 v[32:33], v[72:73], v[82:83], v[32:33] op_sel_hi:[0,1,1] neg_lo:[1,0,0] neg_hi:[1,0,0]
	ds_read2_b32 v[80:81], v67 offset0:54 offset1:55
	;; [unrolled: 6-line block ×3, first 2 shown]
	ds_read2_b32 v[78:79], v67 offset0:60 offset1:61
	ds_read2_b32 v[84:85], v67 offset0:62 offset1:63
	s_waitcnt lgkmcnt(4)
	v_pk_fma_f32 v[0:1], v[72:73], v[80:81], v[0:1] op_sel_hi:[0,1,1] neg_lo:[1,0,0] neg_hi:[1,0,0]
	s_waitcnt lgkmcnt(3)
	v_pk_fma_f32 v[28:29], v[72:73], v[82:83], v[28:29] op_sel_hi:[0,1,1] neg_lo:[1,0,0] neg_hi:[1,0,0]
	;; [unrolled: 2-line block ×5, first 2 shown]
	v_mov_b32_e32 v49, v72
.LBB126_573:
	s_or_b64 exec, exec, s[0:1]
	v_lshl_add_u32 v72, v75, 2, v67
	s_barrier
	ds_write_b32 v72, v38
	s_waitcnt lgkmcnt(0)
	s_barrier
	ds_read_b32 v74, v67 offset:136
	s_cmp_lt_i32 s22, 36
	v_mov_b32_e32 v72, 34
	s_cbranch_scc1 .LBB126_576
; %bb.574:
	v_add_u32_e32 v76, 0x8c, v67
	v_mov_b32_e32 v72, 34
	s_mov_b32 s0, 35
.LBB126_575:                            ; =>This Inner Loop Header: Depth=1
	ds_read_b32 v77, v76
	v_mov_b32_e32 v78, s0
	s_add_i32 s0, s0, 1
	v_add_u32_e32 v76, 4, v76
	s_cmp_lg_u32 s22, s0
	s_waitcnt lgkmcnt(0)
	v_cmp_lt_f32_e64 vcc, |v74|, |v77|
	s_nop 1
	v_cndmask_b32_e32 v74, v74, v77, vcc
	v_cndmask_b32_e32 v72, v72, v78, vcc
	s_cbranch_scc1 .LBB126_575
.LBB126_576:
	s_waitcnt lgkmcnt(0)
	v_cmp_eq_f32_e32 vcc, 0, v74
	s_and_saveexec_b64 s[0:1], vcc
	s_xor_b64 s[0:1], exec, s[0:1]
; %bb.577:
	v_cmp_ne_u32_e32 vcc, 0, v71
	s_nop 1
	v_cndmask_b32_e32 v71, 35, v71, vcc
; %bb.578:
	s_andn2_saveexec_b64 s[0:1], s[0:1]
	s_cbranch_execz .LBB126_580
; %bb.579:
	v_div_scale_f32 v76, s[2:3], v74, v74, 1.0
	v_rcp_f32_e32 v77, v76
	v_div_scale_f32 v78, vcc, 1.0, v74, 1.0
	v_fma_f32 v79, -v76, v77, 1.0
	v_fmac_f32_e32 v77, v79, v77
	v_mul_f32_e32 v79, v78, v77
	v_fma_f32 v80, -v76, v79, v78
	v_fmac_f32_e32 v79, v80, v77
	v_fma_f32 v76, -v76, v79, v78
	v_div_fmas_f32 v76, v76, v77, v79
	v_div_fixup_f32 v74, v76, v74, 1.0
.LBB126_580:
	s_or_b64 exec, exec, s[0:1]
	v_cmp_ne_u32_e32 vcc, v75, v72
	s_and_saveexec_b64 s[0:1], vcc
	s_xor_b64 s[0:1], exec, s[0:1]
	s_cbranch_execz .LBB126_586
; %bb.581:
	v_cmp_eq_u32_e32 vcc, 34, v75
	s_and_saveexec_b64 s[2:3], vcc
	s_cbranch_execz .LBB126_585
; %bb.582:
	v_cmp_ne_u32_e32 vcc, 34, v72
	s_xor_b64 s[12:13], s[20:21], -1
	s_and_b64 s[14:15], s[12:13], vcc
	s_and_saveexec_b64 s[12:13], s[14:15]
	s_cbranch_execz .LBB126_584
; %bb.583:
	v_ashrrev_i32_e32 v73, 31, v72
	v_lshl_add_u64 v[76:77], v[72:73], 2, v[4:5]
	global_load_dword v73, v[76:77], off
	global_load_dword v75, v[4:5], off offset:136
	s_waitcnt vmcnt(1)
	global_store_dword v[4:5], v73, off offset:136
	s_waitcnt vmcnt(1)
	global_store_dword v[76:77], v75, off
.LBB126_584:
	s_or_b64 exec, exec, s[12:13]
	v_mov_b32_e32 v73, v72
	v_mov_b32_e32 v75, v72
.LBB126_585:
	s_or_b64 exec, exec, s[2:3]
.LBB126_586:
	s_andn2_saveexec_b64 s[0:1], s[0:1]
	s_cbranch_execz .LBB126_588
; %bb.587:
	v_pk_mov_b32 v[76:77], v[38:39], v[26:27] op_sel:[1,0]
	ds_write2_b32 v67, v76, v77 offset0:35 offset1:36
	v_pk_mov_b32 v[76:77], v[26:27], v[18:19] op_sel:[1,0]
	ds_write2_b32 v67, v76, v77 offset0:37 offset1:38
	;; [unrolled: 2-line block ×13, first 2 shown]
	v_pk_mov_b32 v[76:77], v[10:11], v[8:9] op_sel:[1,0]
	v_mov_b32_e32 v75, 34
	ds_write2_b32 v67, v76, v77 offset0:61 offset1:62
	ds_write_b32 v67, v9 offset:252
.LBB126_588:
	s_or_b64 exec, exec, s[0:1]
	v_cmp_lt_i32_e32 vcc, 34, v75
	s_waitcnt lgkmcnt(0)
	s_barrier
	s_and_saveexec_b64 s[0:1], vcc
	s_cbranch_execz .LBB126_590
; %bb.589:
	ds_read_b32 v72, v67 offset:140
	ds_read2_b32 v[76:77], v67 offset0:36 offset1:37
	ds_read2_b32 v[78:79], v67 offset0:38 offset1:39
	v_mul_f32_e32 v38, v74, v38
	ds_read2_b32 v[80:81], v67 offset0:40 offset1:41
	s_waitcnt lgkmcnt(3)
	v_fma_f32 v39, -v38, v72, v39
	s_waitcnt lgkmcnt(2)
	v_pk_fma_f32 v[26:27], v[38:39], v[76:77], v[26:27] op_sel_hi:[0,1,1] neg_lo:[1,0,0] neg_hi:[1,0,0]
	s_waitcnt lgkmcnt(1)
	v_pk_fma_f32 v[18:19], v[38:39], v[78:79], v[18:19] op_sel_hi:[0,1,1] neg_lo:[1,0,0] neg_hi:[1,0,0]
	ds_read2_b32 v[76:77], v67 offset0:42 offset1:43
	ds_read2_b32 v[78:79], v67 offset0:44 offset1:45
	;; [unrolled: 1-line block ×3, first 2 shown]
	s_waitcnt lgkmcnt(3)
	v_pk_fma_f32 v[40:41], v[38:39], v[80:81], v[40:41] op_sel_hi:[0,1,1] neg_lo:[1,0,0] neg_hi:[1,0,0]
	ds_read2_b32 v[80:81], v67 offset0:48 offset1:49
	s_waitcnt lgkmcnt(3)
	v_pk_fma_f32 v[30:31], v[38:39], v[76:77], v[30:31] op_sel_hi:[0,1,1] neg_lo:[1,0,0] neg_hi:[1,0,0]
	s_waitcnt lgkmcnt(2)
	v_pk_fma_f32 v[20:21], v[38:39], v[78:79], v[20:21] op_sel_hi:[0,1,1] neg_lo:[1,0,0] neg_hi:[1,0,0]
	ds_read2_b32 v[76:77], v67 offset0:50 offset1:51
	ds_read2_b32 v[78:79], v67 offset0:52 offset1:53
	s_waitcnt lgkmcnt(3)
	v_pk_fma_f32 v[12:13], v[38:39], v[82:83], v[12:13] op_sel_hi:[0,1,1] neg_lo:[1,0,0] neg_hi:[1,0,0]
	s_waitcnt lgkmcnt(2)
	v_pk_fma_f32 v[32:33], v[38:39], v[80:81], v[32:33] op_sel_hi:[0,1,1] neg_lo:[1,0,0] neg_hi:[1,0,0]
	ds_read2_b32 v[80:81], v67 offset0:54 offset1:55
	;; [unrolled: 6-line block ×3, first 2 shown]
	ds_read2_b32 v[78:79], v67 offset0:60 offset1:61
	ds_read2_b32 v[84:85], v67 offset0:62 offset1:63
	s_waitcnt lgkmcnt(4)
	v_pk_fma_f32 v[0:1], v[38:39], v[80:81], v[0:1] op_sel_hi:[0,1,1] neg_lo:[1,0,0] neg_hi:[1,0,0]
	s_waitcnt lgkmcnt(3)
	v_pk_fma_f32 v[28:29], v[38:39], v[82:83], v[28:29] op_sel_hi:[0,1,1] neg_lo:[1,0,0] neg_hi:[1,0,0]
	;; [unrolled: 2-line block ×5, first 2 shown]
.LBB126_590:
	s_or_b64 exec, exec, s[0:1]
	v_lshl_add_u32 v72, v75, 2, v67
	s_barrier
	ds_write_b32 v72, v39
	s_waitcnt lgkmcnt(0)
	s_barrier
	ds_read_b32 v74, v67 offset:140
	s_cmp_lt_i32 s22, 37
	v_mov_b32_e32 v72, 35
	s_cbranch_scc1 .LBB126_593
; %bb.591:
	v_add_u32_e32 v76, 0x90, v67
	v_mov_b32_e32 v72, 35
	s_mov_b32 s0, 36
.LBB126_592:                            ; =>This Inner Loop Header: Depth=1
	ds_read_b32 v77, v76
	v_mov_b32_e32 v78, s0
	s_add_i32 s0, s0, 1
	v_add_u32_e32 v76, 4, v76
	s_cmp_lg_u32 s22, s0
	s_waitcnt lgkmcnt(0)
	v_cmp_lt_f32_e64 vcc, |v74|, |v77|
	s_nop 1
	v_cndmask_b32_e32 v74, v74, v77, vcc
	v_cndmask_b32_e32 v72, v72, v78, vcc
	s_cbranch_scc1 .LBB126_592
.LBB126_593:
	s_waitcnt lgkmcnt(0)
	v_cmp_eq_f32_e32 vcc, 0, v74
	s_and_saveexec_b64 s[0:1], vcc
	s_xor_b64 s[0:1], exec, s[0:1]
; %bb.594:
	v_cmp_ne_u32_e32 vcc, 0, v71
	s_nop 1
	v_cndmask_b32_e32 v71, 36, v71, vcc
; %bb.595:
	s_andn2_saveexec_b64 s[0:1], s[0:1]
	s_cbranch_execz .LBB126_597
; %bb.596:
	v_div_scale_f32 v76, s[2:3], v74, v74, 1.0
	v_rcp_f32_e32 v77, v76
	v_div_scale_f32 v78, vcc, 1.0, v74, 1.0
	v_fma_f32 v79, -v76, v77, 1.0
	v_fmac_f32_e32 v77, v79, v77
	v_mul_f32_e32 v79, v78, v77
	v_fma_f32 v80, -v76, v79, v78
	v_fmac_f32_e32 v79, v80, v77
	v_fma_f32 v76, -v76, v79, v78
	v_div_fmas_f32 v76, v76, v77, v79
	v_div_fixup_f32 v74, v76, v74, 1.0
.LBB126_597:
	s_or_b64 exec, exec, s[0:1]
	v_cmp_ne_u32_e32 vcc, v75, v72
	s_and_saveexec_b64 s[0:1], vcc
	s_xor_b64 s[0:1], exec, s[0:1]
	s_cbranch_execz .LBB126_603
; %bb.598:
	v_cmp_eq_u32_e32 vcc, 35, v75
	s_and_saveexec_b64 s[2:3], vcc
	s_cbranch_execz .LBB126_602
; %bb.599:
	v_cmp_ne_u32_e32 vcc, 35, v72
	s_xor_b64 s[12:13], s[20:21], -1
	s_and_b64 s[14:15], s[12:13], vcc
	s_and_saveexec_b64 s[12:13], s[14:15]
	s_cbranch_execz .LBB126_601
; %bb.600:
	v_ashrrev_i32_e32 v73, 31, v72
	v_lshl_add_u64 v[76:77], v[72:73], 2, v[4:5]
	global_load_dword v73, v[76:77], off
	global_load_dword v75, v[4:5], off offset:140
	s_waitcnt vmcnt(1)
	global_store_dword v[4:5], v73, off offset:140
	s_waitcnt vmcnt(1)
	global_store_dword v[76:77], v75, off
.LBB126_601:
	s_or_b64 exec, exec, s[12:13]
	v_mov_b32_e32 v73, v72
	v_mov_b32_e32 v75, v72
.LBB126_602:
	s_or_b64 exec, exec, s[2:3]
.LBB126_603:
	s_andn2_saveexec_b64 s[0:1], s[0:1]
	s_cbranch_execz .LBB126_605
; %bb.604:
	v_mov_b32_e32 v75, 35
	ds_write2_b32 v67, v26, v27 offset0:36 offset1:37
	ds_write2_b32 v67, v18, v19 offset0:38 offset1:39
	;; [unrolled: 1-line block ×14, first 2 shown]
.LBB126_605:
	s_or_b64 exec, exec, s[0:1]
	v_cmp_lt_i32_e32 vcc, 35, v75
	s_waitcnt lgkmcnt(0)
	s_barrier
	s_and_saveexec_b64 s[0:1], vcc
	s_cbranch_execz .LBB126_607
; %bb.606:
	ds_read2_b32 v[76:77], v67 offset0:36 offset1:37
	ds_read2_b32 v[78:79], v67 offset0:38 offset1:39
	;; [unrolled: 1-line block ×4, first 2 shown]
	v_mul_f32_e32 v72, v74, v39
	s_waitcnt lgkmcnt(3)
	v_pk_fma_f32 v[26:27], v[72:73], v[76:77], v[26:27] op_sel_hi:[0,1,1] neg_lo:[1,0,0] neg_hi:[1,0,0]
	s_waitcnt lgkmcnt(2)
	v_pk_fma_f32 v[18:19], v[72:73], v[78:79], v[18:19] op_sel_hi:[0,1,1] neg_lo:[1,0,0] neg_hi:[1,0,0]
	;; [unrolled: 2-line block ×3, first 2 shown]
	ds_read2_b32 v[76:77], v67 offset0:44 offset1:45
	ds_read2_b32 v[78:79], v67 offset0:46 offset1:47
	ds_read2_b32 v[80:81], v67 offset0:48 offset1:49
	s_waitcnt lgkmcnt(3)
	v_pk_fma_f32 v[30:31], v[72:73], v[82:83], v[30:31] op_sel_hi:[0,1,1] neg_lo:[1,0,0] neg_hi:[1,0,0]
	ds_read2_b32 v[82:83], v67 offset0:50 offset1:51
	s_waitcnt lgkmcnt(3)
	v_pk_fma_f32 v[20:21], v[72:73], v[76:77], v[20:21] op_sel_hi:[0,1,1] neg_lo:[1,0,0] neg_hi:[1,0,0]
	ds_read2_b32 v[76:77], v67 offset0:52 offset1:53
	s_waitcnt lgkmcnt(3)
	v_pk_fma_f32 v[12:13], v[72:73], v[78:79], v[12:13] op_sel_hi:[0,1,1] neg_lo:[1,0,0] neg_hi:[1,0,0]
	s_waitcnt lgkmcnt(2)
	v_pk_fma_f32 v[32:33], v[72:73], v[80:81], v[32:33] op_sel_hi:[0,1,1] neg_lo:[1,0,0] neg_hi:[1,0,0]
	;; [unrolled: 2-line block ×3, first 2 shown]
	ds_read2_b32 v[78:79], v67 offset0:54 offset1:55
	ds_read2_b32 v[80:81], v67 offset0:56 offset1:57
	;; [unrolled: 1-line block ×3, first 2 shown]
	s_waitcnt lgkmcnt(3)
	v_pk_fma_f32 v[14:15], v[72:73], v[76:77], v[14:15] op_sel_hi:[0,1,1] neg_lo:[1,0,0] neg_hi:[1,0,0]
	ds_read2_b32 v[76:77], v67 offset0:60 offset1:61
	ds_read2_b32 v[84:85], v67 offset0:62 offset1:63
	s_waitcnt lgkmcnt(4)
	v_pk_fma_f32 v[0:1], v[72:73], v[78:79], v[0:1] op_sel_hi:[0,1,1] neg_lo:[1,0,0] neg_hi:[1,0,0]
	s_waitcnt lgkmcnt(3)
	v_pk_fma_f32 v[28:29], v[72:73], v[80:81], v[28:29] op_sel_hi:[0,1,1] neg_lo:[1,0,0] neg_hi:[1,0,0]
	;; [unrolled: 2-line block ×5, first 2 shown]
	v_mov_b32_e32 v39, v72
.LBB126_607:
	s_or_b64 exec, exec, s[0:1]
	v_lshl_add_u32 v72, v75, 2, v67
	s_barrier
	ds_write_b32 v72, v26
	s_waitcnt lgkmcnt(0)
	s_barrier
	ds_read_b32 v74, v67 offset:144
	s_cmp_lt_i32 s22, 38
	v_mov_b32_e32 v72, 36
	s_cbranch_scc1 .LBB126_610
; %bb.608:
	v_add_u32_e32 v76, 0x94, v67
	v_mov_b32_e32 v72, 36
	s_mov_b32 s0, 37
.LBB126_609:                            ; =>This Inner Loop Header: Depth=1
	ds_read_b32 v77, v76
	v_mov_b32_e32 v78, s0
	s_add_i32 s0, s0, 1
	v_add_u32_e32 v76, 4, v76
	s_cmp_lg_u32 s22, s0
	s_waitcnt lgkmcnt(0)
	v_cmp_lt_f32_e64 vcc, |v74|, |v77|
	s_nop 1
	v_cndmask_b32_e32 v74, v74, v77, vcc
	v_cndmask_b32_e32 v72, v72, v78, vcc
	s_cbranch_scc1 .LBB126_609
.LBB126_610:
	s_waitcnt lgkmcnt(0)
	v_cmp_eq_f32_e32 vcc, 0, v74
	s_and_saveexec_b64 s[0:1], vcc
	s_xor_b64 s[0:1], exec, s[0:1]
; %bb.611:
	v_cmp_ne_u32_e32 vcc, 0, v71
	s_nop 1
	v_cndmask_b32_e32 v71, 37, v71, vcc
; %bb.612:
	s_andn2_saveexec_b64 s[0:1], s[0:1]
	s_cbranch_execz .LBB126_614
; %bb.613:
	v_div_scale_f32 v76, s[2:3], v74, v74, 1.0
	v_rcp_f32_e32 v77, v76
	v_div_scale_f32 v78, vcc, 1.0, v74, 1.0
	v_fma_f32 v79, -v76, v77, 1.0
	v_fmac_f32_e32 v77, v79, v77
	v_mul_f32_e32 v79, v78, v77
	v_fma_f32 v80, -v76, v79, v78
	v_fmac_f32_e32 v79, v80, v77
	v_fma_f32 v76, -v76, v79, v78
	v_div_fmas_f32 v76, v76, v77, v79
	v_div_fixup_f32 v74, v76, v74, 1.0
.LBB126_614:
	s_or_b64 exec, exec, s[0:1]
	v_cmp_ne_u32_e32 vcc, v75, v72
	s_and_saveexec_b64 s[0:1], vcc
	s_xor_b64 s[0:1], exec, s[0:1]
	s_cbranch_execz .LBB126_620
; %bb.615:
	v_cmp_eq_u32_e32 vcc, 36, v75
	s_and_saveexec_b64 s[2:3], vcc
	s_cbranch_execz .LBB126_619
; %bb.616:
	v_cmp_ne_u32_e32 vcc, 36, v72
	s_xor_b64 s[12:13], s[20:21], -1
	s_and_b64 s[14:15], s[12:13], vcc
	s_and_saveexec_b64 s[12:13], s[14:15]
	s_cbranch_execz .LBB126_618
; %bb.617:
	v_ashrrev_i32_e32 v73, 31, v72
	v_lshl_add_u64 v[76:77], v[72:73], 2, v[4:5]
	global_load_dword v73, v[76:77], off
	global_load_dword v75, v[4:5], off offset:144
	s_waitcnt vmcnt(1)
	global_store_dword v[4:5], v73, off offset:144
	s_waitcnt vmcnt(1)
	global_store_dword v[76:77], v75, off
.LBB126_618:
	s_or_b64 exec, exec, s[12:13]
	v_mov_b32_e32 v73, v72
	v_mov_b32_e32 v75, v72
.LBB126_619:
	s_or_b64 exec, exec, s[2:3]
.LBB126_620:
	s_andn2_saveexec_b64 s[0:1], s[0:1]
	s_cbranch_execz .LBB126_622
; %bb.621:
	v_pk_mov_b32 v[76:77], v[26:27], v[18:19] op_sel:[1,0]
	ds_write2_b32 v67, v76, v77 offset0:37 offset1:38
	v_pk_mov_b32 v[76:77], v[18:19], v[40:41] op_sel:[1,0]
	ds_write2_b32 v67, v76, v77 offset0:39 offset1:40
	;; [unrolled: 2-line block ×12, first 2 shown]
	v_pk_mov_b32 v[76:77], v[10:11], v[8:9] op_sel:[1,0]
	v_mov_b32_e32 v75, 36
	ds_write2_b32 v67, v76, v77 offset0:61 offset1:62
	ds_write_b32 v67, v9 offset:252
.LBB126_622:
	s_or_b64 exec, exec, s[0:1]
	v_cmp_lt_i32_e32 vcc, 36, v75
	s_waitcnt lgkmcnt(0)
	s_barrier
	s_and_saveexec_b64 s[0:1], vcc
	s_cbranch_execz .LBB126_624
; %bb.623:
	ds_read_b32 v72, v67 offset:148
	ds_read2_b32 v[76:77], v67 offset0:38 offset1:39
	ds_read2_b32 v[78:79], v67 offset0:40 offset1:41
	v_mul_f32_e32 v26, v74, v26
	ds_read2_b32 v[80:81], v67 offset0:42 offset1:43
	s_waitcnt lgkmcnt(3)
	v_fma_f32 v27, -v26, v72, v27
	s_waitcnt lgkmcnt(2)
	v_pk_fma_f32 v[18:19], v[26:27], v[76:77], v[18:19] op_sel_hi:[0,1,1] neg_lo:[1,0,0] neg_hi:[1,0,0]
	s_waitcnt lgkmcnt(1)
	v_pk_fma_f32 v[40:41], v[26:27], v[78:79], v[40:41] op_sel_hi:[0,1,1] neg_lo:[1,0,0] neg_hi:[1,0,0]
	ds_read2_b32 v[76:77], v67 offset0:44 offset1:45
	ds_read2_b32 v[78:79], v67 offset0:46 offset1:47
	;; [unrolled: 1-line block ×3, first 2 shown]
	s_waitcnt lgkmcnt(3)
	v_pk_fma_f32 v[30:31], v[26:27], v[80:81], v[30:31] op_sel_hi:[0,1,1] neg_lo:[1,0,0] neg_hi:[1,0,0]
	ds_read2_b32 v[80:81], v67 offset0:50 offset1:51
	s_waitcnt lgkmcnt(3)
	v_pk_fma_f32 v[20:21], v[26:27], v[76:77], v[20:21] op_sel_hi:[0,1,1] neg_lo:[1,0,0] neg_hi:[1,0,0]
	ds_read2_b32 v[76:77], v67 offset0:52 offset1:53
	s_waitcnt lgkmcnt(3)
	v_pk_fma_f32 v[12:13], v[26:27], v[78:79], v[12:13] op_sel_hi:[0,1,1] neg_lo:[1,0,0] neg_hi:[1,0,0]
	s_waitcnt lgkmcnt(2)
	v_pk_fma_f32 v[32:33], v[26:27], v[82:83], v[32:33] op_sel_hi:[0,1,1] neg_lo:[1,0,0] neg_hi:[1,0,0]
	;; [unrolled: 2-line block ×3, first 2 shown]
	ds_read2_b32 v[78:79], v67 offset0:54 offset1:55
	ds_read2_b32 v[80:81], v67 offset0:56 offset1:57
	;; [unrolled: 1-line block ×3, first 2 shown]
	s_waitcnt lgkmcnt(3)
	v_pk_fma_f32 v[14:15], v[26:27], v[76:77], v[14:15] op_sel_hi:[0,1,1] neg_lo:[1,0,0] neg_hi:[1,0,0]
	ds_read2_b32 v[76:77], v67 offset0:60 offset1:61
	ds_read2_b32 v[84:85], v67 offset0:62 offset1:63
	s_waitcnt lgkmcnt(4)
	v_pk_fma_f32 v[0:1], v[26:27], v[78:79], v[0:1] op_sel_hi:[0,1,1] neg_lo:[1,0,0] neg_hi:[1,0,0]
	s_waitcnt lgkmcnt(3)
	v_pk_fma_f32 v[28:29], v[26:27], v[80:81], v[28:29] op_sel_hi:[0,1,1] neg_lo:[1,0,0] neg_hi:[1,0,0]
	;; [unrolled: 2-line block ×5, first 2 shown]
.LBB126_624:
	s_or_b64 exec, exec, s[0:1]
	v_lshl_add_u32 v72, v75, 2, v67
	s_barrier
	ds_write_b32 v72, v27
	s_waitcnt lgkmcnt(0)
	s_barrier
	ds_read_b32 v74, v67 offset:148
	s_cmp_lt_i32 s22, 39
	v_mov_b32_e32 v72, 37
	s_cbranch_scc1 .LBB126_627
; %bb.625:
	v_add_u32_e32 v76, 0x98, v67
	v_mov_b32_e32 v72, 37
	s_mov_b32 s0, 38
.LBB126_626:                            ; =>This Inner Loop Header: Depth=1
	ds_read_b32 v77, v76
	v_mov_b32_e32 v78, s0
	s_add_i32 s0, s0, 1
	v_add_u32_e32 v76, 4, v76
	s_cmp_lg_u32 s22, s0
	s_waitcnt lgkmcnt(0)
	v_cmp_lt_f32_e64 vcc, |v74|, |v77|
	s_nop 1
	v_cndmask_b32_e32 v74, v74, v77, vcc
	v_cndmask_b32_e32 v72, v72, v78, vcc
	s_cbranch_scc1 .LBB126_626
.LBB126_627:
	s_waitcnt lgkmcnt(0)
	v_cmp_eq_f32_e32 vcc, 0, v74
	s_and_saveexec_b64 s[0:1], vcc
	s_xor_b64 s[0:1], exec, s[0:1]
; %bb.628:
	v_cmp_ne_u32_e32 vcc, 0, v71
	s_nop 1
	v_cndmask_b32_e32 v71, 38, v71, vcc
; %bb.629:
	s_andn2_saveexec_b64 s[0:1], s[0:1]
	s_cbranch_execz .LBB126_631
; %bb.630:
	v_div_scale_f32 v76, s[2:3], v74, v74, 1.0
	v_rcp_f32_e32 v77, v76
	v_div_scale_f32 v78, vcc, 1.0, v74, 1.0
	v_fma_f32 v79, -v76, v77, 1.0
	v_fmac_f32_e32 v77, v79, v77
	v_mul_f32_e32 v79, v78, v77
	v_fma_f32 v80, -v76, v79, v78
	v_fmac_f32_e32 v79, v80, v77
	v_fma_f32 v76, -v76, v79, v78
	v_div_fmas_f32 v76, v76, v77, v79
	v_div_fixup_f32 v74, v76, v74, 1.0
.LBB126_631:
	s_or_b64 exec, exec, s[0:1]
	v_cmp_ne_u32_e32 vcc, v75, v72
	s_and_saveexec_b64 s[0:1], vcc
	s_xor_b64 s[0:1], exec, s[0:1]
	s_cbranch_execz .LBB126_637
; %bb.632:
	v_cmp_eq_u32_e32 vcc, 37, v75
	s_and_saveexec_b64 s[2:3], vcc
	s_cbranch_execz .LBB126_636
; %bb.633:
	v_cmp_ne_u32_e32 vcc, 37, v72
	s_xor_b64 s[12:13], s[20:21], -1
	s_and_b64 s[14:15], s[12:13], vcc
	s_and_saveexec_b64 s[12:13], s[14:15]
	s_cbranch_execz .LBB126_635
; %bb.634:
	v_ashrrev_i32_e32 v73, 31, v72
	v_lshl_add_u64 v[76:77], v[72:73], 2, v[4:5]
	global_load_dword v73, v[76:77], off
	global_load_dword v75, v[4:5], off offset:148
	s_waitcnt vmcnt(1)
	global_store_dword v[4:5], v73, off offset:148
	s_waitcnt vmcnt(1)
	global_store_dword v[76:77], v75, off
.LBB126_635:
	s_or_b64 exec, exec, s[12:13]
	v_mov_b32_e32 v73, v72
	v_mov_b32_e32 v75, v72
.LBB126_636:
	s_or_b64 exec, exec, s[2:3]
.LBB126_637:
	s_andn2_saveexec_b64 s[0:1], s[0:1]
	s_cbranch_execz .LBB126_639
; %bb.638:
	v_mov_b32_e32 v75, 37
	ds_write2_b32 v67, v18, v19 offset0:38 offset1:39
	ds_write2_b32 v67, v40, v41 offset0:40 offset1:41
	;; [unrolled: 1-line block ×13, first 2 shown]
.LBB126_639:
	s_or_b64 exec, exec, s[0:1]
	v_cmp_lt_i32_e32 vcc, 37, v75
	s_waitcnt lgkmcnt(0)
	s_barrier
	s_and_saveexec_b64 s[0:1], vcc
	s_cbranch_execz .LBB126_641
; %bb.640:
	ds_read2_b32 v[76:77], v67 offset0:38 offset1:39
	ds_read2_b32 v[78:79], v67 offset0:40 offset1:41
	;; [unrolled: 1-line block ×3, first 2 shown]
	v_mul_f32_e32 v72, v74, v27
	ds_read2_b32 v[82:83], v67 offset0:44 offset1:45
	s_waitcnt lgkmcnt(3)
	v_pk_fma_f32 v[18:19], v[72:73], v[76:77], v[18:19] op_sel_hi:[0,1,1] neg_lo:[1,0,0] neg_hi:[1,0,0]
	s_waitcnt lgkmcnt(2)
	v_pk_fma_f32 v[40:41], v[72:73], v[78:79], v[40:41] op_sel_hi:[0,1,1] neg_lo:[1,0,0] neg_hi:[1,0,0]
	;; [unrolled: 2-line block ×3, first 2 shown]
	ds_read2_b32 v[76:77], v67 offset0:46 offset1:47
	ds_read2_b32 v[78:79], v67 offset0:48 offset1:49
	;; [unrolled: 1-line block ×4, first 2 shown]
	s_waitcnt lgkmcnt(4)
	v_pk_fma_f32 v[20:21], v[72:73], v[82:83], v[20:21] op_sel_hi:[0,1,1] neg_lo:[1,0,0] neg_hi:[1,0,0]
	s_waitcnt lgkmcnt(3)
	v_pk_fma_f32 v[12:13], v[72:73], v[76:77], v[12:13] op_sel_hi:[0,1,1] neg_lo:[1,0,0] neg_hi:[1,0,0]
	;; [unrolled: 2-line block ×5, first 2 shown]
	ds_read2_b32 v[76:77], v67 offset0:54 offset1:55
	ds_read2_b32 v[78:79], v67 offset0:56 offset1:57
	;; [unrolled: 1-line block ×5, first 2 shown]
	s_waitcnt lgkmcnt(4)
	v_pk_fma_f32 v[0:1], v[72:73], v[76:77], v[0:1] op_sel_hi:[0,1,1] neg_lo:[1,0,0] neg_hi:[1,0,0]
	s_waitcnt lgkmcnt(3)
	v_pk_fma_f32 v[28:29], v[72:73], v[78:79], v[28:29] op_sel_hi:[0,1,1] neg_lo:[1,0,0] neg_hi:[1,0,0]
	;; [unrolled: 2-line block ×5, first 2 shown]
	v_mov_b32_e32 v27, v72
.LBB126_641:
	s_or_b64 exec, exec, s[0:1]
	v_lshl_add_u32 v72, v75, 2, v67
	s_barrier
	ds_write_b32 v72, v18
	s_waitcnt lgkmcnt(0)
	s_barrier
	ds_read_b32 v74, v67 offset:152
	s_cmp_lt_i32 s22, 40
	v_mov_b32_e32 v72, 38
	s_cbranch_scc1 .LBB126_644
; %bb.642:
	v_add_u32_e32 v76, 0x9c, v67
	v_mov_b32_e32 v72, 38
	s_mov_b32 s0, 39
.LBB126_643:                            ; =>This Inner Loop Header: Depth=1
	ds_read_b32 v77, v76
	v_mov_b32_e32 v78, s0
	s_add_i32 s0, s0, 1
	v_add_u32_e32 v76, 4, v76
	s_cmp_lg_u32 s22, s0
	s_waitcnt lgkmcnt(0)
	v_cmp_lt_f32_e64 vcc, |v74|, |v77|
	s_nop 1
	v_cndmask_b32_e32 v74, v74, v77, vcc
	v_cndmask_b32_e32 v72, v72, v78, vcc
	s_cbranch_scc1 .LBB126_643
.LBB126_644:
	s_waitcnt lgkmcnt(0)
	v_cmp_eq_f32_e32 vcc, 0, v74
	s_and_saveexec_b64 s[0:1], vcc
	s_xor_b64 s[0:1], exec, s[0:1]
; %bb.645:
	v_cmp_ne_u32_e32 vcc, 0, v71
	s_nop 1
	v_cndmask_b32_e32 v71, 39, v71, vcc
; %bb.646:
	s_andn2_saveexec_b64 s[0:1], s[0:1]
	s_cbranch_execz .LBB126_648
; %bb.647:
	v_div_scale_f32 v76, s[2:3], v74, v74, 1.0
	v_rcp_f32_e32 v77, v76
	v_div_scale_f32 v78, vcc, 1.0, v74, 1.0
	v_fma_f32 v79, -v76, v77, 1.0
	v_fmac_f32_e32 v77, v79, v77
	v_mul_f32_e32 v79, v78, v77
	v_fma_f32 v80, -v76, v79, v78
	v_fmac_f32_e32 v79, v80, v77
	v_fma_f32 v76, -v76, v79, v78
	v_div_fmas_f32 v76, v76, v77, v79
	v_div_fixup_f32 v74, v76, v74, 1.0
.LBB126_648:
	s_or_b64 exec, exec, s[0:1]
	v_cmp_ne_u32_e32 vcc, v75, v72
	s_and_saveexec_b64 s[0:1], vcc
	s_xor_b64 s[0:1], exec, s[0:1]
	s_cbranch_execz .LBB126_654
; %bb.649:
	v_cmp_eq_u32_e32 vcc, 38, v75
	s_and_saveexec_b64 s[2:3], vcc
	s_cbranch_execz .LBB126_653
; %bb.650:
	v_cmp_ne_u32_e32 vcc, 38, v72
	s_xor_b64 s[12:13], s[20:21], -1
	s_and_b64 s[14:15], s[12:13], vcc
	s_and_saveexec_b64 s[12:13], s[14:15]
	s_cbranch_execz .LBB126_652
; %bb.651:
	v_ashrrev_i32_e32 v73, 31, v72
	v_lshl_add_u64 v[76:77], v[72:73], 2, v[4:5]
	global_load_dword v73, v[76:77], off
	global_load_dword v75, v[4:5], off offset:152
	s_waitcnt vmcnt(1)
	global_store_dword v[4:5], v73, off offset:152
	s_waitcnt vmcnt(1)
	global_store_dword v[76:77], v75, off
.LBB126_652:
	s_or_b64 exec, exec, s[12:13]
	v_mov_b32_e32 v73, v72
	v_mov_b32_e32 v75, v72
.LBB126_653:
	s_or_b64 exec, exec, s[2:3]
.LBB126_654:
	s_andn2_saveexec_b64 s[0:1], s[0:1]
	s_cbranch_execz .LBB126_656
; %bb.655:
	v_pk_mov_b32 v[76:77], v[18:19], v[40:41] op_sel:[1,0]
	ds_write2_b32 v67, v76, v77 offset0:39 offset1:40
	v_pk_mov_b32 v[76:77], v[40:41], v[30:31] op_sel:[1,0]
	ds_write2_b32 v67, v76, v77 offset0:41 offset1:42
	;; [unrolled: 2-line block ×11, first 2 shown]
	v_pk_mov_b32 v[76:77], v[10:11], v[8:9] op_sel:[1,0]
	v_mov_b32_e32 v75, 38
	ds_write2_b32 v67, v76, v77 offset0:61 offset1:62
	ds_write_b32 v67, v9 offset:252
.LBB126_656:
	s_or_b64 exec, exec, s[0:1]
	v_cmp_lt_i32_e32 vcc, 38, v75
	s_waitcnt lgkmcnt(0)
	s_barrier
	s_and_saveexec_b64 s[0:1], vcc
	s_cbranch_execz .LBB126_658
; %bb.657:
	ds_read_b32 v72, v67 offset:156
	ds_read2_b32 v[76:77], v67 offset0:40 offset1:41
	ds_read2_b32 v[78:79], v67 offset0:42 offset1:43
	v_mul_f32_e32 v18, v74, v18
	ds_read2_b32 v[80:81], v67 offset0:44 offset1:45
	s_waitcnt lgkmcnt(3)
	v_fma_f32 v19, -v18, v72, v19
	s_waitcnt lgkmcnt(2)
	v_pk_fma_f32 v[40:41], v[18:19], v[76:77], v[40:41] op_sel_hi:[0,1,1] neg_lo:[1,0,0] neg_hi:[1,0,0]
	s_waitcnt lgkmcnt(1)
	v_pk_fma_f32 v[30:31], v[18:19], v[78:79], v[30:31] op_sel_hi:[0,1,1] neg_lo:[1,0,0] neg_hi:[1,0,0]
	ds_read2_b32 v[76:77], v67 offset0:46 offset1:47
	ds_read2_b32 v[78:79], v67 offset0:48 offset1:49
	ds_read2_b32 v[82:83], v67 offset0:50 offset1:51
	ds_read2_b32 v[84:85], v67 offset0:52 offset1:53
	s_waitcnt lgkmcnt(4)
	v_pk_fma_f32 v[20:21], v[18:19], v[80:81], v[20:21] op_sel_hi:[0,1,1] neg_lo:[1,0,0] neg_hi:[1,0,0]
	s_waitcnt lgkmcnt(3)
	v_pk_fma_f32 v[12:13], v[18:19], v[76:77], v[12:13] op_sel_hi:[0,1,1] neg_lo:[1,0,0] neg_hi:[1,0,0]
	;; [unrolled: 2-line block ×5, first 2 shown]
	ds_read2_b32 v[76:77], v67 offset0:54 offset1:55
	ds_read2_b32 v[78:79], v67 offset0:56 offset1:57
	;; [unrolled: 1-line block ×5, first 2 shown]
	s_waitcnt lgkmcnt(4)
	v_pk_fma_f32 v[0:1], v[18:19], v[76:77], v[0:1] op_sel_hi:[0,1,1] neg_lo:[1,0,0] neg_hi:[1,0,0]
	s_waitcnt lgkmcnt(3)
	v_pk_fma_f32 v[28:29], v[18:19], v[78:79], v[28:29] op_sel_hi:[0,1,1] neg_lo:[1,0,0] neg_hi:[1,0,0]
	;; [unrolled: 2-line block ×5, first 2 shown]
.LBB126_658:
	s_or_b64 exec, exec, s[0:1]
	v_lshl_add_u32 v72, v75, 2, v67
	s_barrier
	ds_write_b32 v72, v19
	s_waitcnt lgkmcnt(0)
	s_barrier
	ds_read_b32 v74, v67 offset:156
	s_cmp_lt_i32 s22, 41
	v_mov_b32_e32 v72, 39
	s_cbranch_scc1 .LBB126_661
; %bb.659:
	v_add_u32_e32 v76, 0xa0, v67
	v_mov_b32_e32 v72, 39
	s_mov_b32 s0, 40
.LBB126_660:                            ; =>This Inner Loop Header: Depth=1
	ds_read_b32 v77, v76
	v_mov_b32_e32 v78, s0
	s_add_i32 s0, s0, 1
	v_add_u32_e32 v76, 4, v76
	s_cmp_lg_u32 s22, s0
	s_waitcnt lgkmcnt(0)
	v_cmp_lt_f32_e64 vcc, |v74|, |v77|
	s_nop 1
	v_cndmask_b32_e32 v74, v74, v77, vcc
	v_cndmask_b32_e32 v72, v72, v78, vcc
	s_cbranch_scc1 .LBB126_660
.LBB126_661:
	s_waitcnt lgkmcnt(0)
	v_cmp_eq_f32_e32 vcc, 0, v74
	s_and_saveexec_b64 s[0:1], vcc
	s_xor_b64 s[0:1], exec, s[0:1]
; %bb.662:
	v_cmp_ne_u32_e32 vcc, 0, v71
	s_nop 1
	v_cndmask_b32_e32 v71, 40, v71, vcc
; %bb.663:
	s_andn2_saveexec_b64 s[0:1], s[0:1]
	s_cbranch_execz .LBB126_665
; %bb.664:
	v_div_scale_f32 v76, s[2:3], v74, v74, 1.0
	v_rcp_f32_e32 v77, v76
	v_div_scale_f32 v78, vcc, 1.0, v74, 1.0
	v_fma_f32 v79, -v76, v77, 1.0
	v_fmac_f32_e32 v77, v79, v77
	v_mul_f32_e32 v79, v78, v77
	v_fma_f32 v80, -v76, v79, v78
	v_fmac_f32_e32 v79, v80, v77
	v_fma_f32 v76, -v76, v79, v78
	v_div_fmas_f32 v76, v76, v77, v79
	v_div_fixup_f32 v74, v76, v74, 1.0
.LBB126_665:
	s_or_b64 exec, exec, s[0:1]
	v_cmp_ne_u32_e32 vcc, v75, v72
	s_and_saveexec_b64 s[0:1], vcc
	s_xor_b64 s[0:1], exec, s[0:1]
	s_cbranch_execz .LBB126_671
; %bb.666:
	v_cmp_eq_u32_e32 vcc, 39, v75
	s_and_saveexec_b64 s[2:3], vcc
	s_cbranch_execz .LBB126_670
; %bb.667:
	v_cmp_ne_u32_e32 vcc, 39, v72
	s_xor_b64 s[12:13], s[20:21], -1
	s_and_b64 s[14:15], s[12:13], vcc
	s_and_saveexec_b64 s[12:13], s[14:15]
	s_cbranch_execz .LBB126_669
; %bb.668:
	v_ashrrev_i32_e32 v73, 31, v72
	v_lshl_add_u64 v[76:77], v[72:73], 2, v[4:5]
	global_load_dword v73, v[76:77], off
	global_load_dword v75, v[4:5], off offset:156
	s_waitcnt vmcnt(1)
	global_store_dword v[4:5], v73, off offset:156
	s_waitcnt vmcnt(1)
	global_store_dword v[76:77], v75, off
.LBB126_669:
	s_or_b64 exec, exec, s[12:13]
	v_mov_b32_e32 v73, v72
	v_mov_b32_e32 v75, v72
.LBB126_670:
	s_or_b64 exec, exec, s[2:3]
.LBB126_671:
	s_andn2_saveexec_b64 s[0:1], s[0:1]
	s_cbranch_execz .LBB126_673
; %bb.672:
	v_mov_b32_e32 v75, 39
	ds_write2_b32 v67, v40, v41 offset0:40 offset1:41
	ds_write2_b32 v67, v30, v31 offset0:42 offset1:43
	ds_write2_b32 v67, v20, v21 offset0:44 offset1:45
	ds_write2_b32 v67, v12, v13 offset0:46 offset1:47
	ds_write2_b32 v67, v32, v33 offset0:48 offset1:49
	ds_write2_b32 v67, v22, v23 offset0:50 offset1:51
	ds_write2_b32 v67, v14, v15 offset0:52 offset1:53
	ds_write2_b32 v67, v0, v1 offset0:54 offset1:55
	ds_write2_b32 v67, v28, v29 offset0:56 offset1:57
	ds_write2_b32 v67, v16, v17 offset0:58 offset1:59
	ds_write2_b32 v67, v10, v11 offset0:60 offset1:61
	ds_write2_b32 v67, v8, v9 offset0:62 offset1:63
.LBB126_673:
	s_or_b64 exec, exec, s[0:1]
	v_cmp_lt_i32_e32 vcc, 39, v75
	s_waitcnt lgkmcnt(0)
	s_barrier
	s_and_saveexec_b64 s[0:1], vcc
	s_cbranch_execz .LBB126_675
; %bb.674:
	ds_read2_b32 v[76:77], v67 offset0:40 offset1:41
	ds_read2_b32 v[78:79], v67 offset0:42 offset1:43
	;; [unrolled: 1-line block ×3, first 2 shown]
	v_mul_f32_e32 v72, v74, v19
	ds_read2_b32 v[82:83], v67 offset0:46 offset1:47
	s_waitcnt lgkmcnt(3)
	v_pk_fma_f32 v[40:41], v[72:73], v[76:77], v[40:41] op_sel_hi:[0,1,1] neg_lo:[1,0,0] neg_hi:[1,0,0]
	s_waitcnt lgkmcnt(2)
	v_pk_fma_f32 v[30:31], v[72:73], v[78:79], v[30:31] op_sel_hi:[0,1,1] neg_lo:[1,0,0] neg_hi:[1,0,0]
	;; [unrolled: 2-line block ×3, first 2 shown]
	ds_read2_b32 v[76:77], v67 offset0:48 offset1:49
	ds_read2_b32 v[78:79], v67 offset0:50 offset1:51
	;; [unrolled: 1-line block ×3, first 2 shown]
	s_waitcnt lgkmcnt(3)
	v_pk_fma_f32 v[12:13], v[72:73], v[82:83], v[12:13] op_sel_hi:[0,1,1] neg_lo:[1,0,0] neg_hi:[1,0,0]
	ds_read2_b32 v[82:83], v67 offset0:54 offset1:55
	s_waitcnt lgkmcnt(3)
	v_pk_fma_f32 v[32:33], v[72:73], v[76:77], v[32:33] op_sel_hi:[0,1,1] neg_lo:[1,0,0] neg_hi:[1,0,0]
	s_waitcnt lgkmcnt(2)
	v_pk_fma_f32 v[22:23], v[72:73], v[78:79], v[22:23] op_sel_hi:[0,1,1] neg_lo:[1,0,0] neg_hi:[1,0,0]
	;; [unrolled: 2-line block ×3, first 2 shown]
	ds_read2_b32 v[76:77], v67 offset0:56 offset1:57
	ds_read2_b32 v[78:79], v67 offset0:58 offset1:59
	;; [unrolled: 1-line block ×4, first 2 shown]
	s_waitcnt lgkmcnt(4)
	v_pk_fma_f32 v[0:1], v[72:73], v[82:83], v[0:1] op_sel_hi:[0,1,1] neg_lo:[1,0,0] neg_hi:[1,0,0]
	s_waitcnt lgkmcnt(3)
	v_pk_fma_f32 v[28:29], v[72:73], v[76:77], v[28:29] op_sel_hi:[0,1,1] neg_lo:[1,0,0] neg_hi:[1,0,0]
	;; [unrolled: 2-line block ×5, first 2 shown]
	v_mov_b32_e32 v19, v72
.LBB126_675:
	s_or_b64 exec, exec, s[0:1]
	v_lshl_add_u32 v72, v75, 2, v67
	s_barrier
	ds_write_b32 v72, v40
	s_waitcnt lgkmcnt(0)
	s_barrier
	ds_read_b32 v74, v67 offset:160
	s_cmp_lt_i32 s22, 42
	v_mov_b32_e32 v72, 40
	s_cbranch_scc1 .LBB126_678
; %bb.676:
	v_add_u32_e32 v76, 0xa4, v67
	v_mov_b32_e32 v72, 40
	s_mov_b32 s0, 41
.LBB126_677:                            ; =>This Inner Loop Header: Depth=1
	ds_read_b32 v77, v76
	v_mov_b32_e32 v78, s0
	s_add_i32 s0, s0, 1
	v_add_u32_e32 v76, 4, v76
	s_cmp_lg_u32 s22, s0
	s_waitcnt lgkmcnt(0)
	v_cmp_lt_f32_e64 vcc, |v74|, |v77|
	s_nop 1
	v_cndmask_b32_e32 v74, v74, v77, vcc
	v_cndmask_b32_e32 v72, v72, v78, vcc
	s_cbranch_scc1 .LBB126_677
.LBB126_678:
	s_waitcnt lgkmcnt(0)
	v_cmp_eq_f32_e32 vcc, 0, v74
	s_and_saveexec_b64 s[0:1], vcc
	s_xor_b64 s[0:1], exec, s[0:1]
; %bb.679:
	v_cmp_ne_u32_e32 vcc, 0, v71
	s_nop 1
	v_cndmask_b32_e32 v71, 41, v71, vcc
; %bb.680:
	s_andn2_saveexec_b64 s[0:1], s[0:1]
	s_cbranch_execz .LBB126_682
; %bb.681:
	v_div_scale_f32 v76, s[2:3], v74, v74, 1.0
	v_rcp_f32_e32 v77, v76
	v_div_scale_f32 v78, vcc, 1.0, v74, 1.0
	v_fma_f32 v79, -v76, v77, 1.0
	v_fmac_f32_e32 v77, v79, v77
	v_mul_f32_e32 v79, v78, v77
	v_fma_f32 v80, -v76, v79, v78
	v_fmac_f32_e32 v79, v80, v77
	v_fma_f32 v76, -v76, v79, v78
	v_div_fmas_f32 v76, v76, v77, v79
	v_div_fixup_f32 v74, v76, v74, 1.0
.LBB126_682:
	s_or_b64 exec, exec, s[0:1]
	v_cmp_ne_u32_e32 vcc, v75, v72
	s_and_saveexec_b64 s[0:1], vcc
	s_xor_b64 s[0:1], exec, s[0:1]
	s_cbranch_execz .LBB126_688
; %bb.683:
	v_cmp_eq_u32_e32 vcc, 40, v75
	s_and_saveexec_b64 s[2:3], vcc
	s_cbranch_execz .LBB126_687
; %bb.684:
	v_cmp_ne_u32_e32 vcc, 40, v72
	s_xor_b64 s[12:13], s[20:21], -1
	s_and_b64 s[14:15], s[12:13], vcc
	s_and_saveexec_b64 s[12:13], s[14:15]
	s_cbranch_execz .LBB126_686
; %bb.685:
	v_ashrrev_i32_e32 v73, 31, v72
	v_lshl_add_u64 v[76:77], v[72:73], 2, v[4:5]
	global_load_dword v73, v[76:77], off
	global_load_dword v75, v[4:5], off offset:160
	s_waitcnt vmcnt(1)
	global_store_dword v[4:5], v73, off offset:160
	s_waitcnt vmcnt(1)
	global_store_dword v[76:77], v75, off
.LBB126_686:
	s_or_b64 exec, exec, s[12:13]
	v_mov_b32_e32 v73, v72
	v_mov_b32_e32 v75, v72
.LBB126_687:
	s_or_b64 exec, exec, s[2:3]
.LBB126_688:
	s_andn2_saveexec_b64 s[0:1], s[0:1]
	s_cbranch_execz .LBB126_690
; %bb.689:
	v_pk_mov_b32 v[76:77], v[40:41], v[30:31] op_sel:[1,0]
	ds_write2_b32 v67, v76, v77 offset0:41 offset1:42
	v_pk_mov_b32 v[76:77], v[30:31], v[20:21] op_sel:[1,0]
	ds_write2_b32 v67, v76, v77 offset0:43 offset1:44
	;; [unrolled: 2-line block ×10, first 2 shown]
	v_pk_mov_b32 v[76:77], v[10:11], v[8:9] op_sel:[1,0]
	v_mov_b32_e32 v75, 40
	ds_write2_b32 v67, v76, v77 offset0:61 offset1:62
	ds_write_b32 v67, v9 offset:252
.LBB126_690:
	s_or_b64 exec, exec, s[0:1]
	v_cmp_lt_i32_e32 vcc, 40, v75
	s_waitcnt lgkmcnt(0)
	s_barrier
	s_and_saveexec_b64 s[0:1], vcc
	s_cbranch_execz .LBB126_692
; %bb.691:
	ds_read_b32 v72, v67 offset:164
	ds_read2_b32 v[76:77], v67 offset0:42 offset1:43
	ds_read2_b32 v[78:79], v67 offset0:44 offset1:45
	v_mul_f32_e32 v40, v74, v40
	ds_read2_b32 v[80:81], v67 offset0:46 offset1:47
	s_waitcnt lgkmcnt(3)
	v_fma_f32 v41, -v40, v72, v41
	s_waitcnt lgkmcnt(2)
	v_pk_fma_f32 v[30:31], v[40:41], v[76:77], v[30:31] op_sel_hi:[0,1,1] neg_lo:[1,0,0] neg_hi:[1,0,0]
	s_waitcnt lgkmcnt(1)
	v_pk_fma_f32 v[20:21], v[40:41], v[78:79], v[20:21] op_sel_hi:[0,1,1] neg_lo:[1,0,0] neg_hi:[1,0,0]
	ds_read2_b32 v[76:77], v67 offset0:48 offset1:49
	ds_read2_b32 v[78:79], v67 offset0:50 offset1:51
	;; [unrolled: 1-line block ×3, first 2 shown]
	s_waitcnt lgkmcnt(3)
	v_pk_fma_f32 v[12:13], v[40:41], v[80:81], v[12:13] op_sel_hi:[0,1,1] neg_lo:[1,0,0] neg_hi:[1,0,0]
	ds_read2_b32 v[80:81], v67 offset0:54 offset1:55
	s_waitcnt lgkmcnt(3)
	v_pk_fma_f32 v[32:33], v[40:41], v[76:77], v[32:33] op_sel_hi:[0,1,1] neg_lo:[1,0,0] neg_hi:[1,0,0]
	s_waitcnt lgkmcnt(2)
	v_pk_fma_f32 v[22:23], v[40:41], v[78:79], v[22:23] op_sel_hi:[0,1,1] neg_lo:[1,0,0] neg_hi:[1,0,0]
	;; [unrolled: 2-line block ×3, first 2 shown]
	ds_read2_b32 v[76:77], v67 offset0:56 offset1:57
	ds_read2_b32 v[78:79], v67 offset0:58 offset1:59
	;; [unrolled: 1-line block ×4, first 2 shown]
	s_waitcnt lgkmcnt(4)
	v_pk_fma_f32 v[0:1], v[40:41], v[80:81], v[0:1] op_sel_hi:[0,1,1] neg_lo:[1,0,0] neg_hi:[1,0,0]
	s_waitcnt lgkmcnt(3)
	v_pk_fma_f32 v[28:29], v[40:41], v[76:77], v[28:29] op_sel_hi:[0,1,1] neg_lo:[1,0,0] neg_hi:[1,0,0]
	s_waitcnt lgkmcnt(2)
	v_pk_fma_f32 v[16:17], v[40:41], v[78:79], v[16:17] op_sel_hi:[0,1,1] neg_lo:[1,0,0] neg_hi:[1,0,0]
	s_waitcnt lgkmcnt(1)
	v_pk_fma_f32 v[10:11], v[40:41], v[82:83], v[10:11] op_sel_hi:[0,1,1] neg_lo:[1,0,0] neg_hi:[1,0,0]
	s_waitcnt lgkmcnt(0)
	v_pk_fma_f32 v[8:9], v[40:41], v[84:85], v[8:9] op_sel_hi:[0,1,1] neg_lo:[1,0,0] neg_hi:[1,0,0]
.LBB126_692:
	s_or_b64 exec, exec, s[0:1]
	v_lshl_add_u32 v72, v75, 2, v67
	s_barrier
	ds_write_b32 v72, v41
	s_waitcnt lgkmcnt(0)
	s_barrier
	ds_read_b32 v74, v67 offset:164
	s_cmp_lt_i32 s22, 43
	v_mov_b32_e32 v72, 41
	s_cbranch_scc1 .LBB126_695
; %bb.693:
	v_add_u32_e32 v76, 0xa8, v67
	v_mov_b32_e32 v72, 41
	s_mov_b32 s0, 42
.LBB126_694:                            ; =>This Inner Loop Header: Depth=1
	ds_read_b32 v77, v76
	v_mov_b32_e32 v78, s0
	s_add_i32 s0, s0, 1
	v_add_u32_e32 v76, 4, v76
	s_cmp_lg_u32 s22, s0
	s_waitcnt lgkmcnt(0)
	v_cmp_lt_f32_e64 vcc, |v74|, |v77|
	s_nop 1
	v_cndmask_b32_e32 v74, v74, v77, vcc
	v_cndmask_b32_e32 v72, v72, v78, vcc
	s_cbranch_scc1 .LBB126_694
.LBB126_695:
	s_waitcnt lgkmcnt(0)
	v_cmp_eq_f32_e32 vcc, 0, v74
	s_and_saveexec_b64 s[0:1], vcc
	s_xor_b64 s[0:1], exec, s[0:1]
; %bb.696:
	v_cmp_ne_u32_e32 vcc, 0, v71
	s_nop 1
	v_cndmask_b32_e32 v71, 42, v71, vcc
; %bb.697:
	s_andn2_saveexec_b64 s[0:1], s[0:1]
	s_cbranch_execz .LBB126_699
; %bb.698:
	v_div_scale_f32 v76, s[2:3], v74, v74, 1.0
	v_rcp_f32_e32 v77, v76
	v_div_scale_f32 v78, vcc, 1.0, v74, 1.0
	v_fma_f32 v79, -v76, v77, 1.0
	v_fmac_f32_e32 v77, v79, v77
	v_mul_f32_e32 v79, v78, v77
	v_fma_f32 v80, -v76, v79, v78
	v_fmac_f32_e32 v79, v80, v77
	v_fma_f32 v76, -v76, v79, v78
	v_div_fmas_f32 v76, v76, v77, v79
	v_div_fixup_f32 v74, v76, v74, 1.0
.LBB126_699:
	s_or_b64 exec, exec, s[0:1]
	v_cmp_ne_u32_e32 vcc, v75, v72
	s_and_saveexec_b64 s[0:1], vcc
	s_xor_b64 s[0:1], exec, s[0:1]
	s_cbranch_execz .LBB126_705
; %bb.700:
	v_cmp_eq_u32_e32 vcc, 41, v75
	s_and_saveexec_b64 s[2:3], vcc
	s_cbranch_execz .LBB126_704
; %bb.701:
	v_cmp_ne_u32_e32 vcc, 41, v72
	s_xor_b64 s[12:13], s[20:21], -1
	s_and_b64 s[14:15], s[12:13], vcc
	s_and_saveexec_b64 s[12:13], s[14:15]
	s_cbranch_execz .LBB126_703
; %bb.702:
	v_ashrrev_i32_e32 v73, 31, v72
	v_lshl_add_u64 v[76:77], v[72:73], 2, v[4:5]
	global_load_dword v73, v[76:77], off
	global_load_dword v75, v[4:5], off offset:164
	s_waitcnt vmcnt(1)
	global_store_dword v[4:5], v73, off offset:164
	s_waitcnt vmcnt(1)
	global_store_dword v[76:77], v75, off
.LBB126_703:
	s_or_b64 exec, exec, s[12:13]
	v_mov_b32_e32 v73, v72
	v_mov_b32_e32 v75, v72
.LBB126_704:
	s_or_b64 exec, exec, s[2:3]
.LBB126_705:
	s_andn2_saveexec_b64 s[0:1], s[0:1]
	s_cbranch_execz .LBB126_707
; %bb.706:
	v_mov_b32_e32 v75, 41
	ds_write2_b32 v67, v30, v31 offset0:42 offset1:43
	ds_write2_b32 v67, v20, v21 offset0:44 offset1:45
	;; [unrolled: 1-line block ×11, first 2 shown]
.LBB126_707:
	s_or_b64 exec, exec, s[0:1]
	v_cmp_lt_i32_e32 vcc, 41, v75
	s_waitcnt lgkmcnt(0)
	s_barrier
	s_and_saveexec_b64 s[0:1], vcc
	s_cbranch_execz .LBB126_709
; %bb.708:
	ds_read2_b32 v[76:77], v67 offset0:42 offset1:43
	ds_read2_b32 v[78:79], v67 offset0:44 offset1:45
	ds_read2_b32 v[80:81], v67 offset0:46 offset1:47
	v_mul_f32_e32 v72, v74, v41
	ds_read2_b32 v[82:83], v67 offset0:48 offset1:49
	s_waitcnt lgkmcnt(3)
	v_pk_fma_f32 v[30:31], v[72:73], v[76:77], v[30:31] op_sel_hi:[0,1,1] neg_lo:[1,0,0] neg_hi:[1,0,0]
	s_waitcnt lgkmcnt(2)
	v_pk_fma_f32 v[20:21], v[72:73], v[78:79], v[20:21] op_sel_hi:[0,1,1] neg_lo:[1,0,0] neg_hi:[1,0,0]
	ds_read2_b32 v[76:77], v67 offset0:50 offset1:51
	ds_read2_b32 v[78:79], v67 offset0:52 offset1:53
	s_waitcnt lgkmcnt(3)
	v_pk_fma_f32 v[12:13], v[72:73], v[80:81], v[12:13] op_sel_hi:[0,1,1] neg_lo:[1,0,0] neg_hi:[1,0,0]
	s_waitcnt lgkmcnt(2)
	v_pk_fma_f32 v[32:33], v[72:73], v[82:83], v[32:33] op_sel_hi:[0,1,1] neg_lo:[1,0,0] neg_hi:[1,0,0]
	ds_read2_b32 v[80:81], v67 offset0:54 offset1:55
	;; [unrolled: 6-line block ×3, first 2 shown]
	ds_read2_b32 v[78:79], v67 offset0:60 offset1:61
	ds_read2_b32 v[84:85], v67 offset0:62 offset1:63
	s_waitcnt lgkmcnt(4)
	v_pk_fma_f32 v[0:1], v[72:73], v[80:81], v[0:1] op_sel_hi:[0,1,1] neg_lo:[1,0,0] neg_hi:[1,0,0]
	s_waitcnt lgkmcnt(3)
	v_pk_fma_f32 v[28:29], v[72:73], v[82:83], v[28:29] op_sel_hi:[0,1,1] neg_lo:[1,0,0] neg_hi:[1,0,0]
	;; [unrolled: 2-line block ×5, first 2 shown]
	v_mov_b32_e32 v41, v72
.LBB126_709:
	s_or_b64 exec, exec, s[0:1]
	v_lshl_add_u32 v72, v75, 2, v67
	s_barrier
	ds_write_b32 v72, v30
	s_waitcnt lgkmcnt(0)
	s_barrier
	ds_read_b32 v74, v67 offset:168
	s_cmp_lt_i32 s22, 44
	v_mov_b32_e32 v72, 42
	s_cbranch_scc1 .LBB126_712
; %bb.710:
	v_add_u32_e32 v76, 0xac, v67
	v_mov_b32_e32 v72, 42
	s_mov_b32 s0, 43
.LBB126_711:                            ; =>This Inner Loop Header: Depth=1
	ds_read_b32 v77, v76
	v_mov_b32_e32 v78, s0
	s_add_i32 s0, s0, 1
	v_add_u32_e32 v76, 4, v76
	s_cmp_lg_u32 s22, s0
	s_waitcnt lgkmcnt(0)
	v_cmp_lt_f32_e64 vcc, |v74|, |v77|
	s_nop 1
	v_cndmask_b32_e32 v74, v74, v77, vcc
	v_cndmask_b32_e32 v72, v72, v78, vcc
	s_cbranch_scc1 .LBB126_711
.LBB126_712:
	s_waitcnt lgkmcnt(0)
	v_cmp_eq_f32_e32 vcc, 0, v74
	s_and_saveexec_b64 s[0:1], vcc
	s_xor_b64 s[0:1], exec, s[0:1]
; %bb.713:
	v_cmp_ne_u32_e32 vcc, 0, v71
	s_nop 1
	v_cndmask_b32_e32 v71, 43, v71, vcc
; %bb.714:
	s_andn2_saveexec_b64 s[0:1], s[0:1]
	s_cbranch_execz .LBB126_716
; %bb.715:
	v_div_scale_f32 v76, s[2:3], v74, v74, 1.0
	v_rcp_f32_e32 v77, v76
	v_div_scale_f32 v78, vcc, 1.0, v74, 1.0
	v_fma_f32 v79, -v76, v77, 1.0
	v_fmac_f32_e32 v77, v79, v77
	v_mul_f32_e32 v79, v78, v77
	v_fma_f32 v80, -v76, v79, v78
	v_fmac_f32_e32 v79, v80, v77
	v_fma_f32 v76, -v76, v79, v78
	v_div_fmas_f32 v76, v76, v77, v79
	v_div_fixup_f32 v74, v76, v74, 1.0
.LBB126_716:
	s_or_b64 exec, exec, s[0:1]
	v_cmp_ne_u32_e32 vcc, v75, v72
	s_and_saveexec_b64 s[0:1], vcc
	s_xor_b64 s[0:1], exec, s[0:1]
	s_cbranch_execz .LBB126_722
; %bb.717:
	v_cmp_eq_u32_e32 vcc, 42, v75
	s_and_saveexec_b64 s[2:3], vcc
	s_cbranch_execz .LBB126_721
; %bb.718:
	v_cmp_ne_u32_e32 vcc, 42, v72
	s_xor_b64 s[12:13], s[20:21], -1
	s_and_b64 s[14:15], s[12:13], vcc
	s_and_saveexec_b64 s[12:13], s[14:15]
	s_cbranch_execz .LBB126_720
; %bb.719:
	v_ashrrev_i32_e32 v73, 31, v72
	v_lshl_add_u64 v[76:77], v[72:73], 2, v[4:5]
	global_load_dword v73, v[76:77], off
	global_load_dword v75, v[4:5], off offset:168
	s_waitcnt vmcnt(1)
	global_store_dword v[4:5], v73, off offset:168
	s_waitcnt vmcnt(1)
	global_store_dword v[76:77], v75, off
.LBB126_720:
	s_or_b64 exec, exec, s[12:13]
	v_mov_b32_e32 v73, v72
	v_mov_b32_e32 v75, v72
.LBB126_721:
	s_or_b64 exec, exec, s[2:3]
.LBB126_722:
	s_andn2_saveexec_b64 s[0:1], s[0:1]
	s_cbranch_execz .LBB126_724
; %bb.723:
	v_pk_mov_b32 v[76:77], v[30:31], v[20:21] op_sel:[1,0]
	ds_write2_b32 v67, v76, v77 offset0:43 offset1:44
	v_pk_mov_b32 v[76:77], v[20:21], v[12:13] op_sel:[1,0]
	ds_write2_b32 v67, v76, v77 offset0:45 offset1:46
	;; [unrolled: 2-line block ×9, first 2 shown]
	v_pk_mov_b32 v[76:77], v[10:11], v[8:9] op_sel:[1,0]
	v_mov_b32_e32 v75, 42
	ds_write2_b32 v67, v76, v77 offset0:61 offset1:62
	ds_write_b32 v67, v9 offset:252
.LBB126_724:
	s_or_b64 exec, exec, s[0:1]
	v_cmp_lt_i32_e32 vcc, 42, v75
	s_waitcnt lgkmcnt(0)
	s_barrier
	s_and_saveexec_b64 s[0:1], vcc
	s_cbranch_execz .LBB126_726
; %bb.725:
	ds_read_b32 v72, v67 offset:172
	ds_read2_b32 v[76:77], v67 offset0:44 offset1:45
	ds_read2_b32 v[78:79], v67 offset0:46 offset1:47
	v_mul_f32_e32 v30, v74, v30
	ds_read2_b32 v[80:81], v67 offset0:48 offset1:49
	s_waitcnt lgkmcnt(3)
	v_fma_f32 v31, -v30, v72, v31
	s_waitcnt lgkmcnt(2)
	v_pk_fma_f32 v[20:21], v[30:31], v[76:77], v[20:21] op_sel_hi:[0,1,1] neg_lo:[1,0,0] neg_hi:[1,0,0]
	s_waitcnt lgkmcnt(1)
	v_pk_fma_f32 v[12:13], v[30:31], v[78:79], v[12:13] op_sel_hi:[0,1,1] neg_lo:[1,0,0] neg_hi:[1,0,0]
	ds_read2_b32 v[76:77], v67 offset0:50 offset1:51
	ds_read2_b32 v[78:79], v67 offset0:52 offset1:53
	s_waitcnt lgkmcnt(2)
	v_pk_fma_f32 v[32:33], v[30:31], v[80:81], v[32:33] op_sel_hi:[0,1,1] neg_lo:[1,0,0] neg_hi:[1,0,0]
	ds_read2_b32 v[80:81], v67 offset0:54 offset1:55
	ds_read2_b32 v[82:83], v67 offset0:56 offset1:57
	s_waitcnt lgkmcnt(3)
	v_pk_fma_f32 v[22:23], v[30:31], v[76:77], v[22:23] op_sel_hi:[0,1,1] neg_lo:[1,0,0] neg_hi:[1,0,0]
	s_waitcnt lgkmcnt(2)
	v_pk_fma_f32 v[14:15], v[30:31], v[78:79], v[14:15] op_sel_hi:[0,1,1] neg_lo:[1,0,0] neg_hi:[1,0,0]
	ds_read2_b32 v[76:77], v67 offset0:58 offset1:59
	ds_read2_b32 v[78:79], v67 offset0:60 offset1:61
	;; [unrolled: 1-line block ×3, first 2 shown]
	s_waitcnt lgkmcnt(4)
	v_pk_fma_f32 v[0:1], v[30:31], v[80:81], v[0:1] op_sel_hi:[0,1,1] neg_lo:[1,0,0] neg_hi:[1,0,0]
	s_waitcnt lgkmcnt(3)
	v_pk_fma_f32 v[28:29], v[30:31], v[82:83], v[28:29] op_sel_hi:[0,1,1] neg_lo:[1,0,0] neg_hi:[1,0,0]
	;; [unrolled: 2-line block ×5, first 2 shown]
.LBB126_726:
	s_or_b64 exec, exec, s[0:1]
	v_lshl_add_u32 v72, v75, 2, v67
	s_barrier
	ds_write_b32 v72, v31
	s_waitcnt lgkmcnt(0)
	s_barrier
	ds_read_b32 v74, v67 offset:172
	s_cmp_lt_i32 s22, 45
	v_mov_b32_e32 v72, 43
	s_cbranch_scc1 .LBB126_729
; %bb.727:
	v_add_u32_e32 v76, 0xb0, v67
	v_mov_b32_e32 v72, 43
	s_mov_b32 s0, 44
.LBB126_728:                            ; =>This Inner Loop Header: Depth=1
	ds_read_b32 v77, v76
	v_mov_b32_e32 v78, s0
	s_add_i32 s0, s0, 1
	v_add_u32_e32 v76, 4, v76
	s_cmp_lg_u32 s22, s0
	s_waitcnt lgkmcnt(0)
	v_cmp_lt_f32_e64 vcc, |v74|, |v77|
	s_nop 1
	v_cndmask_b32_e32 v74, v74, v77, vcc
	v_cndmask_b32_e32 v72, v72, v78, vcc
	s_cbranch_scc1 .LBB126_728
.LBB126_729:
	s_waitcnt lgkmcnt(0)
	v_cmp_eq_f32_e32 vcc, 0, v74
	s_and_saveexec_b64 s[0:1], vcc
	s_xor_b64 s[0:1], exec, s[0:1]
; %bb.730:
	v_cmp_ne_u32_e32 vcc, 0, v71
	s_nop 1
	v_cndmask_b32_e32 v71, 44, v71, vcc
; %bb.731:
	s_andn2_saveexec_b64 s[0:1], s[0:1]
	s_cbranch_execz .LBB126_733
; %bb.732:
	v_div_scale_f32 v76, s[2:3], v74, v74, 1.0
	v_rcp_f32_e32 v77, v76
	v_div_scale_f32 v78, vcc, 1.0, v74, 1.0
	v_fma_f32 v79, -v76, v77, 1.0
	v_fmac_f32_e32 v77, v79, v77
	v_mul_f32_e32 v79, v78, v77
	v_fma_f32 v80, -v76, v79, v78
	v_fmac_f32_e32 v79, v80, v77
	v_fma_f32 v76, -v76, v79, v78
	v_div_fmas_f32 v76, v76, v77, v79
	v_div_fixup_f32 v74, v76, v74, 1.0
.LBB126_733:
	s_or_b64 exec, exec, s[0:1]
	v_cmp_ne_u32_e32 vcc, v75, v72
	s_and_saveexec_b64 s[0:1], vcc
	s_xor_b64 s[0:1], exec, s[0:1]
	s_cbranch_execz .LBB126_739
; %bb.734:
	v_cmp_eq_u32_e32 vcc, 43, v75
	s_and_saveexec_b64 s[2:3], vcc
	s_cbranch_execz .LBB126_738
; %bb.735:
	v_cmp_ne_u32_e32 vcc, 43, v72
	s_xor_b64 s[12:13], s[20:21], -1
	s_and_b64 s[14:15], s[12:13], vcc
	s_and_saveexec_b64 s[12:13], s[14:15]
	s_cbranch_execz .LBB126_737
; %bb.736:
	v_ashrrev_i32_e32 v73, 31, v72
	v_lshl_add_u64 v[76:77], v[72:73], 2, v[4:5]
	global_load_dword v73, v[76:77], off
	global_load_dword v75, v[4:5], off offset:172
	s_waitcnt vmcnt(1)
	global_store_dword v[4:5], v73, off offset:172
	s_waitcnt vmcnt(1)
	global_store_dword v[76:77], v75, off
.LBB126_737:
	s_or_b64 exec, exec, s[12:13]
	v_mov_b32_e32 v73, v72
	v_mov_b32_e32 v75, v72
.LBB126_738:
	s_or_b64 exec, exec, s[2:3]
.LBB126_739:
	s_andn2_saveexec_b64 s[0:1], s[0:1]
	s_cbranch_execz .LBB126_741
; %bb.740:
	v_mov_b32_e32 v75, 43
	ds_write2_b32 v67, v20, v21 offset0:44 offset1:45
	ds_write2_b32 v67, v12, v13 offset0:46 offset1:47
	;; [unrolled: 1-line block ×10, first 2 shown]
.LBB126_741:
	s_or_b64 exec, exec, s[0:1]
	v_cmp_lt_i32_e32 vcc, 43, v75
	s_waitcnt lgkmcnt(0)
	s_barrier
	s_and_saveexec_b64 s[0:1], vcc
	s_cbranch_execz .LBB126_743
; %bb.742:
	ds_read2_b32 v[76:77], v67 offset0:44 offset1:45
	ds_read2_b32 v[78:79], v67 offset0:46 offset1:47
	;; [unrolled: 1-line block ×3, first 2 shown]
	v_mul_f32_e32 v72, v74, v31
	ds_read2_b32 v[82:83], v67 offset0:50 offset1:51
	s_waitcnt lgkmcnt(3)
	v_pk_fma_f32 v[20:21], v[72:73], v[76:77], v[20:21] op_sel_hi:[0,1,1] neg_lo:[1,0,0] neg_hi:[1,0,0]
	ds_read2_b32 v[76:77], v67 offset0:52 offset1:53
	s_waitcnt lgkmcnt(3)
	v_pk_fma_f32 v[12:13], v[72:73], v[78:79], v[12:13] op_sel_hi:[0,1,1] neg_lo:[1,0,0] neg_hi:[1,0,0]
	s_waitcnt lgkmcnt(2)
	v_pk_fma_f32 v[32:33], v[72:73], v[80:81], v[32:33] op_sel_hi:[0,1,1] neg_lo:[1,0,0] neg_hi:[1,0,0]
	;; [unrolled: 2-line block ×3, first 2 shown]
	ds_read2_b32 v[78:79], v67 offset0:54 offset1:55
	ds_read2_b32 v[80:81], v67 offset0:56 offset1:57
	;; [unrolled: 1-line block ×3, first 2 shown]
	s_waitcnt lgkmcnt(3)
	v_pk_fma_f32 v[14:15], v[72:73], v[76:77], v[14:15] op_sel_hi:[0,1,1] neg_lo:[1,0,0] neg_hi:[1,0,0]
	ds_read2_b32 v[76:77], v67 offset0:60 offset1:61
	ds_read2_b32 v[84:85], v67 offset0:62 offset1:63
	s_waitcnt lgkmcnt(4)
	v_pk_fma_f32 v[0:1], v[72:73], v[78:79], v[0:1] op_sel_hi:[0,1,1] neg_lo:[1,0,0] neg_hi:[1,0,0]
	s_waitcnt lgkmcnt(3)
	v_pk_fma_f32 v[28:29], v[72:73], v[80:81], v[28:29] op_sel_hi:[0,1,1] neg_lo:[1,0,0] neg_hi:[1,0,0]
	;; [unrolled: 2-line block ×5, first 2 shown]
	v_mov_b32_e32 v31, v72
.LBB126_743:
	s_or_b64 exec, exec, s[0:1]
	v_lshl_add_u32 v72, v75, 2, v67
	s_barrier
	ds_write_b32 v72, v20
	s_waitcnt lgkmcnt(0)
	s_barrier
	ds_read_b32 v74, v67 offset:176
	s_cmp_lt_i32 s22, 46
	v_mov_b32_e32 v72, 44
	s_cbranch_scc1 .LBB126_746
; %bb.744:
	v_add_u32_e32 v76, 0xb4, v67
	v_mov_b32_e32 v72, 44
	s_mov_b32 s0, 45
.LBB126_745:                            ; =>This Inner Loop Header: Depth=1
	ds_read_b32 v77, v76
	v_mov_b32_e32 v78, s0
	s_add_i32 s0, s0, 1
	v_add_u32_e32 v76, 4, v76
	s_cmp_lg_u32 s22, s0
	s_waitcnt lgkmcnt(0)
	v_cmp_lt_f32_e64 vcc, |v74|, |v77|
	s_nop 1
	v_cndmask_b32_e32 v74, v74, v77, vcc
	v_cndmask_b32_e32 v72, v72, v78, vcc
	s_cbranch_scc1 .LBB126_745
.LBB126_746:
	s_waitcnt lgkmcnt(0)
	v_cmp_eq_f32_e32 vcc, 0, v74
	s_and_saveexec_b64 s[0:1], vcc
	s_xor_b64 s[0:1], exec, s[0:1]
; %bb.747:
	v_cmp_ne_u32_e32 vcc, 0, v71
	s_nop 1
	v_cndmask_b32_e32 v71, 45, v71, vcc
; %bb.748:
	s_andn2_saveexec_b64 s[0:1], s[0:1]
	s_cbranch_execz .LBB126_750
; %bb.749:
	v_div_scale_f32 v76, s[2:3], v74, v74, 1.0
	v_rcp_f32_e32 v77, v76
	v_div_scale_f32 v78, vcc, 1.0, v74, 1.0
	v_fma_f32 v79, -v76, v77, 1.0
	v_fmac_f32_e32 v77, v79, v77
	v_mul_f32_e32 v79, v78, v77
	v_fma_f32 v80, -v76, v79, v78
	v_fmac_f32_e32 v79, v80, v77
	v_fma_f32 v76, -v76, v79, v78
	v_div_fmas_f32 v76, v76, v77, v79
	v_div_fixup_f32 v74, v76, v74, 1.0
.LBB126_750:
	s_or_b64 exec, exec, s[0:1]
	v_cmp_ne_u32_e32 vcc, v75, v72
	s_and_saveexec_b64 s[0:1], vcc
	s_xor_b64 s[0:1], exec, s[0:1]
	s_cbranch_execz .LBB126_756
; %bb.751:
	v_cmp_eq_u32_e32 vcc, 44, v75
	s_and_saveexec_b64 s[2:3], vcc
	s_cbranch_execz .LBB126_755
; %bb.752:
	v_cmp_ne_u32_e32 vcc, 44, v72
	s_xor_b64 s[12:13], s[20:21], -1
	s_and_b64 s[14:15], s[12:13], vcc
	s_and_saveexec_b64 s[12:13], s[14:15]
	s_cbranch_execz .LBB126_754
; %bb.753:
	v_ashrrev_i32_e32 v73, 31, v72
	v_lshl_add_u64 v[76:77], v[72:73], 2, v[4:5]
	global_load_dword v73, v[76:77], off
	global_load_dword v75, v[4:5], off offset:176
	s_waitcnt vmcnt(1)
	global_store_dword v[4:5], v73, off offset:176
	s_waitcnt vmcnt(1)
	global_store_dword v[76:77], v75, off
.LBB126_754:
	s_or_b64 exec, exec, s[12:13]
	v_mov_b32_e32 v73, v72
	v_mov_b32_e32 v75, v72
.LBB126_755:
	s_or_b64 exec, exec, s[2:3]
.LBB126_756:
	s_andn2_saveexec_b64 s[0:1], s[0:1]
	s_cbranch_execz .LBB126_758
; %bb.757:
	v_pk_mov_b32 v[76:77], v[20:21], v[12:13] op_sel:[1,0]
	ds_write2_b32 v67, v76, v77 offset0:45 offset1:46
	v_pk_mov_b32 v[76:77], v[12:13], v[32:33] op_sel:[1,0]
	ds_write2_b32 v67, v76, v77 offset0:47 offset1:48
	;; [unrolled: 2-line block ×8, first 2 shown]
	v_pk_mov_b32 v[76:77], v[10:11], v[8:9] op_sel:[1,0]
	v_mov_b32_e32 v75, 44
	ds_write2_b32 v67, v76, v77 offset0:61 offset1:62
	ds_write_b32 v67, v9 offset:252
.LBB126_758:
	s_or_b64 exec, exec, s[0:1]
	v_cmp_lt_i32_e32 vcc, 44, v75
	s_waitcnt lgkmcnt(0)
	s_barrier
	s_and_saveexec_b64 s[0:1], vcc
	s_cbranch_execz .LBB126_760
; %bb.759:
	ds_read_b32 v72, v67 offset:180
	ds_read2_b32 v[76:77], v67 offset0:46 offset1:47
	ds_read2_b32 v[78:79], v67 offset0:48 offset1:49
	v_mul_f32_e32 v20, v74, v20
	ds_read2_b32 v[80:81], v67 offset0:50 offset1:51
	s_waitcnt lgkmcnt(3)
	v_fma_f32 v21, -v20, v72, v21
	s_waitcnt lgkmcnt(2)
	v_pk_fma_f32 v[12:13], v[20:21], v[76:77], v[12:13] op_sel_hi:[0,1,1] neg_lo:[1,0,0] neg_hi:[1,0,0]
	ds_read2_b32 v[76:77], v67 offset0:52 offset1:53
	s_waitcnt lgkmcnt(2)
	v_pk_fma_f32 v[32:33], v[20:21], v[78:79], v[32:33] op_sel_hi:[0,1,1] neg_lo:[1,0,0] neg_hi:[1,0,0]
	s_waitcnt lgkmcnt(1)
	v_pk_fma_f32 v[22:23], v[20:21], v[80:81], v[22:23] op_sel_hi:[0,1,1] neg_lo:[1,0,0] neg_hi:[1,0,0]
	ds_read2_b32 v[78:79], v67 offset0:54 offset1:55
	ds_read2_b32 v[80:81], v67 offset0:56 offset1:57
	;; [unrolled: 1-line block ×3, first 2 shown]
	s_waitcnt lgkmcnt(3)
	v_pk_fma_f32 v[14:15], v[20:21], v[76:77], v[14:15] op_sel_hi:[0,1,1] neg_lo:[1,0,0] neg_hi:[1,0,0]
	ds_read2_b32 v[76:77], v67 offset0:60 offset1:61
	ds_read2_b32 v[84:85], v67 offset0:62 offset1:63
	s_waitcnt lgkmcnt(4)
	v_pk_fma_f32 v[0:1], v[20:21], v[78:79], v[0:1] op_sel_hi:[0,1,1] neg_lo:[1,0,0] neg_hi:[1,0,0]
	s_waitcnt lgkmcnt(3)
	v_pk_fma_f32 v[28:29], v[20:21], v[80:81], v[28:29] op_sel_hi:[0,1,1] neg_lo:[1,0,0] neg_hi:[1,0,0]
	;; [unrolled: 2-line block ×5, first 2 shown]
.LBB126_760:
	s_or_b64 exec, exec, s[0:1]
	v_lshl_add_u32 v72, v75, 2, v67
	s_barrier
	ds_write_b32 v72, v21
	s_waitcnt lgkmcnt(0)
	s_barrier
	ds_read_b32 v74, v67 offset:180
	s_cmp_lt_i32 s22, 47
	v_mov_b32_e32 v72, 45
	s_cbranch_scc1 .LBB126_763
; %bb.761:
	v_add_u32_e32 v76, 0xb8, v67
	v_mov_b32_e32 v72, 45
	s_mov_b32 s0, 46
.LBB126_762:                            ; =>This Inner Loop Header: Depth=1
	ds_read_b32 v77, v76
	v_mov_b32_e32 v78, s0
	s_add_i32 s0, s0, 1
	v_add_u32_e32 v76, 4, v76
	s_cmp_lg_u32 s22, s0
	s_waitcnt lgkmcnt(0)
	v_cmp_lt_f32_e64 vcc, |v74|, |v77|
	s_nop 1
	v_cndmask_b32_e32 v74, v74, v77, vcc
	v_cndmask_b32_e32 v72, v72, v78, vcc
	s_cbranch_scc1 .LBB126_762
.LBB126_763:
	s_waitcnt lgkmcnt(0)
	v_cmp_eq_f32_e32 vcc, 0, v74
	s_and_saveexec_b64 s[0:1], vcc
	s_xor_b64 s[0:1], exec, s[0:1]
; %bb.764:
	v_cmp_ne_u32_e32 vcc, 0, v71
	s_nop 1
	v_cndmask_b32_e32 v71, 46, v71, vcc
; %bb.765:
	s_andn2_saveexec_b64 s[0:1], s[0:1]
	s_cbranch_execz .LBB126_767
; %bb.766:
	v_div_scale_f32 v76, s[2:3], v74, v74, 1.0
	v_rcp_f32_e32 v77, v76
	v_div_scale_f32 v78, vcc, 1.0, v74, 1.0
	v_fma_f32 v79, -v76, v77, 1.0
	v_fmac_f32_e32 v77, v79, v77
	v_mul_f32_e32 v79, v78, v77
	v_fma_f32 v80, -v76, v79, v78
	v_fmac_f32_e32 v79, v80, v77
	v_fma_f32 v76, -v76, v79, v78
	v_div_fmas_f32 v76, v76, v77, v79
	v_div_fixup_f32 v74, v76, v74, 1.0
.LBB126_767:
	s_or_b64 exec, exec, s[0:1]
	v_cmp_ne_u32_e32 vcc, v75, v72
	s_and_saveexec_b64 s[0:1], vcc
	s_xor_b64 s[0:1], exec, s[0:1]
	s_cbranch_execz .LBB126_773
; %bb.768:
	v_cmp_eq_u32_e32 vcc, 45, v75
	s_and_saveexec_b64 s[2:3], vcc
	s_cbranch_execz .LBB126_772
; %bb.769:
	v_cmp_ne_u32_e32 vcc, 45, v72
	s_xor_b64 s[12:13], s[20:21], -1
	s_and_b64 s[14:15], s[12:13], vcc
	s_and_saveexec_b64 s[12:13], s[14:15]
	s_cbranch_execz .LBB126_771
; %bb.770:
	v_ashrrev_i32_e32 v73, 31, v72
	v_lshl_add_u64 v[76:77], v[72:73], 2, v[4:5]
	global_load_dword v73, v[76:77], off
	global_load_dword v75, v[4:5], off offset:180
	s_waitcnt vmcnt(1)
	global_store_dword v[4:5], v73, off offset:180
	s_waitcnt vmcnt(1)
	global_store_dword v[76:77], v75, off
.LBB126_771:
	s_or_b64 exec, exec, s[12:13]
	v_mov_b32_e32 v73, v72
	v_mov_b32_e32 v75, v72
.LBB126_772:
	s_or_b64 exec, exec, s[2:3]
.LBB126_773:
	s_andn2_saveexec_b64 s[0:1], s[0:1]
	s_cbranch_execz .LBB126_775
; %bb.774:
	v_mov_b32_e32 v75, 45
	ds_write2_b32 v67, v12, v13 offset0:46 offset1:47
	ds_write2_b32 v67, v32, v33 offset0:48 offset1:49
	;; [unrolled: 1-line block ×9, first 2 shown]
.LBB126_775:
	s_or_b64 exec, exec, s[0:1]
	v_cmp_lt_i32_e32 vcc, 45, v75
	s_waitcnt lgkmcnt(0)
	s_barrier
	s_and_saveexec_b64 s[0:1], vcc
	s_cbranch_execz .LBB126_777
; %bb.776:
	ds_read2_b32 v[76:77], v67 offset0:46 offset1:47
	ds_read2_b32 v[78:79], v67 offset0:48 offset1:49
	;; [unrolled: 1-line block ×4, first 2 shown]
	v_mul_f32_e32 v72, v74, v21
	s_waitcnt lgkmcnt(3)
	v_pk_fma_f32 v[12:13], v[72:73], v[76:77], v[12:13] op_sel_hi:[0,1,1] neg_lo:[1,0,0] neg_hi:[1,0,0]
	s_waitcnt lgkmcnt(2)
	v_pk_fma_f32 v[32:33], v[72:73], v[78:79], v[32:33] op_sel_hi:[0,1,1] neg_lo:[1,0,0] neg_hi:[1,0,0]
	;; [unrolled: 2-line block ×4, first 2 shown]
	ds_read2_b32 v[76:77], v67 offset0:54 offset1:55
	ds_read2_b32 v[78:79], v67 offset0:56 offset1:57
	;; [unrolled: 1-line block ×5, first 2 shown]
	s_waitcnt lgkmcnt(4)
	v_pk_fma_f32 v[0:1], v[72:73], v[76:77], v[0:1] op_sel_hi:[0,1,1] neg_lo:[1,0,0] neg_hi:[1,0,0]
	s_waitcnt lgkmcnt(3)
	v_pk_fma_f32 v[28:29], v[72:73], v[78:79], v[28:29] op_sel_hi:[0,1,1] neg_lo:[1,0,0] neg_hi:[1,0,0]
	;; [unrolled: 2-line block ×5, first 2 shown]
	v_mov_b32_e32 v21, v72
.LBB126_777:
	s_or_b64 exec, exec, s[0:1]
	v_lshl_add_u32 v72, v75, 2, v67
	s_barrier
	ds_write_b32 v72, v12
	s_waitcnt lgkmcnt(0)
	s_barrier
	ds_read_b32 v74, v67 offset:184
	s_cmp_lt_i32 s22, 48
	v_mov_b32_e32 v72, 46
	s_cbranch_scc1 .LBB126_780
; %bb.778:
	v_add_u32_e32 v76, 0xbc, v67
	v_mov_b32_e32 v72, 46
	s_mov_b32 s0, 47
.LBB126_779:                            ; =>This Inner Loop Header: Depth=1
	ds_read_b32 v77, v76
	v_mov_b32_e32 v78, s0
	s_add_i32 s0, s0, 1
	v_add_u32_e32 v76, 4, v76
	s_cmp_lg_u32 s22, s0
	s_waitcnt lgkmcnt(0)
	v_cmp_lt_f32_e64 vcc, |v74|, |v77|
	s_nop 1
	v_cndmask_b32_e32 v74, v74, v77, vcc
	v_cndmask_b32_e32 v72, v72, v78, vcc
	s_cbranch_scc1 .LBB126_779
.LBB126_780:
	s_waitcnt lgkmcnt(0)
	v_cmp_eq_f32_e32 vcc, 0, v74
	s_and_saveexec_b64 s[0:1], vcc
	s_xor_b64 s[0:1], exec, s[0:1]
; %bb.781:
	v_cmp_ne_u32_e32 vcc, 0, v71
	s_nop 1
	v_cndmask_b32_e32 v71, 47, v71, vcc
; %bb.782:
	s_andn2_saveexec_b64 s[0:1], s[0:1]
	s_cbranch_execz .LBB126_784
; %bb.783:
	v_div_scale_f32 v76, s[2:3], v74, v74, 1.0
	v_rcp_f32_e32 v77, v76
	v_div_scale_f32 v78, vcc, 1.0, v74, 1.0
	v_fma_f32 v79, -v76, v77, 1.0
	v_fmac_f32_e32 v77, v79, v77
	v_mul_f32_e32 v79, v78, v77
	v_fma_f32 v80, -v76, v79, v78
	v_fmac_f32_e32 v79, v80, v77
	v_fma_f32 v76, -v76, v79, v78
	v_div_fmas_f32 v76, v76, v77, v79
	v_div_fixup_f32 v74, v76, v74, 1.0
.LBB126_784:
	s_or_b64 exec, exec, s[0:1]
	v_cmp_ne_u32_e32 vcc, v75, v72
	s_and_saveexec_b64 s[0:1], vcc
	s_xor_b64 s[0:1], exec, s[0:1]
	s_cbranch_execz .LBB126_790
; %bb.785:
	v_cmp_eq_u32_e32 vcc, 46, v75
	s_and_saveexec_b64 s[2:3], vcc
	s_cbranch_execz .LBB126_789
; %bb.786:
	v_cmp_ne_u32_e32 vcc, 46, v72
	s_xor_b64 s[12:13], s[20:21], -1
	s_and_b64 s[14:15], s[12:13], vcc
	s_and_saveexec_b64 s[12:13], s[14:15]
	s_cbranch_execz .LBB126_788
; %bb.787:
	v_ashrrev_i32_e32 v73, 31, v72
	v_lshl_add_u64 v[76:77], v[72:73], 2, v[4:5]
	global_load_dword v73, v[76:77], off
	global_load_dword v75, v[4:5], off offset:184
	s_waitcnt vmcnt(1)
	global_store_dword v[4:5], v73, off offset:184
	s_waitcnt vmcnt(1)
	global_store_dword v[76:77], v75, off
.LBB126_788:
	s_or_b64 exec, exec, s[12:13]
	v_mov_b32_e32 v73, v72
	v_mov_b32_e32 v75, v72
.LBB126_789:
	s_or_b64 exec, exec, s[2:3]
.LBB126_790:
	s_andn2_saveexec_b64 s[0:1], s[0:1]
	s_cbranch_execz .LBB126_792
; %bb.791:
	v_pk_mov_b32 v[76:77], v[12:13], v[32:33] op_sel:[1,0]
	ds_write2_b32 v67, v76, v77 offset0:47 offset1:48
	v_pk_mov_b32 v[76:77], v[32:33], v[22:23] op_sel:[1,0]
	ds_write2_b32 v67, v76, v77 offset0:49 offset1:50
	;; [unrolled: 2-line block ×7, first 2 shown]
	v_pk_mov_b32 v[76:77], v[10:11], v[8:9] op_sel:[1,0]
	v_mov_b32_e32 v75, 46
	ds_write2_b32 v67, v76, v77 offset0:61 offset1:62
	ds_write_b32 v67, v9 offset:252
.LBB126_792:
	s_or_b64 exec, exec, s[0:1]
	v_cmp_lt_i32_e32 vcc, 46, v75
	s_waitcnt lgkmcnt(0)
	s_barrier
	s_and_saveexec_b64 s[0:1], vcc
	s_cbranch_execz .LBB126_794
; %bb.793:
	ds_read_b32 v72, v67 offset:188
	ds_read2_b32 v[76:77], v67 offset0:48 offset1:49
	ds_read2_b32 v[78:79], v67 offset0:50 offset1:51
	;; [unrolled: 1-line block ×3, first 2 shown]
	v_mul_f32_e32 v12, v74, v12
	s_waitcnt lgkmcnt(3)
	v_fma_f32 v13, -v12, v72, v13
	s_waitcnt lgkmcnt(2)
	v_pk_fma_f32 v[32:33], v[12:13], v[76:77], v[32:33] op_sel_hi:[0,1,1] neg_lo:[1,0,0] neg_hi:[1,0,0]
	s_waitcnt lgkmcnt(1)
	v_pk_fma_f32 v[22:23], v[12:13], v[78:79], v[22:23] op_sel_hi:[0,1,1] neg_lo:[1,0,0] neg_hi:[1,0,0]
	;; [unrolled: 2-line block ×3, first 2 shown]
	ds_read2_b32 v[76:77], v67 offset0:54 offset1:55
	ds_read2_b32 v[78:79], v67 offset0:56 offset1:57
	;; [unrolled: 1-line block ×5, first 2 shown]
	s_waitcnt lgkmcnt(4)
	v_pk_fma_f32 v[0:1], v[12:13], v[76:77], v[0:1] op_sel_hi:[0,1,1] neg_lo:[1,0,0] neg_hi:[1,0,0]
	s_waitcnt lgkmcnt(3)
	v_pk_fma_f32 v[28:29], v[12:13], v[78:79], v[28:29] op_sel_hi:[0,1,1] neg_lo:[1,0,0] neg_hi:[1,0,0]
	;; [unrolled: 2-line block ×5, first 2 shown]
.LBB126_794:
	s_or_b64 exec, exec, s[0:1]
	v_lshl_add_u32 v72, v75, 2, v67
	s_barrier
	ds_write_b32 v72, v13
	s_waitcnt lgkmcnt(0)
	s_barrier
	ds_read_b32 v74, v67 offset:188
	s_cmp_lt_i32 s22, 49
	v_mov_b32_e32 v72, 47
	s_cbranch_scc1 .LBB126_797
; %bb.795:
	v_add_u32_e32 v76, 0xc0, v67
	v_mov_b32_e32 v72, 47
	s_mov_b32 s0, 48
.LBB126_796:                            ; =>This Inner Loop Header: Depth=1
	ds_read_b32 v77, v76
	v_mov_b32_e32 v78, s0
	s_add_i32 s0, s0, 1
	v_add_u32_e32 v76, 4, v76
	s_cmp_lg_u32 s22, s0
	s_waitcnt lgkmcnt(0)
	v_cmp_lt_f32_e64 vcc, |v74|, |v77|
	s_nop 1
	v_cndmask_b32_e32 v74, v74, v77, vcc
	v_cndmask_b32_e32 v72, v72, v78, vcc
	s_cbranch_scc1 .LBB126_796
.LBB126_797:
	s_waitcnt lgkmcnt(0)
	v_cmp_eq_f32_e32 vcc, 0, v74
	s_and_saveexec_b64 s[0:1], vcc
	s_xor_b64 s[0:1], exec, s[0:1]
; %bb.798:
	v_cmp_ne_u32_e32 vcc, 0, v71
	s_nop 1
	v_cndmask_b32_e32 v71, 48, v71, vcc
; %bb.799:
	s_andn2_saveexec_b64 s[0:1], s[0:1]
	s_cbranch_execz .LBB126_801
; %bb.800:
	v_div_scale_f32 v76, s[2:3], v74, v74, 1.0
	v_rcp_f32_e32 v77, v76
	v_div_scale_f32 v78, vcc, 1.0, v74, 1.0
	v_fma_f32 v79, -v76, v77, 1.0
	v_fmac_f32_e32 v77, v79, v77
	v_mul_f32_e32 v79, v78, v77
	v_fma_f32 v80, -v76, v79, v78
	v_fmac_f32_e32 v79, v80, v77
	v_fma_f32 v76, -v76, v79, v78
	v_div_fmas_f32 v76, v76, v77, v79
	v_div_fixup_f32 v74, v76, v74, 1.0
.LBB126_801:
	s_or_b64 exec, exec, s[0:1]
	v_cmp_ne_u32_e32 vcc, v75, v72
	s_and_saveexec_b64 s[0:1], vcc
	s_xor_b64 s[0:1], exec, s[0:1]
	s_cbranch_execz .LBB126_807
; %bb.802:
	v_cmp_eq_u32_e32 vcc, 47, v75
	s_and_saveexec_b64 s[2:3], vcc
	s_cbranch_execz .LBB126_806
; %bb.803:
	v_cmp_ne_u32_e32 vcc, 47, v72
	s_xor_b64 s[12:13], s[20:21], -1
	s_and_b64 s[14:15], s[12:13], vcc
	s_and_saveexec_b64 s[12:13], s[14:15]
	s_cbranch_execz .LBB126_805
; %bb.804:
	v_ashrrev_i32_e32 v73, 31, v72
	v_lshl_add_u64 v[76:77], v[72:73], 2, v[4:5]
	global_load_dword v73, v[76:77], off
	global_load_dword v75, v[4:5], off offset:188
	s_waitcnt vmcnt(1)
	global_store_dword v[4:5], v73, off offset:188
	s_waitcnt vmcnt(1)
	global_store_dword v[76:77], v75, off
.LBB126_805:
	s_or_b64 exec, exec, s[12:13]
	v_mov_b32_e32 v73, v72
	v_mov_b32_e32 v75, v72
.LBB126_806:
	s_or_b64 exec, exec, s[2:3]
.LBB126_807:
	s_andn2_saveexec_b64 s[0:1], s[0:1]
	s_cbranch_execz .LBB126_809
; %bb.808:
	v_mov_b32_e32 v75, 47
	ds_write2_b32 v67, v32, v33 offset0:48 offset1:49
	ds_write2_b32 v67, v22, v23 offset0:50 offset1:51
	;; [unrolled: 1-line block ×8, first 2 shown]
.LBB126_809:
	s_or_b64 exec, exec, s[0:1]
	v_cmp_lt_i32_e32 vcc, 47, v75
	s_waitcnt lgkmcnt(0)
	s_barrier
	s_and_saveexec_b64 s[0:1], vcc
	s_cbranch_execz .LBB126_811
; %bb.810:
	ds_read2_b32 v[76:77], v67 offset0:48 offset1:49
	ds_read2_b32 v[78:79], v67 offset0:50 offset1:51
	;; [unrolled: 1-line block ×3, first 2 shown]
	v_mul_f32_e32 v72, v74, v13
	ds_read2_b32 v[82:83], v67 offset0:54 offset1:55
	s_waitcnt lgkmcnt(3)
	v_pk_fma_f32 v[32:33], v[72:73], v[76:77], v[32:33] op_sel_hi:[0,1,1] neg_lo:[1,0,0] neg_hi:[1,0,0]
	s_waitcnt lgkmcnt(2)
	v_pk_fma_f32 v[22:23], v[72:73], v[78:79], v[22:23] op_sel_hi:[0,1,1] neg_lo:[1,0,0] neg_hi:[1,0,0]
	;; [unrolled: 2-line block ×3, first 2 shown]
	ds_read2_b32 v[76:77], v67 offset0:56 offset1:57
	ds_read2_b32 v[78:79], v67 offset0:58 offset1:59
	;; [unrolled: 1-line block ×4, first 2 shown]
	s_waitcnt lgkmcnt(4)
	v_pk_fma_f32 v[0:1], v[72:73], v[82:83], v[0:1] op_sel_hi:[0,1,1] neg_lo:[1,0,0] neg_hi:[1,0,0]
	s_waitcnt lgkmcnt(3)
	v_pk_fma_f32 v[28:29], v[72:73], v[76:77], v[28:29] op_sel_hi:[0,1,1] neg_lo:[1,0,0] neg_hi:[1,0,0]
	s_waitcnt lgkmcnt(2)
	v_pk_fma_f32 v[16:17], v[72:73], v[78:79], v[16:17] op_sel_hi:[0,1,1] neg_lo:[1,0,0] neg_hi:[1,0,0]
	s_waitcnt lgkmcnt(1)
	v_pk_fma_f32 v[10:11], v[72:73], v[80:81], v[10:11] op_sel_hi:[0,1,1] neg_lo:[1,0,0] neg_hi:[1,0,0]
	s_waitcnt lgkmcnt(0)
	v_pk_fma_f32 v[8:9], v[72:73], v[84:85], v[8:9] op_sel_hi:[0,1,1] neg_lo:[1,0,0] neg_hi:[1,0,0]
	v_mov_b32_e32 v13, v72
.LBB126_811:
	s_or_b64 exec, exec, s[0:1]
	v_lshl_add_u32 v72, v75, 2, v67
	s_barrier
	ds_write_b32 v72, v32
	s_waitcnt lgkmcnt(0)
	s_barrier
	ds_read_b32 v74, v67 offset:192
	s_cmp_lt_i32 s22, 50
	v_mov_b32_e32 v72, 48
	s_cbranch_scc1 .LBB126_814
; %bb.812:
	v_add_u32_e32 v76, 0xc4, v67
	v_mov_b32_e32 v72, 48
	s_mov_b32 s0, 49
.LBB126_813:                            ; =>This Inner Loop Header: Depth=1
	ds_read_b32 v77, v76
	v_mov_b32_e32 v78, s0
	s_add_i32 s0, s0, 1
	v_add_u32_e32 v76, 4, v76
	s_cmp_lg_u32 s22, s0
	s_waitcnt lgkmcnt(0)
	v_cmp_lt_f32_e64 vcc, |v74|, |v77|
	s_nop 1
	v_cndmask_b32_e32 v74, v74, v77, vcc
	v_cndmask_b32_e32 v72, v72, v78, vcc
	s_cbranch_scc1 .LBB126_813
.LBB126_814:
	s_waitcnt lgkmcnt(0)
	v_cmp_eq_f32_e32 vcc, 0, v74
	s_and_saveexec_b64 s[0:1], vcc
	s_xor_b64 s[0:1], exec, s[0:1]
; %bb.815:
	v_cmp_ne_u32_e32 vcc, 0, v71
	s_nop 1
	v_cndmask_b32_e32 v71, 49, v71, vcc
; %bb.816:
	s_andn2_saveexec_b64 s[0:1], s[0:1]
	s_cbranch_execz .LBB126_818
; %bb.817:
	v_div_scale_f32 v76, s[2:3], v74, v74, 1.0
	v_rcp_f32_e32 v77, v76
	v_div_scale_f32 v78, vcc, 1.0, v74, 1.0
	v_fma_f32 v79, -v76, v77, 1.0
	v_fmac_f32_e32 v77, v79, v77
	v_mul_f32_e32 v79, v78, v77
	v_fma_f32 v80, -v76, v79, v78
	v_fmac_f32_e32 v79, v80, v77
	v_fma_f32 v76, -v76, v79, v78
	v_div_fmas_f32 v76, v76, v77, v79
	v_div_fixup_f32 v74, v76, v74, 1.0
.LBB126_818:
	s_or_b64 exec, exec, s[0:1]
	v_cmp_ne_u32_e32 vcc, v75, v72
	s_and_saveexec_b64 s[0:1], vcc
	s_xor_b64 s[0:1], exec, s[0:1]
	s_cbranch_execz .LBB126_824
; %bb.819:
	v_cmp_eq_u32_e32 vcc, 48, v75
	s_and_saveexec_b64 s[2:3], vcc
	s_cbranch_execz .LBB126_823
; %bb.820:
	v_cmp_ne_u32_e32 vcc, 48, v72
	s_xor_b64 s[12:13], s[20:21], -1
	s_and_b64 s[14:15], s[12:13], vcc
	s_and_saveexec_b64 s[12:13], s[14:15]
	s_cbranch_execz .LBB126_822
; %bb.821:
	v_ashrrev_i32_e32 v73, 31, v72
	v_lshl_add_u64 v[76:77], v[72:73], 2, v[4:5]
	global_load_dword v73, v[76:77], off
	global_load_dword v75, v[4:5], off offset:192
	s_waitcnt vmcnt(1)
	global_store_dword v[4:5], v73, off offset:192
	s_waitcnt vmcnt(1)
	global_store_dword v[76:77], v75, off
.LBB126_822:
	s_or_b64 exec, exec, s[12:13]
	v_mov_b32_e32 v73, v72
	v_mov_b32_e32 v75, v72
.LBB126_823:
	s_or_b64 exec, exec, s[2:3]
.LBB126_824:
	s_andn2_saveexec_b64 s[0:1], s[0:1]
	s_cbranch_execz .LBB126_826
; %bb.825:
	v_pk_mov_b32 v[76:77], v[32:33], v[22:23] op_sel:[1,0]
	ds_write2_b32 v67, v76, v77 offset0:49 offset1:50
	v_pk_mov_b32 v[76:77], v[22:23], v[14:15] op_sel:[1,0]
	ds_write2_b32 v67, v76, v77 offset0:51 offset1:52
	;; [unrolled: 2-line block ×6, first 2 shown]
	v_pk_mov_b32 v[76:77], v[10:11], v[8:9] op_sel:[1,0]
	v_mov_b32_e32 v75, 48
	ds_write2_b32 v67, v76, v77 offset0:61 offset1:62
	ds_write_b32 v67, v9 offset:252
.LBB126_826:
	s_or_b64 exec, exec, s[0:1]
	v_cmp_lt_i32_e32 vcc, 48, v75
	s_waitcnt lgkmcnt(0)
	s_barrier
	s_and_saveexec_b64 s[0:1], vcc
	s_cbranch_execz .LBB126_828
; %bb.827:
	ds_read_b32 v72, v67 offset:196
	ds_read2_b32 v[76:77], v67 offset0:50 offset1:51
	ds_read2_b32 v[78:79], v67 offset0:52 offset1:53
	v_mul_f32_e32 v32, v74, v32
	ds_read2_b32 v[80:81], v67 offset0:54 offset1:55
	s_waitcnt lgkmcnt(3)
	v_fma_f32 v33, -v32, v72, v33
	s_waitcnt lgkmcnt(2)
	v_pk_fma_f32 v[22:23], v[32:33], v[76:77], v[22:23] op_sel_hi:[0,1,1] neg_lo:[1,0,0] neg_hi:[1,0,0]
	s_waitcnt lgkmcnt(1)
	v_pk_fma_f32 v[14:15], v[32:33], v[78:79], v[14:15] op_sel_hi:[0,1,1] neg_lo:[1,0,0] neg_hi:[1,0,0]
	ds_read2_b32 v[76:77], v67 offset0:56 offset1:57
	ds_read2_b32 v[78:79], v67 offset0:58 offset1:59
	;; [unrolled: 1-line block ×4, first 2 shown]
	s_waitcnt lgkmcnt(4)
	v_pk_fma_f32 v[0:1], v[32:33], v[80:81], v[0:1] op_sel_hi:[0,1,1] neg_lo:[1,0,0] neg_hi:[1,0,0]
	s_waitcnt lgkmcnt(3)
	v_pk_fma_f32 v[28:29], v[32:33], v[76:77], v[28:29] op_sel_hi:[0,1,1] neg_lo:[1,0,0] neg_hi:[1,0,0]
	;; [unrolled: 2-line block ×5, first 2 shown]
.LBB126_828:
	s_or_b64 exec, exec, s[0:1]
	v_lshl_add_u32 v72, v75, 2, v67
	s_barrier
	ds_write_b32 v72, v33
	s_waitcnt lgkmcnt(0)
	s_barrier
	ds_read_b32 v74, v67 offset:196
	s_cmp_lt_i32 s22, 51
	v_mov_b32_e32 v72, 49
	s_cbranch_scc1 .LBB126_831
; %bb.829:
	v_add_u32_e32 v76, 0xc8, v67
	v_mov_b32_e32 v72, 49
	s_mov_b32 s0, 50
.LBB126_830:                            ; =>This Inner Loop Header: Depth=1
	ds_read_b32 v77, v76
	v_mov_b32_e32 v78, s0
	s_add_i32 s0, s0, 1
	v_add_u32_e32 v76, 4, v76
	s_cmp_lg_u32 s22, s0
	s_waitcnt lgkmcnt(0)
	v_cmp_lt_f32_e64 vcc, |v74|, |v77|
	s_nop 1
	v_cndmask_b32_e32 v74, v74, v77, vcc
	v_cndmask_b32_e32 v72, v72, v78, vcc
	s_cbranch_scc1 .LBB126_830
.LBB126_831:
	s_waitcnt lgkmcnt(0)
	v_cmp_eq_f32_e32 vcc, 0, v74
	s_and_saveexec_b64 s[0:1], vcc
	s_xor_b64 s[0:1], exec, s[0:1]
; %bb.832:
	v_cmp_ne_u32_e32 vcc, 0, v71
	s_nop 1
	v_cndmask_b32_e32 v71, 50, v71, vcc
; %bb.833:
	s_andn2_saveexec_b64 s[0:1], s[0:1]
	s_cbranch_execz .LBB126_835
; %bb.834:
	v_div_scale_f32 v76, s[2:3], v74, v74, 1.0
	v_rcp_f32_e32 v77, v76
	v_div_scale_f32 v78, vcc, 1.0, v74, 1.0
	v_fma_f32 v79, -v76, v77, 1.0
	v_fmac_f32_e32 v77, v79, v77
	v_mul_f32_e32 v79, v78, v77
	v_fma_f32 v80, -v76, v79, v78
	v_fmac_f32_e32 v79, v80, v77
	v_fma_f32 v76, -v76, v79, v78
	v_div_fmas_f32 v76, v76, v77, v79
	v_div_fixup_f32 v74, v76, v74, 1.0
.LBB126_835:
	s_or_b64 exec, exec, s[0:1]
	v_cmp_ne_u32_e32 vcc, v75, v72
	s_and_saveexec_b64 s[0:1], vcc
	s_xor_b64 s[0:1], exec, s[0:1]
	s_cbranch_execz .LBB126_841
; %bb.836:
	v_cmp_eq_u32_e32 vcc, 49, v75
	s_and_saveexec_b64 s[2:3], vcc
	s_cbranch_execz .LBB126_840
; %bb.837:
	v_cmp_ne_u32_e32 vcc, 49, v72
	s_xor_b64 s[12:13], s[20:21], -1
	s_and_b64 s[14:15], s[12:13], vcc
	s_and_saveexec_b64 s[12:13], s[14:15]
	s_cbranch_execz .LBB126_839
; %bb.838:
	v_ashrrev_i32_e32 v73, 31, v72
	v_lshl_add_u64 v[76:77], v[72:73], 2, v[4:5]
	global_load_dword v73, v[76:77], off
	global_load_dword v75, v[4:5], off offset:196
	s_waitcnt vmcnt(1)
	global_store_dword v[4:5], v73, off offset:196
	s_waitcnt vmcnt(1)
	global_store_dword v[76:77], v75, off
.LBB126_839:
	s_or_b64 exec, exec, s[12:13]
	v_mov_b32_e32 v73, v72
	v_mov_b32_e32 v75, v72
.LBB126_840:
	s_or_b64 exec, exec, s[2:3]
.LBB126_841:
	s_andn2_saveexec_b64 s[0:1], s[0:1]
	s_cbranch_execz .LBB126_843
; %bb.842:
	v_mov_b32_e32 v75, 49
	ds_write2_b32 v67, v22, v23 offset0:50 offset1:51
	ds_write2_b32 v67, v14, v15 offset0:52 offset1:53
	;; [unrolled: 1-line block ×7, first 2 shown]
.LBB126_843:
	s_or_b64 exec, exec, s[0:1]
	v_cmp_lt_i32_e32 vcc, 49, v75
	s_waitcnt lgkmcnt(0)
	s_barrier
	s_and_saveexec_b64 s[0:1], vcc
	s_cbranch_execz .LBB126_845
; %bb.844:
	ds_read2_b32 v[76:77], v67 offset0:50 offset1:51
	ds_read2_b32 v[78:79], v67 offset0:52 offset1:53
	v_mul_f32_e32 v72, v74, v33
	ds_read2_b32 v[80:81], v67 offset0:54 offset1:55
	ds_read2_b32 v[82:83], v67 offset0:56 offset1:57
	v_mov_b32_e32 v33, v72
	s_waitcnt lgkmcnt(3)
	v_pk_fma_f32 v[22:23], v[72:73], v[76:77], v[22:23] op_sel_hi:[0,1,1] neg_lo:[1,0,0] neg_hi:[1,0,0]
	s_waitcnt lgkmcnt(2)
	v_pk_fma_f32 v[14:15], v[72:73], v[78:79], v[14:15] op_sel_hi:[0,1,1] neg_lo:[1,0,0] neg_hi:[1,0,0]
	ds_read2_b32 v[76:77], v67 offset0:58 offset1:59
	ds_read2_b32 v[78:79], v67 offset0:60 offset1:61
	;; [unrolled: 1-line block ×3, first 2 shown]
	s_waitcnt lgkmcnt(4)
	v_pk_fma_f32 v[0:1], v[72:73], v[80:81], v[0:1] op_sel_hi:[0,1,1] neg_lo:[1,0,0] neg_hi:[1,0,0]
	s_waitcnt lgkmcnt(3)
	v_pk_fma_f32 v[28:29], v[72:73], v[82:83], v[28:29] op_sel_hi:[0,1,1] neg_lo:[1,0,0] neg_hi:[1,0,0]
	;; [unrolled: 2-line block ×5, first 2 shown]
.LBB126_845:
	s_or_b64 exec, exec, s[0:1]
	v_lshl_add_u32 v72, v75, 2, v67
	s_barrier
	ds_write_b32 v72, v22
	s_waitcnt lgkmcnt(0)
	s_barrier
	ds_read_b32 v74, v67 offset:200
	s_cmp_lt_i32 s22, 52
	v_mov_b32_e32 v72, 50
	s_cbranch_scc1 .LBB126_848
; %bb.846:
	v_add_u32_e32 v76, 0xcc, v67
	v_mov_b32_e32 v72, 50
	s_mov_b32 s0, 51
.LBB126_847:                            ; =>This Inner Loop Header: Depth=1
	ds_read_b32 v77, v76
	v_mov_b32_e32 v78, s0
	s_add_i32 s0, s0, 1
	v_add_u32_e32 v76, 4, v76
	s_cmp_lg_u32 s22, s0
	s_waitcnt lgkmcnt(0)
	v_cmp_lt_f32_e64 vcc, |v74|, |v77|
	s_nop 1
	v_cndmask_b32_e32 v74, v74, v77, vcc
	v_cndmask_b32_e32 v72, v72, v78, vcc
	s_cbranch_scc1 .LBB126_847
.LBB126_848:
	s_waitcnt lgkmcnt(0)
	v_cmp_eq_f32_e32 vcc, 0, v74
	s_and_saveexec_b64 s[0:1], vcc
	s_xor_b64 s[0:1], exec, s[0:1]
; %bb.849:
	v_cmp_ne_u32_e32 vcc, 0, v71
	s_nop 1
	v_cndmask_b32_e32 v71, 51, v71, vcc
; %bb.850:
	s_andn2_saveexec_b64 s[0:1], s[0:1]
	s_cbranch_execz .LBB126_852
; %bb.851:
	v_div_scale_f32 v76, s[2:3], v74, v74, 1.0
	v_rcp_f32_e32 v77, v76
	v_div_scale_f32 v78, vcc, 1.0, v74, 1.0
	v_fma_f32 v79, -v76, v77, 1.0
	v_fmac_f32_e32 v77, v79, v77
	v_mul_f32_e32 v79, v78, v77
	v_fma_f32 v80, -v76, v79, v78
	v_fmac_f32_e32 v79, v80, v77
	v_fma_f32 v76, -v76, v79, v78
	v_div_fmas_f32 v76, v76, v77, v79
	v_div_fixup_f32 v74, v76, v74, 1.0
.LBB126_852:
	s_or_b64 exec, exec, s[0:1]
	v_cmp_ne_u32_e32 vcc, v75, v72
	s_and_saveexec_b64 s[0:1], vcc
	s_xor_b64 s[0:1], exec, s[0:1]
	s_cbranch_execz .LBB126_858
; %bb.853:
	v_cmp_eq_u32_e32 vcc, 50, v75
	s_and_saveexec_b64 s[2:3], vcc
	s_cbranch_execz .LBB126_857
; %bb.854:
	v_cmp_ne_u32_e32 vcc, 50, v72
	s_xor_b64 s[12:13], s[20:21], -1
	s_and_b64 s[14:15], s[12:13], vcc
	s_and_saveexec_b64 s[12:13], s[14:15]
	s_cbranch_execz .LBB126_856
; %bb.855:
	v_ashrrev_i32_e32 v73, 31, v72
	v_lshl_add_u64 v[76:77], v[72:73], 2, v[4:5]
	global_load_dword v73, v[76:77], off
	global_load_dword v75, v[4:5], off offset:200
	s_waitcnt vmcnt(1)
	global_store_dword v[4:5], v73, off offset:200
	s_waitcnt vmcnt(1)
	global_store_dword v[76:77], v75, off
.LBB126_856:
	s_or_b64 exec, exec, s[12:13]
	v_mov_b32_e32 v73, v72
	v_mov_b32_e32 v75, v72
.LBB126_857:
	s_or_b64 exec, exec, s[2:3]
.LBB126_858:
	s_andn2_saveexec_b64 s[0:1], s[0:1]
	s_cbranch_execz .LBB126_860
; %bb.859:
	v_pk_mov_b32 v[76:77], v[22:23], v[14:15] op_sel:[1,0]
	ds_write2_b32 v67, v76, v77 offset0:51 offset1:52
	v_pk_mov_b32 v[76:77], v[14:15], v[0:1] op_sel:[1,0]
	ds_write2_b32 v67, v76, v77 offset0:53 offset1:54
	v_pk_mov_b32 v[76:77], v[0:1], v[28:29] op_sel:[1,0]
	ds_write2_b32 v67, v76, v77 offset0:55 offset1:56
	v_pk_mov_b32 v[76:77], v[28:29], v[16:17] op_sel:[1,0]
	ds_write2_b32 v67, v76, v77 offset0:57 offset1:58
	v_pk_mov_b32 v[76:77], v[16:17], v[10:11] op_sel:[1,0]
	ds_write2_b32 v67, v76, v77 offset0:59 offset1:60
	v_pk_mov_b32 v[76:77], v[10:11], v[8:9] op_sel:[1,0]
	v_mov_b32_e32 v75, 50
	ds_write2_b32 v67, v76, v77 offset0:61 offset1:62
	ds_write_b32 v67, v9 offset:252
.LBB126_860:
	s_or_b64 exec, exec, s[0:1]
	v_cmp_lt_i32_e32 vcc, 50, v75
	s_waitcnt lgkmcnt(0)
	s_barrier
	s_and_saveexec_b64 s[0:1], vcc
	s_cbranch_execz .LBB126_862
; %bb.861:
	ds_read_b32 v72, v67 offset:204
	ds_read2_b32 v[76:77], v67 offset0:52 offset1:53
	v_mul_f32_e32 v22, v74, v22
	ds_read2_b32 v[78:79], v67 offset0:54 offset1:55
	ds_read2_b32 v[80:81], v67 offset0:56 offset1:57
	s_waitcnt lgkmcnt(3)
	v_fma_f32 v23, -v22, v72, v23
	s_waitcnt lgkmcnt(2)
	v_pk_fma_f32 v[14:15], v[22:23], v[76:77], v[14:15] op_sel_hi:[0,1,1] neg_lo:[1,0,0] neg_hi:[1,0,0]
	ds_read2_b32 v[76:77], v67 offset0:58 offset1:59
	ds_read2_b32 v[82:83], v67 offset0:60 offset1:61
	;; [unrolled: 1-line block ×3, first 2 shown]
	s_waitcnt lgkmcnt(4)
	v_pk_fma_f32 v[0:1], v[22:23], v[78:79], v[0:1] op_sel_hi:[0,1,1] neg_lo:[1,0,0] neg_hi:[1,0,0]
	s_waitcnt lgkmcnt(3)
	v_pk_fma_f32 v[28:29], v[22:23], v[80:81], v[28:29] op_sel_hi:[0,1,1] neg_lo:[1,0,0] neg_hi:[1,0,0]
	;; [unrolled: 2-line block ×5, first 2 shown]
.LBB126_862:
	s_or_b64 exec, exec, s[0:1]
	v_lshl_add_u32 v72, v75, 2, v67
	s_barrier
	ds_write_b32 v72, v23
	s_waitcnt lgkmcnt(0)
	s_barrier
	ds_read_b32 v74, v67 offset:204
	s_cmp_lt_i32 s22, 53
	v_mov_b32_e32 v72, 51
	s_cbranch_scc1 .LBB126_865
; %bb.863:
	v_add_u32_e32 v76, 0xd0, v67
	v_mov_b32_e32 v72, 51
	s_mov_b32 s0, 52
.LBB126_864:                            ; =>This Inner Loop Header: Depth=1
	ds_read_b32 v77, v76
	v_mov_b32_e32 v78, s0
	s_add_i32 s0, s0, 1
	v_add_u32_e32 v76, 4, v76
	s_cmp_lg_u32 s22, s0
	s_waitcnt lgkmcnt(0)
	v_cmp_lt_f32_e64 vcc, |v74|, |v77|
	s_nop 1
	v_cndmask_b32_e32 v74, v74, v77, vcc
	v_cndmask_b32_e32 v72, v72, v78, vcc
	s_cbranch_scc1 .LBB126_864
.LBB126_865:
	s_waitcnt lgkmcnt(0)
	v_cmp_eq_f32_e32 vcc, 0, v74
	s_and_saveexec_b64 s[0:1], vcc
	s_xor_b64 s[0:1], exec, s[0:1]
; %bb.866:
	v_cmp_ne_u32_e32 vcc, 0, v71
	s_nop 1
	v_cndmask_b32_e32 v71, 52, v71, vcc
; %bb.867:
	s_andn2_saveexec_b64 s[0:1], s[0:1]
	s_cbranch_execz .LBB126_869
; %bb.868:
	v_div_scale_f32 v76, s[2:3], v74, v74, 1.0
	v_rcp_f32_e32 v77, v76
	v_div_scale_f32 v78, vcc, 1.0, v74, 1.0
	v_fma_f32 v79, -v76, v77, 1.0
	v_fmac_f32_e32 v77, v79, v77
	v_mul_f32_e32 v79, v78, v77
	v_fma_f32 v80, -v76, v79, v78
	v_fmac_f32_e32 v79, v80, v77
	v_fma_f32 v76, -v76, v79, v78
	v_div_fmas_f32 v76, v76, v77, v79
	v_div_fixup_f32 v74, v76, v74, 1.0
.LBB126_869:
	s_or_b64 exec, exec, s[0:1]
	v_cmp_ne_u32_e32 vcc, v75, v72
	s_and_saveexec_b64 s[0:1], vcc
	s_xor_b64 s[0:1], exec, s[0:1]
	s_cbranch_execz .LBB126_875
; %bb.870:
	v_cmp_eq_u32_e32 vcc, 51, v75
	s_and_saveexec_b64 s[2:3], vcc
	s_cbranch_execz .LBB126_874
; %bb.871:
	v_cmp_ne_u32_e32 vcc, 51, v72
	s_xor_b64 s[12:13], s[20:21], -1
	s_and_b64 s[14:15], s[12:13], vcc
	s_and_saveexec_b64 s[12:13], s[14:15]
	s_cbranch_execz .LBB126_873
; %bb.872:
	v_ashrrev_i32_e32 v73, 31, v72
	v_lshl_add_u64 v[76:77], v[72:73], 2, v[4:5]
	global_load_dword v73, v[76:77], off
	global_load_dword v75, v[4:5], off offset:204
	s_waitcnt vmcnt(1)
	global_store_dword v[4:5], v73, off offset:204
	s_waitcnt vmcnt(1)
	global_store_dword v[76:77], v75, off
.LBB126_873:
	s_or_b64 exec, exec, s[12:13]
	v_mov_b32_e32 v73, v72
	v_mov_b32_e32 v75, v72
.LBB126_874:
	s_or_b64 exec, exec, s[2:3]
.LBB126_875:
	s_andn2_saveexec_b64 s[0:1], s[0:1]
	s_cbranch_execz .LBB126_877
; %bb.876:
	v_mov_b32_e32 v75, 51
	ds_write2_b32 v67, v14, v15 offset0:52 offset1:53
	ds_write2_b32 v67, v0, v1 offset0:54 offset1:55
	;; [unrolled: 1-line block ×6, first 2 shown]
.LBB126_877:
	s_or_b64 exec, exec, s[0:1]
	v_cmp_lt_i32_e32 vcc, 51, v75
	s_waitcnt lgkmcnt(0)
	s_barrier
	s_and_saveexec_b64 s[0:1], vcc
	s_cbranch_execz .LBB126_879
; %bb.878:
	ds_read2_b32 v[76:77], v67 offset0:52 offset1:53
	v_mul_f32_e32 v72, v74, v23
	ds_read2_b32 v[78:79], v67 offset0:54 offset1:55
	ds_read2_b32 v[80:81], v67 offset0:56 offset1:57
	;; [unrolled: 1-line block ×3, first 2 shown]
	v_mov_b32_e32 v23, v72
	s_waitcnt lgkmcnt(2)
	v_pk_fma_f32 v[0:1], v[72:73], v[78:79], v[0:1] op_sel_hi:[0,1,1] neg_lo:[1,0,0] neg_hi:[1,0,0]
	v_pk_fma_f32 v[14:15], v[72:73], v[76:77], v[14:15] op_sel_hi:[0,1,1] neg_lo:[1,0,0] neg_hi:[1,0,0]
	ds_read2_b32 v[76:77], v67 offset0:60 offset1:61
	ds_read2_b32 v[84:85], v67 offset0:62 offset1:63
	s_waitcnt lgkmcnt(3)
	v_pk_fma_f32 v[28:29], v[72:73], v[80:81], v[28:29] op_sel_hi:[0,1,1] neg_lo:[1,0,0] neg_hi:[1,0,0]
	s_waitcnt lgkmcnt(2)
	v_pk_fma_f32 v[16:17], v[72:73], v[82:83], v[16:17] op_sel_hi:[0,1,1] neg_lo:[1,0,0] neg_hi:[1,0,0]
	;; [unrolled: 2-line block ×4, first 2 shown]
.LBB126_879:
	s_or_b64 exec, exec, s[0:1]
	v_lshl_add_u32 v72, v75, 2, v67
	s_barrier
	ds_write_b32 v72, v14
	s_waitcnt lgkmcnt(0)
	s_barrier
	ds_read_b32 v74, v67 offset:208
	s_cmp_lt_i32 s22, 54
	v_mov_b32_e32 v72, 52
	s_cbranch_scc1 .LBB126_882
; %bb.880:
	v_add_u32_e32 v76, 0xd4, v67
	v_mov_b32_e32 v72, 52
	s_mov_b32 s0, 53
.LBB126_881:                            ; =>This Inner Loop Header: Depth=1
	ds_read_b32 v77, v76
	v_mov_b32_e32 v78, s0
	s_add_i32 s0, s0, 1
	v_add_u32_e32 v76, 4, v76
	s_cmp_lg_u32 s22, s0
	s_waitcnt lgkmcnt(0)
	v_cmp_lt_f32_e64 vcc, |v74|, |v77|
	s_nop 1
	v_cndmask_b32_e32 v74, v74, v77, vcc
	v_cndmask_b32_e32 v72, v72, v78, vcc
	s_cbranch_scc1 .LBB126_881
.LBB126_882:
	s_waitcnt lgkmcnt(0)
	v_cmp_eq_f32_e32 vcc, 0, v74
	s_and_saveexec_b64 s[0:1], vcc
	s_xor_b64 s[0:1], exec, s[0:1]
; %bb.883:
	v_cmp_ne_u32_e32 vcc, 0, v71
	s_nop 1
	v_cndmask_b32_e32 v71, 53, v71, vcc
; %bb.884:
	s_andn2_saveexec_b64 s[0:1], s[0:1]
	s_cbranch_execz .LBB126_886
; %bb.885:
	v_div_scale_f32 v76, s[2:3], v74, v74, 1.0
	v_rcp_f32_e32 v77, v76
	v_div_scale_f32 v78, vcc, 1.0, v74, 1.0
	v_fma_f32 v79, -v76, v77, 1.0
	v_fmac_f32_e32 v77, v79, v77
	v_mul_f32_e32 v79, v78, v77
	v_fma_f32 v80, -v76, v79, v78
	v_fmac_f32_e32 v79, v80, v77
	v_fma_f32 v76, -v76, v79, v78
	v_div_fmas_f32 v76, v76, v77, v79
	v_div_fixup_f32 v74, v76, v74, 1.0
.LBB126_886:
	s_or_b64 exec, exec, s[0:1]
	v_cmp_ne_u32_e32 vcc, v75, v72
	s_and_saveexec_b64 s[0:1], vcc
	s_xor_b64 s[0:1], exec, s[0:1]
	s_cbranch_execz .LBB126_892
; %bb.887:
	v_cmp_eq_u32_e32 vcc, 52, v75
	s_and_saveexec_b64 s[2:3], vcc
	s_cbranch_execz .LBB126_891
; %bb.888:
	v_cmp_ne_u32_e32 vcc, 52, v72
	s_xor_b64 s[12:13], s[20:21], -1
	s_and_b64 s[14:15], s[12:13], vcc
	s_and_saveexec_b64 s[12:13], s[14:15]
	s_cbranch_execz .LBB126_890
; %bb.889:
	v_ashrrev_i32_e32 v73, 31, v72
	v_lshl_add_u64 v[76:77], v[72:73], 2, v[4:5]
	global_load_dword v73, v[76:77], off
	global_load_dword v75, v[4:5], off offset:208
	s_waitcnt vmcnt(1)
	global_store_dword v[4:5], v73, off offset:208
	s_waitcnt vmcnt(1)
	global_store_dword v[76:77], v75, off
.LBB126_890:
	s_or_b64 exec, exec, s[12:13]
	v_mov_b32_e32 v73, v72
	v_mov_b32_e32 v75, v72
.LBB126_891:
	s_or_b64 exec, exec, s[2:3]
.LBB126_892:
	s_andn2_saveexec_b64 s[0:1], s[0:1]
	s_cbranch_execz .LBB126_894
; %bb.893:
	v_pk_mov_b32 v[76:77], v[14:15], v[0:1] op_sel:[1,0]
	ds_write2_b32 v67, v76, v77 offset0:53 offset1:54
	v_pk_mov_b32 v[76:77], v[0:1], v[28:29] op_sel:[1,0]
	ds_write2_b32 v67, v76, v77 offset0:55 offset1:56
	;; [unrolled: 2-line block ×4, first 2 shown]
	v_pk_mov_b32 v[76:77], v[10:11], v[8:9] op_sel:[1,0]
	v_mov_b32_e32 v75, 52
	ds_write2_b32 v67, v76, v77 offset0:61 offset1:62
	ds_write_b32 v67, v9 offset:252
.LBB126_894:
	s_or_b64 exec, exec, s[0:1]
	v_cmp_lt_i32_e32 vcc, 52, v75
	s_waitcnt lgkmcnt(0)
	s_barrier
	s_and_saveexec_b64 s[0:1], vcc
	s_cbranch_execz .LBB126_896
; %bb.895:
	ds_read_b32 v72, v67 offset:212
	ds_read2_b32 v[76:77], v67 offset0:54 offset1:55
	ds_read2_b32 v[78:79], v67 offset0:56 offset1:57
	;; [unrolled: 1-line block ×5, first 2 shown]
	v_mul_f32_e32 v14, v74, v14
	s_waitcnt lgkmcnt(5)
	v_fma_f32 v15, -v14, v72, v15
	s_waitcnt lgkmcnt(4)
	v_pk_fma_f32 v[0:1], v[14:15], v[76:77], v[0:1] op_sel_hi:[0,1,1] neg_lo:[1,0,0] neg_hi:[1,0,0]
	s_waitcnt lgkmcnt(3)
	v_pk_fma_f32 v[28:29], v[14:15], v[78:79], v[28:29] op_sel_hi:[0,1,1] neg_lo:[1,0,0] neg_hi:[1,0,0]
	;; [unrolled: 2-line block ×5, first 2 shown]
.LBB126_896:
	s_or_b64 exec, exec, s[0:1]
	v_lshl_add_u32 v72, v75, 2, v67
	s_barrier
	ds_write_b32 v72, v15
	s_waitcnt lgkmcnt(0)
	s_barrier
	ds_read_b32 v74, v67 offset:212
	s_cmp_lt_i32 s22, 55
	v_mov_b32_e32 v72, 53
	s_cbranch_scc1 .LBB126_899
; %bb.897:
	v_add_u32_e32 v76, 0xd8, v67
	v_mov_b32_e32 v72, 53
	s_mov_b32 s0, 54
.LBB126_898:                            ; =>This Inner Loop Header: Depth=1
	ds_read_b32 v77, v76
	v_mov_b32_e32 v78, s0
	s_add_i32 s0, s0, 1
	v_add_u32_e32 v76, 4, v76
	s_cmp_lg_u32 s22, s0
	s_waitcnt lgkmcnt(0)
	v_cmp_lt_f32_e64 vcc, |v74|, |v77|
	s_nop 1
	v_cndmask_b32_e32 v74, v74, v77, vcc
	v_cndmask_b32_e32 v72, v72, v78, vcc
	s_cbranch_scc1 .LBB126_898
.LBB126_899:
	s_waitcnt lgkmcnt(0)
	v_cmp_eq_f32_e32 vcc, 0, v74
	s_and_saveexec_b64 s[0:1], vcc
	s_xor_b64 s[0:1], exec, s[0:1]
; %bb.900:
	v_cmp_ne_u32_e32 vcc, 0, v71
	s_nop 1
	v_cndmask_b32_e32 v71, 54, v71, vcc
; %bb.901:
	s_andn2_saveexec_b64 s[0:1], s[0:1]
	s_cbranch_execz .LBB126_903
; %bb.902:
	v_div_scale_f32 v76, s[2:3], v74, v74, 1.0
	v_rcp_f32_e32 v77, v76
	v_div_scale_f32 v78, vcc, 1.0, v74, 1.0
	v_fma_f32 v79, -v76, v77, 1.0
	v_fmac_f32_e32 v77, v79, v77
	v_mul_f32_e32 v79, v78, v77
	v_fma_f32 v80, -v76, v79, v78
	v_fmac_f32_e32 v79, v80, v77
	v_fma_f32 v76, -v76, v79, v78
	v_div_fmas_f32 v76, v76, v77, v79
	v_div_fixup_f32 v74, v76, v74, 1.0
.LBB126_903:
	s_or_b64 exec, exec, s[0:1]
	v_cmp_ne_u32_e32 vcc, v75, v72
	s_and_saveexec_b64 s[0:1], vcc
	s_xor_b64 s[0:1], exec, s[0:1]
	s_cbranch_execz .LBB126_909
; %bb.904:
	v_cmp_eq_u32_e32 vcc, 53, v75
	s_and_saveexec_b64 s[2:3], vcc
	s_cbranch_execz .LBB126_908
; %bb.905:
	v_cmp_ne_u32_e32 vcc, 53, v72
	s_xor_b64 s[12:13], s[20:21], -1
	s_and_b64 s[14:15], s[12:13], vcc
	s_and_saveexec_b64 s[12:13], s[14:15]
	s_cbranch_execz .LBB126_907
; %bb.906:
	v_ashrrev_i32_e32 v73, 31, v72
	v_lshl_add_u64 v[76:77], v[72:73], 2, v[4:5]
	global_load_dword v73, v[76:77], off
	global_load_dword v75, v[4:5], off offset:212
	s_waitcnt vmcnt(1)
	global_store_dword v[4:5], v73, off offset:212
	s_waitcnt vmcnt(1)
	global_store_dword v[76:77], v75, off
.LBB126_907:
	s_or_b64 exec, exec, s[12:13]
	v_mov_b32_e32 v73, v72
	v_mov_b32_e32 v75, v72
.LBB126_908:
	s_or_b64 exec, exec, s[2:3]
.LBB126_909:
	s_andn2_saveexec_b64 s[0:1], s[0:1]
	s_cbranch_execz .LBB126_911
; %bb.910:
	v_mov_b32_e32 v75, 53
	ds_write2_b32 v67, v0, v1 offset0:54 offset1:55
	ds_write2_b32 v67, v28, v29 offset0:56 offset1:57
	;; [unrolled: 1-line block ×5, first 2 shown]
.LBB126_911:
	s_or_b64 exec, exec, s[0:1]
	v_cmp_lt_i32_e32 vcc, 53, v75
	s_waitcnt lgkmcnt(0)
	s_barrier
	s_and_saveexec_b64 s[0:1], vcc
	s_cbranch_execz .LBB126_913
; %bb.912:
	ds_read2_b32 v[76:77], v67 offset0:54 offset1:55
	ds_read2_b32 v[78:79], v67 offset0:56 offset1:57
	;; [unrolled: 1-line block ×5, first 2 shown]
	v_mul_f32_e32 v72, v74, v15
	s_waitcnt lgkmcnt(4)
	v_pk_fma_f32 v[0:1], v[72:73], v[76:77], v[0:1] op_sel_hi:[0,1,1] neg_lo:[1,0,0] neg_hi:[1,0,0]
	s_waitcnt lgkmcnt(3)
	v_pk_fma_f32 v[28:29], v[72:73], v[78:79], v[28:29] op_sel_hi:[0,1,1] neg_lo:[1,0,0] neg_hi:[1,0,0]
	;; [unrolled: 2-line block ×5, first 2 shown]
	v_mov_b32_e32 v15, v72
.LBB126_913:
	s_or_b64 exec, exec, s[0:1]
	v_lshl_add_u32 v72, v75, 2, v67
	s_barrier
	ds_write_b32 v72, v0
	s_waitcnt lgkmcnt(0)
	s_barrier
	ds_read_b32 v74, v67 offset:216
	s_cmp_lt_i32 s22, 56
	v_mov_b32_e32 v72, 54
	s_cbranch_scc1 .LBB126_916
; %bb.914:
	v_add_u32_e32 v76, 0xdc, v67
	v_mov_b32_e32 v72, 54
	s_mov_b32 s0, 55
.LBB126_915:                            ; =>This Inner Loop Header: Depth=1
	ds_read_b32 v77, v76
	v_mov_b32_e32 v78, s0
	s_add_i32 s0, s0, 1
	v_add_u32_e32 v76, 4, v76
	s_cmp_lg_u32 s22, s0
	s_waitcnt lgkmcnt(0)
	v_cmp_lt_f32_e64 vcc, |v74|, |v77|
	s_nop 1
	v_cndmask_b32_e32 v74, v74, v77, vcc
	v_cndmask_b32_e32 v72, v72, v78, vcc
	s_cbranch_scc1 .LBB126_915
.LBB126_916:
	s_waitcnt lgkmcnt(0)
	v_cmp_eq_f32_e32 vcc, 0, v74
	s_and_saveexec_b64 s[0:1], vcc
	s_xor_b64 s[0:1], exec, s[0:1]
; %bb.917:
	v_cmp_ne_u32_e32 vcc, 0, v71
	s_nop 1
	v_cndmask_b32_e32 v71, 55, v71, vcc
; %bb.918:
	s_andn2_saveexec_b64 s[0:1], s[0:1]
	s_cbranch_execz .LBB126_920
; %bb.919:
	v_div_scale_f32 v76, s[2:3], v74, v74, 1.0
	v_rcp_f32_e32 v77, v76
	v_div_scale_f32 v78, vcc, 1.0, v74, 1.0
	v_fma_f32 v79, -v76, v77, 1.0
	v_fmac_f32_e32 v77, v79, v77
	v_mul_f32_e32 v79, v78, v77
	v_fma_f32 v80, -v76, v79, v78
	v_fmac_f32_e32 v79, v80, v77
	v_fma_f32 v76, -v76, v79, v78
	v_div_fmas_f32 v76, v76, v77, v79
	v_div_fixup_f32 v74, v76, v74, 1.0
.LBB126_920:
	s_or_b64 exec, exec, s[0:1]
	v_cmp_ne_u32_e32 vcc, v75, v72
	s_and_saveexec_b64 s[0:1], vcc
	s_xor_b64 s[0:1], exec, s[0:1]
	s_cbranch_execz .LBB126_926
; %bb.921:
	v_cmp_eq_u32_e32 vcc, 54, v75
	s_and_saveexec_b64 s[2:3], vcc
	s_cbranch_execz .LBB126_925
; %bb.922:
	v_cmp_ne_u32_e32 vcc, 54, v72
	s_xor_b64 s[12:13], s[20:21], -1
	s_and_b64 s[14:15], s[12:13], vcc
	s_and_saveexec_b64 s[12:13], s[14:15]
	s_cbranch_execz .LBB126_924
; %bb.923:
	v_ashrrev_i32_e32 v73, 31, v72
	v_lshl_add_u64 v[76:77], v[72:73], 2, v[4:5]
	global_load_dword v73, v[76:77], off
	global_load_dword v75, v[4:5], off offset:216
	s_waitcnt vmcnt(1)
	global_store_dword v[4:5], v73, off offset:216
	s_waitcnt vmcnt(1)
	global_store_dword v[76:77], v75, off
.LBB126_924:
	s_or_b64 exec, exec, s[12:13]
	v_mov_b32_e32 v73, v72
	v_mov_b32_e32 v75, v72
.LBB126_925:
	s_or_b64 exec, exec, s[2:3]
.LBB126_926:
	s_andn2_saveexec_b64 s[0:1], s[0:1]
	s_cbranch_execz .LBB126_928
; %bb.927:
	v_pk_mov_b32 v[76:77], v[0:1], v[28:29] op_sel:[1,0]
	ds_write2_b32 v67, v76, v77 offset0:55 offset1:56
	v_pk_mov_b32 v[76:77], v[28:29], v[16:17] op_sel:[1,0]
	ds_write2_b32 v67, v76, v77 offset0:57 offset1:58
	;; [unrolled: 2-line block ×3, first 2 shown]
	v_pk_mov_b32 v[76:77], v[10:11], v[8:9] op_sel:[1,0]
	v_mov_b32_e32 v75, 54
	ds_write2_b32 v67, v76, v77 offset0:61 offset1:62
	ds_write_b32 v67, v9 offset:252
.LBB126_928:
	s_or_b64 exec, exec, s[0:1]
	v_cmp_lt_i32_e32 vcc, 54, v75
	s_waitcnt lgkmcnt(0)
	s_barrier
	s_and_saveexec_b64 s[0:1], vcc
	s_cbranch_execz .LBB126_930
; %bb.929:
	ds_read_b32 v72, v67 offset:220
	ds_read2_b32 v[76:77], v67 offset0:56 offset1:57
	ds_read2_b32 v[78:79], v67 offset0:58 offset1:59
	;; [unrolled: 1-line block ×4, first 2 shown]
	v_mul_f32_e32 v0, v74, v0
	s_waitcnt lgkmcnt(4)
	v_fma_f32 v1, -v0, v72, v1
	s_waitcnt lgkmcnt(3)
	v_pk_fma_f32 v[28:29], v[0:1], v[76:77], v[28:29] op_sel_hi:[0,1,1] neg_lo:[1,0,0] neg_hi:[1,0,0]
	s_waitcnt lgkmcnt(2)
	v_pk_fma_f32 v[16:17], v[0:1], v[78:79], v[16:17] op_sel_hi:[0,1,1] neg_lo:[1,0,0] neg_hi:[1,0,0]
	;; [unrolled: 2-line block ×4, first 2 shown]
.LBB126_930:
	s_or_b64 exec, exec, s[0:1]
	v_lshl_add_u32 v72, v75, 2, v67
	s_barrier
	ds_write_b32 v72, v1
	s_waitcnt lgkmcnt(0)
	s_barrier
	ds_read_b32 v74, v67 offset:220
	s_cmp_lt_i32 s22, 57
	v_mov_b32_e32 v72, 55
	s_cbranch_scc1 .LBB126_933
; %bb.931:
	v_add_u32_e32 v76, 0xe0, v67
	v_mov_b32_e32 v72, 55
	s_mov_b32 s0, 56
.LBB126_932:                            ; =>This Inner Loop Header: Depth=1
	ds_read_b32 v77, v76
	v_mov_b32_e32 v78, s0
	s_add_i32 s0, s0, 1
	v_add_u32_e32 v76, 4, v76
	s_cmp_lg_u32 s22, s0
	s_waitcnt lgkmcnt(0)
	v_cmp_lt_f32_e64 vcc, |v74|, |v77|
	s_nop 1
	v_cndmask_b32_e32 v74, v74, v77, vcc
	v_cndmask_b32_e32 v72, v72, v78, vcc
	s_cbranch_scc1 .LBB126_932
.LBB126_933:
	s_waitcnt lgkmcnt(0)
	v_cmp_eq_f32_e32 vcc, 0, v74
	s_and_saveexec_b64 s[0:1], vcc
	s_xor_b64 s[0:1], exec, s[0:1]
; %bb.934:
	v_cmp_ne_u32_e32 vcc, 0, v71
	s_nop 1
	v_cndmask_b32_e32 v71, 56, v71, vcc
; %bb.935:
	s_andn2_saveexec_b64 s[0:1], s[0:1]
	s_cbranch_execz .LBB126_937
; %bb.936:
	v_div_scale_f32 v76, s[2:3], v74, v74, 1.0
	v_rcp_f32_e32 v77, v76
	v_div_scale_f32 v78, vcc, 1.0, v74, 1.0
	v_fma_f32 v79, -v76, v77, 1.0
	v_fmac_f32_e32 v77, v79, v77
	v_mul_f32_e32 v79, v78, v77
	v_fma_f32 v80, -v76, v79, v78
	v_fmac_f32_e32 v79, v80, v77
	v_fma_f32 v76, -v76, v79, v78
	v_div_fmas_f32 v76, v76, v77, v79
	v_div_fixup_f32 v74, v76, v74, 1.0
.LBB126_937:
	s_or_b64 exec, exec, s[0:1]
	v_cmp_ne_u32_e32 vcc, v75, v72
	s_and_saveexec_b64 s[0:1], vcc
	s_xor_b64 s[0:1], exec, s[0:1]
	s_cbranch_execz .LBB126_943
; %bb.938:
	v_cmp_eq_u32_e32 vcc, 55, v75
	s_and_saveexec_b64 s[2:3], vcc
	s_cbranch_execz .LBB126_942
; %bb.939:
	v_cmp_ne_u32_e32 vcc, 55, v72
	s_xor_b64 s[12:13], s[20:21], -1
	s_and_b64 s[14:15], s[12:13], vcc
	s_and_saveexec_b64 s[12:13], s[14:15]
	s_cbranch_execz .LBB126_941
; %bb.940:
	v_ashrrev_i32_e32 v73, 31, v72
	v_lshl_add_u64 v[76:77], v[72:73], 2, v[4:5]
	global_load_dword v73, v[76:77], off
	global_load_dword v75, v[4:5], off offset:220
	s_waitcnt vmcnt(1)
	global_store_dword v[4:5], v73, off offset:220
	s_waitcnt vmcnt(1)
	global_store_dword v[76:77], v75, off
.LBB126_941:
	s_or_b64 exec, exec, s[12:13]
	v_mov_b32_e32 v73, v72
	v_mov_b32_e32 v75, v72
.LBB126_942:
	s_or_b64 exec, exec, s[2:3]
.LBB126_943:
	s_andn2_saveexec_b64 s[0:1], s[0:1]
	s_cbranch_execz .LBB126_945
; %bb.944:
	v_mov_b32_e32 v75, 55
	ds_write2_b32 v67, v28, v29 offset0:56 offset1:57
	ds_write2_b32 v67, v16, v17 offset0:58 offset1:59
	;; [unrolled: 1-line block ×4, first 2 shown]
.LBB126_945:
	s_or_b64 exec, exec, s[0:1]
	v_cmp_lt_i32_e32 vcc, 55, v75
	s_waitcnt lgkmcnt(0)
	s_barrier
	s_and_saveexec_b64 s[0:1], vcc
	s_cbranch_execz .LBB126_947
; %bb.946:
	ds_read2_b32 v[76:77], v67 offset0:56 offset1:57
	ds_read2_b32 v[78:79], v67 offset0:58 offset1:59
	;; [unrolled: 1-line block ×4, first 2 shown]
	v_mul_f32_e32 v72, v74, v1
	s_waitcnt lgkmcnt(3)
	v_pk_fma_f32 v[28:29], v[72:73], v[76:77], v[28:29] op_sel_hi:[0,1,1] neg_lo:[1,0,0] neg_hi:[1,0,0]
	s_waitcnt lgkmcnt(2)
	v_pk_fma_f32 v[16:17], v[72:73], v[78:79], v[16:17] op_sel_hi:[0,1,1] neg_lo:[1,0,0] neg_hi:[1,0,0]
	s_waitcnt lgkmcnt(1)
	v_pk_fma_f32 v[10:11], v[72:73], v[80:81], v[10:11] op_sel_hi:[0,1,1] neg_lo:[1,0,0] neg_hi:[1,0,0]
	s_waitcnt lgkmcnt(0)
	v_pk_fma_f32 v[8:9], v[72:73], v[82:83], v[8:9] op_sel_hi:[0,1,1] neg_lo:[1,0,0] neg_hi:[1,0,0]
	v_mov_b32_e32 v1, v72
.LBB126_947:
	s_or_b64 exec, exec, s[0:1]
	v_lshl_add_u32 v72, v75, 2, v67
	s_barrier
	ds_write_b32 v72, v28
	s_waitcnt lgkmcnt(0)
	s_barrier
	ds_read_b32 v74, v67 offset:224
	s_cmp_lt_i32 s22, 58
	v_mov_b32_e32 v72, 56
	s_cbranch_scc1 .LBB126_950
; %bb.948:
	v_add_u32_e32 v76, 0xe4, v67
	v_mov_b32_e32 v72, 56
	s_mov_b32 s0, 57
.LBB126_949:                            ; =>This Inner Loop Header: Depth=1
	ds_read_b32 v77, v76
	v_mov_b32_e32 v78, s0
	s_add_i32 s0, s0, 1
	v_add_u32_e32 v76, 4, v76
	s_cmp_lg_u32 s22, s0
	s_waitcnt lgkmcnt(0)
	v_cmp_lt_f32_e64 vcc, |v74|, |v77|
	s_nop 1
	v_cndmask_b32_e32 v74, v74, v77, vcc
	v_cndmask_b32_e32 v72, v72, v78, vcc
	s_cbranch_scc1 .LBB126_949
.LBB126_950:
	s_waitcnt lgkmcnt(0)
	v_cmp_eq_f32_e32 vcc, 0, v74
	s_and_saveexec_b64 s[0:1], vcc
	s_xor_b64 s[0:1], exec, s[0:1]
; %bb.951:
	v_cmp_ne_u32_e32 vcc, 0, v71
	s_nop 1
	v_cndmask_b32_e32 v71, 57, v71, vcc
; %bb.952:
	s_andn2_saveexec_b64 s[0:1], s[0:1]
	s_cbranch_execz .LBB126_954
; %bb.953:
	v_div_scale_f32 v76, s[2:3], v74, v74, 1.0
	v_rcp_f32_e32 v77, v76
	v_div_scale_f32 v78, vcc, 1.0, v74, 1.0
	v_fma_f32 v79, -v76, v77, 1.0
	v_fmac_f32_e32 v77, v79, v77
	v_mul_f32_e32 v79, v78, v77
	v_fma_f32 v80, -v76, v79, v78
	v_fmac_f32_e32 v79, v80, v77
	v_fma_f32 v76, -v76, v79, v78
	v_div_fmas_f32 v76, v76, v77, v79
	v_div_fixup_f32 v74, v76, v74, 1.0
.LBB126_954:
	s_or_b64 exec, exec, s[0:1]
	v_cmp_ne_u32_e32 vcc, v75, v72
	s_and_saveexec_b64 s[0:1], vcc
	s_xor_b64 s[0:1], exec, s[0:1]
	s_cbranch_execz .LBB126_960
; %bb.955:
	v_cmp_eq_u32_e32 vcc, 56, v75
	s_and_saveexec_b64 s[2:3], vcc
	s_cbranch_execz .LBB126_959
; %bb.956:
	v_cmp_ne_u32_e32 vcc, 56, v72
	s_xor_b64 s[12:13], s[20:21], -1
	s_and_b64 s[14:15], s[12:13], vcc
	s_and_saveexec_b64 s[12:13], s[14:15]
	s_cbranch_execz .LBB126_958
; %bb.957:
	v_ashrrev_i32_e32 v73, 31, v72
	v_lshl_add_u64 v[76:77], v[72:73], 2, v[4:5]
	global_load_dword v73, v[76:77], off
	global_load_dword v75, v[4:5], off offset:224
	s_waitcnt vmcnt(1)
	global_store_dword v[4:5], v73, off offset:224
	s_waitcnt vmcnt(1)
	global_store_dword v[76:77], v75, off
.LBB126_958:
	s_or_b64 exec, exec, s[12:13]
	v_mov_b32_e32 v73, v72
	v_mov_b32_e32 v75, v72
.LBB126_959:
	s_or_b64 exec, exec, s[2:3]
.LBB126_960:
	s_andn2_saveexec_b64 s[0:1], s[0:1]
	s_cbranch_execz .LBB126_962
; %bb.961:
	v_pk_mov_b32 v[76:77], v[28:29], v[16:17] op_sel:[1,0]
	ds_write2_b32 v67, v76, v77 offset0:57 offset1:58
	v_pk_mov_b32 v[76:77], v[16:17], v[10:11] op_sel:[1,0]
	ds_write2_b32 v67, v76, v77 offset0:59 offset1:60
	v_pk_mov_b32 v[76:77], v[10:11], v[8:9] op_sel:[1,0]
	v_mov_b32_e32 v75, 56
	ds_write2_b32 v67, v76, v77 offset0:61 offset1:62
	ds_write_b32 v67, v9 offset:252
.LBB126_962:
	s_or_b64 exec, exec, s[0:1]
	v_cmp_lt_i32_e32 vcc, 56, v75
	s_waitcnt lgkmcnt(0)
	s_barrier
	s_and_saveexec_b64 s[0:1], vcc
	s_cbranch_execz .LBB126_964
; %bb.963:
	ds_read_b32 v72, v67 offset:228
	ds_read2_b32 v[76:77], v67 offset0:58 offset1:59
	ds_read2_b32 v[78:79], v67 offset0:60 offset1:61
	;; [unrolled: 1-line block ×3, first 2 shown]
	v_mul_f32_e32 v28, v74, v28
	s_waitcnt lgkmcnt(3)
	v_fma_f32 v29, -v28, v72, v29
	s_waitcnt lgkmcnt(2)
	v_pk_fma_f32 v[16:17], v[28:29], v[76:77], v[16:17] op_sel_hi:[0,1,1] neg_lo:[1,0,0] neg_hi:[1,0,0]
	s_waitcnt lgkmcnt(1)
	v_pk_fma_f32 v[10:11], v[28:29], v[78:79], v[10:11] op_sel_hi:[0,1,1] neg_lo:[1,0,0] neg_hi:[1,0,0]
	;; [unrolled: 2-line block ×3, first 2 shown]
.LBB126_964:
	s_or_b64 exec, exec, s[0:1]
	v_lshl_add_u32 v72, v75, 2, v67
	s_barrier
	ds_write_b32 v72, v29
	s_waitcnt lgkmcnt(0)
	s_barrier
	ds_read_b32 v74, v67 offset:228
	s_cmp_lt_i32 s22, 59
	v_mov_b32_e32 v72, 57
	s_cbranch_scc1 .LBB126_967
; %bb.965:
	v_add_u32_e32 v76, 0xe8, v67
	v_mov_b32_e32 v72, 57
	s_mov_b32 s0, 58
.LBB126_966:                            ; =>This Inner Loop Header: Depth=1
	ds_read_b32 v77, v76
	v_mov_b32_e32 v78, s0
	s_add_i32 s0, s0, 1
	v_add_u32_e32 v76, 4, v76
	s_cmp_lg_u32 s22, s0
	s_waitcnt lgkmcnt(0)
	v_cmp_lt_f32_e64 vcc, |v74|, |v77|
	s_nop 1
	v_cndmask_b32_e32 v74, v74, v77, vcc
	v_cndmask_b32_e32 v72, v72, v78, vcc
	s_cbranch_scc1 .LBB126_966
.LBB126_967:
	s_waitcnt lgkmcnt(0)
	v_cmp_eq_f32_e32 vcc, 0, v74
	s_and_saveexec_b64 s[0:1], vcc
	s_xor_b64 s[0:1], exec, s[0:1]
; %bb.968:
	v_cmp_ne_u32_e32 vcc, 0, v71
	s_nop 1
	v_cndmask_b32_e32 v71, 58, v71, vcc
; %bb.969:
	s_andn2_saveexec_b64 s[0:1], s[0:1]
	s_cbranch_execz .LBB126_971
; %bb.970:
	v_div_scale_f32 v76, s[2:3], v74, v74, 1.0
	v_rcp_f32_e32 v77, v76
	v_div_scale_f32 v78, vcc, 1.0, v74, 1.0
	v_fma_f32 v79, -v76, v77, 1.0
	v_fmac_f32_e32 v77, v79, v77
	v_mul_f32_e32 v79, v78, v77
	v_fma_f32 v80, -v76, v79, v78
	v_fmac_f32_e32 v79, v80, v77
	v_fma_f32 v76, -v76, v79, v78
	v_div_fmas_f32 v76, v76, v77, v79
	v_div_fixup_f32 v74, v76, v74, 1.0
.LBB126_971:
	s_or_b64 exec, exec, s[0:1]
	v_cmp_ne_u32_e32 vcc, v75, v72
	s_and_saveexec_b64 s[0:1], vcc
	s_xor_b64 s[0:1], exec, s[0:1]
	s_cbranch_execz .LBB126_977
; %bb.972:
	v_cmp_eq_u32_e32 vcc, 57, v75
	s_and_saveexec_b64 s[2:3], vcc
	s_cbranch_execz .LBB126_976
; %bb.973:
	v_cmp_ne_u32_e32 vcc, 57, v72
	s_xor_b64 s[12:13], s[20:21], -1
	s_and_b64 s[14:15], s[12:13], vcc
	s_and_saveexec_b64 s[12:13], s[14:15]
	s_cbranch_execz .LBB126_975
; %bb.974:
	v_ashrrev_i32_e32 v73, 31, v72
	v_lshl_add_u64 v[76:77], v[72:73], 2, v[4:5]
	global_load_dword v73, v[76:77], off
	global_load_dword v75, v[4:5], off offset:228
	s_waitcnt vmcnt(1)
	global_store_dword v[4:5], v73, off offset:228
	s_waitcnt vmcnt(1)
	global_store_dword v[76:77], v75, off
.LBB126_975:
	s_or_b64 exec, exec, s[12:13]
	v_mov_b32_e32 v73, v72
	v_mov_b32_e32 v75, v72
.LBB126_976:
	s_or_b64 exec, exec, s[2:3]
.LBB126_977:
	s_andn2_saveexec_b64 s[0:1], s[0:1]
	s_cbranch_execz .LBB126_979
; %bb.978:
	v_mov_b32_e32 v75, 57
	ds_write2_b32 v67, v16, v17 offset0:58 offset1:59
	ds_write2_b32 v67, v10, v11 offset0:60 offset1:61
	;; [unrolled: 1-line block ×3, first 2 shown]
.LBB126_979:
	s_or_b64 exec, exec, s[0:1]
	v_cmp_lt_i32_e32 vcc, 57, v75
	s_waitcnt lgkmcnt(0)
	s_barrier
	s_and_saveexec_b64 s[0:1], vcc
	s_cbranch_execz .LBB126_981
; %bb.980:
	ds_read2_b32 v[76:77], v67 offset0:58 offset1:59
	ds_read2_b32 v[78:79], v67 offset0:60 offset1:61
	;; [unrolled: 1-line block ×3, first 2 shown]
	v_mul_f32_e32 v72, v74, v29
	v_mov_b32_e32 v29, v72
	s_waitcnt lgkmcnt(2)
	v_pk_fma_f32 v[16:17], v[72:73], v[76:77], v[16:17] op_sel_hi:[0,1,1] neg_lo:[1,0,0] neg_hi:[1,0,0]
	s_waitcnt lgkmcnt(1)
	v_pk_fma_f32 v[10:11], v[72:73], v[78:79], v[10:11] op_sel_hi:[0,1,1] neg_lo:[1,0,0] neg_hi:[1,0,0]
	s_waitcnt lgkmcnt(0)
	v_pk_fma_f32 v[8:9], v[72:73], v[80:81], v[8:9] op_sel_hi:[0,1,1] neg_lo:[1,0,0] neg_hi:[1,0,0]
.LBB126_981:
	s_or_b64 exec, exec, s[0:1]
	v_lshl_add_u32 v72, v75, 2, v67
	s_barrier
	ds_write_b32 v72, v16
	s_waitcnt lgkmcnt(0)
	s_barrier
	ds_read_b32 v74, v67 offset:232
	s_cmp_lt_i32 s22, 60
	v_mov_b32_e32 v72, 58
	s_cbranch_scc1 .LBB126_984
; %bb.982:
	v_add_u32_e32 v76, 0xec, v67
	v_mov_b32_e32 v72, 58
	s_mov_b32 s0, 59
.LBB126_983:                            ; =>This Inner Loop Header: Depth=1
	ds_read_b32 v77, v76
	v_mov_b32_e32 v78, s0
	s_add_i32 s0, s0, 1
	v_add_u32_e32 v76, 4, v76
	s_cmp_lg_u32 s22, s0
	s_waitcnt lgkmcnt(0)
	v_cmp_lt_f32_e64 vcc, |v74|, |v77|
	s_nop 1
	v_cndmask_b32_e32 v74, v74, v77, vcc
	v_cndmask_b32_e32 v72, v72, v78, vcc
	s_cbranch_scc1 .LBB126_983
.LBB126_984:
	s_waitcnt lgkmcnt(0)
	v_cmp_eq_f32_e32 vcc, 0, v74
	s_and_saveexec_b64 s[0:1], vcc
	s_xor_b64 s[0:1], exec, s[0:1]
; %bb.985:
	v_cmp_ne_u32_e32 vcc, 0, v71
	s_nop 1
	v_cndmask_b32_e32 v71, 59, v71, vcc
; %bb.986:
	s_andn2_saveexec_b64 s[0:1], s[0:1]
	s_cbranch_execz .LBB126_988
; %bb.987:
	v_div_scale_f32 v76, s[2:3], v74, v74, 1.0
	v_rcp_f32_e32 v77, v76
	v_div_scale_f32 v78, vcc, 1.0, v74, 1.0
	v_fma_f32 v79, -v76, v77, 1.0
	v_fmac_f32_e32 v77, v79, v77
	v_mul_f32_e32 v79, v78, v77
	v_fma_f32 v80, -v76, v79, v78
	v_fmac_f32_e32 v79, v80, v77
	v_fma_f32 v76, -v76, v79, v78
	v_div_fmas_f32 v76, v76, v77, v79
	v_div_fixup_f32 v74, v76, v74, 1.0
.LBB126_988:
	s_or_b64 exec, exec, s[0:1]
	v_cmp_ne_u32_e32 vcc, v75, v72
	s_and_saveexec_b64 s[0:1], vcc
	s_xor_b64 s[0:1], exec, s[0:1]
	s_cbranch_execz .LBB126_994
; %bb.989:
	v_cmp_eq_u32_e32 vcc, 58, v75
	s_and_saveexec_b64 s[2:3], vcc
	s_cbranch_execz .LBB126_993
; %bb.990:
	v_cmp_ne_u32_e32 vcc, 58, v72
	s_xor_b64 s[12:13], s[20:21], -1
	s_and_b64 s[14:15], s[12:13], vcc
	s_and_saveexec_b64 s[12:13], s[14:15]
	s_cbranch_execz .LBB126_992
; %bb.991:
	v_ashrrev_i32_e32 v73, 31, v72
	v_lshl_add_u64 v[76:77], v[72:73], 2, v[4:5]
	global_load_dword v73, v[76:77], off
	global_load_dword v75, v[4:5], off offset:232
	s_waitcnt vmcnt(1)
	global_store_dword v[4:5], v73, off offset:232
	s_waitcnt vmcnt(1)
	global_store_dword v[76:77], v75, off
.LBB126_992:
	s_or_b64 exec, exec, s[12:13]
	v_mov_b32_e32 v73, v72
	v_mov_b32_e32 v75, v72
.LBB126_993:
	s_or_b64 exec, exec, s[2:3]
.LBB126_994:
	s_andn2_saveexec_b64 s[0:1], s[0:1]
	s_cbranch_execz .LBB126_996
; %bb.995:
	v_pk_mov_b32 v[76:77], v[16:17], v[10:11] op_sel:[1,0]
	ds_write2_b32 v67, v76, v77 offset0:59 offset1:60
	v_pk_mov_b32 v[76:77], v[10:11], v[8:9] op_sel:[1,0]
	v_mov_b32_e32 v75, 58
	ds_write2_b32 v67, v76, v77 offset0:61 offset1:62
	ds_write_b32 v67, v9 offset:252
.LBB126_996:
	s_or_b64 exec, exec, s[0:1]
	v_cmp_lt_i32_e32 vcc, 58, v75
	s_waitcnt lgkmcnt(0)
	s_barrier
	s_and_saveexec_b64 s[0:1], vcc
	s_cbranch_execz .LBB126_998
; %bb.997:
	ds_read_b32 v72, v67 offset:236
	ds_read2_b32 v[76:77], v67 offset0:60 offset1:61
	ds_read2_b32 v[78:79], v67 offset0:62 offset1:63
	v_mul_f32_e32 v16, v74, v16
	s_waitcnt lgkmcnt(2)
	v_fma_f32 v17, -v16, v72, v17
	s_waitcnt lgkmcnt(1)
	v_pk_fma_f32 v[10:11], v[16:17], v[76:77], v[10:11] op_sel_hi:[0,1,1] neg_lo:[1,0,0] neg_hi:[1,0,0]
	s_waitcnt lgkmcnt(0)
	v_pk_fma_f32 v[8:9], v[16:17], v[78:79], v[8:9] op_sel_hi:[0,1,1] neg_lo:[1,0,0] neg_hi:[1,0,0]
.LBB126_998:
	s_or_b64 exec, exec, s[0:1]
	v_lshl_add_u32 v72, v75, 2, v67
	s_barrier
	ds_write_b32 v72, v17
	s_waitcnt lgkmcnt(0)
	s_barrier
	ds_read_b32 v74, v67 offset:236
	s_cmp_lt_i32 s22, 61
	v_mov_b32_e32 v72, 59
	s_cbranch_scc1 .LBB126_1001
; %bb.999:
	v_add_u32_e32 v76, 0xf0, v67
	v_mov_b32_e32 v72, 59
	s_mov_b32 s0, 60
.LBB126_1000:                           ; =>This Inner Loop Header: Depth=1
	ds_read_b32 v77, v76
	v_mov_b32_e32 v78, s0
	s_add_i32 s0, s0, 1
	v_add_u32_e32 v76, 4, v76
	s_cmp_lg_u32 s22, s0
	s_waitcnt lgkmcnt(0)
	v_cmp_lt_f32_e64 vcc, |v74|, |v77|
	s_nop 1
	v_cndmask_b32_e32 v74, v74, v77, vcc
	v_cndmask_b32_e32 v72, v72, v78, vcc
	s_cbranch_scc1 .LBB126_1000
.LBB126_1001:
	s_waitcnt lgkmcnt(0)
	v_cmp_eq_f32_e32 vcc, 0, v74
	s_and_saveexec_b64 s[0:1], vcc
	s_xor_b64 s[0:1], exec, s[0:1]
; %bb.1002:
	v_cmp_ne_u32_e32 vcc, 0, v71
	s_nop 1
	v_cndmask_b32_e32 v71, 60, v71, vcc
; %bb.1003:
	s_andn2_saveexec_b64 s[0:1], s[0:1]
	s_cbranch_execz .LBB126_1005
; %bb.1004:
	v_div_scale_f32 v76, s[2:3], v74, v74, 1.0
	v_rcp_f32_e32 v77, v76
	v_div_scale_f32 v78, vcc, 1.0, v74, 1.0
	v_fma_f32 v79, -v76, v77, 1.0
	v_fmac_f32_e32 v77, v79, v77
	v_mul_f32_e32 v79, v78, v77
	v_fma_f32 v80, -v76, v79, v78
	v_fmac_f32_e32 v79, v80, v77
	v_fma_f32 v76, -v76, v79, v78
	v_div_fmas_f32 v76, v76, v77, v79
	v_div_fixup_f32 v74, v76, v74, 1.0
.LBB126_1005:
	s_or_b64 exec, exec, s[0:1]
	v_cmp_ne_u32_e32 vcc, v75, v72
	s_and_saveexec_b64 s[0:1], vcc
	s_xor_b64 s[0:1], exec, s[0:1]
	s_cbranch_execz .LBB126_1011
; %bb.1006:
	v_cmp_eq_u32_e32 vcc, 59, v75
	s_and_saveexec_b64 s[2:3], vcc
	s_cbranch_execz .LBB126_1010
; %bb.1007:
	v_cmp_ne_u32_e32 vcc, 59, v72
	s_xor_b64 s[12:13], s[20:21], -1
	s_and_b64 s[14:15], s[12:13], vcc
	s_and_saveexec_b64 s[12:13], s[14:15]
	s_cbranch_execz .LBB126_1009
; %bb.1008:
	v_ashrrev_i32_e32 v73, 31, v72
	v_lshl_add_u64 v[76:77], v[72:73], 2, v[4:5]
	global_load_dword v73, v[76:77], off
	global_load_dword v75, v[4:5], off offset:236
	s_waitcnt vmcnt(1)
	global_store_dword v[4:5], v73, off offset:236
	s_waitcnt vmcnt(1)
	global_store_dword v[76:77], v75, off
.LBB126_1009:
	s_or_b64 exec, exec, s[12:13]
	v_mov_b32_e32 v73, v72
	v_mov_b32_e32 v75, v72
.LBB126_1010:
	s_or_b64 exec, exec, s[2:3]
.LBB126_1011:
	s_andn2_saveexec_b64 s[0:1], s[0:1]
	s_cbranch_execz .LBB126_1013
; %bb.1012:
	v_mov_b32_e32 v75, 59
	ds_write2_b32 v67, v10, v11 offset0:60 offset1:61
	ds_write2_b32 v67, v8, v9 offset0:62 offset1:63
.LBB126_1013:
	s_or_b64 exec, exec, s[0:1]
	v_cmp_lt_i32_e32 vcc, 59, v75
	s_waitcnt lgkmcnt(0)
	s_barrier
	s_and_saveexec_b64 s[0:1], vcc
	s_cbranch_execz .LBB126_1015
; %bb.1014:
	ds_read2_b32 v[76:77], v67 offset0:60 offset1:61
	ds_read2_b32 v[78:79], v67 offset0:62 offset1:63
	v_mul_f32_e32 v72, v74, v17
	v_mov_b32_e32 v17, v72
	s_waitcnt lgkmcnt(1)
	v_pk_fma_f32 v[10:11], v[72:73], v[76:77], v[10:11] op_sel_hi:[0,1,1] neg_lo:[1,0,0] neg_hi:[1,0,0]
	s_waitcnt lgkmcnt(0)
	v_pk_fma_f32 v[8:9], v[72:73], v[78:79], v[8:9] op_sel_hi:[0,1,1] neg_lo:[1,0,0] neg_hi:[1,0,0]
.LBB126_1015:
	s_or_b64 exec, exec, s[0:1]
	v_lshl_add_u32 v72, v75, 2, v67
	s_barrier
	ds_write_b32 v72, v10
	s_waitcnt lgkmcnt(0)
	s_barrier
	ds_read_b32 v74, v67 offset:240
	s_cmp_lt_i32 s22, 62
	v_mov_b32_e32 v72, 60
	s_cbranch_scc1 .LBB126_1018
; %bb.1016:
	v_add_u32_e32 v76, 0xf4, v67
	v_mov_b32_e32 v72, 60
	s_mov_b32 s0, 61
.LBB126_1017:                           ; =>This Inner Loop Header: Depth=1
	ds_read_b32 v77, v76
	v_mov_b32_e32 v78, s0
	s_add_i32 s0, s0, 1
	v_add_u32_e32 v76, 4, v76
	s_cmp_lg_u32 s22, s0
	s_waitcnt lgkmcnt(0)
	v_cmp_lt_f32_e64 vcc, |v74|, |v77|
	s_nop 1
	v_cndmask_b32_e32 v74, v74, v77, vcc
	v_cndmask_b32_e32 v72, v72, v78, vcc
	s_cbranch_scc1 .LBB126_1017
.LBB126_1018:
	s_waitcnt lgkmcnt(0)
	v_cmp_eq_f32_e32 vcc, 0, v74
	s_and_saveexec_b64 s[0:1], vcc
	s_xor_b64 s[0:1], exec, s[0:1]
; %bb.1019:
	v_cmp_ne_u32_e32 vcc, 0, v71
	s_nop 1
	v_cndmask_b32_e32 v71, 61, v71, vcc
; %bb.1020:
	s_andn2_saveexec_b64 s[0:1], s[0:1]
	s_cbranch_execz .LBB126_1022
; %bb.1021:
	v_div_scale_f32 v76, s[2:3], v74, v74, 1.0
	v_rcp_f32_e32 v77, v76
	v_div_scale_f32 v78, vcc, 1.0, v74, 1.0
	v_fma_f32 v79, -v76, v77, 1.0
	v_fmac_f32_e32 v77, v79, v77
	v_mul_f32_e32 v79, v78, v77
	v_fma_f32 v80, -v76, v79, v78
	v_fmac_f32_e32 v79, v80, v77
	v_fma_f32 v76, -v76, v79, v78
	v_div_fmas_f32 v76, v76, v77, v79
	v_div_fixup_f32 v74, v76, v74, 1.0
.LBB126_1022:
	s_or_b64 exec, exec, s[0:1]
	v_cmp_ne_u32_e32 vcc, v75, v72
	s_and_saveexec_b64 s[0:1], vcc
	s_xor_b64 s[0:1], exec, s[0:1]
	s_cbranch_execz .LBB126_1028
; %bb.1023:
	v_cmp_eq_u32_e32 vcc, 60, v75
	s_and_saveexec_b64 s[2:3], vcc
	s_cbranch_execz .LBB126_1027
; %bb.1024:
	v_cmp_ne_u32_e32 vcc, 60, v72
	s_xor_b64 s[12:13], s[20:21], -1
	s_and_b64 s[14:15], s[12:13], vcc
	s_and_saveexec_b64 s[12:13], s[14:15]
	s_cbranch_execz .LBB126_1026
; %bb.1025:
	v_ashrrev_i32_e32 v73, 31, v72
	v_lshl_add_u64 v[76:77], v[72:73], 2, v[4:5]
	global_load_dword v73, v[76:77], off
	global_load_dword v75, v[4:5], off offset:240
	s_waitcnt vmcnt(1)
	global_store_dword v[4:5], v73, off offset:240
	s_waitcnt vmcnt(1)
	global_store_dword v[76:77], v75, off
.LBB126_1026:
	s_or_b64 exec, exec, s[12:13]
	v_mov_b32_e32 v73, v72
	v_mov_b32_e32 v75, v72
.LBB126_1027:
	s_or_b64 exec, exec, s[2:3]
.LBB126_1028:
	s_andn2_saveexec_b64 s[0:1], s[0:1]
	s_cbranch_execz .LBB126_1030
; %bb.1029:
	v_pk_mov_b32 v[76:77], v[10:11], v[8:9] op_sel:[1,0]
	v_mov_b32_e32 v75, 60
	ds_write2_b32 v67, v76, v77 offset0:61 offset1:62
	ds_write_b32 v67, v9 offset:252
.LBB126_1030:
	s_or_b64 exec, exec, s[0:1]
	v_cmp_lt_i32_e32 vcc, 60, v75
	s_waitcnt lgkmcnt(0)
	s_barrier
	s_and_saveexec_b64 s[0:1], vcc
	s_cbranch_execz .LBB126_1032
; %bb.1031:
	ds_read_b32 v72, v67 offset:244
	ds_read2_b32 v[76:77], v67 offset0:62 offset1:63
	v_mul_f32_e32 v10, v74, v10
	s_waitcnt lgkmcnt(1)
	v_fma_f32 v11, -v10, v72, v11
	s_waitcnt lgkmcnt(0)
	v_pk_fma_f32 v[8:9], v[10:11], v[76:77], v[8:9] op_sel_hi:[0,1,1] neg_lo:[1,0,0] neg_hi:[1,0,0]
.LBB126_1032:
	s_or_b64 exec, exec, s[0:1]
	v_lshl_add_u32 v72, v75, 2, v67
	s_barrier
	ds_write_b32 v72, v11
	s_waitcnt lgkmcnt(0)
	s_barrier
	ds_read_b32 v74, v67 offset:244
	s_cmp_lt_i32 s22, 63
	v_mov_b32_e32 v72, 61
	s_cbranch_scc1 .LBB126_1035
; %bb.1033:
	v_add_u32_e32 v76, 0xf8, v67
	v_mov_b32_e32 v72, 61
	s_mov_b32 s0, 62
.LBB126_1034:                           ; =>This Inner Loop Header: Depth=1
	ds_read_b32 v77, v76
	v_mov_b32_e32 v78, s0
	s_add_i32 s0, s0, 1
	v_add_u32_e32 v76, 4, v76
	s_cmp_lg_u32 s22, s0
	s_waitcnt lgkmcnt(0)
	v_cmp_lt_f32_e64 vcc, |v74|, |v77|
	s_nop 1
	v_cndmask_b32_e32 v74, v74, v77, vcc
	v_cndmask_b32_e32 v72, v72, v78, vcc
	s_cbranch_scc1 .LBB126_1034
.LBB126_1035:
	s_waitcnt lgkmcnt(0)
	v_cmp_eq_f32_e32 vcc, 0, v74
	s_and_saveexec_b64 s[0:1], vcc
	s_xor_b64 s[0:1], exec, s[0:1]
; %bb.1036:
	v_cmp_ne_u32_e32 vcc, 0, v71
	s_nop 1
	v_cndmask_b32_e32 v71, 62, v71, vcc
; %bb.1037:
	s_andn2_saveexec_b64 s[0:1], s[0:1]
	s_cbranch_execz .LBB126_1039
; %bb.1038:
	v_div_scale_f32 v76, s[2:3], v74, v74, 1.0
	v_rcp_f32_e32 v77, v76
	v_div_scale_f32 v78, vcc, 1.0, v74, 1.0
	v_fma_f32 v79, -v76, v77, 1.0
	v_fmac_f32_e32 v77, v79, v77
	v_mul_f32_e32 v79, v78, v77
	v_fma_f32 v80, -v76, v79, v78
	v_fmac_f32_e32 v79, v80, v77
	v_fma_f32 v76, -v76, v79, v78
	v_div_fmas_f32 v76, v76, v77, v79
	v_div_fixup_f32 v74, v76, v74, 1.0
.LBB126_1039:
	s_or_b64 exec, exec, s[0:1]
	v_cmp_ne_u32_e32 vcc, v75, v72
	s_and_saveexec_b64 s[0:1], vcc
	s_xor_b64 s[0:1], exec, s[0:1]
	s_cbranch_execz .LBB126_1045
; %bb.1040:
	v_cmp_eq_u32_e32 vcc, 61, v75
	s_and_saveexec_b64 s[2:3], vcc
	s_cbranch_execz .LBB126_1044
; %bb.1041:
	v_cmp_ne_u32_e32 vcc, 61, v72
	s_xor_b64 s[12:13], s[20:21], -1
	s_and_b64 s[14:15], s[12:13], vcc
	s_and_saveexec_b64 s[12:13], s[14:15]
	s_cbranch_execz .LBB126_1043
; %bb.1042:
	v_ashrrev_i32_e32 v73, 31, v72
	v_lshl_add_u64 v[76:77], v[72:73], 2, v[4:5]
	global_load_dword v73, v[76:77], off
	global_load_dword v75, v[4:5], off offset:244
	s_waitcnt vmcnt(1)
	global_store_dword v[4:5], v73, off offset:244
	s_waitcnt vmcnt(1)
	global_store_dword v[76:77], v75, off
.LBB126_1043:
	s_or_b64 exec, exec, s[12:13]
	v_mov_b32_e32 v73, v72
	v_mov_b32_e32 v75, v72
.LBB126_1044:
	s_or_b64 exec, exec, s[2:3]
.LBB126_1045:
	s_andn2_saveexec_b64 s[0:1], s[0:1]
; %bb.1046:
	v_mov_b32_e32 v75, 61
	ds_write2_b32 v67, v8, v9 offset0:62 offset1:63
; %bb.1047:
	s_or_b64 exec, exec, s[0:1]
	v_cmp_lt_i32_e32 vcc, 61, v75
	s_waitcnt lgkmcnt(0)
	s_barrier
	s_and_saveexec_b64 s[0:1], vcc
	s_cbranch_execz .LBB126_1049
; %bb.1048:
	ds_read2_b32 v[76:77], v67 offset0:62 offset1:63
	v_mul_f32_e32 v72, v74, v11
	v_mov_b32_e32 v11, v72
	s_waitcnt lgkmcnt(0)
	v_pk_fma_f32 v[8:9], v[72:73], v[76:77], v[8:9] op_sel_hi:[0,1,1] neg_lo:[1,0,0] neg_hi:[1,0,0]
.LBB126_1049:
	s_or_b64 exec, exec, s[0:1]
	v_lshl_add_u32 v72, v75, 2, v67
	s_barrier
	ds_write_b32 v72, v8
	s_waitcnt lgkmcnt(0)
	s_barrier
	ds_read_b32 v74, v67 offset:248
	s_cmp_lt_i32 s22, 64
	v_mov_b32_e32 v72, 62
	s_cbranch_scc1 .LBB126_1052
; %bb.1050:
	v_add_u32_e32 v76, 0xfc, v67
	v_mov_b32_e32 v72, 62
	s_mov_b32 s0, 63
.LBB126_1051:                           ; =>This Inner Loop Header: Depth=1
	ds_read_b32 v77, v76
	v_mov_b32_e32 v78, s0
	s_add_i32 s0, s0, 1
	v_add_u32_e32 v76, 4, v76
	s_cmp_lg_u32 s22, s0
	s_waitcnt lgkmcnt(0)
	v_cmp_lt_f32_e64 vcc, |v74|, |v77|
	s_nop 1
	v_cndmask_b32_e32 v74, v74, v77, vcc
	v_cndmask_b32_e32 v72, v72, v78, vcc
	s_cbranch_scc1 .LBB126_1051
.LBB126_1052:
	s_waitcnt lgkmcnt(0)
	v_cmp_eq_f32_e32 vcc, 0, v74
	s_and_saveexec_b64 s[0:1], vcc
	s_xor_b64 s[0:1], exec, s[0:1]
; %bb.1053:
	v_cmp_ne_u32_e32 vcc, 0, v71
	s_nop 1
	v_cndmask_b32_e32 v71, 63, v71, vcc
; %bb.1054:
	s_andn2_saveexec_b64 s[0:1], s[0:1]
	s_cbranch_execz .LBB126_1056
; %bb.1055:
	v_div_scale_f32 v76, s[2:3], v74, v74, 1.0
	v_rcp_f32_e32 v77, v76
	v_div_scale_f32 v78, vcc, 1.0, v74, 1.0
	v_fma_f32 v79, -v76, v77, 1.0
	v_fmac_f32_e32 v77, v79, v77
	v_mul_f32_e32 v79, v78, v77
	v_fma_f32 v80, -v76, v79, v78
	v_fmac_f32_e32 v79, v80, v77
	v_fma_f32 v76, -v76, v79, v78
	v_div_fmas_f32 v76, v76, v77, v79
	v_div_fixup_f32 v74, v76, v74, 1.0
.LBB126_1056:
	s_or_b64 exec, exec, s[0:1]
	v_cmp_ne_u32_e32 vcc, v75, v72
	s_and_saveexec_b64 s[0:1], vcc
	s_xor_b64 s[0:1], exec, s[0:1]
	s_cbranch_execz .LBB126_1062
; %bb.1057:
	v_cmp_eq_u32_e32 vcc, 62, v75
	s_and_saveexec_b64 s[2:3], vcc
	s_cbranch_execz .LBB126_1061
; %bb.1058:
	v_cmp_ne_u32_e32 vcc, 62, v72
	s_xor_b64 s[12:13], s[20:21], -1
	s_and_b64 s[14:15], s[12:13], vcc
	s_and_saveexec_b64 s[12:13], s[14:15]
	s_cbranch_execz .LBB126_1060
; %bb.1059:
	v_ashrrev_i32_e32 v73, 31, v72
	v_lshl_add_u64 v[76:77], v[72:73], 2, v[4:5]
	global_load_dword v73, v[76:77], off
	global_load_dword v75, v[4:5], off offset:248
	s_waitcnt vmcnt(1)
	global_store_dword v[4:5], v73, off offset:248
	s_waitcnt vmcnt(1)
	global_store_dword v[76:77], v75, off
.LBB126_1060:
	s_or_b64 exec, exec, s[12:13]
	v_mov_b32_e32 v73, v72
	v_mov_b32_e32 v75, v72
.LBB126_1061:
	s_or_b64 exec, exec, s[2:3]
.LBB126_1062:
	s_andn2_saveexec_b64 s[0:1], s[0:1]
; %bb.1063:
	v_mov_b32_e32 v75, 62
	ds_write_b32 v67, v9 offset:252
; %bb.1064:
	s_or_b64 exec, exec, s[0:1]
	v_cmp_lt_i32_e32 vcc, 62, v75
	s_waitcnt lgkmcnt(0)
	s_barrier
	s_and_saveexec_b64 s[0:1], vcc
	s_cbranch_execz .LBB126_1066
; %bb.1065:
	ds_read_b32 v72, v67 offset:252
	v_mul_f32_e32 v8, v74, v8
	s_waitcnt lgkmcnt(0)
	v_fma_f32 v9, -v8, v72, v9
.LBB126_1066:
	s_or_b64 exec, exec, s[0:1]
	v_lshl_add_u32 v72, v75, 2, v67
	s_barrier
	ds_write_b32 v72, v9
	s_waitcnt lgkmcnt(0)
	s_barrier
	ds_read_b32 v76, v67 offset:252
	s_cmpk_lt_i32 s22, 0x41
	v_mov_b32_e32 v72, 63
	s_cbranch_scc1 .LBB126_1069
; %bb.1067:
	v_add_u32_e32 v67, 0x100, v67
	v_mov_b32_e32 v72, 63
	s_mov_b32 s0, 64
.LBB126_1068:                           ; =>This Inner Loop Header: Depth=1
	ds_read_b32 v74, v67
	v_mov_b32_e32 v77, s0
	s_add_i32 s0, s0, 1
	v_add_u32_e32 v67, 4, v67
	s_cmp_lg_u32 s22, s0
	s_waitcnt lgkmcnt(0)
	v_cmp_lt_f32_e64 vcc, |v76|, |v74|
	s_nop 1
	v_cndmask_b32_e32 v76, v76, v74, vcc
	v_cndmask_b32_e32 v72, v72, v77, vcc
	s_cbranch_scc1 .LBB126_1068
.LBB126_1069:
	s_waitcnt lgkmcnt(0)
	v_cmp_eq_f32_e32 vcc, 0, v76
	s_and_saveexec_b64 s[0:1], vcc
	s_xor_b64 s[0:1], exec, s[0:1]
; %bb.1070:
	v_cmp_ne_u32_e32 vcc, 0, v71
	s_nop 1
	v_cndmask_b32_e32 v71, 64, v71, vcc
; %bb.1071:
	s_andn2_saveexec_b64 s[0:1], s[0:1]
	s_cbranch_execz .LBB126_1073
; %bb.1072:
	v_div_scale_f32 v67, s[2:3], v76, v76, 1.0
	v_rcp_f32_e32 v74, v67
	v_div_scale_f32 v77, vcc, 1.0, v76, 1.0
	v_fma_f32 v78, -v67, v74, 1.0
	v_fmac_f32_e32 v74, v78, v74
	v_mul_f32_e32 v78, v77, v74
	v_fma_f32 v79, -v67, v78, v77
	v_fmac_f32_e32 v78, v79, v74
	v_fma_f32 v67, -v67, v78, v77
	v_div_fmas_f32 v67, v67, v74, v78
	v_div_fixup_f32 v76, v67, v76, 1.0
.LBB126_1073:
	s_or_b64 exec, exec, s[0:1]
	v_cmp_ne_u32_e32 vcc, v75, v72
	v_mov_b32_e32 v74, 63
	s_and_saveexec_b64 s[0:1], vcc
	s_cbranch_execz .LBB126_1079
; %bb.1074:
	v_cmp_eq_u32_e32 vcc, 63, v75
	s_and_saveexec_b64 s[2:3], vcc
	s_cbranch_execz .LBB126_1078
; %bb.1075:
	v_cmp_ne_u32_e32 vcc, 63, v72
	s_xor_b64 s[12:13], s[20:21], -1
	s_and_b64 s[14:15], s[12:13], vcc
	s_and_saveexec_b64 s[12:13], s[14:15]
	s_cbranch_execz .LBB126_1077
; %bb.1076:
	v_ashrrev_i32_e32 v73, 31, v72
	v_lshl_add_u64 v[74:75], v[72:73], 2, v[4:5]
	global_load_dword v67, v[74:75], off
	global_load_dword v73, v[4:5], off offset:252
	s_waitcnt vmcnt(1)
	global_store_dword v[4:5], v67, off offset:252
	s_waitcnt vmcnt(1)
	global_store_dword v[74:75], v73, off
.LBB126_1077:
	s_or_b64 exec, exec, s[12:13]
	v_mov_b32_e32 v73, v72
	v_mov_b32_e32 v75, v72
.LBB126_1078:
	s_or_b64 exec, exec, s[2:3]
	v_mov_b32_e32 v74, v75
.LBB126_1079:
	s_or_b64 exec, exec, s[0:1]
	v_cmp_gt_i32_e32 vcc, 64, v74
	v_ashrrev_i32_e32 v75, 31, v74
	s_barrier
	s_barrier
	s_and_saveexec_b64 s[0:1], vcc
	s_cbranch_execz .LBB126_1081
; %bb.1080:
	v_mul_lo_u32 v67, s11, v2
	v_mul_lo_u32 v72, s10, v3
	v_mad_u64_u32 v[78:79], s[2:3], s10, v2, 0
	v_mov_b32_e32 v4, s6
	v_mov_b32_e32 v5, s7
	v_add3_u32 v79, v79, v72, v67
	v_lshl_add_u64 v[4:5], v[78:79], 2, v[4:5]
	v_lshl_add_u64 v[4:5], s[8:9], 2, v[4:5]
	;; [unrolled: 1-line block ×3, first 2 shown]
	v_add3_u32 v67, v73, s19, 1
	global_store_dword v[4:5], v67, off
.LBB126_1081:
	s_or_b64 exec, exec, s[0:1]
	v_cmp_eq_u32_e32 vcc, 0, v74
	s_and_saveexec_b64 s[2:3], vcc
	s_cbranch_execz .LBB126_1084
; %bb.1082:
	v_mov_b32_e32 v4, s4
	v_mov_b32_e32 v5, s5
	v_lshl_add_u64 v[2:3], v[2:3], 2, v[4:5]
	global_load_dword v4, v[2:3], off
	v_cmp_ne_u32_e64 s[0:1], 0, v71
	s_waitcnt vmcnt(0)
	v_cmp_eq_u32_e32 vcc, 0, v4
	s_and_b64 s[0:1], vcc, s[0:1]
	s_and_b64 exec, exec, s[0:1]
	s_cbranch_execz .LBB126_1084
; %bb.1083:
	v_add_u32_e32 v4, s19, v71
	global_store_dword v[2:3], v4, off
.LBB126_1084:
	s_or_b64 exec, exec, s[2:3]
	v_mul_f32_e32 v2, v76, v9
	v_cmp_lt_i32_e32 vcc, 63, v74
	s_nop 1
	v_cndmask_b32_e32 v9, v9, v2, vcc
	v_lshl_add_u64 v[2:3], v[74:75], 2, v[6:7]
	global_store_dword v[2:3], v66, off
	v_lshl_add_u64 v[2:3], s[16:17], 2, v[2:3]
	global_store_dword v[2:3], v70, off
	v_add_u32_e32 v2, s18, v74
	v_ashrrev_i32_e32 v3, 31, v2
	v_lshl_add_u64 v[4:5], v[2:3], 2, v[6:7]
	v_add_u32_e32 v2, s16, v2
	v_ashrrev_i32_e32 v3, 31, v2
	global_store_dword v[4:5], v68, off
	v_lshl_add_u64 v[4:5], v[2:3], 2, v[6:7]
	v_add_u32_e32 v2, s16, v2
	v_ashrrev_i32_e32 v3, 31, v2
	global_store_dword v[4:5], v69, off
	;; [unrolled: 4-line block ×53, first 2 shown]
	v_lshl_add_u64 v[4:5], v[2:3], 2, v[6:7]
	v_add_u32_e32 v0, s16, v2
	global_store_dword v[4:5], v1, off
	v_ashrrev_i32_e32 v1, 31, v0
	v_lshl_add_u64 v[2:3], v[0:1], 2, v[6:7]
	v_add_u32_e32 v0, s16, v0
	v_ashrrev_i32_e32 v1, 31, v0
	global_store_dword v[2:3], v28, off
	v_lshl_add_u64 v[2:3], v[0:1], 2, v[6:7]
	v_add_u32_e32 v0, s16, v0
	v_ashrrev_i32_e32 v1, 31, v0
	global_store_dword v[2:3], v29, off
	;; [unrolled: 4-line block ×6, first 2 shown]
	v_lshl_add_u64 v[2:3], v[0:1], 2, v[6:7]
	v_add_u32_e32 v0, s16, v0
	v_ashrrev_i32_e32 v1, 31, v0
	v_lshl_add_u64 v[0:1], v[0:1], 2, v[6:7]
	global_store_dword v[2:3], v8, off
	global_store_dword v[0:1], v9, off
.LBB126_1085:
	s_endpgm
	.section	.rodata,"a",@progbits
	.p2align	6, 0x0
	.amdhsa_kernel _ZN9rocsolver6v33100L18getf2_small_kernelILi64EfiiPfEEvT1_T3_lS3_lPS3_llPT2_S3_S3_S5_l
		.amdhsa_group_segment_fixed_size 0
		.amdhsa_private_segment_fixed_size 0
		.amdhsa_kernarg_size 352
		.amdhsa_user_sgpr_count 2
		.amdhsa_user_sgpr_dispatch_ptr 0
		.amdhsa_user_sgpr_queue_ptr 0
		.amdhsa_user_sgpr_kernarg_segment_ptr 1
		.amdhsa_user_sgpr_dispatch_id 0
		.amdhsa_user_sgpr_kernarg_preload_length 0
		.amdhsa_user_sgpr_kernarg_preload_offset 0
		.amdhsa_user_sgpr_private_segment_size 0
		.amdhsa_uses_dynamic_stack 0
		.amdhsa_enable_private_segment 0
		.amdhsa_system_sgpr_workgroup_id_x 1
		.amdhsa_system_sgpr_workgroup_id_y 1
		.amdhsa_system_sgpr_workgroup_id_z 0
		.amdhsa_system_sgpr_workgroup_info 0
		.amdhsa_system_vgpr_workitem_id 1
		.amdhsa_next_free_vgpr 98
		.amdhsa_next_free_sgpr 26
		.amdhsa_accum_offset 100
		.amdhsa_reserve_vcc 1
		.amdhsa_float_round_mode_32 0
		.amdhsa_float_round_mode_16_64 0
		.amdhsa_float_denorm_mode_32 3
		.amdhsa_float_denorm_mode_16_64 3
		.amdhsa_dx10_clamp 1
		.amdhsa_ieee_mode 1
		.amdhsa_fp16_overflow 0
		.amdhsa_tg_split 0
		.amdhsa_exception_fp_ieee_invalid_op 0
		.amdhsa_exception_fp_denorm_src 0
		.amdhsa_exception_fp_ieee_div_zero 0
		.amdhsa_exception_fp_ieee_overflow 0
		.amdhsa_exception_fp_ieee_underflow 0
		.amdhsa_exception_fp_ieee_inexact 0
		.amdhsa_exception_int_div_zero 0
	.end_amdhsa_kernel
	.section	.text._ZN9rocsolver6v33100L18getf2_small_kernelILi64EfiiPfEEvT1_T3_lS3_lPS3_llPT2_S3_S3_S5_l,"axG",@progbits,_ZN9rocsolver6v33100L18getf2_small_kernelILi64EfiiPfEEvT1_T3_lS3_lPS3_llPT2_S3_S3_S5_l,comdat
.Lfunc_end126:
	.size	_ZN9rocsolver6v33100L18getf2_small_kernelILi64EfiiPfEEvT1_T3_lS3_lPS3_llPT2_S3_S3_S5_l, .Lfunc_end126-_ZN9rocsolver6v33100L18getf2_small_kernelILi64EfiiPfEEvT1_T3_lS3_lPS3_llPT2_S3_S3_S5_l
                                        ; -- End function
	.set _ZN9rocsolver6v33100L18getf2_small_kernelILi64EfiiPfEEvT1_T3_lS3_lPS3_llPT2_S3_S3_S5_l.num_vgpr, 98
	.set _ZN9rocsolver6v33100L18getf2_small_kernelILi64EfiiPfEEvT1_T3_lS3_lPS3_llPT2_S3_S3_S5_l.num_agpr, 0
	.set _ZN9rocsolver6v33100L18getf2_small_kernelILi64EfiiPfEEvT1_T3_lS3_lPS3_llPT2_S3_S3_S5_l.numbered_sgpr, 26
	.set _ZN9rocsolver6v33100L18getf2_small_kernelILi64EfiiPfEEvT1_T3_lS3_lPS3_llPT2_S3_S3_S5_l.num_named_barrier, 0
	.set _ZN9rocsolver6v33100L18getf2_small_kernelILi64EfiiPfEEvT1_T3_lS3_lPS3_llPT2_S3_S3_S5_l.private_seg_size, 0
	.set _ZN9rocsolver6v33100L18getf2_small_kernelILi64EfiiPfEEvT1_T3_lS3_lPS3_llPT2_S3_S3_S5_l.uses_vcc, 1
	.set _ZN9rocsolver6v33100L18getf2_small_kernelILi64EfiiPfEEvT1_T3_lS3_lPS3_llPT2_S3_S3_S5_l.uses_flat_scratch, 0
	.set _ZN9rocsolver6v33100L18getf2_small_kernelILi64EfiiPfEEvT1_T3_lS3_lPS3_llPT2_S3_S3_S5_l.has_dyn_sized_stack, 0
	.set _ZN9rocsolver6v33100L18getf2_small_kernelILi64EfiiPfEEvT1_T3_lS3_lPS3_llPT2_S3_S3_S5_l.has_recursion, 0
	.set _ZN9rocsolver6v33100L18getf2_small_kernelILi64EfiiPfEEvT1_T3_lS3_lPS3_llPT2_S3_S3_S5_l.has_indirect_call, 0
	.section	.AMDGPU.csdata,"",@progbits
; Kernel info:
; codeLenInByte = 60812
; TotalNumSgprs: 32
; NumVgprs: 98
; NumAgprs: 0
; TotalNumVgprs: 98
; ScratchSize: 0
; MemoryBound: 0
; FloatMode: 240
; IeeeMode: 1
; LDSByteSize: 0 bytes/workgroup (compile time only)
; SGPRBlocks: 3
; VGPRBlocks: 12
; NumSGPRsForWavesPerEU: 32
; NumVGPRsForWavesPerEU: 98
; AccumOffset: 100
; Occupancy: 4
; WaveLimiterHint : 0
; COMPUTE_PGM_RSRC2:SCRATCH_EN: 0
; COMPUTE_PGM_RSRC2:USER_SGPR: 2
; COMPUTE_PGM_RSRC2:TRAP_HANDLER: 0
; COMPUTE_PGM_RSRC2:TGID_X_EN: 1
; COMPUTE_PGM_RSRC2:TGID_Y_EN: 1
; COMPUTE_PGM_RSRC2:TGID_Z_EN: 0
; COMPUTE_PGM_RSRC2:TIDIG_COMP_CNT: 1
; COMPUTE_PGM_RSRC3_GFX90A:ACCUM_OFFSET: 24
; COMPUTE_PGM_RSRC3_GFX90A:TG_SPLIT: 0
	.section	.text._ZN9rocsolver6v33100L23getf2_npvt_small_kernelILi64EfiiPfEEvT1_T3_lS3_lPT2_S3_S3_,"axG",@progbits,_ZN9rocsolver6v33100L23getf2_npvt_small_kernelILi64EfiiPfEEvT1_T3_lS3_lPT2_S3_S3_,comdat
	.globl	_ZN9rocsolver6v33100L23getf2_npvt_small_kernelILi64EfiiPfEEvT1_T3_lS3_lPT2_S3_S3_ ; -- Begin function _ZN9rocsolver6v33100L23getf2_npvt_small_kernelILi64EfiiPfEEvT1_T3_lS3_lPT2_S3_S3_
	.p2align	8
	.type	_ZN9rocsolver6v33100L23getf2_npvt_small_kernelILi64EfiiPfEEvT1_T3_lS3_lPT2_S3_S3_,@function
_ZN9rocsolver6v33100L23getf2_npvt_small_kernelILi64EfiiPfEEvT1_T3_lS3_lPT2_S3_S3_: ; @_ZN9rocsolver6v33100L23getf2_npvt_small_kernelILi64EfiiPfEEvT1_T3_lS3_lPT2_S3_S3_
; %bb.0:
	s_load_dword s2, s[0:1], 0x44
	s_load_dwordx2 s[8:9], s[0:1], 0x30
	v_bfe_u32 v195, v0, 10, 10
	s_waitcnt lgkmcnt(0)
	s_lshr_b32 s10, s2, 16
	s_mul_i32 s3, s3, s10
	v_add_u32_e32 v24, s3, v195
	v_cmp_gt_i32_e32 vcc, s8, v24
	s_and_saveexec_b64 s[2:3], vcc
	s_cbranch_execz .LBB127_353
; %bb.1:
	s_load_dwordx4 s[12:15], s[0:1], 0x8
	s_load_dword s2, s[0:1], 0x18
	s_load_dwordx4 s[4:7], s[0:1], 0x20
	v_ashrrev_i32_e32 v25, 31, v24
	v_and_b32_e32 v193, 0x3ff, v0
	s_waitcnt lgkmcnt(0)
	v_mov_b32_e32 v0, s12
	v_mov_b32_e32 v1, s13
	v_mad_u64_u32 v[2:3], s[0:1], s4, v24, 0
	v_mul_lo_u32 v4, s5, v24
	v_mul_lo_u32 v5, s4, v25
	s_add_i32 s0, s2, s2
	v_add3_u32 v3, v3, v5, v4
	v_add_u32_e32 v4, s0, v193
	v_add_u32_e32 v6, s2, v4
	;; [unrolled: 1-line block ×60, first 2 shown]
	v_lshl_add_u64 v[0:1], v[2:3], 2, v[0:1]
	v_add_u32_e32 v128, s2, v124
	v_lshl_add_u64 v[126:127], s[14:15], 2, v[0:1]
	v_ashrrev_i32_e32 v5, 31, v4
	v_ashrrev_i32_e32 v7, 31, v6
	;; [unrolled: 1-line block ×61, first 2 shown]
	v_lshl_add_u64 v[2:3], v[4:5], 2, v[126:127]
	v_lshl_add_u64 v[4:5], v[6:7], 2, v[126:127]
	;; [unrolled: 1-line block ×61, first 2 shown]
	v_add_u32_e32 v128, s2, v128
	v_lshlrev_b32_e32 v0, 2, v193
	v_mov_b32_e32 v1, 0
	v_ashrrev_i32_e32 v129, 31, v128
	v_lshl_add_u64 v[0:1], v[126:127], 0, v[0:1]
	v_lshl_add_u64 v[126:127], v[128:129], 2, v[126:127]
	global_load_dword v180, v[14:15], off
	global_load_dword v181, v[16:17], off
	global_load_dword v152, v[18:19], off
	global_load_dword v153, v[20:21], off
	global_load_dword v178, v[22:23], off
	global_load_dword v179, v[26:27], off
	global_load_dword v150, v[28:29], off
	global_load_dword v151, v[30:31], off
	global_load_dword v176, v[32:33], off
	global_load_dword v177, v[34:35], off
	global_load_dword v148, v[36:37], off
	global_load_dword v149, v[38:39], off
	global_load_dword v174, v[40:41], off
	global_load_dword v175, v[42:43], off
	global_load_dword v146, v[44:45], off
	global_load_dword v147, v[46:47], off
	global_load_dword v172, v[48:49], off
	global_load_dword v173, v[50:51], off
	global_load_dword v144, v[52:53], off
	global_load_dword v145, v[54:55], off
	global_load_dword v170, v[56:57], off
	global_load_dword v171, v[58:59], off
	global_load_dword v142, v[60:61], off
	global_load_dword v143, v[62:63], off
	global_load_dword v168, v[64:65], off
	global_load_dword v169, v[66:67], off
	global_load_dword v140, v[68:69], off
	global_load_dword v141, v[70:71], off
	global_load_dword v166, v[72:73], off
	global_load_dword v167, v[74:75], off
	global_load_dword v138, v[76:77], off
	global_load_dword v139, v[78:79], off
	global_load_dword v164, v[80:81], off
	global_load_dword v165, v[82:83], off
	global_load_dword v136, v[84:85], off
	global_load_dword v137, v[86:87], off
	global_load_dword v162, v[88:89], off
	global_load_dword v163, v[90:91], off
	global_load_dword v134, v[92:93], off
	global_load_dword v135, v[94:95], off
	global_load_dword v160, v[96:97], off
	global_load_dword v161, v[98:99], off
	global_load_dword v132, v[100:101], off
	global_load_dword v133, v[102:103], off
	global_load_dword v158, v[104:105], off
	global_load_dword v159, v[106:107], off
	global_load_dword v130, v[108:109], off
	global_load_dword v131, v[110:111], off
	global_load_dword v156, v[112:113], off
	global_load_dword v157, v[114:115], off
	global_load_dword v128, v[116:117], off
	global_load_dword v129, v[118:119], off
	global_load_dword v154, v[120:121], off
	global_load_dword v155, v[122:123], off
	global_load_dword v182, v[124:125], off
	global_load_dword v183, v[126:127], off
	s_ashr_i32 s3, s2, 31
	scratch_store_dwordx2 off, v[2:3], off offset:24 ; 8-byte Folded Spill
	scratch_store_dwordx2 off, v[4:5], off offset:32 ; 8-byte Folded Spill
	v_lshl_add_u64 v[190:191], s[2:3], 2, v[0:1]
	global_load_dword v186, v[2:3], off
	global_load_dword v187, v[4:5], off
	;; [unrolled: 1-line block ×8, first 2 shown]
	s_lshl_b32 s0, s10, 8
	s_add_i32 s0, s0, 0
	v_lshl_add_u32 v197, v195, 8, 0
	v_lshl_add_u32 v195, v195, 2, s0
	v_cmp_ne_u32_e64 s[2:3], 0, v193
	v_cmp_eq_u32_e64 s[0:1], 0, v193
	s_and_saveexec_b64 s[4:5], s[0:1]
	s_cbranch_execz .LBB127_4
; %bb.2:
	s_waitcnt vmcnt(1)
	ds_write_b32 v195, v192
	s_waitcnt vmcnt(0)
	ds_write2_b32 v197, v194, v186 offset0:1 offset1:2
	ds_write2_b32 v197, v187, v188 offset0:3 offset1:4
	;; [unrolled: 1-line block ×31, first 2 shown]
	ds_write_b32 v197, v183 offset:252
	ds_read_b32 v196, v195
	s_waitcnt lgkmcnt(0)
	v_cmp_neq_f32_e32 vcc, 0, v196
	s_and_b64 exec, exec, vcc
	s_cbranch_execz .LBB127_4
; %bb.3:
	v_div_scale_f32 v198, s[10:11], v196, v196, 1.0
	v_rcp_f32_e32 v199, v198
	v_div_scale_f32 v200, vcc, 1.0, v196, 1.0
	v_fma_f32 v201, -v198, v199, 1.0
	v_fmac_f32_e32 v199, v201, v199
	v_mul_f32_e32 v201, v200, v199
	v_fma_f32 v202, -v198, v201, v200
	v_fmac_f32_e32 v201, v202, v199
	v_fma_f32 v198, -v198, v201, v200
	v_div_fmas_f32 v198, v198, v199, v201
	v_div_fixup_f32 v196, v198, v196, 1.0
	ds_write_b32 v195, v196
.LBB127_4:
	s_or_b64 exec, exec, s[4:5]
	s_waitcnt lgkmcnt(0)
	s_barrier
	ds_read_b32 v196, v195
	s_waitcnt lgkmcnt(0)
	scratch_store_dword off, v196, off      ; 4-byte Folded Spill
	s_and_saveexec_b64 s[4:5], s[2:3]
	s_cbranch_execz .LBB127_6
; %bb.5:
	ds_read_b32 v196, v197 offset:4
	ds_read2_b64 v[198:201], v197 offset0:1 offset1:2
	scratch_load_dword v202, off, off       ; 4-byte Folded Reload
	ds_read2_b64 v[206:209], v197 offset0:5 offset1:6
	s_waitcnt vmcnt(0)
	v_mul_f32_e32 v192, v202, v192
	ds_read2_b64 v[202:205], v197 offset0:3 offset1:4
	s_waitcnt lgkmcnt(2)
	v_pk_fma_f32 v[186:187], v[192:193], v[198:199], v[186:187] op_sel_hi:[0,1,1] neg_lo:[1,0,0] neg_hi:[1,0,0]
	v_pk_fma_f32 v[188:189], v[192:193], v[200:201], v[188:189] op_sel_hi:[0,1,1] neg_lo:[1,0,0] neg_hi:[1,0,0]
	ds_read2_b64 v[198:201], v197 offset0:7 offset1:8
	s_waitcnt lgkmcnt(2)
	v_pk_fma_f32 v[152:153], v[192:193], v[206:207], v[152:153] op_sel_hi:[0,1,1] neg_lo:[1,0,0] neg_hi:[1,0,0]
	s_waitcnt lgkmcnt(1)
	v_pk_fma_f32 v[184:185], v[192:193], v[202:203], v[184:185] op_sel_hi:[0,1,1] neg_lo:[1,0,0] neg_hi:[1,0,0]
	v_pk_fma_f32 v[180:181], v[192:193], v[204:205], v[180:181] op_sel_hi:[0,1,1] neg_lo:[1,0,0] neg_hi:[1,0,0]
	ds_read2_b64 v[202:205], v197 offset0:9 offset1:10
	v_pk_fma_f32 v[178:179], v[192:193], v[208:209], v[178:179] op_sel_hi:[0,1,1] neg_lo:[1,0,0] neg_hi:[1,0,0]
	s_waitcnt lgkmcnt(1)
	v_pk_fma_f32 v[150:151], v[192:193], v[198:199], v[150:151] op_sel_hi:[0,1,1] neg_lo:[1,0,0] neg_hi:[1,0,0]
	ds_read2_b64 v[206:209], v197 offset0:11 offset1:12
	v_pk_fma_f32 v[176:177], v[192:193], v[200:201], v[176:177] op_sel_hi:[0,1,1] neg_lo:[1,0,0] neg_hi:[1,0,0]
	ds_read2_b64 v[198:201], v197 offset0:13 offset1:14
	s_waitcnt lgkmcnt(2)
	v_pk_fma_f32 v[148:149], v[192:193], v[202:203], v[148:149] op_sel_hi:[0,1,1] neg_lo:[1,0,0] neg_hi:[1,0,0]
	v_pk_fma_f32 v[174:175], v[192:193], v[204:205], v[174:175] op_sel_hi:[0,1,1] neg_lo:[1,0,0] neg_hi:[1,0,0]
	s_waitcnt lgkmcnt(1)
	v_pk_fma_f32 v[146:147], v[192:193], v[206:207], v[146:147] op_sel_hi:[0,1,1] neg_lo:[1,0,0] neg_hi:[1,0,0]
	ds_read2_b64 v[202:205], v197 offset0:15 offset1:16
	v_pk_fma_f32 v[172:173], v[192:193], v[208:209], v[172:173] op_sel_hi:[0,1,1] neg_lo:[1,0,0] neg_hi:[1,0,0]
	s_waitcnt lgkmcnt(1)
	v_pk_fma_f32 v[144:145], v[192:193], v[198:199], v[144:145] op_sel_hi:[0,1,1] neg_lo:[1,0,0] neg_hi:[1,0,0]
	ds_read2_b64 v[206:209], v197 offset0:17 offset1:18
	v_pk_fma_f32 v[170:171], v[192:193], v[200:201], v[170:171] op_sel_hi:[0,1,1] neg_lo:[1,0,0] neg_hi:[1,0,0]
	ds_read2_b64 v[198:201], v197 offset0:19 offset1:20
	s_waitcnt lgkmcnt(2)
	v_pk_fma_f32 v[142:143], v[192:193], v[202:203], v[142:143] op_sel_hi:[0,1,1] neg_lo:[1,0,0] neg_hi:[1,0,0]
	v_pk_fma_f32 v[168:169], v[192:193], v[204:205], v[168:169] op_sel_hi:[0,1,1] neg_lo:[1,0,0] neg_hi:[1,0,0]
	s_waitcnt lgkmcnt(1)
	v_pk_fma_f32 v[140:141], v[192:193], v[206:207], v[140:141] op_sel_hi:[0,1,1] neg_lo:[1,0,0] neg_hi:[1,0,0]
	ds_read2_b64 v[202:205], v197 offset0:21 offset1:22
	v_pk_fma_f32 v[166:167], v[192:193], v[208:209], v[166:167] op_sel_hi:[0,1,1] neg_lo:[1,0,0] neg_hi:[1,0,0]
	s_waitcnt lgkmcnt(1)
	v_pk_fma_f32 v[138:139], v[192:193], v[198:199], v[138:139] op_sel_hi:[0,1,1] neg_lo:[1,0,0] neg_hi:[1,0,0]
	ds_read2_b64 v[206:209], v197 offset0:23 offset1:24
	v_pk_fma_f32 v[164:165], v[192:193], v[200:201], v[164:165] op_sel_hi:[0,1,1] neg_lo:[1,0,0] neg_hi:[1,0,0]
	ds_read2_b64 v[198:201], v197 offset0:25 offset1:26
	s_waitcnt lgkmcnt(2)
	v_pk_fma_f32 v[136:137], v[192:193], v[202:203], v[136:137] op_sel_hi:[0,1,1] neg_lo:[1,0,0] neg_hi:[1,0,0]
	v_pk_fma_f32 v[162:163], v[192:193], v[204:205], v[162:163] op_sel_hi:[0,1,1] neg_lo:[1,0,0] neg_hi:[1,0,0]
	s_waitcnt lgkmcnt(1)
	v_pk_fma_f32 v[134:135], v[192:193], v[206:207], v[134:135] op_sel_hi:[0,1,1] neg_lo:[1,0,0] neg_hi:[1,0,0]
	v_pk_fma_f32 v[160:161], v[192:193], v[208:209], v[160:161] op_sel_hi:[0,1,1] neg_lo:[1,0,0] neg_hi:[1,0,0]
	ds_read2_b64 v[202:205], v197 offset0:27 offset1:28
	ds_read2_b64 v[206:209], v197 offset0:29 offset1:30
	s_waitcnt lgkmcnt(2)
	v_pk_fma_f32 v[132:133], v[192:193], v[198:199], v[132:133] op_sel_hi:[0,1,1] neg_lo:[1,0,0] neg_hi:[1,0,0]
	ds_read_b64 v[198:199], v197 offset:248
	v_fma_f32 v194, -v192, v196, v194
	v_pk_fma_f32 v[158:159], v[192:193], v[200:201], v[158:159] op_sel_hi:[0,1,1] neg_lo:[1,0,0] neg_hi:[1,0,0]
	s_waitcnt lgkmcnt(2)
	v_pk_fma_f32 v[130:131], v[192:193], v[202:203], v[130:131] op_sel_hi:[0,1,1] neg_lo:[1,0,0] neg_hi:[1,0,0]
	v_pk_fma_f32 v[156:157], v[192:193], v[204:205], v[156:157] op_sel_hi:[0,1,1] neg_lo:[1,0,0] neg_hi:[1,0,0]
	s_waitcnt lgkmcnt(1)
	v_pk_fma_f32 v[128:129], v[192:193], v[206:207], v[128:129] op_sel_hi:[0,1,1] neg_lo:[1,0,0] neg_hi:[1,0,0]
	;; [unrolled: 3-line block ×3, first 2 shown]
.LBB127_6:
	s_or_b64 exec, exec, s[4:5]
	v_cmp_eq_u32_e32 vcc, 1, v193
	s_waitcnt vmcnt(63) expcnt(7) lgkmcnt(15)
	s_barrier
	s_and_saveexec_b64 s[2:3], vcc
	s_cbranch_execz .LBB127_9
; %bb.7:
	s_waitcnt vmcnt(1)
	ds_write_b32 v195, v194
	ds_write2_b64 v197, v[186:187], v[188:189] offset0:1 offset1:2
	ds_write2_b64 v197, v[184:185], v[180:181] offset0:3 offset1:4
	;; [unrolled: 1-line block ×15, first 2 shown]
	ds_write_b64 v197, v[182:183] offset:248
	ds_read_b32 v196, v195
	s_waitcnt lgkmcnt(0)
	v_cmp_neq_f32_e32 vcc, 0, v196
	s_and_b64 exec, exec, vcc
	s_cbranch_execz .LBB127_9
; %bb.8:
	v_div_scale_f32 v198, s[4:5], v196, v196, 1.0
	v_rcp_f32_e32 v199, v198
	v_div_scale_f32 v200, vcc, 1.0, v196, 1.0
	v_fma_f32 v201, -v198, v199, 1.0
	v_fmac_f32_e32 v199, v201, v199
	v_mul_f32_e32 v201, v200, v199
	v_fma_f32 v202, -v198, v201, v200
	v_fmac_f32_e32 v201, v202, v199
	v_fma_f32 v198, -v198, v201, v200
	v_div_fmas_f32 v198, v198, v199, v201
	v_div_fixup_f32 v196, v198, v196, 1.0
	ds_write_b32 v195, v196
.LBB127_9:
	s_or_b64 exec, exec, s[2:3]
	s_waitcnt lgkmcnt(0)
	s_barrier
	ds_read_b32 v196, v195
	v_cmp_lt_u32_e32 vcc, 1, v193
	s_and_saveexec_b64 s[2:3], vcc
	s_cbranch_execz .LBB127_11
; %bb.10:
	ds_read2_b64 v[198:201], v197 offset0:1 offset1:2
	ds_read2_b64 v[202:205], v197 offset0:3 offset1:4
	s_waitcnt vmcnt(1) lgkmcnt(2)
	v_mul_f32_e32 v194, v196, v194
	ds_read2_b64 v[206:209], v197 offset0:5 offset1:6
	s_waitcnt lgkmcnt(2)
	v_pk_fma_f32 v[186:187], v[194:195], v[198:199], v[186:187] op_sel_hi:[0,1,1] neg_lo:[1,0,0] neg_hi:[1,0,0]
	v_pk_fma_f32 v[188:189], v[194:195], v[200:201], v[188:189] op_sel_hi:[0,1,1] neg_lo:[1,0,0] neg_hi:[1,0,0]
	ds_read2_b64 v[198:201], v197 offset0:7 offset1:8
	s_waitcnt lgkmcnt(2)
	v_pk_fma_f32 v[184:185], v[194:195], v[202:203], v[184:185] op_sel_hi:[0,1,1] neg_lo:[1,0,0] neg_hi:[1,0,0]
	v_pk_fma_f32 v[180:181], v[194:195], v[204:205], v[180:181] op_sel_hi:[0,1,1] neg_lo:[1,0,0] neg_hi:[1,0,0]
	s_waitcnt lgkmcnt(1)
	v_pk_fma_f32 v[152:153], v[194:195], v[206:207], v[152:153] op_sel_hi:[0,1,1] neg_lo:[1,0,0] neg_hi:[1,0,0]
	ds_read2_b64 v[202:205], v197 offset0:9 offset1:10
	v_pk_fma_f32 v[178:179], v[194:195], v[208:209], v[178:179] op_sel_hi:[0,1,1] neg_lo:[1,0,0] neg_hi:[1,0,0]
	s_waitcnt lgkmcnt(1)
	v_pk_fma_f32 v[150:151], v[194:195], v[198:199], v[150:151] op_sel_hi:[0,1,1] neg_lo:[1,0,0] neg_hi:[1,0,0]
	ds_read2_b64 v[206:209], v197 offset0:11 offset1:12
	v_pk_fma_f32 v[176:177], v[194:195], v[200:201], v[176:177] op_sel_hi:[0,1,1] neg_lo:[1,0,0] neg_hi:[1,0,0]
	ds_read2_b64 v[198:201], v197 offset0:13 offset1:14
	s_waitcnt lgkmcnt(2)
	v_pk_fma_f32 v[148:149], v[194:195], v[202:203], v[148:149] op_sel_hi:[0,1,1] neg_lo:[1,0,0] neg_hi:[1,0,0]
	v_pk_fma_f32 v[174:175], v[194:195], v[204:205], v[174:175] op_sel_hi:[0,1,1] neg_lo:[1,0,0] neg_hi:[1,0,0]
	s_waitcnt lgkmcnt(1)
	v_pk_fma_f32 v[146:147], v[194:195], v[206:207], v[146:147] op_sel_hi:[0,1,1] neg_lo:[1,0,0] neg_hi:[1,0,0]
	ds_read2_b64 v[202:205], v197 offset0:15 offset1:16
	v_pk_fma_f32 v[172:173], v[194:195], v[208:209], v[172:173] op_sel_hi:[0,1,1] neg_lo:[1,0,0] neg_hi:[1,0,0]
	s_waitcnt lgkmcnt(1)
	v_pk_fma_f32 v[144:145], v[194:195], v[198:199], v[144:145] op_sel_hi:[0,1,1] neg_lo:[1,0,0] neg_hi:[1,0,0]
	ds_read2_b64 v[206:209], v197 offset0:17 offset1:18
	;; [unrolled: 12-line block ×3, first 2 shown]
	v_pk_fma_f32 v[164:165], v[194:195], v[200:201], v[164:165] op_sel_hi:[0,1,1] neg_lo:[1,0,0] neg_hi:[1,0,0]
	ds_read2_b64 v[198:201], v197 offset0:25 offset1:26
	s_waitcnt lgkmcnt(2)
	v_pk_fma_f32 v[136:137], v[194:195], v[202:203], v[136:137] op_sel_hi:[0,1,1] neg_lo:[1,0,0] neg_hi:[1,0,0]
	v_pk_fma_f32 v[162:163], v[194:195], v[204:205], v[162:163] op_sel_hi:[0,1,1] neg_lo:[1,0,0] neg_hi:[1,0,0]
	s_waitcnt lgkmcnt(1)
	v_pk_fma_f32 v[134:135], v[194:195], v[206:207], v[134:135] op_sel_hi:[0,1,1] neg_lo:[1,0,0] neg_hi:[1,0,0]
	v_pk_fma_f32 v[160:161], v[194:195], v[208:209], v[160:161] op_sel_hi:[0,1,1] neg_lo:[1,0,0] neg_hi:[1,0,0]
	ds_read2_b64 v[202:205], v197 offset0:27 offset1:28
	s_waitcnt lgkmcnt(1)
	v_pk_fma_f32 v[132:133], v[194:195], v[198:199], v[132:133] op_sel_hi:[0,1,1] neg_lo:[1,0,0] neg_hi:[1,0,0]
	ds_read2_b64 v[206:209], v197 offset0:29 offset1:30
	ds_read_b64 v[198:199], v197 offset:248
	v_pk_fma_f32 v[158:159], v[194:195], v[200:201], v[158:159] op_sel_hi:[0,1,1] neg_lo:[1,0,0] neg_hi:[1,0,0]
	s_waitcnt lgkmcnt(2)
	v_pk_fma_f32 v[130:131], v[194:195], v[202:203], v[130:131] op_sel_hi:[0,1,1] neg_lo:[1,0,0] neg_hi:[1,0,0]
	v_pk_fma_f32 v[156:157], v[194:195], v[204:205], v[156:157] op_sel_hi:[0,1,1] neg_lo:[1,0,0] neg_hi:[1,0,0]
	s_waitcnt lgkmcnt(1)
	v_pk_fma_f32 v[128:129], v[194:195], v[206:207], v[128:129] op_sel_hi:[0,1,1] neg_lo:[1,0,0] neg_hi:[1,0,0]
	;; [unrolled: 3-line block ×3, first 2 shown]
.LBB127_11:
	s_or_b64 exec, exec, s[2:3]
	v_cmp_eq_u32_e32 vcc, 2, v193
	s_waitcnt lgkmcnt(0)
	scratch_store_dword off, v196, off offset:40 ; 4-byte Folded Spill
	s_waitcnt vmcnt(63) expcnt(7) lgkmcnt(15)
	s_barrier
	s_and_saveexec_b64 s[2:3], vcc
	s_cbranch_execz .LBB127_14
; %bb.12:
	s_waitcnt vmcnt(6)
	v_pk_mov_b32 v[198:199], v[186:187], v[188:189] op_sel:[1,0]
	ds_write_b32 v195, v186
	ds_write2_b32 v197, v198, v199 offset0:3 offset1:4
	s_waitcnt vmcnt(4)
	v_pk_mov_b32 v[198:199], v[188:189], v[184:185] op_sel:[1,0]
	ds_write2_b32 v197, v198, v199 offset0:5 offset1:6
	v_pk_mov_b32 v[198:199], v[184:185], v[180:181] op_sel:[1,0]
	ds_write2_b32 v197, v198, v199 offset0:7 offset1:8
	v_pk_mov_b32 v[198:199], v[180:181], v[152:153] op_sel:[1,0]
	ds_write2_b32 v197, v198, v199 offset0:9 offset1:10
	v_pk_mov_b32 v[198:199], v[152:153], v[178:179] op_sel:[1,0]
	ds_write2_b32 v197, v198, v199 offset0:11 offset1:12
	v_pk_mov_b32 v[198:199], v[178:179], v[150:151] op_sel:[1,0]
	ds_write2_b32 v197, v198, v199 offset0:13 offset1:14
	v_pk_mov_b32 v[198:199], v[150:151], v[176:177] op_sel:[1,0]
	ds_write2_b32 v197, v198, v199 offset0:15 offset1:16
	v_pk_mov_b32 v[198:199], v[176:177], v[148:149] op_sel:[1,0]
	ds_write2_b32 v197, v198, v199 offset0:17 offset1:18
	v_pk_mov_b32 v[198:199], v[148:149], v[174:175] op_sel:[1,0]
	ds_write2_b32 v197, v198, v199 offset0:19 offset1:20
	v_pk_mov_b32 v[198:199], v[174:175], v[146:147] op_sel:[1,0]
	ds_write2_b32 v197, v198, v199 offset0:21 offset1:22
	v_pk_mov_b32 v[198:199], v[146:147], v[172:173] op_sel:[1,0]
	ds_write2_b32 v197, v198, v199 offset0:23 offset1:24
	v_pk_mov_b32 v[198:199], v[172:173], v[144:145] op_sel:[1,0]
	ds_write2_b32 v197, v198, v199 offset0:25 offset1:26
	v_pk_mov_b32 v[198:199], v[144:145], v[170:171] op_sel:[1,0]
	ds_write2_b32 v197, v198, v199 offset0:27 offset1:28
	v_pk_mov_b32 v[198:199], v[170:171], v[142:143] op_sel:[1,0]
	ds_write2_b32 v197, v198, v199 offset0:29 offset1:30
	v_pk_mov_b32 v[198:199], v[142:143], v[168:169] op_sel:[1,0]
	ds_write2_b32 v197, v198, v199 offset0:31 offset1:32
	v_pk_mov_b32 v[198:199], v[168:169], v[140:141] op_sel:[1,0]
	ds_write2_b32 v197, v198, v199 offset0:33 offset1:34
	v_pk_mov_b32 v[198:199], v[140:141], v[166:167] op_sel:[1,0]
	ds_write2_b32 v197, v198, v199 offset0:35 offset1:36
	v_pk_mov_b32 v[198:199], v[166:167], v[138:139] op_sel:[1,0]
	ds_write2_b32 v197, v198, v199 offset0:37 offset1:38
	v_pk_mov_b32 v[198:199], v[138:139], v[164:165] op_sel:[1,0]
	ds_write2_b32 v197, v198, v199 offset0:39 offset1:40
	v_pk_mov_b32 v[198:199], v[164:165], v[136:137] op_sel:[1,0]
	ds_write2_b32 v197, v198, v199 offset0:41 offset1:42
	v_pk_mov_b32 v[198:199], v[136:137], v[162:163] op_sel:[1,0]
	ds_write2_b32 v197, v198, v199 offset0:43 offset1:44
	v_pk_mov_b32 v[198:199], v[162:163], v[134:135] op_sel:[1,0]
	ds_write2_b32 v197, v198, v199 offset0:45 offset1:46
	v_pk_mov_b32 v[198:199], v[134:135], v[160:161] op_sel:[1,0]
	ds_write2_b32 v197, v198, v199 offset0:47 offset1:48
	v_pk_mov_b32 v[198:199], v[160:161], v[132:133] op_sel:[1,0]
	ds_write2_b32 v197, v198, v199 offset0:49 offset1:50
	v_pk_mov_b32 v[198:199], v[132:133], v[158:159] op_sel:[1,0]
	ds_write2_b32 v197, v198, v199 offset0:51 offset1:52
	v_pk_mov_b32 v[198:199], v[158:159], v[130:131] op_sel:[1,0]
	ds_write2_b32 v197, v198, v199 offset0:53 offset1:54
	v_pk_mov_b32 v[198:199], v[130:131], v[156:157] op_sel:[1,0]
	ds_write2_b32 v197, v198, v199 offset0:55 offset1:56
	v_pk_mov_b32 v[198:199], v[156:157], v[128:129] op_sel:[1,0]
	ds_write2_b32 v197, v198, v199 offset0:57 offset1:58
	v_pk_mov_b32 v[198:199], v[128:129], v[154:155] op_sel:[1,0]
	ds_write2_b32 v197, v198, v199 offset0:59 offset1:60
	v_pk_mov_b32 v[198:199], v[154:155], v[182:183] op_sel:[1,0]
	ds_write2_b32 v197, v198, v199 offset0:61 offset1:62
	ds_write_b32 v197, v183 offset:252
	ds_read_b32 v196, v195
	s_waitcnt lgkmcnt(0)
	v_cmp_neq_f32_e32 vcc, 0, v196
	s_and_b64 exec, exec, vcc
	s_cbranch_execz .LBB127_14
; %bb.13:
	v_div_scale_f32 v198, s[4:5], v196, v196, 1.0
	v_rcp_f32_e32 v199, v198
	v_div_scale_f32 v200, vcc, 1.0, v196, 1.0
	v_fma_f32 v201, -v198, v199, 1.0
	v_fmac_f32_e32 v199, v201, v199
	v_mul_f32_e32 v201, v200, v199
	v_fma_f32 v202, -v198, v201, v200
	v_fmac_f32_e32 v201, v202, v199
	v_fma_f32 v198, -v198, v201, v200
	v_div_fmas_f32 v198, v198, v199, v201
	v_div_fixup_f32 v196, v198, v196, 1.0
	ds_write_b32 v195, v196
.LBB127_14:
	s_or_b64 exec, exec, s[2:3]
	s_waitcnt lgkmcnt(0)
	s_barrier
	ds_read_b32 v196, v195
	v_cmp_lt_u32_e32 vcc, 2, v193
	s_waitcnt lgkmcnt(0)
	scratch_store_dword off, v196, off offset:4 ; 4-byte Folded Spill
	s_and_saveexec_b64 s[2:3], vcc
	s_cbranch_execz .LBB127_16
; %bb.15:
	ds_read_b32 v196, v197 offset:12
	ds_read2_b64 v[198:201], v197 offset0:2 offset1:3
	scratch_load_dword v202, off, off offset:4 ; 4-byte Folded Reload
	s_waitcnt vmcnt(0)
	v_mul_f32_e32 v186, v202, v186
	ds_read2_b64 v[202:205], v197 offset0:4 offset1:5
	ds_read2_b64 v[206:209], v197 offset0:6 offset1:7
	s_waitcnt lgkmcnt(3)
	v_fma_f32 v187, -v186, v196, v187
	s_waitcnt lgkmcnt(2)
	v_pk_fma_f32 v[188:189], v[186:187], v[198:199], v[188:189] op_sel_hi:[0,1,1] neg_lo:[1,0,0] neg_hi:[1,0,0]
	v_pk_fma_f32 v[184:185], v[186:187], v[200:201], v[184:185] op_sel_hi:[0,1,1] neg_lo:[1,0,0] neg_hi:[1,0,0]
	s_waitcnt lgkmcnt(1)
	v_pk_fma_f32 v[180:181], v[186:187], v[202:203], v[180:181] op_sel_hi:[0,1,1] neg_lo:[1,0,0] neg_hi:[1,0,0]
	ds_read2_b64 v[198:201], v197 offset0:8 offset1:9
	v_pk_fma_f32 v[152:153], v[186:187], v[204:205], v[152:153] op_sel_hi:[0,1,1] neg_lo:[1,0,0] neg_hi:[1,0,0]
	s_waitcnt lgkmcnt(1)
	v_pk_fma_f32 v[178:179], v[186:187], v[206:207], v[178:179] op_sel_hi:[0,1,1] neg_lo:[1,0,0] neg_hi:[1,0,0]
	ds_read2_b64 v[202:205], v197 offset0:10 offset1:11
	v_pk_fma_f32 v[150:151], v[186:187], v[208:209], v[150:151] op_sel_hi:[0,1,1] neg_lo:[1,0,0] neg_hi:[1,0,0]
	ds_read2_b64 v[206:209], v197 offset0:12 offset1:13
	s_waitcnt lgkmcnt(2)
	v_pk_fma_f32 v[176:177], v[186:187], v[198:199], v[176:177] op_sel_hi:[0,1,1] neg_lo:[1,0,0] neg_hi:[1,0,0]
	v_pk_fma_f32 v[148:149], v[186:187], v[200:201], v[148:149] op_sel_hi:[0,1,1] neg_lo:[1,0,0] neg_hi:[1,0,0]
	s_waitcnt lgkmcnt(1)
	v_pk_fma_f32 v[174:175], v[186:187], v[202:203], v[174:175] op_sel_hi:[0,1,1] neg_lo:[1,0,0] neg_hi:[1,0,0]
	ds_read2_b64 v[198:201], v197 offset0:14 offset1:15
	v_pk_fma_f32 v[146:147], v[186:187], v[204:205], v[146:147] op_sel_hi:[0,1,1] neg_lo:[1,0,0] neg_hi:[1,0,0]
	s_waitcnt lgkmcnt(1)
	v_pk_fma_f32 v[172:173], v[186:187], v[206:207], v[172:173] op_sel_hi:[0,1,1] neg_lo:[1,0,0] neg_hi:[1,0,0]
	ds_read2_b64 v[202:205], v197 offset0:16 offset1:17
	v_pk_fma_f32 v[144:145], v[186:187], v[208:209], v[144:145] op_sel_hi:[0,1,1] neg_lo:[1,0,0] neg_hi:[1,0,0]
	ds_read2_b64 v[206:209], v197 offset0:18 offset1:19
	;; [unrolled: 12-line block ×3, first 2 shown]
	s_waitcnt lgkmcnt(2)
	v_pk_fma_f32 v[164:165], v[186:187], v[198:199], v[164:165] op_sel_hi:[0,1,1] neg_lo:[1,0,0] neg_hi:[1,0,0]
	v_pk_fma_f32 v[136:137], v[186:187], v[200:201], v[136:137] op_sel_hi:[0,1,1] neg_lo:[1,0,0] neg_hi:[1,0,0]
	s_waitcnt lgkmcnt(1)
	v_pk_fma_f32 v[162:163], v[186:187], v[202:203], v[162:163] op_sel_hi:[0,1,1] neg_lo:[1,0,0] neg_hi:[1,0,0]
	v_pk_fma_f32 v[134:135], v[186:187], v[204:205], v[134:135] op_sel_hi:[0,1,1] neg_lo:[1,0,0] neg_hi:[1,0,0]
	ds_read2_b64 v[198:201], v197 offset0:26 offset1:27
	s_waitcnt lgkmcnt(1)
	v_pk_fma_f32 v[160:161], v[186:187], v[206:207], v[160:161] op_sel_hi:[0,1,1] neg_lo:[1,0,0] neg_hi:[1,0,0]
	ds_read2_b64 v[202:205], v197 offset0:28 offset1:29
	v_pk_fma_f32 v[132:133], v[186:187], v[208:209], v[132:133] op_sel_hi:[0,1,1] neg_lo:[1,0,0] neg_hi:[1,0,0]
	ds_read2_b64 v[206:209], v197 offset0:30 offset1:31
	s_waitcnt lgkmcnt(2)
	v_pk_fma_f32 v[158:159], v[186:187], v[198:199], v[158:159] op_sel_hi:[0,1,1] neg_lo:[1,0,0] neg_hi:[1,0,0]
	v_pk_fma_f32 v[130:131], v[186:187], v[200:201], v[130:131] op_sel_hi:[0,1,1] neg_lo:[1,0,0] neg_hi:[1,0,0]
	s_waitcnt lgkmcnt(1)
	v_pk_fma_f32 v[156:157], v[186:187], v[202:203], v[156:157] op_sel_hi:[0,1,1] neg_lo:[1,0,0] neg_hi:[1,0,0]
	v_pk_fma_f32 v[128:129], v[186:187], v[204:205], v[128:129] op_sel_hi:[0,1,1] neg_lo:[1,0,0] neg_hi:[1,0,0]
	;; [unrolled: 3-line block ×3, first 2 shown]
.LBB127_16:
	s_or_b64 exec, exec, s[2:3]
	v_cmp_eq_u32_e32 vcc, 3, v193
	s_waitcnt vmcnt(63) expcnt(7) lgkmcnt(15)
	s_barrier
	s_and_saveexec_b64 s[2:3], vcc
	s_cbranch_execz .LBB127_19
; %bb.17:
	s_waitcnt vmcnt(8)
	v_mov_b32_e32 v198, v188
	s_waitcnt vmcnt(7)
	v_mov_b32_e32 v199, v189
	;; [unrolled: 2-line block ×4, first 2 shown]
	ds_write_b32 v195, v187
	ds_write2_b64 v197, v[198:199], v[200:201] offset0:2 offset1:3
	v_mov_b32_e32 v198, v180
	v_mov_b32_e32 v199, v181
	v_mov_b32_e32 v200, v152
	v_mov_b32_e32 v201, v153
	ds_write2_b64 v197, v[198:199], v[200:201] offset0:4 offset1:5
	v_mov_b32_e32 v198, v178
	v_mov_b32_e32 v199, v179
	v_mov_b32_e32 v200, v150
	v_mov_b32_e32 v201, v151
	;; [unrolled: 5-line block ×13, first 2 shown]
	ds_write2_b64 v197, v[198:199], v[200:201] offset0:28 offset1:29
	v_mov_b32_e32 v198, v154
	v_mov_b32_e32 v199, v155
	ds_write2_b64 v197, v[198:199], v[182:183] offset0:30 offset1:31
	ds_read_b32 v196, v195
	s_waitcnt lgkmcnt(0)
	v_cmp_neq_f32_e32 vcc, 0, v196
	s_and_b64 exec, exec, vcc
	s_cbranch_execz .LBB127_19
; %bb.18:
	v_div_scale_f32 v198, s[4:5], v196, v196, 1.0
	v_rcp_f32_e32 v199, v198
	v_div_scale_f32 v200, vcc, 1.0, v196, 1.0
	v_fma_f32 v201, -v198, v199, 1.0
	v_fmac_f32_e32 v199, v201, v199
	v_mul_f32_e32 v201, v200, v199
	v_fma_f32 v202, -v198, v201, v200
	v_fmac_f32_e32 v201, v202, v199
	v_fma_f32 v198, -v198, v201, v200
	v_div_fmas_f32 v198, v198, v199, v201
	v_div_fixup_f32 v196, v198, v196, 1.0
	ds_write_b32 v195, v196
.LBB127_19:
	s_or_b64 exec, exec, s[2:3]
	s_waitcnt lgkmcnt(0)
	s_barrier
	ds_read_b32 v196, v195
	v_cmp_lt_u32_e32 vcc, 3, v193
	s_waitcnt lgkmcnt(0)
	scratch_store_dword off, v196, off offset:8 ; 4-byte Folded Spill
	s_and_saveexec_b64 s[2:3], vcc
	s_cbranch_execz .LBB127_21
; %bb.20:
	ds_read2_b64 v[198:201], v197 offset0:2 offset1:3
	ds_read2_b64 v[202:205], v197 offset0:4 offset1:5
	scratch_load_dword v196, off, off offset:8 ; 4-byte Folded Reload
	ds_read2_b64 v[206:209], v197 offset0:6 offset1:7
	s_waitcnt vmcnt(0)
	v_mul_f32_e32 v196, v196, v187
	s_waitcnt lgkmcnt(2)
	v_pk_fma_f32 v[188:189], v[196:197], v[198:199], v[188:189] op_sel_hi:[0,1,1] neg_lo:[1,0,0] neg_hi:[1,0,0]
	v_pk_fma_f32 v[184:185], v[196:197], v[200:201], v[184:185] op_sel_hi:[0,1,1] neg_lo:[1,0,0] neg_hi:[1,0,0]
	s_waitcnt lgkmcnt(1)
	v_pk_fma_f32 v[180:181], v[196:197], v[202:203], v[180:181] op_sel_hi:[0,1,1] neg_lo:[1,0,0] neg_hi:[1,0,0]
	ds_read2_b64 v[198:201], v197 offset0:8 offset1:9
	v_pk_fma_f32 v[152:153], v[196:197], v[204:205], v[152:153] op_sel_hi:[0,1,1] neg_lo:[1,0,0] neg_hi:[1,0,0]
	s_waitcnt lgkmcnt(1)
	v_pk_fma_f32 v[178:179], v[196:197], v[206:207], v[178:179] op_sel_hi:[0,1,1] neg_lo:[1,0,0] neg_hi:[1,0,0]
	ds_read2_b64 v[202:205], v197 offset0:10 offset1:11
	v_pk_fma_f32 v[150:151], v[196:197], v[208:209], v[150:151] op_sel_hi:[0,1,1] neg_lo:[1,0,0] neg_hi:[1,0,0]
	ds_read2_b64 v[206:209], v197 offset0:12 offset1:13
	s_waitcnt lgkmcnt(2)
	v_pk_fma_f32 v[176:177], v[196:197], v[198:199], v[176:177] op_sel_hi:[0,1,1] neg_lo:[1,0,0] neg_hi:[1,0,0]
	v_pk_fma_f32 v[148:149], v[196:197], v[200:201], v[148:149] op_sel_hi:[0,1,1] neg_lo:[1,0,0] neg_hi:[1,0,0]
	s_waitcnt lgkmcnt(1)
	v_pk_fma_f32 v[174:175], v[196:197], v[202:203], v[174:175] op_sel_hi:[0,1,1] neg_lo:[1,0,0] neg_hi:[1,0,0]
	ds_read2_b64 v[198:201], v197 offset0:14 offset1:15
	v_pk_fma_f32 v[146:147], v[196:197], v[204:205], v[146:147] op_sel_hi:[0,1,1] neg_lo:[1,0,0] neg_hi:[1,0,0]
	s_waitcnt lgkmcnt(1)
	v_pk_fma_f32 v[172:173], v[196:197], v[206:207], v[172:173] op_sel_hi:[0,1,1] neg_lo:[1,0,0] neg_hi:[1,0,0]
	ds_read2_b64 v[202:205], v197 offset0:16 offset1:17
	v_pk_fma_f32 v[144:145], v[196:197], v[208:209], v[144:145] op_sel_hi:[0,1,1] neg_lo:[1,0,0] neg_hi:[1,0,0]
	ds_read2_b64 v[206:209], v197 offset0:18 offset1:19
	;; [unrolled: 12-line block ×3, first 2 shown]
	s_waitcnt lgkmcnt(2)
	v_pk_fma_f32 v[164:165], v[196:197], v[198:199], v[164:165] op_sel_hi:[0,1,1] neg_lo:[1,0,0] neg_hi:[1,0,0]
	v_pk_fma_f32 v[136:137], v[196:197], v[200:201], v[136:137] op_sel_hi:[0,1,1] neg_lo:[1,0,0] neg_hi:[1,0,0]
	s_waitcnt lgkmcnt(1)
	v_pk_fma_f32 v[162:163], v[196:197], v[202:203], v[162:163] op_sel_hi:[0,1,1] neg_lo:[1,0,0] neg_hi:[1,0,0]
	v_pk_fma_f32 v[134:135], v[196:197], v[204:205], v[134:135] op_sel_hi:[0,1,1] neg_lo:[1,0,0] neg_hi:[1,0,0]
	ds_read2_b64 v[198:201], v197 offset0:26 offset1:27
	ds_read2_b64 v[202:205], v197 offset0:28 offset1:29
	s_waitcnt lgkmcnt(2)
	v_pk_fma_f32 v[160:161], v[196:197], v[206:207], v[160:161] op_sel_hi:[0,1,1] neg_lo:[1,0,0] neg_hi:[1,0,0]
	v_pk_fma_f32 v[132:133], v[196:197], v[208:209], v[132:133] op_sel_hi:[0,1,1] neg_lo:[1,0,0] neg_hi:[1,0,0]
	ds_read2_b64 v[206:209], v197 offset0:30 offset1:31
	s_waitcnt lgkmcnt(2)
	v_pk_fma_f32 v[158:159], v[196:197], v[198:199], v[158:159] op_sel_hi:[0,1,1] neg_lo:[1,0,0] neg_hi:[1,0,0]
	v_pk_fma_f32 v[130:131], v[196:197], v[200:201], v[130:131] op_sel_hi:[0,1,1] neg_lo:[1,0,0] neg_hi:[1,0,0]
	s_waitcnt lgkmcnt(1)
	v_pk_fma_f32 v[156:157], v[196:197], v[202:203], v[156:157] op_sel_hi:[0,1,1] neg_lo:[1,0,0] neg_hi:[1,0,0]
	v_pk_fma_f32 v[128:129], v[196:197], v[204:205], v[128:129] op_sel_hi:[0,1,1] neg_lo:[1,0,0] neg_hi:[1,0,0]
	;; [unrolled: 3-line block ×3, first 2 shown]
	v_mov_b32_e32 v187, v196
.LBB127_21:
	s_or_b64 exec, exec, s[2:3]
	v_cmp_eq_u32_e32 vcc, 4, v193
	s_waitcnt vmcnt(63) expcnt(7) lgkmcnt(15)
	s_barrier
	s_and_saveexec_b64 s[2:3], vcc
	s_cbranch_execz .LBB127_24
; %bb.22:
	s_waitcnt vmcnt(6)
	v_pk_mov_b32 v[198:199], v[188:189], v[184:185] op_sel:[1,0]
	ds_write_b32 v195, v188
	ds_write2_b32 v197, v198, v199 offset0:5 offset1:6
	v_pk_mov_b32 v[198:199], v[184:185], v[180:181] op_sel:[1,0]
	ds_write2_b32 v197, v198, v199 offset0:7 offset1:8
	v_pk_mov_b32 v[198:199], v[180:181], v[152:153] op_sel:[1,0]
	;; [unrolled: 2-line block ×28, first 2 shown]
	ds_write2_b32 v197, v198, v199 offset0:61 offset1:62
	ds_write_b32 v197, v183 offset:252
	ds_read_b32 v196, v195
	s_waitcnt lgkmcnt(0)
	v_cmp_neq_f32_e32 vcc, 0, v196
	s_and_b64 exec, exec, vcc
	s_cbranch_execz .LBB127_24
; %bb.23:
	v_div_scale_f32 v198, s[4:5], v196, v196, 1.0
	v_rcp_f32_e32 v199, v198
	v_div_scale_f32 v200, vcc, 1.0, v196, 1.0
	v_fma_f32 v201, -v198, v199, 1.0
	v_fmac_f32_e32 v199, v201, v199
	v_mul_f32_e32 v201, v200, v199
	v_fma_f32 v202, -v198, v201, v200
	v_fmac_f32_e32 v201, v202, v199
	v_fma_f32 v198, -v198, v201, v200
	v_div_fmas_f32 v198, v198, v199, v201
	v_div_fixup_f32 v196, v198, v196, 1.0
	ds_write_b32 v195, v196
.LBB127_24:
	s_or_b64 exec, exec, s[2:3]
	s_waitcnt lgkmcnt(0)
	s_barrier
	ds_read_b32 v196, v195
	v_cmp_lt_u32_e32 vcc, 4, v193
	s_waitcnt lgkmcnt(0)
	scratch_store_dword off, v196, off offset:12 ; 4-byte Folded Spill
	s_and_saveexec_b64 s[2:3], vcc
	s_cbranch_execz .LBB127_26
; %bb.25:
	ds_read_b32 v196, v197 offset:20
	ds_read2_b64 v[202:205], v197 offset0:3 offset1:4
	scratch_load_dword v198, off, off offset:12 ; 4-byte Folded Reload
	ds_read2_b64 v[206:209], v197 offset0:5 offset1:6
	ds_read2_b64 v[210:213], v197 offset0:7 offset1:8
	s_waitcnt vmcnt(0)
	v_mul_f32_e32 v188, v198, v188
	s_waitcnt lgkmcnt(3)
	v_fma_f32 v189, -v188, v196, v189
	s_waitcnt lgkmcnt(2)
	v_pk_fma_f32 v[184:185], v[188:189], v[202:203], v[184:185] op_sel_hi:[0,1,1] neg_lo:[1,0,0] neg_hi:[1,0,0]
	v_pk_fma_f32 v[180:181], v[188:189], v[204:205], v[180:181] op_sel_hi:[0,1,1] neg_lo:[1,0,0] neg_hi:[1,0,0]
	s_waitcnt lgkmcnt(1)
	v_pk_fma_f32 v[152:153], v[188:189], v[206:207], v[152:153] op_sel_hi:[0,1,1] neg_lo:[1,0,0] neg_hi:[1,0,0]
	ds_read2_b64 v[202:205], v197 offset0:9 offset1:10
	v_pk_fma_f32 v[178:179], v[188:189], v[208:209], v[178:179] op_sel_hi:[0,1,1] neg_lo:[1,0,0] neg_hi:[1,0,0]
	ds_read2_b64 v[206:209], v197 offset0:11 offset1:12
	s_waitcnt lgkmcnt(2)
	v_pk_fma_f32 v[150:151], v[188:189], v[210:211], v[150:151] op_sel_hi:[0,1,1] neg_lo:[1,0,0] neg_hi:[1,0,0]
	v_pk_fma_f32 v[176:177], v[188:189], v[212:213], v[176:177] op_sel_hi:[0,1,1] neg_lo:[1,0,0] neg_hi:[1,0,0]
	s_waitcnt lgkmcnt(1)
	v_pk_fma_f32 v[148:149], v[188:189], v[202:203], v[148:149] op_sel_hi:[0,1,1] neg_lo:[1,0,0] neg_hi:[1,0,0]
	ds_read2_b64 v[210:213], v197 offset0:13 offset1:14
	v_pk_fma_f32 v[174:175], v[188:189], v[204:205], v[174:175] op_sel_hi:[0,1,1] neg_lo:[1,0,0] neg_hi:[1,0,0]
	s_waitcnt lgkmcnt(1)
	v_pk_fma_f32 v[146:147], v[188:189], v[206:207], v[146:147] op_sel_hi:[0,1,1] neg_lo:[1,0,0] neg_hi:[1,0,0]
	ds_read2_b64 v[202:205], v197 offset0:15 offset1:16
	v_pk_fma_f32 v[172:173], v[188:189], v[208:209], v[172:173] op_sel_hi:[0,1,1] neg_lo:[1,0,0] neg_hi:[1,0,0]
	ds_read2_b64 v[206:209], v197 offset0:17 offset1:18
	s_waitcnt lgkmcnt(2)
	v_pk_fma_f32 v[144:145], v[188:189], v[210:211], v[144:145] op_sel_hi:[0,1,1] neg_lo:[1,0,0] neg_hi:[1,0,0]
	v_pk_fma_f32 v[170:171], v[188:189], v[212:213], v[170:171] op_sel_hi:[0,1,1] neg_lo:[1,0,0] neg_hi:[1,0,0]
	s_waitcnt lgkmcnt(1)
	v_pk_fma_f32 v[142:143], v[188:189], v[202:203], v[142:143] op_sel_hi:[0,1,1] neg_lo:[1,0,0] neg_hi:[1,0,0]
	ds_read2_b64 v[210:213], v197 offset0:19 offset1:20
	;; [unrolled: 12-line block ×3, first 2 shown]
	v_pk_fma_f32 v[162:163], v[188:189], v[204:205], v[162:163] op_sel_hi:[0,1,1] neg_lo:[1,0,0] neg_hi:[1,0,0]
	s_waitcnt lgkmcnt(1)
	v_pk_fma_f32 v[134:135], v[188:189], v[206:207], v[134:135] op_sel_hi:[0,1,1] neg_lo:[1,0,0] neg_hi:[1,0,0]
	v_pk_fma_f32 v[160:161], v[188:189], v[208:209], v[160:161] op_sel_hi:[0,1,1] neg_lo:[1,0,0] neg_hi:[1,0,0]
	ds_read2_b64 v[202:205], v197 offset0:27 offset1:28
	ds_read2_b64 v[206:209], v197 offset0:29 offset1:30
	ds_read_b64 v[198:199], v197 offset:248
	s_waitcnt lgkmcnt(3)
	v_pk_fma_f32 v[132:133], v[188:189], v[210:211], v[132:133] op_sel_hi:[0,1,1] neg_lo:[1,0,0] neg_hi:[1,0,0]
	v_pk_fma_f32 v[158:159], v[188:189], v[212:213], v[158:159] op_sel_hi:[0,1,1] neg_lo:[1,0,0] neg_hi:[1,0,0]
	s_waitcnt lgkmcnt(2)
	v_pk_fma_f32 v[130:131], v[188:189], v[202:203], v[130:131] op_sel_hi:[0,1,1] neg_lo:[1,0,0] neg_hi:[1,0,0]
	v_pk_fma_f32 v[156:157], v[188:189], v[204:205], v[156:157] op_sel_hi:[0,1,1] neg_lo:[1,0,0] neg_hi:[1,0,0]
	;; [unrolled: 3-line block ×3, first 2 shown]
	s_waitcnt lgkmcnt(0)
	v_pk_fma_f32 v[182:183], v[188:189], v[198:199], v[182:183] op_sel_hi:[0,1,1] neg_lo:[1,0,0] neg_hi:[1,0,0]
.LBB127_26:
	s_or_b64 exec, exec, s[2:3]
	v_cmp_ne_u32_e32 vcc, 5, v193
	s_waitcnt vmcnt(63) expcnt(7) lgkmcnt(15)
	s_barrier
	s_and_saveexec_b64 s[2:3], vcc
	s_xor_b64 s[2:3], exec, s[2:3]
	s_andn2_saveexec_b64 s[2:3], s[2:3]
	s_cbranch_execz .LBB127_30
; %bb.27:
	s_waitcnt vmcnt(9)
	ds_write_b32 v195, v189
	s_waitcnt vmcnt(7)
	ds_write2_b64 v197, v[184:185], v[180:181] offset0:3 offset1:4
	ds_write2_b64 v197, v[152:153], v[178:179] offset0:5 offset1:6
	;; [unrolled: 1-line block ×14, first 2 shown]
	ds_write_b64 v197, v[182:183] offset:248
	ds_read_b32 v196, v195
	s_waitcnt lgkmcnt(0)
	v_cmp_neq_f32_e32 vcc, 0, v196
	s_and_saveexec_b64 s[4:5], vcc
	s_cbranch_execz .LBB127_29
; %bb.28:
	v_div_scale_f32 v198, s[10:11], v196, v196, 1.0
	v_rcp_f32_e32 v199, v198
	v_div_scale_f32 v200, vcc, 1.0, v196, 1.0
	v_fma_f32 v201, -v198, v199, 1.0
	v_fmac_f32_e32 v199, v201, v199
	v_mul_f32_e32 v201, v200, v199
	v_fma_f32 v202, -v198, v201, v200
	v_fmac_f32_e32 v201, v202, v199
	v_fma_f32 v198, -v198, v201, v200
	v_div_fmas_f32 v198, v198, v199, v201
	v_div_fixup_f32 v196, v198, v196, 1.0
	ds_write_b32 v195, v196
.LBB127_29:
	s_or_b64 exec, exec, s[4:5]
.LBB127_30:
	s_or_b64 exec, exec, s[2:3]
	s_waitcnt lgkmcnt(0)
	s_barrier
	ds_read_b32 v196, v195
	v_cmp_lt_u32_e32 vcc, 5, v193
	s_waitcnt lgkmcnt(0)
	scratch_store_dword off, v196, off offset:16 ; 4-byte Folded Spill
	s_and_saveexec_b64 s[2:3], vcc
	s_cbranch_execz .LBB127_32
; %bb.31:
	ds_read2_b64 v[204:207], v197 offset0:3 offset1:4
	ds_read2_b64 v[208:211], v197 offset0:5 offset1:6
	scratch_load_dword v196, off, off offset:16 ; 4-byte Folded Reload
	ds_read2_b64 v[212:215], v197 offset0:7 offset1:8
	ds_read_b64 v[198:199], v197 offset:248
	s_waitcnt vmcnt(0)
	v_mul_f32_e32 v196, v196, v189
	s_waitcnt lgkmcnt(3)
	v_pk_fma_f32 v[184:185], v[196:197], v[204:205], v[184:185] op_sel_hi:[0,1,1] neg_lo:[1,0,0] neg_hi:[1,0,0]
	v_pk_fma_f32 v[180:181], v[196:197], v[206:207], v[180:181] op_sel_hi:[0,1,1] neg_lo:[1,0,0] neg_hi:[1,0,0]
	s_waitcnt lgkmcnt(2)
	v_pk_fma_f32 v[152:153], v[196:197], v[208:209], v[152:153] op_sel_hi:[0,1,1] neg_lo:[1,0,0] neg_hi:[1,0,0]
	ds_read2_b64 v[204:207], v197 offset0:9 offset1:10
	v_pk_fma_f32 v[178:179], v[196:197], v[210:211], v[178:179] op_sel_hi:[0,1,1] neg_lo:[1,0,0] neg_hi:[1,0,0]
	ds_read2_b64 v[208:211], v197 offset0:11 offset1:12
	s_waitcnt lgkmcnt(3)
	v_pk_fma_f32 v[150:151], v[196:197], v[212:213], v[150:151] op_sel_hi:[0,1,1] neg_lo:[1,0,0] neg_hi:[1,0,0]
	v_pk_fma_f32 v[176:177], v[196:197], v[214:215], v[176:177] op_sel_hi:[0,1,1] neg_lo:[1,0,0] neg_hi:[1,0,0]
	s_waitcnt lgkmcnt(1)
	v_pk_fma_f32 v[148:149], v[196:197], v[204:205], v[148:149] op_sel_hi:[0,1,1] neg_lo:[1,0,0] neg_hi:[1,0,0]
	ds_read2_b64 v[212:215], v197 offset0:13 offset1:14
	v_pk_fma_f32 v[174:175], v[196:197], v[206:207], v[174:175] op_sel_hi:[0,1,1] neg_lo:[1,0,0] neg_hi:[1,0,0]
	s_waitcnt lgkmcnt(1)
	v_pk_fma_f32 v[146:147], v[196:197], v[208:209], v[146:147] op_sel_hi:[0,1,1] neg_lo:[1,0,0] neg_hi:[1,0,0]
	ds_read2_b64 v[204:207], v197 offset0:15 offset1:16
	v_pk_fma_f32 v[172:173], v[196:197], v[210:211], v[172:173] op_sel_hi:[0,1,1] neg_lo:[1,0,0] neg_hi:[1,0,0]
	ds_read2_b64 v[208:211], v197 offset0:17 offset1:18
	s_waitcnt lgkmcnt(2)
	v_pk_fma_f32 v[144:145], v[196:197], v[212:213], v[144:145] op_sel_hi:[0,1,1] neg_lo:[1,0,0] neg_hi:[1,0,0]
	v_pk_fma_f32 v[170:171], v[196:197], v[214:215], v[170:171] op_sel_hi:[0,1,1] neg_lo:[1,0,0] neg_hi:[1,0,0]
	s_waitcnt lgkmcnt(1)
	v_pk_fma_f32 v[142:143], v[196:197], v[204:205], v[142:143] op_sel_hi:[0,1,1] neg_lo:[1,0,0] neg_hi:[1,0,0]
	ds_read2_b64 v[212:215], v197 offset0:19 offset1:20
	;; [unrolled: 12-line block ×3, first 2 shown]
	v_pk_fma_f32 v[162:163], v[196:197], v[206:207], v[162:163] op_sel_hi:[0,1,1] neg_lo:[1,0,0] neg_hi:[1,0,0]
	s_waitcnt lgkmcnt(1)
	v_pk_fma_f32 v[134:135], v[196:197], v[208:209], v[134:135] op_sel_hi:[0,1,1] neg_lo:[1,0,0] neg_hi:[1,0,0]
	v_pk_fma_f32 v[160:161], v[196:197], v[210:211], v[160:161] op_sel_hi:[0,1,1] neg_lo:[1,0,0] neg_hi:[1,0,0]
	ds_read2_b64 v[204:207], v197 offset0:27 offset1:28
	ds_read2_b64 v[208:211], v197 offset0:29 offset1:30
	s_waitcnt lgkmcnt(2)
	v_pk_fma_f32 v[132:133], v[196:197], v[212:213], v[132:133] op_sel_hi:[0,1,1] neg_lo:[1,0,0] neg_hi:[1,0,0]
	v_pk_fma_f32 v[158:159], v[196:197], v[214:215], v[158:159] op_sel_hi:[0,1,1] neg_lo:[1,0,0] neg_hi:[1,0,0]
	;; [unrolled: 1-line block ×3, first 2 shown]
	s_waitcnt lgkmcnt(1)
	v_pk_fma_f32 v[130:131], v[196:197], v[204:205], v[130:131] op_sel_hi:[0,1,1] neg_lo:[1,0,0] neg_hi:[1,0,0]
	v_pk_fma_f32 v[156:157], v[196:197], v[206:207], v[156:157] op_sel_hi:[0,1,1] neg_lo:[1,0,0] neg_hi:[1,0,0]
	s_waitcnt lgkmcnt(0)
	v_pk_fma_f32 v[128:129], v[196:197], v[208:209], v[128:129] op_sel_hi:[0,1,1] neg_lo:[1,0,0] neg_hi:[1,0,0]
	v_pk_fma_f32 v[154:155], v[196:197], v[210:211], v[154:155] op_sel_hi:[0,1,1] neg_lo:[1,0,0] neg_hi:[1,0,0]
	v_mov_b32_e32 v189, v196
.LBB127_32:
	s_or_b64 exec, exec, s[2:3]
	v_cmp_eq_u32_e32 vcc, 6, v193
	s_waitcnt vmcnt(63) expcnt(7) lgkmcnt(15)
	s_barrier
	s_and_saveexec_b64 s[2:3], vcc
	s_cbranch_execz .LBB127_35
; %bb.33:
	s_waitcnt vmcnt(8)
	v_pk_mov_b32 v[198:199], v[184:185], v[180:181] op_sel:[1,0]
	ds_write_b32 v195, v184
	ds_write2_b32 v197, v198, v199 offset0:7 offset1:8
	v_pk_mov_b32 v[198:199], v[180:181], v[152:153] op_sel:[1,0]
	ds_write2_b32 v197, v198, v199 offset0:9 offset1:10
	v_pk_mov_b32 v[198:199], v[152:153], v[178:179] op_sel:[1,0]
	;; [unrolled: 2-line block ×27, first 2 shown]
	ds_write2_b32 v197, v198, v199 offset0:61 offset1:62
	ds_write_b32 v197, v183 offset:252
	ds_read_b32 v196, v195
	s_waitcnt lgkmcnt(0)
	v_cmp_neq_f32_e32 vcc, 0, v196
	s_and_b64 exec, exec, vcc
	s_cbranch_execz .LBB127_35
; %bb.34:
	v_div_scale_f32 v198, s[4:5], v196, v196, 1.0
	v_rcp_f32_e32 v199, v198
	v_div_scale_f32 v200, vcc, 1.0, v196, 1.0
	v_fma_f32 v201, -v198, v199, 1.0
	v_fmac_f32_e32 v199, v201, v199
	v_mul_f32_e32 v201, v200, v199
	v_fma_f32 v202, -v198, v201, v200
	v_fmac_f32_e32 v201, v202, v199
	v_fma_f32 v198, -v198, v201, v200
	v_div_fmas_f32 v198, v198, v199, v201
	v_div_fixup_f32 v196, v198, v196, 1.0
	ds_write_b32 v195, v196
.LBB127_35:
	s_or_b64 exec, exec, s[2:3]
	s_waitcnt lgkmcnt(0)
	s_barrier
	ds_read_b32 v196, v195
	v_cmp_lt_u32_e32 vcc, 6, v193
	s_waitcnt lgkmcnt(0)
	scratch_store_dword off, v196, off offset:20 ; 4-byte Folded Spill
	s_and_saveexec_b64 s[2:3], vcc
	s_cbranch_execz .LBB127_37
; %bb.36:
	ds_read_b32 v196, v197 offset:28
	ds_read2_b64 v[204:207], v197 offset0:4 offset1:5
	scratch_load_dword v198, off, off offset:20 ; 4-byte Folded Reload
	ds_read2_b64 v[208:211], v197 offset0:6 offset1:7
	ds_read2_b64 v[212:215], v197 offset0:8 offset1:9
	s_waitcnt vmcnt(0)
	v_mul_f32_e32 v184, v198, v184
	s_waitcnt lgkmcnt(3)
	v_fma_f32 v185, -v184, v196, v185
	s_waitcnt lgkmcnt(2)
	v_pk_fma_f32 v[180:181], v[184:185], v[204:205], v[180:181] op_sel_hi:[0,1,1] neg_lo:[1,0,0] neg_hi:[1,0,0]
	v_pk_fma_f32 v[152:153], v[184:185], v[206:207], v[152:153] op_sel_hi:[0,1,1] neg_lo:[1,0,0] neg_hi:[1,0,0]
	s_waitcnt lgkmcnt(1)
	v_pk_fma_f32 v[178:179], v[184:185], v[208:209], v[178:179] op_sel_hi:[0,1,1] neg_lo:[1,0,0] neg_hi:[1,0,0]
	ds_read2_b64 v[204:207], v197 offset0:10 offset1:11
	v_pk_fma_f32 v[150:151], v[184:185], v[210:211], v[150:151] op_sel_hi:[0,1,1] neg_lo:[1,0,0] neg_hi:[1,0,0]
	ds_read2_b64 v[208:211], v197 offset0:12 offset1:13
	s_waitcnt lgkmcnt(2)
	v_pk_fma_f32 v[176:177], v[184:185], v[212:213], v[176:177] op_sel_hi:[0,1,1] neg_lo:[1,0,0] neg_hi:[1,0,0]
	v_pk_fma_f32 v[148:149], v[184:185], v[214:215], v[148:149] op_sel_hi:[0,1,1] neg_lo:[1,0,0] neg_hi:[1,0,0]
	s_waitcnt lgkmcnt(1)
	v_pk_fma_f32 v[174:175], v[184:185], v[204:205], v[174:175] op_sel_hi:[0,1,1] neg_lo:[1,0,0] neg_hi:[1,0,0]
	ds_read2_b64 v[212:215], v197 offset0:14 offset1:15
	v_pk_fma_f32 v[146:147], v[184:185], v[206:207], v[146:147] op_sel_hi:[0,1,1] neg_lo:[1,0,0] neg_hi:[1,0,0]
	s_waitcnt lgkmcnt(1)
	v_pk_fma_f32 v[172:173], v[184:185], v[208:209], v[172:173] op_sel_hi:[0,1,1] neg_lo:[1,0,0] neg_hi:[1,0,0]
	ds_read2_b64 v[204:207], v197 offset0:16 offset1:17
	v_pk_fma_f32 v[144:145], v[184:185], v[210:211], v[144:145] op_sel_hi:[0,1,1] neg_lo:[1,0,0] neg_hi:[1,0,0]
	ds_read2_b64 v[208:211], v197 offset0:18 offset1:19
	s_waitcnt lgkmcnt(2)
	v_pk_fma_f32 v[170:171], v[184:185], v[212:213], v[170:171] op_sel_hi:[0,1,1] neg_lo:[1,0,0] neg_hi:[1,0,0]
	v_pk_fma_f32 v[142:143], v[184:185], v[214:215], v[142:143] op_sel_hi:[0,1,1] neg_lo:[1,0,0] neg_hi:[1,0,0]
	s_waitcnt lgkmcnt(1)
	v_pk_fma_f32 v[168:169], v[184:185], v[204:205], v[168:169] op_sel_hi:[0,1,1] neg_lo:[1,0,0] neg_hi:[1,0,0]
	ds_read2_b64 v[212:215], v197 offset0:20 offset1:21
	v_pk_fma_f32 v[140:141], v[184:185], v[206:207], v[140:141] op_sel_hi:[0,1,1] neg_lo:[1,0,0] neg_hi:[1,0,0]
	s_waitcnt lgkmcnt(1)
	v_pk_fma_f32 v[166:167], v[184:185], v[208:209], v[166:167] op_sel_hi:[0,1,1] neg_lo:[1,0,0] neg_hi:[1,0,0]
	ds_read2_b64 v[204:207], v197 offset0:22 offset1:23
	v_pk_fma_f32 v[138:139], v[184:185], v[210:211], v[138:139] op_sel_hi:[0,1,1] neg_lo:[1,0,0] neg_hi:[1,0,0]
	ds_read2_b64 v[208:211], v197 offset0:24 offset1:25
	s_waitcnt lgkmcnt(2)
	v_pk_fma_f32 v[164:165], v[184:185], v[212:213], v[164:165] op_sel_hi:[0,1,1] neg_lo:[1,0,0] neg_hi:[1,0,0]
	v_pk_fma_f32 v[136:137], v[184:185], v[214:215], v[136:137] op_sel_hi:[0,1,1] neg_lo:[1,0,0] neg_hi:[1,0,0]
	s_waitcnt lgkmcnt(1)
	v_pk_fma_f32 v[162:163], v[184:185], v[204:205], v[162:163] op_sel_hi:[0,1,1] neg_lo:[1,0,0] neg_hi:[1,0,0]
	v_pk_fma_f32 v[134:135], v[184:185], v[206:207], v[134:135] op_sel_hi:[0,1,1] neg_lo:[1,0,0] neg_hi:[1,0,0]
	ds_read2_b64 v[204:207], v197 offset0:26 offset1:27
	ds_read2_b64 v[212:215], v197 offset0:28 offset1:29
	s_waitcnt lgkmcnt(2)
	v_pk_fma_f32 v[160:161], v[184:185], v[208:209], v[160:161] op_sel_hi:[0,1,1] neg_lo:[1,0,0] neg_hi:[1,0,0]
	v_pk_fma_f32 v[132:133], v[184:185], v[210:211], v[132:133] op_sel_hi:[0,1,1] neg_lo:[1,0,0] neg_hi:[1,0,0]
	ds_read2_b64 v[208:211], v197 offset0:30 offset1:31
	s_waitcnt lgkmcnt(2)
	v_pk_fma_f32 v[158:159], v[184:185], v[204:205], v[158:159] op_sel_hi:[0,1,1] neg_lo:[1,0,0] neg_hi:[1,0,0]
	v_pk_fma_f32 v[130:131], v[184:185], v[206:207], v[130:131] op_sel_hi:[0,1,1] neg_lo:[1,0,0] neg_hi:[1,0,0]
	s_waitcnt lgkmcnt(1)
	v_pk_fma_f32 v[156:157], v[184:185], v[212:213], v[156:157] op_sel_hi:[0,1,1] neg_lo:[1,0,0] neg_hi:[1,0,0]
	v_pk_fma_f32 v[128:129], v[184:185], v[214:215], v[128:129] op_sel_hi:[0,1,1] neg_lo:[1,0,0] neg_hi:[1,0,0]
	;; [unrolled: 3-line block ×3, first 2 shown]
.LBB127_37:
	s_or_b64 exec, exec, s[2:3]
	v_cmp_ne_u32_e32 vcc, 7, v193
	s_waitcnt vmcnt(63) expcnt(7) lgkmcnt(15)
	s_barrier
	s_and_saveexec_b64 s[2:3], vcc
	s_xor_b64 s[2:3], exec, s[2:3]
	s_andn2_saveexec_b64 s[2:3], s[2:3]
	s_cbranch_execz .LBB127_41
; %bb.38:
	v_mov_b32_e32 v198, v180
	v_mov_b32_e32 v199, v181
	v_mov_b32_e32 v200, v152
	v_mov_b32_e32 v201, v153
	s_waitcnt vmcnt(9)
	ds_write_b32 v195, v185
	ds_write2_b64 v197, v[198:199], v[200:201] offset0:4 offset1:5
	v_mov_b32_e32 v198, v178
	v_mov_b32_e32 v199, v179
	v_mov_b32_e32 v200, v150
	v_mov_b32_e32 v201, v151
	ds_write2_b64 v197, v[198:199], v[200:201] offset0:6 offset1:7
	v_mov_b32_e32 v198, v176
	v_mov_b32_e32 v199, v177
	v_mov_b32_e32 v200, v148
	v_mov_b32_e32 v201, v149
	;; [unrolled: 5-line block ×12, first 2 shown]
	ds_write2_b64 v197, v[198:199], v[200:201] offset0:28 offset1:29
	v_mov_b32_e32 v198, v154
	v_mov_b32_e32 v199, v155
	ds_write2_b64 v197, v[198:199], v[182:183] offset0:30 offset1:31
	ds_read_b32 v196, v195
	s_waitcnt lgkmcnt(0)
	v_cmp_neq_f32_e32 vcc, 0, v196
	s_and_saveexec_b64 s[4:5], vcc
	s_cbranch_execz .LBB127_40
; %bb.39:
	v_div_scale_f32 v198, s[10:11], v196, v196, 1.0
	v_rcp_f32_e32 v199, v198
	v_div_scale_f32 v200, vcc, 1.0, v196, 1.0
	v_fma_f32 v201, -v198, v199, 1.0
	v_fmac_f32_e32 v199, v201, v199
	v_mul_f32_e32 v201, v200, v199
	v_fma_f32 v202, -v198, v201, v200
	v_fmac_f32_e32 v201, v202, v199
	v_fma_f32 v198, -v198, v201, v200
	v_div_fmas_f32 v198, v198, v199, v201
	v_div_fixup_f32 v196, v198, v196, 1.0
	ds_write_b32 v195, v196
.LBB127_40:
	s_or_b64 exec, exec, s[4:5]
.LBB127_41:
	s_or_b64 exec, exec, s[2:3]
	s_waitcnt lgkmcnt(0)
	s_barrier
	ds_read_b32 v205, v195
	v_cmp_lt_u32_e32 vcc, 7, v193
	s_and_saveexec_b64 s[2:3], vcc
	s_cbranch_execz .LBB127_43
; %bb.42:
	ds_read2_b64 v[206:209], v197 offset0:4 offset1:5
	ds_read2_b64 v[210:213], v197 offset0:6 offset1:7
	s_waitcnt vmcnt(9) lgkmcnt(2)
	v_mul_f32_e32 v196, v205, v185
	ds_read2_b64 v[214:217], v197 offset0:8 offset1:9
	v_mov_b32_e32 v185, v196
	s_waitcnt lgkmcnt(2)
	v_pk_fma_f32 v[180:181], v[196:197], v[206:207], v[180:181] op_sel_hi:[0,1,1] neg_lo:[1,0,0] neg_hi:[1,0,0]
	v_pk_fma_f32 v[152:153], v[196:197], v[208:209], v[152:153] op_sel_hi:[0,1,1] neg_lo:[1,0,0] neg_hi:[1,0,0]
	s_waitcnt lgkmcnt(1)
	v_pk_fma_f32 v[178:179], v[196:197], v[210:211], v[178:179] op_sel_hi:[0,1,1] neg_lo:[1,0,0] neg_hi:[1,0,0]
	ds_read2_b64 v[206:209], v197 offset0:10 offset1:11
	v_pk_fma_f32 v[150:151], v[196:197], v[212:213], v[150:151] op_sel_hi:[0,1,1] neg_lo:[1,0,0] neg_hi:[1,0,0]
	ds_read2_b64 v[210:213], v197 offset0:12 offset1:13
	s_waitcnt lgkmcnt(2)
	v_pk_fma_f32 v[176:177], v[196:197], v[214:215], v[176:177] op_sel_hi:[0,1,1] neg_lo:[1,0,0] neg_hi:[1,0,0]
	v_pk_fma_f32 v[148:149], v[196:197], v[216:217], v[148:149] op_sel_hi:[0,1,1] neg_lo:[1,0,0] neg_hi:[1,0,0]
	s_waitcnt lgkmcnt(1)
	v_pk_fma_f32 v[174:175], v[196:197], v[206:207], v[174:175] op_sel_hi:[0,1,1] neg_lo:[1,0,0] neg_hi:[1,0,0]
	ds_read2_b64 v[214:217], v197 offset0:14 offset1:15
	v_pk_fma_f32 v[146:147], v[196:197], v[208:209], v[146:147] op_sel_hi:[0,1,1] neg_lo:[1,0,0] neg_hi:[1,0,0]
	s_waitcnt lgkmcnt(1)
	v_pk_fma_f32 v[172:173], v[196:197], v[210:211], v[172:173] op_sel_hi:[0,1,1] neg_lo:[1,0,0] neg_hi:[1,0,0]
	ds_read2_b64 v[206:209], v197 offset0:16 offset1:17
	v_pk_fma_f32 v[144:145], v[196:197], v[212:213], v[144:145] op_sel_hi:[0,1,1] neg_lo:[1,0,0] neg_hi:[1,0,0]
	ds_read2_b64 v[210:213], v197 offset0:18 offset1:19
	s_waitcnt lgkmcnt(2)
	v_pk_fma_f32 v[170:171], v[196:197], v[214:215], v[170:171] op_sel_hi:[0,1,1] neg_lo:[1,0,0] neg_hi:[1,0,0]
	v_pk_fma_f32 v[142:143], v[196:197], v[216:217], v[142:143] op_sel_hi:[0,1,1] neg_lo:[1,0,0] neg_hi:[1,0,0]
	s_waitcnt lgkmcnt(1)
	v_pk_fma_f32 v[168:169], v[196:197], v[206:207], v[168:169] op_sel_hi:[0,1,1] neg_lo:[1,0,0] neg_hi:[1,0,0]
	ds_read2_b64 v[214:217], v197 offset0:20 offset1:21
	v_pk_fma_f32 v[140:141], v[196:197], v[208:209], v[140:141] op_sel_hi:[0,1,1] neg_lo:[1,0,0] neg_hi:[1,0,0]
	s_waitcnt lgkmcnt(1)
	v_pk_fma_f32 v[166:167], v[196:197], v[210:211], v[166:167] op_sel_hi:[0,1,1] neg_lo:[1,0,0] neg_hi:[1,0,0]
	ds_read2_b64 v[206:209], v197 offset0:22 offset1:23
	v_pk_fma_f32 v[138:139], v[196:197], v[212:213], v[138:139] op_sel_hi:[0,1,1] neg_lo:[1,0,0] neg_hi:[1,0,0]
	ds_read2_b64 v[210:213], v197 offset0:24 offset1:25
	s_waitcnt lgkmcnt(2)
	v_pk_fma_f32 v[164:165], v[196:197], v[214:215], v[164:165] op_sel_hi:[0,1,1] neg_lo:[1,0,0] neg_hi:[1,0,0]
	v_pk_fma_f32 v[136:137], v[196:197], v[216:217], v[136:137] op_sel_hi:[0,1,1] neg_lo:[1,0,0] neg_hi:[1,0,0]
	s_waitcnt lgkmcnt(1)
	v_pk_fma_f32 v[162:163], v[196:197], v[206:207], v[162:163] op_sel_hi:[0,1,1] neg_lo:[1,0,0] neg_hi:[1,0,0]
	v_pk_fma_f32 v[134:135], v[196:197], v[208:209], v[134:135] op_sel_hi:[0,1,1] neg_lo:[1,0,0] neg_hi:[1,0,0]
	ds_read2_b64 v[206:209], v197 offset0:26 offset1:27
	s_waitcnt lgkmcnt(1)
	v_pk_fma_f32 v[160:161], v[196:197], v[210:211], v[160:161] op_sel_hi:[0,1,1] neg_lo:[1,0,0] neg_hi:[1,0,0]
	ds_read2_b64 v[214:217], v197 offset0:28 offset1:29
	v_pk_fma_f32 v[132:133], v[196:197], v[212:213], v[132:133] op_sel_hi:[0,1,1] neg_lo:[1,0,0] neg_hi:[1,0,0]
	ds_read2_b64 v[210:213], v197 offset0:30 offset1:31
	s_waitcnt lgkmcnt(2)
	v_pk_fma_f32 v[158:159], v[196:197], v[206:207], v[158:159] op_sel_hi:[0,1,1] neg_lo:[1,0,0] neg_hi:[1,0,0]
	v_pk_fma_f32 v[130:131], v[196:197], v[208:209], v[130:131] op_sel_hi:[0,1,1] neg_lo:[1,0,0] neg_hi:[1,0,0]
	s_waitcnt lgkmcnt(1)
	v_pk_fma_f32 v[156:157], v[196:197], v[214:215], v[156:157] op_sel_hi:[0,1,1] neg_lo:[1,0,0] neg_hi:[1,0,0]
	v_pk_fma_f32 v[128:129], v[196:197], v[216:217], v[128:129] op_sel_hi:[0,1,1] neg_lo:[1,0,0] neg_hi:[1,0,0]
	;; [unrolled: 3-line block ×3, first 2 shown]
.LBB127_43:
	s_or_b64 exec, exec, s[2:3]
	v_cmp_eq_u32_e32 vcc, 8, v193
	s_waitcnt lgkmcnt(0)
	s_barrier
	s_and_saveexec_b64 s[2:3], vcc
	s_cbranch_execz .LBB127_46
; %bb.44:
	v_pk_mov_b32 v[198:199], v[180:181], v[152:153] op_sel:[1,0]
	ds_write_b32 v195, v180
	ds_write2_b32 v197, v198, v199 offset0:9 offset1:10
	v_pk_mov_b32 v[198:199], v[152:153], v[178:179] op_sel:[1,0]
	ds_write2_b32 v197, v198, v199 offset0:11 offset1:12
	v_pk_mov_b32 v[198:199], v[178:179], v[150:151] op_sel:[1,0]
	ds_write2_b32 v197, v198, v199 offset0:13 offset1:14
	v_pk_mov_b32 v[198:199], v[150:151], v[176:177] op_sel:[1,0]
	ds_write2_b32 v197, v198, v199 offset0:15 offset1:16
	s_waitcnt vmcnt(61)
	v_pk_mov_b32 v[198:199], v[176:177], v[148:149] op_sel:[1,0]
	ds_write2_b32 v197, v198, v199 offset0:17 offset1:18
	s_waitcnt vmcnt(59)
	v_pk_mov_b32 v[198:199], v[148:149], v[174:175] op_sel:[1,0]
	;; [unrolled: 3-line block ×23, first 2 shown]
	ds_write2_b32 v197, v198, v199 offset0:61 offset1:62
	ds_write_b32 v197, v183 offset:252
	ds_read_b32 v196, v195
	s_waitcnt lgkmcnt(0)
	v_cmp_neq_f32_e32 vcc, 0, v196
	s_and_b64 exec, exec, vcc
	s_cbranch_execz .LBB127_46
; %bb.45:
	v_div_scale_f32 v198, s[4:5], v196, v196, 1.0
	v_rcp_f32_e32 v199, v198
	v_div_scale_f32 v200, vcc, 1.0, v196, 1.0
	v_fma_f32 v201, -v198, v199, 1.0
	v_fmac_f32_e32 v199, v201, v199
	v_mul_f32_e32 v201, v200, v199
	v_fma_f32 v202, -v198, v201, v200
	v_fmac_f32_e32 v201, v202, v199
	v_fma_f32 v198, -v198, v201, v200
	v_div_fmas_f32 v198, v198, v199, v201
	v_div_fixup_f32 v196, v198, v196, 1.0
	ds_write_b32 v195, v196
.LBB127_46:
	s_or_b64 exec, exec, s[2:3]
	s_waitcnt lgkmcnt(0)
	s_barrier
	ds_read_b32 v204, v195
	v_cmp_lt_u32_e32 vcc, 8, v193
	s_and_saveexec_b64 s[2:3], vcc
	s_cbranch_execz .LBB127_48
; %bb.47:
	ds_read_b32 v196, v197 offset:36
	ds_read2_b64 v[206:209], v197 offset0:5 offset1:6
	s_waitcnt lgkmcnt(2)
	v_mul_f32_e32 v180, v204, v180
	ds_read2_b64 v[210:213], v197 offset0:7 offset1:8
	ds_read2_b64 v[214:217], v197 offset0:9 offset1:10
	ds_read_b64 v[198:199], v197 offset:248
	s_waitcnt lgkmcnt(4)
	v_fma_f32 v181, -v180, v196, v181
	s_waitcnt lgkmcnt(3)
	v_pk_fma_f32 v[152:153], v[180:181], v[206:207], v[152:153] op_sel_hi:[0,1,1] neg_lo:[1,0,0] neg_hi:[1,0,0]
	v_pk_fma_f32 v[178:179], v[180:181], v[208:209], v[178:179] op_sel_hi:[0,1,1] neg_lo:[1,0,0] neg_hi:[1,0,0]
	ds_read2_b64 v[206:209], v197 offset0:11 offset1:12
	s_waitcnt lgkmcnt(3)
	v_pk_fma_f32 v[150:151], v[180:181], v[210:211], v[150:151] op_sel_hi:[0,1,1] neg_lo:[1,0,0] neg_hi:[1,0,0]
	v_pk_fma_f32 v[176:177], v[180:181], v[212:213], v[176:177] op_sel_hi:[0,1,1] neg_lo:[1,0,0] neg_hi:[1,0,0]
	s_waitcnt vmcnt(61) lgkmcnt(2)
	v_pk_fma_f32 v[148:149], v[180:181], v[214:215], v[148:149] op_sel_hi:[0,1,1] neg_lo:[1,0,0] neg_hi:[1,0,0]
	ds_read2_b64 v[210:213], v197 offset0:13 offset1:14
	s_waitcnt vmcnt(59)
	v_pk_fma_f32 v[174:175], v[180:181], v[216:217], v[174:175] op_sel_hi:[0,1,1] neg_lo:[1,0,0] neg_hi:[1,0,0]
	s_waitcnt vmcnt(57) lgkmcnt(1)
	v_pk_fma_f32 v[146:147], v[180:181], v[206:207], v[146:147] op_sel_hi:[0,1,1] neg_lo:[1,0,0] neg_hi:[1,0,0]
	ds_read2_b64 v[214:217], v197 offset0:15 offset1:16
	s_waitcnt vmcnt(55)
	v_pk_fma_f32 v[172:173], v[180:181], v[208:209], v[172:173] op_sel_hi:[0,1,1] neg_lo:[1,0,0] neg_hi:[1,0,0]
	ds_read2_b64 v[206:209], v197 offset0:17 offset1:18
	s_waitcnt vmcnt(53) lgkmcnt(2)
	v_pk_fma_f32 v[144:145], v[180:181], v[210:211], v[144:145] op_sel_hi:[0,1,1] neg_lo:[1,0,0] neg_hi:[1,0,0]
	s_waitcnt vmcnt(51)
	v_pk_fma_f32 v[170:171], v[180:181], v[212:213], v[170:171] op_sel_hi:[0,1,1] neg_lo:[1,0,0] neg_hi:[1,0,0]
	s_waitcnt vmcnt(49) lgkmcnt(1)
	v_pk_fma_f32 v[142:143], v[180:181], v[214:215], v[142:143] op_sel_hi:[0,1,1] neg_lo:[1,0,0] neg_hi:[1,0,0]
	ds_read2_b64 v[210:213], v197 offset0:19 offset1:20
	s_waitcnt vmcnt(47)
	v_pk_fma_f32 v[168:169], v[180:181], v[216:217], v[168:169] op_sel_hi:[0,1,1] neg_lo:[1,0,0] neg_hi:[1,0,0]
	s_waitcnt vmcnt(45) lgkmcnt(1)
	v_pk_fma_f32 v[140:141], v[180:181], v[206:207], v[140:141] op_sel_hi:[0,1,1] neg_lo:[1,0,0] neg_hi:[1,0,0]
	ds_read2_b64 v[214:217], v197 offset0:21 offset1:22
	s_waitcnt vmcnt(43)
	v_pk_fma_f32 v[166:167], v[180:181], v[208:209], v[166:167] op_sel_hi:[0,1,1] neg_lo:[1,0,0] neg_hi:[1,0,0]
	ds_read2_b64 v[206:209], v197 offset0:23 offset1:24
	s_waitcnt vmcnt(41) lgkmcnt(2)
	v_pk_fma_f32 v[138:139], v[180:181], v[210:211], v[138:139] op_sel_hi:[0,1,1] neg_lo:[1,0,0] neg_hi:[1,0,0]
	s_waitcnt vmcnt(39)
	v_pk_fma_f32 v[164:165], v[180:181], v[212:213], v[164:165] op_sel_hi:[0,1,1] neg_lo:[1,0,0] neg_hi:[1,0,0]
	s_waitcnt vmcnt(37) lgkmcnt(1)
	v_pk_fma_f32 v[136:137], v[180:181], v[214:215], v[136:137] op_sel_hi:[0,1,1] neg_lo:[1,0,0] neg_hi:[1,0,0]
	ds_read2_b64 v[210:213], v197 offset0:25 offset1:26
	s_waitcnt vmcnt(35)
	v_pk_fma_f32 v[162:163], v[180:181], v[216:217], v[162:163] op_sel_hi:[0,1,1] neg_lo:[1,0,0] neg_hi:[1,0,0]
	s_waitcnt vmcnt(33) lgkmcnt(1)
	v_pk_fma_f32 v[134:135], v[180:181], v[206:207], v[134:135] op_sel_hi:[0,1,1] neg_lo:[1,0,0] neg_hi:[1,0,0]
	s_waitcnt vmcnt(31)
	v_pk_fma_f32 v[160:161], v[180:181], v[208:209], v[160:161] op_sel_hi:[0,1,1] neg_lo:[1,0,0] neg_hi:[1,0,0]
	ds_read2_b64 v[206:209], v197 offset0:27 offset1:28
	ds_read2_b64 v[214:217], v197 offset0:29 offset1:30
	s_waitcnt vmcnt(29) lgkmcnt(2)
	v_pk_fma_f32 v[132:133], v[180:181], v[210:211], v[132:133] op_sel_hi:[0,1,1] neg_lo:[1,0,0] neg_hi:[1,0,0]
	s_waitcnt vmcnt(27)
	v_pk_fma_f32 v[158:159], v[180:181], v[212:213], v[158:159] op_sel_hi:[0,1,1] neg_lo:[1,0,0] neg_hi:[1,0,0]
	s_waitcnt vmcnt(17)
	v_pk_fma_f32 v[182:183], v[180:181], v[198:199], v[182:183] op_sel_hi:[0,1,1] neg_lo:[1,0,0] neg_hi:[1,0,0]
	s_waitcnt lgkmcnt(1)
	v_pk_fma_f32 v[130:131], v[180:181], v[206:207], v[130:131] op_sel_hi:[0,1,1] neg_lo:[1,0,0] neg_hi:[1,0,0]
	v_pk_fma_f32 v[156:157], v[180:181], v[208:209], v[156:157] op_sel_hi:[0,1,1] neg_lo:[1,0,0] neg_hi:[1,0,0]
	s_waitcnt lgkmcnt(0)
	v_pk_fma_f32 v[128:129], v[180:181], v[214:215], v[128:129] op_sel_hi:[0,1,1] neg_lo:[1,0,0] neg_hi:[1,0,0]
	v_pk_fma_f32 v[154:155], v[180:181], v[216:217], v[154:155] op_sel_hi:[0,1,1] neg_lo:[1,0,0] neg_hi:[1,0,0]
.LBB127_48:
	s_or_b64 exec, exec, s[2:3]
	v_cmp_ne_u32_e32 vcc, 9, v193
	s_waitcnt lgkmcnt(0)
	s_barrier
	s_and_saveexec_b64 s[2:3], vcc
	s_xor_b64 s[2:3], exec, s[2:3]
	s_andn2_saveexec_b64 s[2:3], s[2:3]
	s_cbranch_execz .LBB127_52
; %bb.49:
	ds_write_b32 v195, v181
	ds_write2_b64 v197, v[152:153], v[178:179] offset0:5 offset1:6
	ds_write2_b64 v197, v[150:151], v[176:177] offset0:7 offset1:8
	s_waitcnt vmcnt(59)
	ds_write2_b64 v197, v[148:149], v[174:175] offset0:9 offset1:10
	s_waitcnt vmcnt(55)
	;; [unrolled: 2-line block ×12, first 2 shown]
	ds_write_b64 v197, v[182:183] offset:248
	ds_read_b32 v196, v195
	s_waitcnt lgkmcnt(0)
	v_cmp_neq_f32_e32 vcc, 0, v196
	s_and_saveexec_b64 s[4:5], vcc
	s_cbranch_execz .LBB127_51
; %bb.50:
	v_div_scale_f32 v198, s[10:11], v196, v196, 1.0
	v_rcp_f32_e32 v199, v198
	v_div_scale_f32 v200, vcc, 1.0, v196, 1.0
	v_fma_f32 v201, -v198, v199, 1.0
	v_fmac_f32_e32 v199, v201, v199
	v_mul_f32_e32 v201, v200, v199
	v_fma_f32 v202, -v198, v201, v200
	v_fmac_f32_e32 v201, v202, v199
	v_fma_f32 v198, -v198, v201, v200
	v_div_fmas_f32 v198, v198, v199, v201
	v_div_fixup_f32 v196, v198, v196, 1.0
	ds_write_b32 v195, v196
.LBB127_51:
	s_or_b64 exec, exec, s[4:5]
.LBB127_52:
	s_or_b64 exec, exec, s[2:3]
	s_waitcnt lgkmcnt(0)
	s_barrier
	ds_read_b32 v207, v195
	v_cmp_lt_u32_e32 vcc, 9, v193
	s_and_saveexec_b64 s[2:3], vcc
	s_cbranch_execz .LBB127_54
; %bb.53:
	ds_read2_b64 v[208:211], v197 offset0:5 offset1:6
	ds_read2_b64 v[212:215], v197 offset0:7 offset1:8
	s_waitcnt lgkmcnt(2)
	v_mul_f32_e32 v196, v207, v181
	ds_read2_b64 v[216:219], v197 offset0:9 offset1:10
	v_mov_b32_e32 v181, v196
	s_waitcnt lgkmcnt(2)
	v_pk_fma_f32 v[152:153], v[196:197], v[208:209], v[152:153] op_sel_hi:[0,1,1] neg_lo:[1,0,0] neg_hi:[1,0,0]
	v_pk_fma_f32 v[178:179], v[196:197], v[210:211], v[178:179] op_sel_hi:[0,1,1] neg_lo:[1,0,0] neg_hi:[1,0,0]
	ds_read2_b64 v[208:211], v197 offset0:11 offset1:12
	s_waitcnt lgkmcnt(2)
	v_pk_fma_f32 v[150:151], v[196:197], v[212:213], v[150:151] op_sel_hi:[0,1,1] neg_lo:[1,0,0] neg_hi:[1,0,0]
	v_pk_fma_f32 v[176:177], v[196:197], v[214:215], v[176:177] op_sel_hi:[0,1,1] neg_lo:[1,0,0] neg_hi:[1,0,0]
	s_waitcnt vmcnt(61) lgkmcnt(1)
	v_pk_fma_f32 v[148:149], v[196:197], v[216:217], v[148:149] op_sel_hi:[0,1,1] neg_lo:[1,0,0] neg_hi:[1,0,0]
	ds_read2_b64 v[212:215], v197 offset0:13 offset1:14
	s_waitcnt vmcnt(59)
	v_pk_fma_f32 v[174:175], v[196:197], v[218:219], v[174:175] op_sel_hi:[0,1,1] neg_lo:[1,0,0] neg_hi:[1,0,0]
	s_waitcnt vmcnt(57) lgkmcnt(1)
	v_pk_fma_f32 v[146:147], v[196:197], v[208:209], v[146:147] op_sel_hi:[0,1,1] neg_lo:[1,0,0] neg_hi:[1,0,0]
	ds_read2_b64 v[216:219], v197 offset0:15 offset1:16
	s_waitcnt vmcnt(55)
	v_pk_fma_f32 v[172:173], v[196:197], v[210:211], v[172:173] op_sel_hi:[0,1,1] neg_lo:[1,0,0] neg_hi:[1,0,0]
	ds_read2_b64 v[208:211], v197 offset0:17 offset1:18
	s_waitcnt vmcnt(53) lgkmcnt(2)
	v_pk_fma_f32 v[144:145], v[196:197], v[212:213], v[144:145] op_sel_hi:[0,1,1] neg_lo:[1,0,0] neg_hi:[1,0,0]
	s_waitcnt vmcnt(51)
	v_pk_fma_f32 v[170:171], v[196:197], v[214:215], v[170:171] op_sel_hi:[0,1,1] neg_lo:[1,0,0] neg_hi:[1,0,0]
	s_waitcnt vmcnt(49) lgkmcnt(1)
	v_pk_fma_f32 v[142:143], v[196:197], v[216:217], v[142:143] op_sel_hi:[0,1,1] neg_lo:[1,0,0] neg_hi:[1,0,0]
	ds_read2_b64 v[212:215], v197 offset0:19 offset1:20
	s_waitcnt vmcnt(47)
	v_pk_fma_f32 v[168:169], v[196:197], v[218:219], v[168:169] op_sel_hi:[0,1,1] neg_lo:[1,0,0] neg_hi:[1,0,0]
	s_waitcnt vmcnt(45) lgkmcnt(1)
	v_pk_fma_f32 v[140:141], v[196:197], v[208:209], v[140:141] op_sel_hi:[0,1,1] neg_lo:[1,0,0] neg_hi:[1,0,0]
	ds_read2_b64 v[216:219], v197 offset0:21 offset1:22
	s_waitcnt vmcnt(43)
	v_pk_fma_f32 v[166:167], v[196:197], v[210:211], v[166:167] op_sel_hi:[0,1,1] neg_lo:[1,0,0] neg_hi:[1,0,0]
	ds_read2_b64 v[208:211], v197 offset0:23 offset1:24
	s_waitcnt vmcnt(41) lgkmcnt(2)
	v_pk_fma_f32 v[138:139], v[196:197], v[212:213], v[138:139] op_sel_hi:[0,1,1] neg_lo:[1,0,0] neg_hi:[1,0,0]
	s_waitcnt vmcnt(39)
	v_pk_fma_f32 v[164:165], v[196:197], v[214:215], v[164:165] op_sel_hi:[0,1,1] neg_lo:[1,0,0] neg_hi:[1,0,0]
	s_waitcnt vmcnt(37) lgkmcnt(1)
	v_pk_fma_f32 v[136:137], v[196:197], v[216:217], v[136:137] op_sel_hi:[0,1,1] neg_lo:[1,0,0] neg_hi:[1,0,0]
	ds_read2_b64 v[212:215], v197 offset0:25 offset1:26
	s_waitcnt vmcnt(35)
	v_pk_fma_f32 v[162:163], v[196:197], v[218:219], v[162:163] op_sel_hi:[0,1,1] neg_lo:[1,0,0] neg_hi:[1,0,0]
	s_waitcnt vmcnt(33) lgkmcnt(1)
	v_pk_fma_f32 v[134:135], v[196:197], v[208:209], v[134:135] op_sel_hi:[0,1,1] neg_lo:[1,0,0] neg_hi:[1,0,0]
	s_waitcnt vmcnt(31)
	v_pk_fma_f32 v[160:161], v[196:197], v[210:211], v[160:161] op_sel_hi:[0,1,1] neg_lo:[1,0,0] neg_hi:[1,0,0]
	ds_read2_b64 v[208:211], v197 offset0:27 offset1:28
	ds_read2_b64 v[216:219], v197 offset0:29 offset1:30
	ds_read_b64 v[198:199], v197 offset:248
	s_waitcnt vmcnt(29) lgkmcnt(3)
	v_pk_fma_f32 v[132:133], v[196:197], v[212:213], v[132:133] op_sel_hi:[0,1,1] neg_lo:[1,0,0] neg_hi:[1,0,0]
	s_waitcnt vmcnt(27)
	v_pk_fma_f32 v[158:159], v[196:197], v[214:215], v[158:159] op_sel_hi:[0,1,1] neg_lo:[1,0,0] neg_hi:[1,0,0]
	s_waitcnt vmcnt(25) lgkmcnt(2)
	v_pk_fma_f32 v[130:131], v[196:197], v[208:209], v[130:131] op_sel_hi:[0,1,1] neg_lo:[1,0,0] neg_hi:[1,0,0]
	s_waitcnt vmcnt(23)
	v_pk_fma_f32 v[156:157], v[196:197], v[210:211], v[156:157] op_sel_hi:[0,1,1] neg_lo:[1,0,0] neg_hi:[1,0,0]
	;; [unrolled: 4-line block ×3, first 2 shown]
	s_waitcnt vmcnt(17) lgkmcnt(0)
	v_pk_fma_f32 v[182:183], v[196:197], v[198:199], v[182:183] op_sel_hi:[0,1,1] neg_lo:[1,0,0] neg_hi:[1,0,0]
.LBB127_54:
	s_or_b64 exec, exec, s[2:3]
	v_cmp_eq_u32_e32 vcc, 10, v193
	s_waitcnt lgkmcnt(0)
	s_barrier
	s_and_saveexec_b64 s[2:3], vcc
	s_cbranch_execz .LBB127_57
; %bb.55:
	v_pk_mov_b32 v[198:199], v[152:153], v[178:179] op_sel:[1,0]
	ds_write_b32 v195, v152
	ds_write2_b32 v197, v198, v199 offset0:11 offset1:12
	v_pk_mov_b32 v[198:199], v[178:179], v[150:151] op_sel:[1,0]
	ds_write2_b32 v197, v198, v199 offset0:13 offset1:14
	v_pk_mov_b32 v[198:199], v[150:151], v[176:177] op_sel:[1,0]
	ds_write2_b32 v197, v198, v199 offset0:15 offset1:16
	s_waitcnt vmcnt(61)
	v_pk_mov_b32 v[198:199], v[176:177], v[148:149] op_sel:[1,0]
	ds_write2_b32 v197, v198, v199 offset0:17 offset1:18
	s_waitcnt vmcnt(59)
	;; [unrolled: 3-line block ×23, first 2 shown]
	v_pk_mov_b32 v[198:199], v[154:155], v[182:183] op_sel:[1,0]
	ds_write2_b32 v197, v198, v199 offset0:61 offset1:62
	ds_write_b32 v197, v183 offset:252
	ds_read_b32 v196, v195
	s_waitcnt lgkmcnt(0)
	v_cmp_neq_f32_e32 vcc, 0, v196
	s_and_b64 exec, exec, vcc
	s_cbranch_execz .LBB127_57
; %bb.56:
	v_div_scale_f32 v198, s[4:5], v196, v196, 1.0
	v_rcp_f32_e32 v199, v198
	v_div_scale_f32 v200, vcc, 1.0, v196, 1.0
	v_fma_f32 v201, -v198, v199, 1.0
	v_fmac_f32_e32 v199, v201, v199
	v_mul_f32_e32 v201, v200, v199
	v_fma_f32 v202, -v198, v201, v200
	v_fmac_f32_e32 v201, v202, v199
	v_fma_f32 v198, -v198, v201, v200
	v_div_fmas_f32 v198, v198, v199, v201
	v_div_fixup_f32 v196, v198, v196, 1.0
	ds_write_b32 v195, v196
.LBB127_57:
	s_or_b64 exec, exec, s[2:3]
	s_waitcnt lgkmcnt(0)
	s_barrier
	ds_read_b32 v206, v195
	v_cmp_lt_u32_e32 vcc, 10, v193
	s_and_saveexec_b64 s[2:3], vcc
	s_cbranch_execz .LBB127_59
; %bb.58:
	ds_read_b32 v196, v197 offset:44
	ds_read2_b64 v[208:211], v197 offset0:6 offset1:7
	s_waitcnt lgkmcnt(2)
	v_mul_f32_e32 v152, v206, v152
	ds_read2_b64 v[212:215], v197 offset0:8 offset1:9
	ds_read2_b64 v[216:219], v197 offset0:10 offset1:11
	s_waitcnt lgkmcnt(3)
	v_fma_f32 v153, -v152, v196, v153
	s_waitcnt lgkmcnt(2)
	v_pk_fma_f32 v[178:179], v[152:153], v[208:209], v[178:179] op_sel_hi:[0,1,1] neg_lo:[1,0,0] neg_hi:[1,0,0]
	v_pk_fma_f32 v[150:151], v[152:153], v[210:211], v[150:151] op_sel_hi:[0,1,1] neg_lo:[1,0,0] neg_hi:[1,0,0]
	ds_read2_b64 v[208:211], v197 offset0:12 offset1:13
	s_waitcnt lgkmcnt(2)
	v_pk_fma_f32 v[176:177], v[152:153], v[212:213], v[176:177] op_sel_hi:[0,1,1] neg_lo:[1,0,0] neg_hi:[1,0,0]
	s_waitcnt vmcnt(61)
	v_pk_fma_f32 v[148:149], v[152:153], v[214:215], v[148:149] op_sel_hi:[0,1,1] neg_lo:[1,0,0] neg_hi:[1,0,0]
	s_waitcnt vmcnt(59) lgkmcnt(1)
	v_pk_fma_f32 v[174:175], v[152:153], v[216:217], v[174:175] op_sel_hi:[0,1,1] neg_lo:[1,0,0] neg_hi:[1,0,0]
	ds_read2_b64 v[212:215], v197 offset0:14 offset1:15
	s_waitcnt vmcnt(57)
	v_pk_fma_f32 v[146:147], v[152:153], v[218:219], v[146:147] op_sel_hi:[0,1,1] neg_lo:[1,0,0] neg_hi:[1,0,0]
	s_waitcnt vmcnt(55) lgkmcnt(1)
	v_pk_fma_f32 v[172:173], v[152:153], v[208:209], v[172:173] op_sel_hi:[0,1,1] neg_lo:[1,0,0] neg_hi:[1,0,0]
	ds_read2_b64 v[216:219], v197 offset0:16 offset1:17
	s_waitcnt vmcnt(53)
	v_pk_fma_f32 v[144:145], v[152:153], v[210:211], v[144:145] op_sel_hi:[0,1,1] neg_lo:[1,0,0] neg_hi:[1,0,0]
	ds_read2_b64 v[208:211], v197 offset0:18 offset1:19
	s_waitcnt vmcnt(51) lgkmcnt(2)
	v_pk_fma_f32 v[170:171], v[152:153], v[212:213], v[170:171] op_sel_hi:[0,1,1] neg_lo:[1,0,0] neg_hi:[1,0,0]
	s_waitcnt vmcnt(49)
	v_pk_fma_f32 v[142:143], v[152:153], v[214:215], v[142:143] op_sel_hi:[0,1,1] neg_lo:[1,0,0] neg_hi:[1,0,0]
	s_waitcnt vmcnt(47) lgkmcnt(1)
	v_pk_fma_f32 v[168:169], v[152:153], v[216:217], v[168:169] op_sel_hi:[0,1,1] neg_lo:[1,0,0] neg_hi:[1,0,0]
	ds_read2_b64 v[212:215], v197 offset0:20 offset1:21
	s_waitcnt vmcnt(45)
	v_pk_fma_f32 v[140:141], v[152:153], v[218:219], v[140:141] op_sel_hi:[0,1,1] neg_lo:[1,0,0] neg_hi:[1,0,0]
	s_waitcnt vmcnt(43) lgkmcnt(1)
	v_pk_fma_f32 v[166:167], v[152:153], v[208:209], v[166:167] op_sel_hi:[0,1,1] neg_lo:[1,0,0] neg_hi:[1,0,0]
	ds_read2_b64 v[216:219], v197 offset0:22 offset1:23
	s_waitcnt vmcnt(41)
	v_pk_fma_f32 v[138:139], v[152:153], v[210:211], v[138:139] op_sel_hi:[0,1,1] neg_lo:[1,0,0] neg_hi:[1,0,0]
	ds_read2_b64 v[208:211], v197 offset0:24 offset1:25
	s_waitcnt vmcnt(39) lgkmcnt(2)
	v_pk_fma_f32 v[164:165], v[152:153], v[212:213], v[164:165] op_sel_hi:[0,1,1] neg_lo:[1,0,0] neg_hi:[1,0,0]
	s_waitcnt vmcnt(37)
	v_pk_fma_f32 v[136:137], v[152:153], v[214:215], v[136:137] op_sel_hi:[0,1,1] neg_lo:[1,0,0] neg_hi:[1,0,0]
	s_waitcnt vmcnt(35) lgkmcnt(1)
	v_pk_fma_f32 v[162:163], v[152:153], v[216:217], v[162:163] op_sel_hi:[0,1,1] neg_lo:[1,0,0] neg_hi:[1,0,0]
	s_waitcnt vmcnt(33)
	v_pk_fma_f32 v[134:135], v[152:153], v[218:219], v[134:135] op_sel_hi:[0,1,1] neg_lo:[1,0,0] neg_hi:[1,0,0]
	ds_read2_b64 v[212:215], v197 offset0:26 offset1:27
	s_waitcnt vmcnt(31) lgkmcnt(1)
	v_pk_fma_f32 v[160:161], v[152:153], v[208:209], v[160:161] op_sel_hi:[0,1,1] neg_lo:[1,0,0] neg_hi:[1,0,0]
	ds_read2_b64 v[216:219], v197 offset0:28 offset1:29
	s_waitcnt vmcnt(29)
	v_pk_fma_f32 v[132:133], v[152:153], v[210:211], v[132:133] op_sel_hi:[0,1,1] neg_lo:[1,0,0] neg_hi:[1,0,0]
	ds_read2_b64 v[208:211], v197 offset0:30 offset1:31
	s_waitcnt vmcnt(27) lgkmcnt(2)
	v_pk_fma_f32 v[158:159], v[152:153], v[212:213], v[158:159] op_sel_hi:[0,1,1] neg_lo:[1,0,0] neg_hi:[1,0,0]
	s_waitcnt vmcnt(25)
	v_pk_fma_f32 v[130:131], v[152:153], v[214:215], v[130:131] op_sel_hi:[0,1,1] neg_lo:[1,0,0] neg_hi:[1,0,0]
	s_waitcnt vmcnt(23) lgkmcnt(1)
	v_pk_fma_f32 v[156:157], v[152:153], v[216:217], v[156:157] op_sel_hi:[0,1,1] neg_lo:[1,0,0] neg_hi:[1,0,0]
	s_waitcnt vmcnt(21)
	v_pk_fma_f32 v[128:129], v[152:153], v[218:219], v[128:129] op_sel_hi:[0,1,1] neg_lo:[1,0,0] neg_hi:[1,0,0]
	;; [unrolled: 4-line block ×3, first 2 shown]
.LBB127_59:
	s_or_b64 exec, exec, s[2:3]
	v_cmp_ne_u32_e32 vcc, 11, v193
	s_waitcnt lgkmcnt(0)
	s_barrier
	s_and_saveexec_b64 s[2:3], vcc
	s_xor_b64 s[2:3], exec, s[2:3]
	s_andn2_saveexec_b64 s[2:3], s[2:3]
	s_cbranch_execz .LBB127_63
; %bb.60:
	v_mov_b32_e32 v198, v178
	v_mov_b32_e32 v199, v179
	;; [unrolled: 1-line block ×4, first 2 shown]
	ds_write_b32 v195, v153
	ds_write2_b64 v197, v[198:199], v[200:201] offset0:6 offset1:7
	v_mov_b32_e32 v198, v176
	v_mov_b32_e32 v199, v177
	s_waitcnt vmcnt(62)
	v_mov_b32_e32 v200, v148
	s_waitcnt vmcnt(61)
	v_mov_b32_e32 v201, v149
	ds_write2_b64 v197, v[198:199], v[200:201] offset0:8 offset1:9
	s_waitcnt vmcnt(60)
	v_mov_b32_e32 v198, v174
	s_waitcnt vmcnt(59)
	v_mov_b32_e32 v199, v175
	s_waitcnt vmcnt(58)
	v_mov_b32_e32 v200, v146
	s_waitcnt vmcnt(57)
	v_mov_b32_e32 v201, v147
	ds_write2_b64 v197, v[198:199], v[200:201] offset0:10 offset1:11
	s_waitcnt vmcnt(56)
	v_mov_b32_e32 v198, v172
	s_waitcnt vmcnt(55)
	;; [unrolled: 9-line block ×11, first 2 shown]
	v_mov_b32_e32 v199, v155
	s_waitcnt vmcnt(17)
	ds_write2_b64 v197, v[198:199], v[182:183] offset0:30 offset1:31
	ds_read_b32 v196, v195
	s_waitcnt lgkmcnt(0)
	v_cmp_neq_f32_e32 vcc, 0, v196
	s_and_saveexec_b64 s[4:5], vcc
	s_cbranch_execz .LBB127_62
; %bb.61:
	v_div_scale_f32 v198, s[10:11], v196, v196, 1.0
	v_rcp_f32_e32 v199, v198
	v_div_scale_f32 v200, vcc, 1.0, v196, 1.0
	v_fma_f32 v201, -v198, v199, 1.0
	v_fmac_f32_e32 v199, v201, v199
	v_mul_f32_e32 v201, v200, v199
	v_fma_f32 v202, -v198, v201, v200
	v_fmac_f32_e32 v201, v202, v199
	v_fma_f32 v198, -v198, v201, v200
	v_div_fmas_f32 v198, v198, v199, v201
	v_div_fixup_f32 v196, v198, v196, 1.0
	ds_write_b32 v195, v196
.LBB127_62:
	s_or_b64 exec, exec, s[4:5]
.LBB127_63:
	s_or_b64 exec, exec, s[2:3]
	s_waitcnt lgkmcnt(0)
	s_barrier
	ds_read_b32 v209, v195
	v_cmp_lt_u32_e32 vcc, 11, v193
	s_and_saveexec_b64 s[2:3], vcc
	s_cbranch_execz .LBB127_65
; %bb.64:
	ds_read2_b64 v[210:213], v197 offset0:6 offset1:7
	ds_read2_b64 v[214:217], v197 offset0:8 offset1:9
	s_waitcnt lgkmcnt(2)
	v_mul_f32_e32 v196, v209, v153
	ds_read2_b64 v[218:221], v197 offset0:10 offset1:11
	v_mov_b32_e32 v153, v196
	s_waitcnt lgkmcnt(2)
	v_pk_fma_f32 v[178:179], v[196:197], v[210:211], v[178:179] op_sel_hi:[0,1,1] neg_lo:[1,0,0] neg_hi:[1,0,0]
	v_pk_fma_f32 v[150:151], v[196:197], v[212:213], v[150:151] op_sel_hi:[0,1,1] neg_lo:[1,0,0] neg_hi:[1,0,0]
	ds_read2_b64 v[210:213], v197 offset0:12 offset1:13
	s_waitcnt lgkmcnt(2)
	v_pk_fma_f32 v[176:177], v[196:197], v[214:215], v[176:177] op_sel_hi:[0,1,1] neg_lo:[1,0,0] neg_hi:[1,0,0]
	s_waitcnt vmcnt(61)
	v_pk_fma_f32 v[148:149], v[196:197], v[216:217], v[148:149] op_sel_hi:[0,1,1] neg_lo:[1,0,0] neg_hi:[1,0,0]
	s_waitcnt vmcnt(59) lgkmcnt(1)
	v_pk_fma_f32 v[174:175], v[196:197], v[218:219], v[174:175] op_sel_hi:[0,1,1] neg_lo:[1,0,0] neg_hi:[1,0,0]
	ds_read2_b64 v[214:217], v197 offset0:14 offset1:15
	s_waitcnt vmcnt(57)
	v_pk_fma_f32 v[146:147], v[196:197], v[220:221], v[146:147] op_sel_hi:[0,1,1] neg_lo:[1,0,0] neg_hi:[1,0,0]
	s_waitcnt vmcnt(55) lgkmcnt(1)
	v_pk_fma_f32 v[172:173], v[196:197], v[210:211], v[172:173] op_sel_hi:[0,1,1] neg_lo:[1,0,0] neg_hi:[1,0,0]
	ds_read2_b64 v[218:221], v197 offset0:16 offset1:17
	s_waitcnt vmcnt(53)
	v_pk_fma_f32 v[144:145], v[196:197], v[212:213], v[144:145] op_sel_hi:[0,1,1] neg_lo:[1,0,0] neg_hi:[1,0,0]
	ds_read2_b64 v[210:213], v197 offset0:18 offset1:19
	s_waitcnt vmcnt(51) lgkmcnt(2)
	v_pk_fma_f32 v[170:171], v[196:197], v[214:215], v[170:171] op_sel_hi:[0,1,1] neg_lo:[1,0,0] neg_hi:[1,0,0]
	s_waitcnt vmcnt(49)
	v_pk_fma_f32 v[142:143], v[196:197], v[216:217], v[142:143] op_sel_hi:[0,1,1] neg_lo:[1,0,0] neg_hi:[1,0,0]
	s_waitcnt vmcnt(47) lgkmcnt(1)
	v_pk_fma_f32 v[168:169], v[196:197], v[218:219], v[168:169] op_sel_hi:[0,1,1] neg_lo:[1,0,0] neg_hi:[1,0,0]
	ds_read2_b64 v[214:217], v197 offset0:20 offset1:21
	s_waitcnt vmcnt(45)
	v_pk_fma_f32 v[140:141], v[196:197], v[220:221], v[140:141] op_sel_hi:[0,1,1] neg_lo:[1,0,0] neg_hi:[1,0,0]
	s_waitcnt vmcnt(43) lgkmcnt(1)
	v_pk_fma_f32 v[166:167], v[196:197], v[210:211], v[166:167] op_sel_hi:[0,1,1] neg_lo:[1,0,0] neg_hi:[1,0,0]
	ds_read2_b64 v[218:221], v197 offset0:22 offset1:23
	s_waitcnt vmcnt(41)
	v_pk_fma_f32 v[138:139], v[196:197], v[212:213], v[138:139] op_sel_hi:[0,1,1] neg_lo:[1,0,0] neg_hi:[1,0,0]
	ds_read2_b64 v[210:213], v197 offset0:24 offset1:25
	s_waitcnt vmcnt(39) lgkmcnt(2)
	v_pk_fma_f32 v[164:165], v[196:197], v[214:215], v[164:165] op_sel_hi:[0,1,1] neg_lo:[1,0,0] neg_hi:[1,0,0]
	s_waitcnt vmcnt(37)
	v_pk_fma_f32 v[136:137], v[196:197], v[216:217], v[136:137] op_sel_hi:[0,1,1] neg_lo:[1,0,0] neg_hi:[1,0,0]
	s_waitcnt vmcnt(35) lgkmcnt(1)
	v_pk_fma_f32 v[162:163], v[196:197], v[218:219], v[162:163] op_sel_hi:[0,1,1] neg_lo:[1,0,0] neg_hi:[1,0,0]
	s_waitcnt vmcnt(33)
	v_pk_fma_f32 v[134:135], v[196:197], v[220:221], v[134:135] op_sel_hi:[0,1,1] neg_lo:[1,0,0] neg_hi:[1,0,0]
	ds_read2_b64 v[214:217], v197 offset0:26 offset1:27
	ds_read2_b64 v[218:221], v197 offset0:28 offset1:29
	s_waitcnt vmcnt(31) lgkmcnt(2)
	v_pk_fma_f32 v[160:161], v[196:197], v[210:211], v[160:161] op_sel_hi:[0,1,1] neg_lo:[1,0,0] neg_hi:[1,0,0]
	s_waitcnt vmcnt(29)
	v_pk_fma_f32 v[132:133], v[196:197], v[212:213], v[132:133] op_sel_hi:[0,1,1] neg_lo:[1,0,0] neg_hi:[1,0,0]
	ds_read2_b64 v[210:213], v197 offset0:30 offset1:31
	s_waitcnt vmcnt(27) lgkmcnt(2)
	v_pk_fma_f32 v[158:159], v[196:197], v[214:215], v[158:159] op_sel_hi:[0,1,1] neg_lo:[1,0,0] neg_hi:[1,0,0]
	s_waitcnt vmcnt(25)
	v_pk_fma_f32 v[130:131], v[196:197], v[216:217], v[130:131] op_sel_hi:[0,1,1] neg_lo:[1,0,0] neg_hi:[1,0,0]
	s_waitcnt vmcnt(23) lgkmcnt(1)
	v_pk_fma_f32 v[156:157], v[196:197], v[218:219], v[156:157] op_sel_hi:[0,1,1] neg_lo:[1,0,0] neg_hi:[1,0,0]
	s_waitcnt vmcnt(21)
	v_pk_fma_f32 v[128:129], v[196:197], v[220:221], v[128:129] op_sel_hi:[0,1,1] neg_lo:[1,0,0] neg_hi:[1,0,0]
	;; [unrolled: 4-line block ×3, first 2 shown]
.LBB127_65:
	s_or_b64 exec, exec, s[2:3]
	v_cmp_eq_u32_e32 vcc, 12, v193
	s_waitcnt lgkmcnt(0)
	s_barrier
	s_and_saveexec_b64 s[2:3], vcc
	s_cbranch_execz .LBB127_68
; %bb.66:
	v_pk_mov_b32 v[198:199], v[178:179], v[150:151] op_sel:[1,0]
	ds_write_b32 v195, v178
	ds_write2_b32 v197, v198, v199 offset0:13 offset1:14
	v_pk_mov_b32 v[198:199], v[150:151], v[176:177] op_sel:[1,0]
	ds_write2_b32 v197, v198, v199 offset0:15 offset1:16
	s_waitcnt vmcnt(61)
	v_pk_mov_b32 v[198:199], v[176:177], v[148:149] op_sel:[1,0]
	ds_write2_b32 v197, v198, v199 offset0:17 offset1:18
	s_waitcnt vmcnt(59)
	;; [unrolled: 3-line block ×23, first 2 shown]
	v_pk_mov_b32 v[198:199], v[154:155], v[182:183] op_sel:[1,0]
	ds_write2_b32 v197, v198, v199 offset0:61 offset1:62
	ds_write_b32 v197, v183 offset:252
	ds_read_b32 v196, v195
	s_waitcnt lgkmcnt(0)
	v_cmp_neq_f32_e32 vcc, 0, v196
	s_and_b64 exec, exec, vcc
	s_cbranch_execz .LBB127_68
; %bb.67:
	v_div_scale_f32 v198, s[4:5], v196, v196, 1.0
	v_rcp_f32_e32 v199, v198
	v_div_scale_f32 v200, vcc, 1.0, v196, 1.0
	v_fma_f32 v201, -v198, v199, 1.0
	v_fmac_f32_e32 v199, v201, v199
	v_mul_f32_e32 v201, v200, v199
	v_fma_f32 v202, -v198, v201, v200
	v_fmac_f32_e32 v201, v202, v199
	v_fma_f32 v198, -v198, v201, v200
	v_div_fmas_f32 v198, v198, v199, v201
	v_div_fixup_f32 v196, v198, v196, 1.0
	ds_write_b32 v195, v196
.LBB127_68:
	s_or_b64 exec, exec, s[2:3]
	s_waitcnt lgkmcnt(0)
	s_barrier
	ds_read_b32 v208, v195
	v_cmp_lt_u32_e32 vcc, 12, v193
	s_and_saveexec_b64 s[2:3], vcc
	s_cbranch_execz .LBB127_70
; %bb.69:
	ds_read_b32 v196, v197 offset:52
	ds_read2_b64 v[210:213], v197 offset0:7 offset1:8
	ds_read2_b64 v[214:217], v197 offset0:9 offset1:10
	;; [unrolled: 1-line block ×3, first 2 shown]
	s_waitcnt lgkmcnt(4)
	v_mul_f32_e32 v178, v208, v178
	ds_read_b64 v[198:199], v197 offset:248
	s_waitcnt lgkmcnt(4)
	v_fma_f32 v179, -v178, v196, v179
	s_waitcnt lgkmcnt(3)
	v_pk_fma_f32 v[150:151], v[178:179], v[210:211], v[150:151] op_sel_hi:[0,1,1] neg_lo:[1,0,0] neg_hi:[1,0,0]
	v_pk_fma_f32 v[176:177], v[178:179], v[212:213], v[176:177] op_sel_hi:[0,1,1] neg_lo:[1,0,0] neg_hi:[1,0,0]
	s_waitcnt vmcnt(61) lgkmcnt(2)
	v_pk_fma_f32 v[148:149], v[178:179], v[214:215], v[148:149] op_sel_hi:[0,1,1] neg_lo:[1,0,0] neg_hi:[1,0,0]
	ds_read2_b64 v[210:213], v197 offset0:13 offset1:14
	s_waitcnt vmcnt(59)
	v_pk_fma_f32 v[174:175], v[178:179], v[216:217], v[174:175] op_sel_hi:[0,1,1] neg_lo:[1,0,0] neg_hi:[1,0,0]
	s_waitcnt vmcnt(57) lgkmcnt(2)
	v_pk_fma_f32 v[146:147], v[178:179], v[218:219], v[146:147] op_sel_hi:[0,1,1] neg_lo:[1,0,0] neg_hi:[1,0,0]
	ds_read2_b64 v[214:217], v197 offset0:15 offset1:16
	s_waitcnt vmcnt(55)
	v_pk_fma_f32 v[172:173], v[178:179], v[220:221], v[172:173] op_sel_hi:[0,1,1] neg_lo:[1,0,0] neg_hi:[1,0,0]
	ds_read2_b64 v[218:221], v197 offset0:17 offset1:18
	s_waitcnt vmcnt(53) lgkmcnt(2)
	v_pk_fma_f32 v[144:145], v[178:179], v[210:211], v[144:145] op_sel_hi:[0,1,1] neg_lo:[1,0,0] neg_hi:[1,0,0]
	s_waitcnt vmcnt(51)
	v_pk_fma_f32 v[170:171], v[178:179], v[212:213], v[170:171] op_sel_hi:[0,1,1] neg_lo:[1,0,0] neg_hi:[1,0,0]
	s_waitcnt vmcnt(49) lgkmcnt(1)
	v_pk_fma_f32 v[142:143], v[178:179], v[214:215], v[142:143] op_sel_hi:[0,1,1] neg_lo:[1,0,0] neg_hi:[1,0,0]
	ds_read2_b64 v[210:213], v197 offset0:19 offset1:20
	s_waitcnt vmcnt(47)
	v_pk_fma_f32 v[168:169], v[178:179], v[216:217], v[168:169] op_sel_hi:[0,1,1] neg_lo:[1,0,0] neg_hi:[1,0,0]
	s_waitcnt vmcnt(45) lgkmcnt(1)
	v_pk_fma_f32 v[140:141], v[178:179], v[218:219], v[140:141] op_sel_hi:[0,1,1] neg_lo:[1,0,0] neg_hi:[1,0,0]
	ds_read2_b64 v[214:217], v197 offset0:21 offset1:22
	s_waitcnt vmcnt(43)
	v_pk_fma_f32 v[166:167], v[178:179], v[220:221], v[166:167] op_sel_hi:[0,1,1] neg_lo:[1,0,0] neg_hi:[1,0,0]
	ds_read2_b64 v[218:221], v197 offset0:23 offset1:24
	s_waitcnt vmcnt(41) lgkmcnt(2)
	v_pk_fma_f32 v[138:139], v[178:179], v[210:211], v[138:139] op_sel_hi:[0,1,1] neg_lo:[1,0,0] neg_hi:[1,0,0]
	s_waitcnt vmcnt(39)
	v_pk_fma_f32 v[164:165], v[178:179], v[212:213], v[164:165] op_sel_hi:[0,1,1] neg_lo:[1,0,0] neg_hi:[1,0,0]
	s_waitcnt vmcnt(37) lgkmcnt(1)
	v_pk_fma_f32 v[136:137], v[178:179], v[214:215], v[136:137] op_sel_hi:[0,1,1] neg_lo:[1,0,0] neg_hi:[1,0,0]
	ds_read2_b64 v[210:213], v197 offset0:25 offset1:26
	s_waitcnt vmcnt(35)
	v_pk_fma_f32 v[162:163], v[178:179], v[216:217], v[162:163] op_sel_hi:[0,1,1] neg_lo:[1,0,0] neg_hi:[1,0,0]
	s_waitcnt vmcnt(33) lgkmcnt(1)
	v_pk_fma_f32 v[134:135], v[178:179], v[218:219], v[134:135] op_sel_hi:[0,1,1] neg_lo:[1,0,0] neg_hi:[1,0,0]
	s_waitcnt vmcnt(31)
	v_pk_fma_f32 v[160:161], v[178:179], v[220:221], v[160:161] op_sel_hi:[0,1,1] neg_lo:[1,0,0] neg_hi:[1,0,0]
	ds_read2_b64 v[214:217], v197 offset0:27 offset1:28
	ds_read2_b64 v[218:221], v197 offset0:29 offset1:30
	s_waitcnt vmcnt(29) lgkmcnt(2)
	v_pk_fma_f32 v[132:133], v[178:179], v[210:211], v[132:133] op_sel_hi:[0,1,1] neg_lo:[1,0,0] neg_hi:[1,0,0]
	s_waitcnt vmcnt(27)
	v_pk_fma_f32 v[158:159], v[178:179], v[212:213], v[158:159] op_sel_hi:[0,1,1] neg_lo:[1,0,0] neg_hi:[1,0,0]
	s_waitcnt vmcnt(17)
	v_pk_fma_f32 v[182:183], v[178:179], v[198:199], v[182:183] op_sel_hi:[0,1,1] neg_lo:[1,0,0] neg_hi:[1,0,0]
	s_waitcnt lgkmcnt(1)
	v_pk_fma_f32 v[130:131], v[178:179], v[214:215], v[130:131] op_sel_hi:[0,1,1] neg_lo:[1,0,0] neg_hi:[1,0,0]
	v_pk_fma_f32 v[156:157], v[178:179], v[216:217], v[156:157] op_sel_hi:[0,1,1] neg_lo:[1,0,0] neg_hi:[1,0,0]
	s_waitcnt lgkmcnt(0)
	v_pk_fma_f32 v[128:129], v[178:179], v[218:219], v[128:129] op_sel_hi:[0,1,1] neg_lo:[1,0,0] neg_hi:[1,0,0]
	v_pk_fma_f32 v[154:155], v[178:179], v[220:221], v[154:155] op_sel_hi:[0,1,1] neg_lo:[1,0,0] neg_hi:[1,0,0]
.LBB127_70:
	s_or_b64 exec, exec, s[2:3]
	v_cmp_ne_u32_e32 vcc, 13, v193
	s_waitcnt lgkmcnt(0)
	s_barrier
	s_and_saveexec_b64 s[2:3], vcc
	s_xor_b64 s[2:3], exec, s[2:3]
	s_andn2_saveexec_b64 s[2:3], s[2:3]
	s_cbranch_execz .LBB127_74
; %bb.71:
	ds_write_b32 v195, v179
	ds_write2_b64 v197, v[150:151], v[176:177] offset0:7 offset1:8
	s_waitcnt vmcnt(59)
	ds_write2_b64 v197, v[148:149], v[174:175] offset0:9 offset1:10
	s_waitcnt vmcnt(55)
	;; [unrolled: 2-line block ×12, first 2 shown]
	ds_write_b64 v197, v[182:183] offset:248
	ds_read_b32 v196, v195
	s_waitcnt lgkmcnt(0)
	v_cmp_neq_f32_e32 vcc, 0, v196
	s_and_saveexec_b64 s[4:5], vcc
	s_cbranch_execz .LBB127_73
; %bb.72:
	v_div_scale_f32 v198, s[10:11], v196, v196, 1.0
	v_rcp_f32_e32 v199, v198
	v_div_scale_f32 v200, vcc, 1.0, v196, 1.0
	v_fma_f32 v201, -v198, v199, 1.0
	v_fmac_f32_e32 v199, v201, v199
	v_mul_f32_e32 v201, v200, v199
	v_fma_f32 v202, -v198, v201, v200
	v_fmac_f32_e32 v201, v202, v199
	v_fma_f32 v198, -v198, v201, v200
	v_div_fmas_f32 v198, v198, v199, v201
	v_div_fixup_f32 v196, v198, v196, 1.0
	ds_write_b32 v195, v196
.LBB127_73:
	s_or_b64 exec, exec, s[4:5]
.LBB127_74:
	s_or_b64 exec, exec, s[2:3]
	s_waitcnt lgkmcnt(0)
	s_barrier
	ds_read_b32 v211, v195
	v_cmp_lt_u32_e32 vcc, 13, v193
	s_and_saveexec_b64 s[2:3], vcc
	s_cbranch_execz .LBB127_76
; %bb.75:
	ds_read2_b64 v[212:215], v197 offset0:7 offset1:8
	ds_read2_b64 v[216:219], v197 offset0:9 offset1:10
	;; [unrolled: 1-line block ×3, first 2 shown]
	s_waitcnt lgkmcnt(3)
	v_mul_f32_e32 v196, v211, v179
	ds_read_b64 v[198:199], v197 offset:248
	s_waitcnt lgkmcnt(3)
	v_pk_fma_f32 v[150:151], v[196:197], v[212:213], v[150:151] op_sel_hi:[0,1,1] neg_lo:[1,0,0] neg_hi:[1,0,0]
	v_pk_fma_f32 v[176:177], v[196:197], v[214:215], v[176:177] op_sel_hi:[0,1,1] neg_lo:[1,0,0] neg_hi:[1,0,0]
	s_waitcnt vmcnt(61) lgkmcnt(2)
	v_pk_fma_f32 v[148:149], v[196:197], v[216:217], v[148:149] op_sel_hi:[0,1,1] neg_lo:[1,0,0] neg_hi:[1,0,0]
	ds_read2_b64 v[212:215], v197 offset0:13 offset1:14
	s_waitcnt vmcnt(59)
	v_pk_fma_f32 v[174:175], v[196:197], v[218:219], v[174:175] op_sel_hi:[0,1,1] neg_lo:[1,0,0] neg_hi:[1,0,0]
	s_waitcnt vmcnt(57) lgkmcnt(2)
	v_pk_fma_f32 v[146:147], v[196:197], v[220:221], v[146:147] op_sel_hi:[0,1,1] neg_lo:[1,0,0] neg_hi:[1,0,0]
	ds_read2_b64 v[216:219], v197 offset0:15 offset1:16
	s_waitcnt vmcnt(55)
	v_pk_fma_f32 v[172:173], v[196:197], v[222:223], v[172:173] op_sel_hi:[0,1,1] neg_lo:[1,0,0] neg_hi:[1,0,0]
	ds_read2_b64 v[220:223], v197 offset0:17 offset1:18
	s_waitcnt vmcnt(53) lgkmcnt(2)
	v_pk_fma_f32 v[144:145], v[196:197], v[212:213], v[144:145] op_sel_hi:[0,1,1] neg_lo:[1,0,0] neg_hi:[1,0,0]
	s_waitcnt vmcnt(51)
	v_pk_fma_f32 v[170:171], v[196:197], v[214:215], v[170:171] op_sel_hi:[0,1,1] neg_lo:[1,0,0] neg_hi:[1,0,0]
	s_waitcnt vmcnt(49) lgkmcnt(1)
	v_pk_fma_f32 v[142:143], v[196:197], v[216:217], v[142:143] op_sel_hi:[0,1,1] neg_lo:[1,0,0] neg_hi:[1,0,0]
	ds_read2_b64 v[212:215], v197 offset0:19 offset1:20
	s_waitcnt vmcnt(47)
	v_pk_fma_f32 v[168:169], v[196:197], v[218:219], v[168:169] op_sel_hi:[0,1,1] neg_lo:[1,0,0] neg_hi:[1,0,0]
	s_waitcnt vmcnt(45) lgkmcnt(1)
	v_pk_fma_f32 v[140:141], v[196:197], v[220:221], v[140:141] op_sel_hi:[0,1,1] neg_lo:[1,0,0] neg_hi:[1,0,0]
	ds_read2_b64 v[216:219], v197 offset0:21 offset1:22
	s_waitcnt vmcnt(43)
	v_pk_fma_f32 v[166:167], v[196:197], v[222:223], v[166:167] op_sel_hi:[0,1,1] neg_lo:[1,0,0] neg_hi:[1,0,0]
	ds_read2_b64 v[220:223], v197 offset0:23 offset1:24
	s_waitcnt vmcnt(41) lgkmcnt(2)
	v_pk_fma_f32 v[138:139], v[196:197], v[212:213], v[138:139] op_sel_hi:[0,1,1] neg_lo:[1,0,0] neg_hi:[1,0,0]
	s_waitcnt vmcnt(39)
	v_pk_fma_f32 v[164:165], v[196:197], v[214:215], v[164:165] op_sel_hi:[0,1,1] neg_lo:[1,0,0] neg_hi:[1,0,0]
	s_waitcnt vmcnt(37) lgkmcnt(1)
	v_pk_fma_f32 v[136:137], v[196:197], v[216:217], v[136:137] op_sel_hi:[0,1,1] neg_lo:[1,0,0] neg_hi:[1,0,0]
	ds_read2_b64 v[212:215], v197 offset0:25 offset1:26
	s_waitcnt vmcnt(35)
	v_pk_fma_f32 v[162:163], v[196:197], v[218:219], v[162:163] op_sel_hi:[0,1,1] neg_lo:[1,0,0] neg_hi:[1,0,0]
	s_waitcnt vmcnt(33) lgkmcnt(1)
	v_pk_fma_f32 v[134:135], v[196:197], v[220:221], v[134:135] op_sel_hi:[0,1,1] neg_lo:[1,0,0] neg_hi:[1,0,0]
	s_waitcnt vmcnt(31)
	v_pk_fma_f32 v[160:161], v[196:197], v[222:223], v[160:161] op_sel_hi:[0,1,1] neg_lo:[1,0,0] neg_hi:[1,0,0]
	ds_read2_b64 v[216:219], v197 offset0:27 offset1:28
	ds_read2_b64 v[220:223], v197 offset0:29 offset1:30
	s_waitcnt vmcnt(29) lgkmcnt(2)
	v_pk_fma_f32 v[132:133], v[196:197], v[212:213], v[132:133] op_sel_hi:[0,1,1] neg_lo:[1,0,0] neg_hi:[1,0,0]
	s_waitcnt vmcnt(27)
	v_pk_fma_f32 v[158:159], v[196:197], v[214:215], v[158:159] op_sel_hi:[0,1,1] neg_lo:[1,0,0] neg_hi:[1,0,0]
	s_waitcnt vmcnt(17)
	v_pk_fma_f32 v[182:183], v[196:197], v[198:199], v[182:183] op_sel_hi:[0,1,1] neg_lo:[1,0,0] neg_hi:[1,0,0]
	s_waitcnt lgkmcnt(1)
	v_pk_fma_f32 v[130:131], v[196:197], v[216:217], v[130:131] op_sel_hi:[0,1,1] neg_lo:[1,0,0] neg_hi:[1,0,0]
	v_pk_fma_f32 v[156:157], v[196:197], v[218:219], v[156:157] op_sel_hi:[0,1,1] neg_lo:[1,0,0] neg_hi:[1,0,0]
	s_waitcnt lgkmcnt(0)
	v_pk_fma_f32 v[128:129], v[196:197], v[220:221], v[128:129] op_sel_hi:[0,1,1] neg_lo:[1,0,0] neg_hi:[1,0,0]
	v_pk_fma_f32 v[154:155], v[196:197], v[222:223], v[154:155] op_sel_hi:[0,1,1] neg_lo:[1,0,0] neg_hi:[1,0,0]
	v_mov_b32_e32 v179, v196
.LBB127_76:
	s_or_b64 exec, exec, s[2:3]
	v_cmp_eq_u32_e32 vcc, 14, v193
	s_waitcnt lgkmcnt(0)
	s_barrier
	s_and_saveexec_b64 s[2:3], vcc
	s_cbranch_execz .LBB127_79
; %bb.77:
	v_pk_mov_b32 v[198:199], v[150:151], v[176:177] op_sel:[1,0]
	ds_write_b32 v195, v150
	ds_write2_b32 v197, v198, v199 offset0:15 offset1:16
	s_waitcnt vmcnt(61)
	v_pk_mov_b32 v[198:199], v[176:177], v[148:149] op_sel:[1,0]
	ds_write2_b32 v197, v198, v199 offset0:17 offset1:18
	s_waitcnt vmcnt(59)
	v_pk_mov_b32 v[198:199], v[148:149], v[174:175] op_sel:[1,0]
	;; [unrolled: 3-line block ×23, first 2 shown]
	ds_write2_b32 v197, v198, v199 offset0:61 offset1:62
	ds_write_b32 v197, v183 offset:252
	ds_read_b32 v196, v195
	s_waitcnt lgkmcnt(0)
	v_cmp_neq_f32_e32 vcc, 0, v196
	s_and_b64 exec, exec, vcc
	s_cbranch_execz .LBB127_79
; %bb.78:
	v_div_scale_f32 v198, s[4:5], v196, v196, 1.0
	v_rcp_f32_e32 v199, v198
	v_div_scale_f32 v200, vcc, 1.0, v196, 1.0
	v_fma_f32 v201, -v198, v199, 1.0
	v_fmac_f32_e32 v199, v201, v199
	v_mul_f32_e32 v201, v200, v199
	v_fma_f32 v202, -v198, v201, v200
	v_fmac_f32_e32 v201, v202, v199
	v_fma_f32 v198, -v198, v201, v200
	v_div_fmas_f32 v198, v198, v199, v201
	v_div_fixup_f32 v196, v198, v196, 1.0
	ds_write_b32 v195, v196
.LBB127_79:
	s_or_b64 exec, exec, s[2:3]
	s_waitcnt lgkmcnt(0)
	s_barrier
	ds_read_b32 v210, v195
	v_cmp_lt_u32_e32 vcc, 14, v193
	s_and_saveexec_b64 s[2:3], vcc
	s_cbranch_execz .LBB127_81
; %bb.80:
	ds_read_b32 v196, v197 offset:60
	ds_read2_b64 v[212:215], v197 offset0:8 offset1:9
	ds_read2_b64 v[216:219], v197 offset0:10 offset1:11
	;; [unrolled: 1-line block ×3, first 2 shown]
	s_waitcnt lgkmcnt(4)
	v_mul_f32_e32 v150, v210, v150
	s_waitcnt lgkmcnt(3)
	v_fma_f32 v151, -v150, v196, v151
	s_waitcnt lgkmcnt(2)
	v_pk_fma_f32 v[176:177], v[150:151], v[212:213], v[176:177] op_sel_hi:[0,1,1] neg_lo:[1,0,0] neg_hi:[1,0,0]
	s_waitcnt vmcnt(61)
	v_pk_fma_f32 v[148:149], v[150:151], v[214:215], v[148:149] op_sel_hi:[0,1,1] neg_lo:[1,0,0] neg_hi:[1,0,0]
	s_waitcnt vmcnt(59) lgkmcnt(1)
	v_pk_fma_f32 v[174:175], v[150:151], v[216:217], v[174:175] op_sel_hi:[0,1,1] neg_lo:[1,0,0] neg_hi:[1,0,0]
	ds_read2_b64 v[212:215], v197 offset0:14 offset1:15
	s_waitcnt vmcnt(57)
	v_pk_fma_f32 v[146:147], v[150:151], v[218:219], v[146:147] op_sel_hi:[0,1,1] neg_lo:[1,0,0] neg_hi:[1,0,0]
	s_waitcnt vmcnt(55) lgkmcnt(1)
	v_pk_fma_f32 v[172:173], v[150:151], v[220:221], v[172:173] op_sel_hi:[0,1,1] neg_lo:[1,0,0] neg_hi:[1,0,0]
	ds_read2_b64 v[216:219], v197 offset0:16 offset1:17
	s_waitcnt vmcnt(53)
	v_pk_fma_f32 v[144:145], v[150:151], v[222:223], v[144:145] op_sel_hi:[0,1,1] neg_lo:[1,0,0] neg_hi:[1,0,0]
	ds_read2_b64 v[220:223], v197 offset0:18 offset1:19
	s_waitcnt vmcnt(51) lgkmcnt(2)
	v_pk_fma_f32 v[170:171], v[150:151], v[212:213], v[170:171] op_sel_hi:[0,1,1] neg_lo:[1,0,0] neg_hi:[1,0,0]
	s_waitcnt vmcnt(49)
	v_pk_fma_f32 v[142:143], v[150:151], v[214:215], v[142:143] op_sel_hi:[0,1,1] neg_lo:[1,0,0] neg_hi:[1,0,0]
	s_waitcnt vmcnt(47) lgkmcnt(1)
	v_pk_fma_f32 v[168:169], v[150:151], v[216:217], v[168:169] op_sel_hi:[0,1,1] neg_lo:[1,0,0] neg_hi:[1,0,0]
	ds_read2_b64 v[212:215], v197 offset0:20 offset1:21
	s_waitcnt vmcnt(45)
	v_pk_fma_f32 v[140:141], v[150:151], v[218:219], v[140:141] op_sel_hi:[0,1,1] neg_lo:[1,0,0] neg_hi:[1,0,0]
	s_waitcnt vmcnt(43) lgkmcnt(1)
	v_pk_fma_f32 v[166:167], v[150:151], v[220:221], v[166:167] op_sel_hi:[0,1,1] neg_lo:[1,0,0] neg_hi:[1,0,0]
	ds_read2_b64 v[216:219], v197 offset0:22 offset1:23
	s_waitcnt vmcnt(41)
	v_pk_fma_f32 v[138:139], v[150:151], v[222:223], v[138:139] op_sel_hi:[0,1,1] neg_lo:[1,0,0] neg_hi:[1,0,0]
	ds_read2_b64 v[220:223], v197 offset0:24 offset1:25
	s_waitcnt vmcnt(39) lgkmcnt(2)
	v_pk_fma_f32 v[164:165], v[150:151], v[212:213], v[164:165] op_sel_hi:[0,1,1] neg_lo:[1,0,0] neg_hi:[1,0,0]
	s_waitcnt vmcnt(37)
	v_pk_fma_f32 v[136:137], v[150:151], v[214:215], v[136:137] op_sel_hi:[0,1,1] neg_lo:[1,0,0] neg_hi:[1,0,0]
	s_waitcnt vmcnt(35) lgkmcnt(1)
	v_pk_fma_f32 v[162:163], v[150:151], v[216:217], v[162:163] op_sel_hi:[0,1,1] neg_lo:[1,0,0] neg_hi:[1,0,0]
	s_waitcnt vmcnt(33)
	v_pk_fma_f32 v[134:135], v[150:151], v[218:219], v[134:135] op_sel_hi:[0,1,1] neg_lo:[1,0,0] neg_hi:[1,0,0]
	ds_read2_b64 v[212:215], v197 offset0:26 offset1:27
	ds_read2_b64 v[216:219], v197 offset0:28 offset1:29
	s_waitcnt vmcnt(31) lgkmcnt(2)
	v_pk_fma_f32 v[160:161], v[150:151], v[220:221], v[160:161] op_sel_hi:[0,1,1] neg_lo:[1,0,0] neg_hi:[1,0,0]
	s_waitcnt vmcnt(29)
	v_pk_fma_f32 v[132:133], v[150:151], v[222:223], v[132:133] op_sel_hi:[0,1,1] neg_lo:[1,0,0] neg_hi:[1,0,0]
	ds_read2_b64 v[220:223], v197 offset0:30 offset1:31
	s_waitcnt vmcnt(27) lgkmcnt(2)
	v_pk_fma_f32 v[158:159], v[150:151], v[212:213], v[158:159] op_sel_hi:[0,1,1] neg_lo:[1,0,0] neg_hi:[1,0,0]
	s_waitcnt vmcnt(25)
	v_pk_fma_f32 v[130:131], v[150:151], v[214:215], v[130:131] op_sel_hi:[0,1,1] neg_lo:[1,0,0] neg_hi:[1,0,0]
	s_waitcnt vmcnt(23) lgkmcnt(1)
	v_pk_fma_f32 v[156:157], v[150:151], v[216:217], v[156:157] op_sel_hi:[0,1,1] neg_lo:[1,0,0] neg_hi:[1,0,0]
	s_waitcnt vmcnt(21)
	v_pk_fma_f32 v[128:129], v[150:151], v[218:219], v[128:129] op_sel_hi:[0,1,1] neg_lo:[1,0,0] neg_hi:[1,0,0]
	s_waitcnt vmcnt(19) lgkmcnt(0)
	v_pk_fma_f32 v[154:155], v[150:151], v[220:221], v[154:155] op_sel_hi:[0,1,1] neg_lo:[1,0,0] neg_hi:[1,0,0]
	s_waitcnt vmcnt(17)
	v_pk_fma_f32 v[182:183], v[150:151], v[222:223], v[182:183] op_sel_hi:[0,1,1] neg_lo:[1,0,0] neg_hi:[1,0,0]
.LBB127_81:
	s_or_b64 exec, exec, s[2:3]
	v_cmp_ne_u32_e32 vcc, 15, v193
	s_waitcnt lgkmcnt(0)
	s_barrier
	s_and_saveexec_b64 s[2:3], vcc
	s_xor_b64 s[2:3], exec, s[2:3]
	s_andn2_saveexec_b64 s[2:3], s[2:3]
	s_cbranch_execz .LBB127_85
; %bb.82:
	v_mov_b32_e32 v198, v176
	v_mov_b32_e32 v199, v177
	s_waitcnt vmcnt(62)
	v_mov_b32_e32 v200, v148
	s_waitcnt vmcnt(61)
	v_mov_b32_e32 v201, v149
	ds_write_b32 v195, v151
	ds_write2_b64 v197, v[198:199], v[200:201] offset0:8 offset1:9
	s_waitcnt vmcnt(60)
	v_mov_b32_e32 v198, v174
	s_waitcnt vmcnt(59)
	v_mov_b32_e32 v199, v175
	s_waitcnt vmcnt(58)
	v_mov_b32_e32 v200, v146
	s_waitcnt vmcnt(57)
	v_mov_b32_e32 v201, v147
	ds_write2_b64 v197, v[198:199], v[200:201] offset0:10 offset1:11
	s_waitcnt vmcnt(56)
	v_mov_b32_e32 v198, v172
	s_waitcnt vmcnt(55)
	v_mov_b32_e32 v199, v173
	s_waitcnt vmcnt(54)
	v_mov_b32_e32 v200, v144
	s_waitcnt vmcnt(53)
	v_mov_b32_e32 v201, v145
	;; [unrolled: 9-line block ×10, first 2 shown]
	ds_write2_b64 v197, v[198:199], v[200:201] offset0:28 offset1:29
	s_waitcnt vmcnt(20)
	v_mov_b32_e32 v198, v154
	s_waitcnt vmcnt(19)
	v_mov_b32_e32 v199, v155
	s_waitcnt vmcnt(17)
	ds_write2_b64 v197, v[198:199], v[182:183] offset0:30 offset1:31
	ds_read_b32 v196, v195
	s_waitcnt lgkmcnt(0)
	v_cmp_neq_f32_e32 vcc, 0, v196
	s_and_saveexec_b64 s[4:5], vcc
	s_cbranch_execz .LBB127_84
; %bb.83:
	v_div_scale_f32 v198, s[10:11], v196, v196, 1.0
	v_rcp_f32_e32 v199, v198
	v_div_scale_f32 v200, vcc, 1.0, v196, 1.0
	v_fma_f32 v201, -v198, v199, 1.0
	v_fmac_f32_e32 v199, v201, v199
	v_mul_f32_e32 v201, v200, v199
	v_fma_f32 v202, -v198, v201, v200
	v_fmac_f32_e32 v201, v202, v199
	v_fma_f32 v198, -v198, v201, v200
	v_div_fmas_f32 v198, v198, v199, v201
	v_div_fixup_f32 v196, v198, v196, 1.0
	ds_write_b32 v195, v196
.LBB127_84:
	s_or_b64 exec, exec, s[4:5]
.LBB127_85:
	s_or_b64 exec, exec, s[2:3]
	s_waitcnt lgkmcnt(0)
	s_barrier
	ds_read_b32 v213, v195
	v_cmp_lt_u32_e32 vcc, 15, v193
	s_and_saveexec_b64 s[2:3], vcc
	s_cbranch_execz .LBB127_87
; %bb.86:
	ds_read2_b64 v[214:217], v197 offset0:8 offset1:9
	ds_read2_b64 v[218:221], v197 offset0:10 offset1:11
	;; [unrolled: 1-line block ×3, first 2 shown]
	s_waitcnt lgkmcnt(3)
	v_mul_f32_e32 v196, v213, v151
	v_mov_b32_e32 v151, v196
	s_waitcnt lgkmcnt(2)
	v_pk_fma_f32 v[176:177], v[196:197], v[214:215], v[176:177] op_sel_hi:[0,1,1] neg_lo:[1,0,0] neg_hi:[1,0,0]
	s_waitcnt vmcnt(61)
	v_pk_fma_f32 v[148:149], v[196:197], v[216:217], v[148:149] op_sel_hi:[0,1,1] neg_lo:[1,0,0] neg_hi:[1,0,0]
	s_waitcnt vmcnt(59) lgkmcnt(1)
	v_pk_fma_f32 v[174:175], v[196:197], v[218:219], v[174:175] op_sel_hi:[0,1,1] neg_lo:[1,0,0] neg_hi:[1,0,0]
	ds_read2_b64 v[214:217], v197 offset0:14 offset1:15
	s_waitcnt vmcnt(57)
	v_pk_fma_f32 v[146:147], v[196:197], v[220:221], v[146:147] op_sel_hi:[0,1,1] neg_lo:[1,0,0] neg_hi:[1,0,0]
	s_waitcnt vmcnt(55) lgkmcnt(1)
	v_pk_fma_f32 v[172:173], v[196:197], v[222:223], v[172:173] op_sel_hi:[0,1,1] neg_lo:[1,0,0] neg_hi:[1,0,0]
	ds_read2_b64 v[218:221], v197 offset0:16 offset1:17
	s_waitcnt vmcnt(53)
	v_pk_fma_f32 v[144:145], v[196:197], v[224:225], v[144:145] op_sel_hi:[0,1,1] neg_lo:[1,0,0] neg_hi:[1,0,0]
	ds_read2_b64 v[222:225], v197 offset0:18 offset1:19
	s_waitcnt vmcnt(51) lgkmcnt(2)
	v_pk_fma_f32 v[170:171], v[196:197], v[214:215], v[170:171] op_sel_hi:[0,1,1] neg_lo:[1,0,0] neg_hi:[1,0,0]
	s_waitcnt vmcnt(49)
	v_pk_fma_f32 v[142:143], v[196:197], v[216:217], v[142:143] op_sel_hi:[0,1,1] neg_lo:[1,0,0] neg_hi:[1,0,0]
	s_waitcnt vmcnt(47) lgkmcnt(1)
	v_pk_fma_f32 v[168:169], v[196:197], v[218:219], v[168:169] op_sel_hi:[0,1,1] neg_lo:[1,0,0] neg_hi:[1,0,0]
	ds_read2_b64 v[214:217], v197 offset0:20 offset1:21
	s_waitcnt vmcnt(45)
	v_pk_fma_f32 v[140:141], v[196:197], v[220:221], v[140:141] op_sel_hi:[0,1,1] neg_lo:[1,0,0] neg_hi:[1,0,0]
	s_waitcnt vmcnt(43) lgkmcnt(1)
	v_pk_fma_f32 v[166:167], v[196:197], v[222:223], v[166:167] op_sel_hi:[0,1,1] neg_lo:[1,0,0] neg_hi:[1,0,0]
	ds_read2_b64 v[218:221], v197 offset0:22 offset1:23
	s_waitcnt vmcnt(41)
	v_pk_fma_f32 v[138:139], v[196:197], v[224:225], v[138:139] op_sel_hi:[0,1,1] neg_lo:[1,0,0] neg_hi:[1,0,0]
	ds_read2_b64 v[222:225], v197 offset0:24 offset1:25
	s_waitcnt vmcnt(39) lgkmcnt(2)
	v_pk_fma_f32 v[164:165], v[196:197], v[214:215], v[164:165] op_sel_hi:[0,1,1] neg_lo:[1,0,0] neg_hi:[1,0,0]
	s_waitcnt vmcnt(37)
	v_pk_fma_f32 v[136:137], v[196:197], v[216:217], v[136:137] op_sel_hi:[0,1,1] neg_lo:[1,0,0] neg_hi:[1,0,0]
	s_waitcnt vmcnt(35) lgkmcnt(1)
	v_pk_fma_f32 v[162:163], v[196:197], v[218:219], v[162:163] op_sel_hi:[0,1,1] neg_lo:[1,0,0] neg_hi:[1,0,0]
	s_waitcnt vmcnt(33)
	v_pk_fma_f32 v[134:135], v[196:197], v[220:221], v[134:135] op_sel_hi:[0,1,1] neg_lo:[1,0,0] neg_hi:[1,0,0]
	ds_read2_b64 v[214:217], v197 offset0:26 offset1:27
	s_waitcnt vmcnt(31) lgkmcnt(1)
	v_pk_fma_f32 v[160:161], v[196:197], v[222:223], v[160:161] op_sel_hi:[0,1,1] neg_lo:[1,0,0] neg_hi:[1,0,0]
	ds_read2_b64 v[218:221], v197 offset0:28 offset1:29
	s_waitcnt vmcnt(29)
	v_pk_fma_f32 v[132:133], v[196:197], v[224:225], v[132:133] op_sel_hi:[0,1,1] neg_lo:[1,0,0] neg_hi:[1,0,0]
	ds_read2_b64 v[222:225], v197 offset0:30 offset1:31
	s_waitcnt vmcnt(27) lgkmcnt(2)
	v_pk_fma_f32 v[158:159], v[196:197], v[214:215], v[158:159] op_sel_hi:[0,1,1] neg_lo:[1,0,0] neg_hi:[1,0,0]
	s_waitcnt vmcnt(25)
	v_pk_fma_f32 v[130:131], v[196:197], v[216:217], v[130:131] op_sel_hi:[0,1,1] neg_lo:[1,0,0] neg_hi:[1,0,0]
	s_waitcnt vmcnt(23) lgkmcnt(1)
	v_pk_fma_f32 v[156:157], v[196:197], v[218:219], v[156:157] op_sel_hi:[0,1,1] neg_lo:[1,0,0] neg_hi:[1,0,0]
	s_waitcnt vmcnt(21)
	v_pk_fma_f32 v[128:129], v[196:197], v[220:221], v[128:129] op_sel_hi:[0,1,1] neg_lo:[1,0,0] neg_hi:[1,0,0]
	s_waitcnt vmcnt(19) lgkmcnt(0)
	v_pk_fma_f32 v[154:155], v[196:197], v[222:223], v[154:155] op_sel_hi:[0,1,1] neg_lo:[1,0,0] neg_hi:[1,0,0]
	s_waitcnt vmcnt(17)
	v_pk_fma_f32 v[182:183], v[196:197], v[224:225], v[182:183] op_sel_hi:[0,1,1] neg_lo:[1,0,0] neg_hi:[1,0,0]
.LBB127_87:
	s_or_b64 exec, exec, s[2:3]
	v_cmp_eq_u32_e32 vcc, 16, v193
	s_waitcnt lgkmcnt(0)
	s_barrier
	s_and_saveexec_b64 s[2:3], vcc
	s_cbranch_execz .LBB127_90
; %bb.88:
	s_waitcnt vmcnt(61)
	v_pk_mov_b32 v[198:199], v[176:177], v[148:149] op_sel:[1,0]
	ds_write_b32 v195, v176
	ds_write2_b32 v197, v198, v199 offset0:17 offset1:18
	s_waitcnt vmcnt(59)
	v_pk_mov_b32 v[198:199], v[148:149], v[174:175] op_sel:[1,0]
	ds_write2_b32 v197, v198, v199 offset0:19 offset1:20
	s_waitcnt vmcnt(57)
	v_pk_mov_b32 v[198:199], v[174:175], v[146:147] op_sel:[1,0]
	;; [unrolled: 3-line block ×22, first 2 shown]
	ds_write2_b32 v197, v198, v199 offset0:61 offset1:62
	ds_write_b32 v197, v183 offset:252
	ds_read_b32 v196, v195
	s_waitcnt lgkmcnt(0)
	v_cmp_neq_f32_e32 vcc, 0, v196
	s_and_b64 exec, exec, vcc
	s_cbranch_execz .LBB127_90
; %bb.89:
	v_div_scale_f32 v198, s[4:5], v196, v196, 1.0
	v_rcp_f32_e32 v199, v198
	v_div_scale_f32 v200, vcc, 1.0, v196, 1.0
	v_fma_f32 v201, -v198, v199, 1.0
	v_fmac_f32_e32 v199, v201, v199
	v_mul_f32_e32 v201, v200, v199
	v_fma_f32 v202, -v198, v201, v200
	v_fmac_f32_e32 v201, v202, v199
	v_fma_f32 v198, -v198, v201, v200
	v_div_fmas_f32 v198, v198, v199, v201
	v_div_fixup_f32 v196, v198, v196, 1.0
	ds_write_b32 v195, v196
.LBB127_90:
	s_or_b64 exec, exec, s[2:3]
	s_waitcnt lgkmcnt(0)
	s_barrier
	ds_read_b32 v2, v195
	v_cmp_lt_u32_e32 vcc, 16, v193
	s_and_saveexec_b64 s[2:3], vcc
	s_cbranch_execz .LBB127_92
; %bb.91:
	ds_read_b32 v196, v197 offset:68
	ds_read2_b64 v[214:217], v197 offset0:9 offset1:10
	ds_read2_b64 v[218:221], v197 offset0:11 offset1:12
	;; [unrolled: 1-line block ×3, first 2 shown]
	s_waitcnt lgkmcnt(4)
	v_mul_f32_e32 v176, v2, v176
	ds_read_b64 v[198:199], v197 offset:248
	s_waitcnt lgkmcnt(4)
	v_fma_f32 v177, -v176, v196, v177
	s_waitcnt vmcnt(61) lgkmcnt(3)
	v_pk_fma_f32 v[148:149], v[176:177], v[214:215], v[148:149] op_sel_hi:[0,1,1] neg_lo:[1,0,0] neg_hi:[1,0,0]
	s_waitcnt vmcnt(59)
	v_pk_fma_f32 v[174:175], v[176:177], v[216:217], v[174:175] op_sel_hi:[0,1,1] neg_lo:[1,0,0] neg_hi:[1,0,0]
	s_waitcnt vmcnt(57) lgkmcnt(2)
	v_pk_fma_f32 v[146:147], v[176:177], v[218:219], v[146:147] op_sel_hi:[0,1,1] neg_lo:[1,0,0] neg_hi:[1,0,0]
	ds_read2_b64 v[214:217], v197 offset0:15 offset1:16
	s_waitcnt vmcnt(55)
	v_pk_fma_f32 v[172:173], v[176:177], v[220:221], v[172:173] op_sel_hi:[0,1,1] neg_lo:[1,0,0] neg_hi:[1,0,0]
	ds_read2_b64 v[218:221], v197 offset0:17 offset1:18
	s_waitcnt vmcnt(53) lgkmcnt(3)
	v_pk_fma_f32 v[144:145], v[176:177], v[222:223], v[144:145] op_sel_hi:[0,1,1] neg_lo:[1,0,0] neg_hi:[1,0,0]
	s_waitcnt vmcnt(51)
	v_pk_fma_f32 v[170:171], v[176:177], v[224:225], v[170:171] op_sel_hi:[0,1,1] neg_lo:[1,0,0] neg_hi:[1,0,0]
	s_waitcnt vmcnt(49) lgkmcnt(1)
	v_pk_fma_f32 v[142:143], v[176:177], v[214:215], v[142:143] op_sel_hi:[0,1,1] neg_lo:[1,0,0] neg_hi:[1,0,0]
	ds_read2_b64 v[222:225], v197 offset0:19 offset1:20
	s_waitcnt vmcnt(47)
	v_pk_fma_f32 v[168:169], v[176:177], v[216:217], v[168:169] op_sel_hi:[0,1,1] neg_lo:[1,0,0] neg_hi:[1,0,0]
	s_waitcnt vmcnt(45) lgkmcnt(1)
	v_pk_fma_f32 v[140:141], v[176:177], v[218:219], v[140:141] op_sel_hi:[0,1,1] neg_lo:[1,0,0] neg_hi:[1,0,0]
	ds_read2_b64 v[214:217], v197 offset0:21 offset1:22
	s_waitcnt vmcnt(43)
	v_pk_fma_f32 v[166:167], v[176:177], v[220:221], v[166:167] op_sel_hi:[0,1,1] neg_lo:[1,0,0] neg_hi:[1,0,0]
	ds_read2_b64 v[218:221], v197 offset0:23 offset1:24
	s_waitcnt vmcnt(41) lgkmcnt(2)
	v_pk_fma_f32 v[138:139], v[176:177], v[222:223], v[138:139] op_sel_hi:[0,1,1] neg_lo:[1,0,0] neg_hi:[1,0,0]
	s_waitcnt vmcnt(39)
	v_pk_fma_f32 v[164:165], v[176:177], v[224:225], v[164:165] op_sel_hi:[0,1,1] neg_lo:[1,0,0] neg_hi:[1,0,0]
	s_waitcnt vmcnt(37) lgkmcnt(1)
	v_pk_fma_f32 v[136:137], v[176:177], v[214:215], v[136:137] op_sel_hi:[0,1,1] neg_lo:[1,0,0] neg_hi:[1,0,0]
	ds_read2_b64 v[222:225], v197 offset0:25 offset1:26
	s_waitcnt vmcnt(35)
	v_pk_fma_f32 v[162:163], v[176:177], v[216:217], v[162:163] op_sel_hi:[0,1,1] neg_lo:[1,0,0] neg_hi:[1,0,0]
	s_waitcnt vmcnt(33) lgkmcnt(1)
	v_pk_fma_f32 v[134:135], v[176:177], v[218:219], v[134:135] op_sel_hi:[0,1,1] neg_lo:[1,0,0] neg_hi:[1,0,0]
	s_waitcnt vmcnt(31)
	v_pk_fma_f32 v[160:161], v[176:177], v[220:221], v[160:161] op_sel_hi:[0,1,1] neg_lo:[1,0,0] neg_hi:[1,0,0]
	ds_read2_b64 v[214:217], v197 offset0:27 offset1:28
	ds_read2_b64 v[218:221], v197 offset0:29 offset1:30
	s_waitcnt vmcnt(29) lgkmcnt(2)
	v_pk_fma_f32 v[132:133], v[176:177], v[222:223], v[132:133] op_sel_hi:[0,1,1] neg_lo:[1,0,0] neg_hi:[1,0,0]
	s_waitcnt vmcnt(27)
	v_pk_fma_f32 v[158:159], v[176:177], v[224:225], v[158:159] op_sel_hi:[0,1,1] neg_lo:[1,0,0] neg_hi:[1,0,0]
	s_waitcnt vmcnt(17)
	v_pk_fma_f32 v[182:183], v[176:177], v[198:199], v[182:183] op_sel_hi:[0,1,1] neg_lo:[1,0,0] neg_hi:[1,0,0]
	s_waitcnt lgkmcnt(1)
	v_pk_fma_f32 v[130:131], v[176:177], v[214:215], v[130:131] op_sel_hi:[0,1,1] neg_lo:[1,0,0] neg_hi:[1,0,0]
	v_pk_fma_f32 v[156:157], v[176:177], v[216:217], v[156:157] op_sel_hi:[0,1,1] neg_lo:[1,0,0] neg_hi:[1,0,0]
	s_waitcnt lgkmcnt(0)
	v_pk_fma_f32 v[128:129], v[176:177], v[218:219], v[128:129] op_sel_hi:[0,1,1] neg_lo:[1,0,0] neg_hi:[1,0,0]
	v_pk_fma_f32 v[154:155], v[176:177], v[220:221], v[154:155] op_sel_hi:[0,1,1] neg_lo:[1,0,0] neg_hi:[1,0,0]
.LBB127_92:
	s_or_b64 exec, exec, s[2:3]
	v_cmp_ne_u32_e32 vcc, 17, v193
	s_waitcnt lgkmcnt(0)
	s_barrier
	s_and_saveexec_b64 s[2:3], vcc
	s_xor_b64 s[2:3], exec, s[2:3]
	s_andn2_saveexec_b64 s[2:3], s[2:3]
	s_cbranch_execz .LBB127_96
; %bb.93:
	ds_write_b32 v195, v177
	s_waitcnt vmcnt(59)
	ds_write2_b64 v197, v[148:149], v[174:175] offset0:9 offset1:10
	s_waitcnt vmcnt(55)
	ds_write2_b64 v197, v[146:147], v[172:173] offset0:11 offset1:12
	;; [unrolled: 2-line block ×11, first 2 shown]
	s_waitcnt vmcnt(17)
	ds_write_b64 v197, v[182:183] offset:248
	ds_read_b32 v196, v195
	s_waitcnt lgkmcnt(0)
	v_cmp_neq_f32_e32 vcc, 0, v196
	s_and_saveexec_b64 s[4:5], vcc
	s_cbranch_execz .LBB127_95
; %bb.94:
	v_div_scale_f32 v198, s[10:11], v196, v196, 1.0
	v_rcp_f32_e32 v199, v198
	v_div_scale_f32 v200, vcc, 1.0, v196, 1.0
	v_fma_f32 v201, -v198, v199, 1.0
	v_fmac_f32_e32 v199, v201, v199
	v_mul_f32_e32 v201, v200, v199
	v_fma_f32 v202, -v198, v201, v200
	v_fmac_f32_e32 v201, v202, v199
	v_fma_f32 v198, -v198, v201, v200
	v_div_fmas_f32 v198, v198, v199, v201
	v_div_fixup_f32 v196, v198, v196, 1.0
	ds_write_b32 v195, v196
.LBB127_95:
	s_or_b64 exec, exec, s[4:5]
.LBB127_96:
	s_or_b64 exec, exec, s[2:3]
	s_waitcnt lgkmcnt(0)
	s_barrier
	ds_read_b32 v5, v195
	v_cmp_lt_u32_e32 vcc, 17, v193
	s_and_saveexec_b64 s[2:3], vcc
	s_cbranch_execz .LBB127_98
; %bb.97:
	ds_read2_b64 v[216:219], v197 offset0:9 offset1:10
	ds_read2_b64 v[220:223], v197 offset0:11 offset1:12
	s_waitcnt lgkmcnt(2)
	v_mul_f32_e32 v196, v5, v177
	ds_read2_b64 v[224:227], v197 offset0:13 offset1:14
	v_mov_b32_e32 v177, v196
	s_waitcnt vmcnt(61) lgkmcnt(2)
	v_pk_fma_f32 v[148:149], v[196:197], v[216:217], v[148:149] op_sel_hi:[0,1,1] neg_lo:[1,0,0] neg_hi:[1,0,0]
	s_waitcnt vmcnt(59)
	v_pk_fma_f32 v[174:175], v[196:197], v[218:219], v[174:175] op_sel_hi:[0,1,1] neg_lo:[1,0,0] neg_hi:[1,0,0]
	s_waitcnt vmcnt(57) lgkmcnt(1)
	v_pk_fma_f32 v[146:147], v[196:197], v[220:221], v[146:147] op_sel_hi:[0,1,1] neg_lo:[1,0,0] neg_hi:[1,0,0]
	ds_read2_b64 v[216:219], v197 offset0:15 offset1:16
	s_waitcnt vmcnt(55)
	v_pk_fma_f32 v[172:173], v[196:197], v[222:223], v[172:173] op_sel_hi:[0,1,1] neg_lo:[1,0,0] neg_hi:[1,0,0]
	ds_read2_b64 v[220:223], v197 offset0:17 offset1:18
	s_waitcnt vmcnt(53) lgkmcnt(2)
	v_pk_fma_f32 v[144:145], v[196:197], v[224:225], v[144:145] op_sel_hi:[0,1,1] neg_lo:[1,0,0] neg_hi:[1,0,0]
	s_waitcnt vmcnt(51)
	v_pk_fma_f32 v[170:171], v[196:197], v[226:227], v[170:171] op_sel_hi:[0,1,1] neg_lo:[1,0,0] neg_hi:[1,0,0]
	s_waitcnt vmcnt(49) lgkmcnt(1)
	v_pk_fma_f32 v[142:143], v[196:197], v[216:217], v[142:143] op_sel_hi:[0,1,1] neg_lo:[1,0,0] neg_hi:[1,0,0]
	ds_read2_b64 v[224:227], v197 offset0:19 offset1:20
	s_waitcnt vmcnt(47)
	v_pk_fma_f32 v[168:169], v[196:197], v[218:219], v[168:169] op_sel_hi:[0,1,1] neg_lo:[1,0,0] neg_hi:[1,0,0]
	s_waitcnt vmcnt(45) lgkmcnt(1)
	v_pk_fma_f32 v[140:141], v[196:197], v[220:221], v[140:141] op_sel_hi:[0,1,1] neg_lo:[1,0,0] neg_hi:[1,0,0]
	ds_read2_b64 v[216:219], v197 offset0:21 offset1:22
	s_waitcnt vmcnt(43)
	v_pk_fma_f32 v[166:167], v[196:197], v[222:223], v[166:167] op_sel_hi:[0,1,1] neg_lo:[1,0,0] neg_hi:[1,0,0]
	ds_read2_b64 v[220:223], v197 offset0:23 offset1:24
	s_waitcnt vmcnt(41) lgkmcnt(2)
	v_pk_fma_f32 v[138:139], v[196:197], v[224:225], v[138:139] op_sel_hi:[0,1,1] neg_lo:[1,0,0] neg_hi:[1,0,0]
	s_waitcnt vmcnt(39)
	v_pk_fma_f32 v[164:165], v[196:197], v[226:227], v[164:165] op_sel_hi:[0,1,1] neg_lo:[1,0,0] neg_hi:[1,0,0]
	s_waitcnt vmcnt(37) lgkmcnt(1)
	v_pk_fma_f32 v[136:137], v[196:197], v[216:217], v[136:137] op_sel_hi:[0,1,1] neg_lo:[1,0,0] neg_hi:[1,0,0]
	ds_read2_b64 v[224:227], v197 offset0:25 offset1:26
	s_waitcnt vmcnt(35)
	v_pk_fma_f32 v[162:163], v[196:197], v[218:219], v[162:163] op_sel_hi:[0,1,1] neg_lo:[1,0,0] neg_hi:[1,0,0]
	s_waitcnt vmcnt(33) lgkmcnt(1)
	v_pk_fma_f32 v[134:135], v[196:197], v[220:221], v[134:135] op_sel_hi:[0,1,1] neg_lo:[1,0,0] neg_hi:[1,0,0]
	s_waitcnt vmcnt(31)
	v_pk_fma_f32 v[160:161], v[196:197], v[222:223], v[160:161] op_sel_hi:[0,1,1] neg_lo:[1,0,0] neg_hi:[1,0,0]
	ds_read2_b64 v[216:219], v197 offset0:27 offset1:28
	ds_read2_b64 v[220:223], v197 offset0:29 offset1:30
	ds_read_b64 v[198:199], v197 offset:248
	s_waitcnt vmcnt(29) lgkmcnt(3)
	v_pk_fma_f32 v[132:133], v[196:197], v[224:225], v[132:133] op_sel_hi:[0,1,1] neg_lo:[1,0,0] neg_hi:[1,0,0]
	s_waitcnt vmcnt(27)
	v_pk_fma_f32 v[158:159], v[196:197], v[226:227], v[158:159] op_sel_hi:[0,1,1] neg_lo:[1,0,0] neg_hi:[1,0,0]
	s_waitcnt vmcnt(25) lgkmcnt(2)
	v_pk_fma_f32 v[130:131], v[196:197], v[216:217], v[130:131] op_sel_hi:[0,1,1] neg_lo:[1,0,0] neg_hi:[1,0,0]
	s_waitcnt vmcnt(23)
	v_pk_fma_f32 v[156:157], v[196:197], v[218:219], v[156:157] op_sel_hi:[0,1,1] neg_lo:[1,0,0] neg_hi:[1,0,0]
	s_waitcnt vmcnt(21) lgkmcnt(1)
	v_pk_fma_f32 v[128:129], v[196:197], v[220:221], v[128:129] op_sel_hi:[0,1,1] neg_lo:[1,0,0] neg_hi:[1,0,0]
	s_waitcnt vmcnt(19)
	v_pk_fma_f32 v[154:155], v[196:197], v[222:223], v[154:155] op_sel_hi:[0,1,1] neg_lo:[1,0,0] neg_hi:[1,0,0]
	s_waitcnt vmcnt(17) lgkmcnt(0)
	v_pk_fma_f32 v[182:183], v[196:197], v[198:199], v[182:183] op_sel_hi:[0,1,1] neg_lo:[1,0,0] neg_hi:[1,0,0]
.LBB127_98:
	s_or_b64 exec, exec, s[2:3]
	v_cmp_eq_u32_e32 vcc, 18, v193
	s_waitcnt lgkmcnt(0)
	s_barrier
	s_and_saveexec_b64 s[2:3], vcc
	s_cbranch_execz .LBB127_101
; %bb.99:
	s_waitcnt vmcnt(59)
	v_pk_mov_b32 v[198:199], v[148:149], v[174:175] op_sel:[1,0]
	ds_write_b32 v195, v148
	ds_write2_b32 v197, v198, v199 offset0:19 offset1:20
	s_waitcnt vmcnt(57)
	v_pk_mov_b32 v[198:199], v[174:175], v[146:147] op_sel:[1,0]
	ds_write2_b32 v197, v198, v199 offset0:21 offset1:22
	s_waitcnt vmcnt(55)
	v_pk_mov_b32 v[198:199], v[146:147], v[172:173] op_sel:[1,0]
	;; [unrolled: 3-line block ×21, first 2 shown]
	ds_write2_b32 v197, v198, v199 offset0:61 offset1:62
	ds_write_b32 v197, v183 offset:252
	ds_read_b32 v196, v195
	s_waitcnt lgkmcnt(0)
	v_cmp_neq_f32_e32 vcc, 0, v196
	s_and_b64 exec, exec, vcc
	s_cbranch_execz .LBB127_101
; %bb.100:
	v_div_scale_f32 v198, s[4:5], v196, v196, 1.0
	v_rcp_f32_e32 v199, v198
	v_div_scale_f32 v200, vcc, 1.0, v196, 1.0
	v_fma_f32 v201, -v198, v199, 1.0
	v_fmac_f32_e32 v199, v201, v199
	v_mul_f32_e32 v201, v200, v199
	v_fma_f32 v202, -v198, v201, v200
	v_fmac_f32_e32 v201, v202, v199
	v_fma_f32 v198, -v198, v201, v200
	v_div_fmas_f32 v198, v198, v199, v201
	v_div_fixup_f32 v196, v198, v196, 1.0
	ds_write_b32 v195, v196
.LBB127_101:
	s_or_b64 exec, exec, s[2:3]
	s_waitcnt lgkmcnt(0)
	s_barrier
	ds_read_b32 v215, v195
	v_cmp_lt_u32_e32 vcc, 18, v193
	s_and_saveexec_b64 s[2:3], vcc
	s_cbranch_execz .LBB127_103
; %bb.102:
	ds_read_b32 v196, v197 offset:76
	ds_read2_b64 v[216:219], v197 offset0:10 offset1:11
	ds_read2_b64 v[220:223], v197 offset0:12 offset1:13
	;; [unrolled: 1-line block ×3, first 2 shown]
	s_waitcnt vmcnt(62) lgkmcnt(4)
	v_mul_f32_e32 v148, v215, v148
	s_waitcnt vmcnt(61) lgkmcnt(3)
	v_fma_f32 v149, -v148, v196, v149
	s_waitcnt vmcnt(59) lgkmcnt(2)
	v_pk_fma_f32 v[174:175], v[148:149], v[216:217], v[174:175] op_sel_hi:[0,1,1] neg_lo:[1,0,0] neg_hi:[1,0,0]
	s_waitcnt vmcnt(57)
	v_pk_fma_f32 v[146:147], v[148:149], v[218:219], v[146:147] op_sel_hi:[0,1,1] neg_lo:[1,0,0] neg_hi:[1,0,0]
	s_waitcnt vmcnt(55) lgkmcnt(1)
	v_pk_fma_f32 v[172:173], v[148:149], v[220:221], v[172:173] op_sel_hi:[0,1,1] neg_lo:[1,0,0] neg_hi:[1,0,0]
	ds_read2_b64 v[216:219], v197 offset0:16 offset1:17
	s_waitcnt vmcnt(53)
	v_pk_fma_f32 v[144:145], v[148:149], v[222:223], v[144:145] op_sel_hi:[0,1,1] neg_lo:[1,0,0] neg_hi:[1,0,0]
	ds_read2_b64 v[220:223], v197 offset0:18 offset1:19
	s_waitcnt vmcnt(51) lgkmcnt(2)
	v_pk_fma_f32 v[170:171], v[148:149], v[224:225], v[170:171] op_sel_hi:[0,1,1] neg_lo:[1,0,0] neg_hi:[1,0,0]
	s_waitcnt vmcnt(49)
	v_pk_fma_f32 v[142:143], v[148:149], v[226:227], v[142:143] op_sel_hi:[0,1,1] neg_lo:[1,0,0] neg_hi:[1,0,0]
	s_waitcnt vmcnt(47) lgkmcnt(1)
	v_pk_fma_f32 v[168:169], v[148:149], v[216:217], v[168:169] op_sel_hi:[0,1,1] neg_lo:[1,0,0] neg_hi:[1,0,0]
	ds_read2_b64 v[224:227], v197 offset0:20 offset1:21
	s_waitcnt vmcnt(45)
	v_pk_fma_f32 v[140:141], v[148:149], v[218:219], v[140:141] op_sel_hi:[0,1,1] neg_lo:[1,0,0] neg_hi:[1,0,0]
	s_waitcnt vmcnt(43) lgkmcnt(1)
	v_pk_fma_f32 v[166:167], v[148:149], v[220:221], v[166:167] op_sel_hi:[0,1,1] neg_lo:[1,0,0] neg_hi:[1,0,0]
	ds_read2_b64 v[216:219], v197 offset0:22 offset1:23
	s_waitcnt vmcnt(41)
	v_pk_fma_f32 v[138:139], v[148:149], v[222:223], v[138:139] op_sel_hi:[0,1,1] neg_lo:[1,0,0] neg_hi:[1,0,0]
	ds_read2_b64 v[220:223], v197 offset0:24 offset1:25
	s_waitcnt vmcnt(39) lgkmcnt(2)
	v_pk_fma_f32 v[164:165], v[148:149], v[224:225], v[164:165] op_sel_hi:[0,1,1] neg_lo:[1,0,0] neg_hi:[1,0,0]
	s_waitcnt vmcnt(37)
	v_pk_fma_f32 v[136:137], v[148:149], v[226:227], v[136:137] op_sel_hi:[0,1,1] neg_lo:[1,0,0] neg_hi:[1,0,0]
	s_waitcnt vmcnt(35) lgkmcnt(1)
	v_pk_fma_f32 v[162:163], v[148:149], v[216:217], v[162:163] op_sel_hi:[0,1,1] neg_lo:[1,0,0] neg_hi:[1,0,0]
	s_waitcnt vmcnt(33)
	v_pk_fma_f32 v[134:135], v[148:149], v[218:219], v[134:135] op_sel_hi:[0,1,1] neg_lo:[1,0,0] neg_hi:[1,0,0]
	ds_read2_b64 v[216:219], v197 offset0:26 offset1:27
	s_waitcnt vmcnt(31) lgkmcnt(1)
	v_pk_fma_f32 v[160:161], v[148:149], v[220:221], v[160:161] op_sel_hi:[0,1,1] neg_lo:[1,0,0] neg_hi:[1,0,0]
	ds_read2_b64 v[224:227], v197 offset0:28 offset1:29
	s_waitcnt vmcnt(29)
	v_pk_fma_f32 v[132:133], v[148:149], v[222:223], v[132:133] op_sel_hi:[0,1,1] neg_lo:[1,0,0] neg_hi:[1,0,0]
	ds_read2_b64 v[220:223], v197 offset0:30 offset1:31
	s_waitcnt vmcnt(27) lgkmcnt(2)
	v_pk_fma_f32 v[158:159], v[148:149], v[216:217], v[158:159] op_sel_hi:[0,1,1] neg_lo:[1,0,0] neg_hi:[1,0,0]
	s_waitcnt vmcnt(25)
	v_pk_fma_f32 v[130:131], v[148:149], v[218:219], v[130:131] op_sel_hi:[0,1,1] neg_lo:[1,0,0] neg_hi:[1,0,0]
	s_waitcnt vmcnt(23) lgkmcnt(1)
	v_pk_fma_f32 v[156:157], v[148:149], v[224:225], v[156:157] op_sel_hi:[0,1,1] neg_lo:[1,0,0] neg_hi:[1,0,0]
	s_waitcnt vmcnt(21)
	v_pk_fma_f32 v[128:129], v[148:149], v[226:227], v[128:129] op_sel_hi:[0,1,1] neg_lo:[1,0,0] neg_hi:[1,0,0]
	;; [unrolled: 4-line block ×3, first 2 shown]
.LBB127_103:
	s_or_b64 exec, exec, s[2:3]
	v_cmp_ne_u32_e32 vcc, 19, v193
	s_waitcnt lgkmcnt(0)
	s_barrier
	s_and_saveexec_b64 s[2:3], vcc
	s_xor_b64 s[2:3], exec, s[2:3]
	s_andn2_saveexec_b64 s[2:3], s[2:3]
	s_cbranch_execz .LBB127_107
; %bb.104:
	s_waitcnt vmcnt(60)
	v_mov_b32_e32 v198, v174
	s_waitcnt vmcnt(59)
	v_mov_b32_e32 v199, v175
	;; [unrolled: 2-line block ×4, first 2 shown]
	ds_write_b32 v195, v149
	ds_write2_b64 v197, v[198:199], v[200:201] offset0:10 offset1:11
	s_waitcnt vmcnt(56)
	v_mov_b32_e32 v198, v172
	s_waitcnt vmcnt(55)
	v_mov_b32_e32 v199, v173
	s_waitcnt vmcnt(54)
	v_mov_b32_e32 v200, v144
	s_waitcnt vmcnt(53)
	v_mov_b32_e32 v201, v145
	ds_write2_b64 v197, v[198:199], v[200:201] offset0:12 offset1:13
	s_waitcnt vmcnt(52)
	v_mov_b32_e32 v198, v170
	s_waitcnt vmcnt(51)
	v_mov_b32_e32 v199, v171
	s_waitcnt vmcnt(50)
	v_mov_b32_e32 v200, v142
	s_waitcnt vmcnt(49)
	v_mov_b32_e32 v201, v143
	;; [unrolled: 9-line block ×9, first 2 shown]
	ds_write2_b64 v197, v[198:199], v[200:201] offset0:28 offset1:29
	s_waitcnt vmcnt(20)
	v_mov_b32_e32 v198, v154
	s_waitcnt vmcnt(19)
	v_mov_b32_e32 v199, v155
	s_waitcnt vmcnt(17)
	ds_write2_b64 v197, v[198:199], v[182:183] offset0:30 offset1:31
	ds_read_b32 v196, v195
	s_waitcnt lgkmcnt(0)
	v_cmp_neq_f32_e32 vcc, 0, v196
	s_and_saveexec_b64 s[4:5], vcc
	s_cbranch_execz .LBB127_106
; %bb.105:
	v_div_scale_f32 v198, s[10:11], v196, v196, 1.0
	v_rcp_f32_e32 v199, v198
	v_div_scale_f32 v200, vcc, 1.0, v196, 1.0
	v_fma_f32 v201, -v198, v199, 1.0
	v_fmac_f32_e32 v199, v201, v199
	v_mul_f32_e32 v201, v200, v199
	v_fma_f32 v202, -v198, v201, v200
	v_fmac_f32_e32 v201, v202, v199
	v_fma_f32 v198, -v198, v201, v200
	v_div_fmas_f32 v198, v198, v199, v201
	v_div_fixup_f32 v196, v198, v196, 1.0
	ds_write_b32 v195, v196
.LBB127_106:
	s_or_b64 exec, exec, s[4:5]
.LBB127_107:
	s_or_b64 exec, exec, s[2:3]
	s_waitcnt lgkmcnt(0)
	s_barrier
	ds_read_b32 v216, v195
	v_cmp_lt_u32_e32 vcc, 19, v193
	s_and_saveexec_b64 s[2:3], vcc
	s_cbranch_execz .LBB127_109
; %bb.108:
	ds_read2_b64 v[218:221], v197 offset0:10 offset1:11
	ds_read2_b64 v[222:225], v197 offset0:12 offset1:13
	s_waitcnt vmcnt(61) lgkmcnt(2)
	v_mul_f32_e32 v196, v216, v149
	ds_read2_b64 v[226:229], v197 offset0:14 offset1:15
	v_mov_b32_e32 v149, v196
	s_waitcnt vmcnt(59) lgkmcnt(2)
	v_pk_fma_f32 v[174:175], v[196:197], v[218:219], v[174:175] op_sel_hi:[0,1,1] neg_lo:[1,0,0] neg_hi:[1,0,0]
	s_waitcnt vmcnt(57)
	v_pk_fma_f32 v[146:147], v[196:197], v[220:221], v[146:147] op_sel_hi:[0,1,1] neg_lo:[1,0,0] neg_hi:[1,0,0]
	s_waitcnt vmcnt(55) lgkmcnt(1)
	v_pk_fma_f32 v[172:173], v[196:197], v[222:223], v[172:173] op_sel_hi:[0,1,1] neg_lo:[1,0,0] neg_hi:[1,0,0]
	ds_read2_b64 v[218:221], v197 offset0:16 offset1:17
	s_waitcnt vmcnt(53)
	v_pk_fma_f32 v[144:145], v[196:197], v[224:225], v[144:145] op_sel_hi:[0,1,1] neg_lo:[1,0,0] neg_hi:[1,0,0]
	ds_read2_b64 v[222:225], v197 offset0:18 offset1:19
	s_waitcnt vmcnt(51) lgkmcnt(2)
	v_pk_fma_f32 v[170:171], v[196:197], v[226:227], v[170:171] op_sel_hi:[0,1,1] neg_lo:[1,0,0] neg_hi:[1,0,0]
	s_waitcnt vmcnt(49)
	v_pk_fma_f32 v[142:143], v[196:197], v[228:229], v[142:143] op_sel_hi:[0,1,1] neg_lo:[1,0,0] neg_hi:[1,0,0]
	s_waitcnt vmcnt(47) lgkmcnt(1)
	v_pk_fma_f32 v[168:169], v[196:197], v[218:219], v[168:169] op_sel_hi:[0,1,1] neg_lo:[1,0,0] neg_hi:[1,0,0]
	ds_read2_b64 v[226:229], v197 offset0:20 offset1:21
	s_waitcnt vmcnt(45)
	v_pk_fma_f32 v[140:141], v[196:197], v[220:221], v[140:141] op_sel_hi:[0,1,1] neg_lo:[1,0,0] neg_hi:[1,0,0]
	s_waitcnt vmcnt(43) lgkmcnt(1)
	v_pk_fma_f32 v[166:167], v[196:197], v[222:223], v[166:167] op_sel_hi:[0,1,1] neg_lo:[1,0,0] neg_hi:[1,0,0]
	ds_read2_b64 v[218:221], v197 offset0:22 offset1:23
	s_waitcnt vmcnt(41)
	v_pk_fma_f32 v[138:139], v[196:197], v[224:225], v[138:139] op_sel_hi:[0,1,1] neg_lo:[1,0,0] neg_hi:[1,0,0]
	ds_read2_b64 v[222:225], v197 offset0:24 offset1:25
	s_waitcnt vmcnt(39) lgkmcnt(2)
	v_pk_fma_f32 v[164:165], v[196:197], v[226:227], v[164:165] op_sel_hi:[0,1,1] neg_lo:[1,0,0] neg_hi:[1,0,0]
	s_waitcnt vmcnt(37)
	v_pk_fma_f32 v[136:137], v[196:197], v[228:229], v[136:137] op_sel_hi:[0,1,1] neg_lo:[1,0,0] neg_hi:[1,0,0]
	s_waitcnt vmcnt(35) lgkmcnt(1)
	v_pk_fma_f32 v[162:163], v[196:197], v[218:219], v[162:163] op_sel_hi:[0,1,1] neg_lo:[1,0,0] neg_hi:[1,0,0]
	s_waitcnt vmcnt(33)
	v_pk_fma_f32 v[134:135], v[196:197], v[220:221], v[134:135] op_sel_hi:[0,1,1] neg_lo:[1,0,0] neg_hi:[1,0,0]
	ds_read2_b64 v[218:221], v197 offset0:26 offset1:27
	ds_read2_b64 v[226:229], v197 offset0:28 offset1:29
	s_waitcnt vmcnt(31) lgkmcnt(2)
	v_pk_fma_f32 v[160:161], v[196:197], v[222:223], v[160:161] op_sel_hi:[0,1,1] neg_lo:[1,0,0] neg_hi:[1,0,0]
	s_waitcnt vmcnt(29)
	v_pk_fma_f32 v[132:133], v[196:197], v[224:225], v[132:133] op_sel_hi:[0,1,1] neg_lo:[1,0,0] neg_hi:[1,0,0]
	ds_read2_b64 v[222:225], v197 offset0:30 offset1:31
	s_waitcnt vmcnt(27) lgkmcnt(2)
	v_pk_fma_f32 v[158:159], v[196:197], v[218:219], v[158:159] op_sel_hi:[0,1,1] neg_lo:[1,0,0] neg_hi:[1,0,0]
	s_waitcnt vmcnt(25)
	v_pk_fma_f32 v[130:131], v[196:197], v[220:221], v[130:131] op_sel_hi:[0,1,1] neg_lo:[1,0,0] neg_hi:[1,0,0]
	s_waitcnt vmcnt(23) lgkmcnt(1)
	v_pk_fma_f32 v[156:157], v[196:197], v[226:227], v[156:157] op_sel_hi:[0,1,1] neg_lo:[1,0,0] neg_hi:[1,0,0]
	s_waitcnt vmcnt(21)
	v_pk_fma_f32 v[128:129], v[196:197], v[228:229], v[128:129] op_sel_hi:[0,1,1] neg_lo:[1,0,0] neg_hi:[1,0,0]
	;; [unrolled: 4-line block ×3, first 2 shown]
.LBB127_109:
	s_or_b64 exec, exec, s[2:3]
	v_cmp_eq_u32_e32 vcc, 20, v193
	s_waitcnt lgkmcnt(0)
	s_barrier
	s_and_saveexec_b64 s[2:3], vcc
	s_cbranch_execz .LBB127_112
; %bb.110:
	s_waitcnt vmcnt(57)
	v_pk_mov_b32 v[198:199], v[174:175], v[146:147] op_sel:[1,0]
	ds_write_b32 v195, v174
	ds_write2_b32 v197, v198, v199 offset0:21 offset1:22
	s_waitcnt vmcnt(55)
	v_pk_mov_b32 v[198:199], v[146:147], v[172:173] op_sel:[1,0]
	ds_write2_b32 v197, v198, v199 offset0:23 offset1:24
	s_waitcnt vmcnt(53)
	v_pk_mov_b32 v[198:199], v[172:173], v[144:145] op_sel:[1,0]
	;; [unrolled: 3-line block ×20, first 2 shown]
	ds_write2_b32 v197, v198, v199 offset0:61 offset1:62
	ds_write_b32 v197, v183 offset:252
	ds_read_b32 v196, v195
	s_waitcnt lgkmcnt(0)
	v_cmp_neq_f32_e32 vcc, 0, v196
	s_and_b64 exec, exec, vcc
	s_cbranch_execz .LBB127_112
; %bb.111:
	v_div_scale_f32 v198, s[4:5], v196, v196, 1.0
	v_rcp_f32_e32 v199, v198
	v_div_scale_f32 v200, vcc, 1.0, v196, 1.0
	v_fma_f32 v201, -v198, v199, 1.0
	v_fmac_f32_e32 v199, v201, v199
	v_mul_f32_e32 v201, v200, v199
	v_fma_f32 v202, -v198, v201, v200
	v_fmac_f32_e32 v201, v202, v199
	v_fma_f32 v198, -v198, v201, v200
	v_div_fmas_f32 v198, v198, v199, v201
	v_div_fixup_f32 v196, v198, v196, 1.0
	ds_write_b32 v195, v196
.LBB127_112:
	s_or_b64 exec, exec, s[2:3]
	s_waitcnt lgkmcnt(0)
	s_barrier
	ds_read_b32 v217, v195
	v_cmp_lt_u32_e32 vcc, 20, v193
	s_and_saveexec_b64 s[2:3], vcc
	s_cbranch_execz .LBB127_114
; %bb.113:
	ds_read_b32 v196, v197 offset:84
	ds_read2_b64 v[218:221], v197 offset0:11 offset1:12
	s_waitcnt vmcnt(60) lgkmcnt(2)
	v_mul_f32_e32 v174, v217, v174
	ds_read2_b64 v[222:225], v197 offset0:13 offset1:14
	ds_read2_b64 v[226:229], v197 offset0:15 offset1:16
	ds_read_b64 v[198:199], v197 offset:248
	s_waitcnt vmcnt(59) lgkmcnt(4)
	v_fma_f32 v175, -v174, v196, v175
	s_waitcnt vmcnt(57) lgkmcnt(3)
	v_pk_fma_f32 v[146:147], v[174:175], v[218:219], v[146:147] op_sel_hi:[0,1,1] neg_lo:[1,0,0] neg_hi:[1,0,0]
	s_waitcnt vmcnt(55)
	v_pk_fma_f32 v[172:173], v[174:175], v[220:221], v[172:173] op_sel_hi:[0,1,1] neg_lo:[1,0,0] neg_hi:[1,0,0]
	ds_read2_b64 v[218:221], v197 offset0:17 offset1:18
	s_waitcnt vmcnt(53) lgkmcnt(3)
	v_pk_fma_f32 v[144:145], v[174:175], v[222:223], v[144:145] op_sel_hi:[0,1,1] neg_lo:[1,0,0] neg_hi:[1,0,0]
	s_waitcnt vmcnt(51)
	v_pk_fma_f32 v[170:171], v[174:175], v[224:225], v[170:171] op_sel_hi:[0,1,1] neg_lo:[1,0,0] neg_hi:[1,0,0]
	s_waitcnt vmcnt(49) lgkmcnt(2)
	v_pk_fma_f32 v[142:143], v[174:175], v[226:227], v[142:143] op_sel_hi:[0,1,1] neg_lo:[1,0,0] neg_hi:[1,0,0]
	ds_read2_b64 v[222:225], v197 offset0:19 offset1:20
	s_waitcnt vmcnt(47)
	v_pk_fma_f32 v[168:169], v[174:175], v[228:229], v[168:169] op_sel_hi:[0,1,1] neg_lo:[1,0,0] neg_hi:[1,0,0]
	s_waitcnt vmcnt(45) lgkmcnt(1)
	v_pk_fma_f32 v[140:141], v[174:175], v[218:219], v[140:141] op_sel_hi:[0,1,1] neg_lo:[1,0,0] neg_hi:[1,0,0]
	ds_read2_b64 v[226:229], v197 offset0:21 offset1:22
	s_waitcnt vmcnt(43)
	v_pk_fma_f32 v[166:167], v[174:175], v[220:221], v[166:167] op_sel_hi:[0,1,1] neg_lo:[1,0,0] neg_hi:[1,0,0]
	ds_read2_b64 v[218:221], v197 offset0:23 offset1:24
	s_waitcnt vmcnt(41) lgkmcnt(2)
	v_pk_fma_f32 v[138:139], v[174:175], v[222:223], v[138:139] op_sel_hi:[0,1,1] neg_lo:[1,0,0] neg_hi:[1,0,0]
	s_waitcnt vmcnt(39)
	v_pk_fma_f32 v[164:165], v[174:175], v[224:225], v[164:165] op_sel_hi:[0,1,1] neg_lo:[1,0,0] neg_hi:[1,0,0]
	s_waitcnt vmcnt(37) lgkmcnt(1)
	v_pk_fma_f32 v[136:137], v[174:175], v[226:227], v[136:137] op_sel_hi:[0,1,1] neg_lo:[1,0,0] neg_hi:[1,0,0]
	ds_read2_b64 v[222:225], v197 offset0:25 offset1:26
	s_waitcnt vmcnt(35)
	v_pk_fma_f32 v[162:163], v[174:175], v[228:229], v[162:163] op_sel_hi:[0,1,1] neg_lo:[1,0,0] neg_hi:[1,0,0]
	s_waitcnt vmcnt(33) lgkmcnt(1)
	v_pk_fma_f32 v[134:135], v[174:175], v[218:219], v[134:135] op_sel_hi:[0,1,1] neg_lo:[1,0,0] neg_hi:[1,0,0]
	s_waitcnt vmcnt(31)
	v_pk_fma_f32 v[160:161], v[174:175], v[220:221], v[160:161] op_sel_hi:[0,1,1] neg_lo:[1,0,0] neg_hi:[1,0,0]
	ds_read2_b64 v[218:221], v197 offset0:27 offset1:28
	ds_read2_b64 v[226:229], v197 offset0:29 offset1:30
	s_waitcnt vmcnt(29) lgkmcnt(2)
	v_pk_fma_f32 v[132:133], v[174:175], v[222:223], v[132:133] op_sel_hi:[0,1,1] neg_lo:[1,0,0] neg_hi:[1,0,0]
	s_waitcnt vmcnt(27)
	v_pk_fma_f32 v[158:159], v[174:175], v[224:225], v[158:159] op_sel_hi:[0,1,1] neg_lo:[1,0,0] neg_hi:[1,0,0]
	s_waitcnt vmcnt(17)
	v_pk_fma_f32 v[182:183], v[174:175], v[198:199], v[182:183] op_sel_hi:[0,1,1] neg_lo:[1,0,0] neg_hi:[1,0,0]
	s_waitcnt lgkmcnt(1)
	v_pk_fma_f32 v[130:131], v[174:175], v[218:219], v[130:131] op_sel_hi:[0,1,1] neg_lo:[1,0,0] neg_hi:[1,0,0]
	v_pk_fma_f32 v[156:157], v[174:175], v[220:221], v[156:157] op_sel_hi:[0,1,1] neg_lo:[1,0,0] neg_hi:[1,0,0]
	s_waitcnt lgkmcnt(0)
	v_pk_fma_f32 v[128:129], v[174:175], v[226:227], v[128:129] op_sel_hi:[0,1,1] neg_lo:[1,0,0] neg_hi:[1,0,0]
	v_pk_fma_f32 v[154:155], v[174:175], v[228:229], v[154:155] op_sel_hi:[0,1,1] neg_lo:[1,0,0] neg_hi:[1,0,0]
.LBB127_114:
	s_or_b64 exec, exec, s[2:3]
	v_cmp_ne_u32_e32 vcc, 21, v193
	s_waitcnt lgkmcnt(0)
	s_barrier
	s_and_saveexec_b64 s[2:3], vcc
	s_xor_b64 s[2:3], exec, s[2:3]
	s_andn2_saveexec_b64 s[2:3], s[2:3]
	s_cbranch_execz .LBB127_118
; %bb.115:
	s_waitcnt vmcnt(59)
	ds_write_b32 v195, v175
	s_waitcnt vmcnt(55)
	ds_write2_b64 v197, v[146:147], v[172:173] offset0:11 offset1:12
	s_waitcnt vmcnt(51)
	ds_write2_b64 v197, v[144:145], v[170:171] offset0:13 offset1:14
	;; [unrolled: 2-line block ×10, first 2 shown]
	s_waitcnt vmcnt(17)
	ds_write_b64 v197, v[182:183] offset:248
	ds_read_b32 v196, v195
	s_waitcnt lgkmcnt(0)
	v_cmp_neq_f32_e32 vcc, 0, v196
	s_and_saveexec_b64 s[4:5], vcc
	s_cbranch_execz .LBB127_117
; %bb.116:
	v_div_scale_f32 v198, s[10:11], v196, v196, 1.0
	v_rcp_f32_e32 v199, v198
	v_div_scale_f32 v200, vcc, 1.0, v196, 1.0
	v_fma_f32 v201, -v198, v199, 1.0
	v_fmac_f32_e32 v199, v201, v199
	v_mul_f32_e32 v201, v200, v199
	v_fma_f32 v202, -v198, v201, v200
	v_fmac_f32_e32 v201, v202, v199
	v_fma_f32 v198, -v198, v201, v200
	v_div_fmas_f32 v198, v198, v199, v201
	v_div_fixup_f32 v196, v198, v196, 1.0
	ds_write_b32 v195, v196
.LBB127_117:
	s_or_b64 exec, exec, s[4:5]
.LBB127_118:
	s_or_b64 exec, exec, s[2:3]
	s_waitcnt lgkmcnt(0)
	s_barrier
	ds_read_b32 v218, v195
	v_cmp_lt_u32_e32 vcc, 21, v193
	s_and_saveexec_b64 s[2:3], vcc
	s_cbranch_execz .LBB127_120
; %bb.119:
	ds_read2_b64 v[220:223], v197 offset0:11 offset1:12
	ds_read2_b64 v[224:227], v197 offset0:13 offset1:14
	s_waitcnt vmcnt(59) lgkmcnt(2)
	v_mul_f32_e32 v196, v218, v175
	ds_read2_b64 v[228:231], v197 offset0:15 offset1:16
	ds_read_b64 v[198:199], v197 offset:248
	s_waitcnt vmcnt(57) lgkmcnt(3)
	v_pk_fma_f32 v[146:147], v[196:197], v[220:221], v[146:147] op_sel_hi:[0,1,1] neg_lo:[1,0,0] neg_hi:[1,0,0]
	s_waitcnt vmcnt(55)
	v_pk_fma_f32 v[172:173], v[196:197], v[222:223], v[172:173] op_sel_hi:[0,1,1] neg_lo:[1,0,0] neg_hi:[1,0,0]
	ds_read2_b64 v[220:223], v197 offset0:17 offset1:18
	s_waitcnt vmcnt(53) lgkmcnt(3)
	v_pk_fma_f32 v[144:145], v[196:197], v[224:225], v[144:145] op_sel_hi:[0,1,1] neg_lo:[1,0,0] neg_hi:[1,0,0]
	s_waitcnt vmcnt(51)
	v_pk_fma_f32 v[170:171], v[196:197], v[226:227], v[170:171] op_sel_hi:[0,1,1] neg_lo:[1,0,0] neg_hi:[1,0,0]
	s_waitcnt vmcnt(49) lgkmcnt(2)
	v_pk_fma_f32 v[142:143], v[196:197], v[228:229], v[142:143] op_sel_hi:[0,1,1] neg_lo:[1,0,0] neg_hi:[1,0,0]
	ds_read2_b64 v[224:227], v197 offset0:19 offset1:20
	s_waitcnt vmcnt(47)
	v_pk_fma_f32 v[168:169], v[196:197], v[230:231], v[168:169] op_sel_hi:[0,1,1] neg_lo:[1,0,0] neg_hi:[1,0,0]
	s_waitcnt vmcnt(45) lgkmcnt(1)
	v_pk_fma_f32 v[140:141], v[196:197], v[220:221], v[140:141] op_sel_hi:[0,1,1] neg_lo:[1,0,0] neg_hi:[1,0,0]
	ds_read2_b64 v[228:231], v197 offset0:21 offset1:22
	s_waitcnt vmcnt(43)
	v_pk_fma_f32 v[166:167], v[196:197], v[222:223], v[166:167] op_sel_hi:[0,1,1] neg_lo:[1,0,0] neg_hi:[1,0,0]
	ds_read2_b64 v[220:223], v197 offset0:23 offset1:24
	s_waitcnt vmcnt(41) lgkmcnt(2)
	v_pk_fma_f32 v[138:139], v[196:197], v[224:225], v[138:139] op_sel_hi:[0,1,1] neg_lo:[1,0,0] neg_hi:[1,0,0]
	s_waitcnt vmcnt(39)
	v_pk_fma_f32 v[164:165], v[196:197], v[226:227], v[164:165] op_sel_hi:[0,1,1] neg_lo:[1,0,0] neg_hi:[1,0,0]
	s_waitcnt vmcnt(37) lgkmcnt(1)
	v_pk_fma_f32 v[136:137], v[196:197], v[228:229], v[136:137] op_sel_hi:[0,1,1] neg_lo:[1,0,0] neg_hi:[1,0,0]
	ds_read2_b64 v[224:227], v197 offset0:25 offset1:26
	s_waitcnt vmcnt(35)
	v_pk_fma_f32 v[162:163], v[196:197], v[230:231], v[162:163] op_sel_hi:[0,1,1] neg_lo:[1,0,0] neg_hi:[1,0,0]
	s_waitcnt vmcnt(33) lgkmcnt(1)
	v_pk_fma_f32 v[134:135], v[196:197], v[220:221], v[134:135] op_sel_hi:[0,1,1] neg_lo:[1,0,0] neg_hi:[1,0,0]
	s_waitcnt vmcnt(31)
	v_pk_fma_f32 v[160:161], v[196:197], v[222:223], v[160:161] op_sel_hi:[0,1,1] neg_lo:[1,0,0] neg_hi:[1,0,0]
	ds_read2_b64 v[220:223], v197 offset0:27 offset1:28
	ds_read2_b64 v[228:231], v197 offset0:29 offset1:30
	s_waitcnt vmcnt(29) lgkmcnt(2)
	v_pk_fma_f32 v[132:133], v[196:197], v[224:225], v[132:133] op_sel_hi:[0,1,1] neg_lo:[1,0,0] neg_hi:[1,0,0]
	s_waitcnt vmcnt(27)
	v_pk_fma_f32 v[158:159], v[196:197], v[226:227], v[158:159] op_sel_hi:[0,1,1] neg_lo:[1,0,0] neg_hi:[1,0,0]
	s_waitcnt vmcnt(17)
	v_pk_fma_f32 v[182:183], v[196:197], v[198:199], v[182:183] op_sel_hi:[0,1,1] neg_lo:[1,0,0] neg_hi:[1,0,0]
	s_waitcnt lgkmcnt(1)
	v_pk_fma_f32 v[130:131], v[196:197], v[220:221], v[130:131] op_sel_hi:[0,1,1] neg_lo:[1,0,0] neg_hi:[1,0,0]
	v_pk_fma_f32 v[156:157], v[196:197], v[222:223], v[156:157] op_sel_hi:[0,1,1] neg_lo:[1,0,0] neg_hi:[1,0,0]
	s_waitcnt lgkmcnt(0)
	v_pk_fma_f32 v[128:129], v[196:197], v[228:229], v[128:129] op_sel_hi:[0,1,1] neg_lo:[1,0,0] neg_hi:[1,0,0]
	v_pk_fma_f32 v[154:155], v[196:197], v[230:231], v[154:155] op_sel_hi:[0,1,1] neg_lo:[1,0,0] neg_hi:[1,0,0]
	v_mov_b32_e32 v175, v196
.LBB127_120:
	s_or_b64 exec, exec, s[2:3]
	v_cmp_eq_u32_e32 vcc, 22, v193
	s_waitcnt lgkmcnt(0)
	s_barrier
	s_and_saveexec_b64 s[2:3], vcc
	s_cbranch_execz .LBB127_123
; %bb.121:
	s_waitcnt vmcnt(55)
	v_pk_mov_b32 v[198:199], v[146:147], v[172:173] op_sel:[1,0]
	ds_write_b32 v195, v146
	ds_write2_b32 v197, v198, v199 offset0:23 offset1:24
	s_waitcnt vmcnt(53)
	v_pk_mov_b32 v[198:199], v[172:173], v[144:145] op_sel:[1,0]
	ds_write2_b32 v197, v198, v199 offset0:25 offset1:26
	s_waitcnt vmcnt(51)
	v_pk_mov_b32 v[198:199], v[144:145], v[170:171] op_sel:[1,0]
	;; [unrolled: 3-line block ×19, first 2 shown]
	ds_write2_b32 v197, v198, v199 offset0:61 offset1:62
	ds_write_b32 v197, v183 offset:252
	ds_read_b32 v196, v195
	s_waitcnt lgkmcnt(0)
	v_cmp_neq_f32_e32 vcc, 0, v196
	s_and_b64 exec, exec, vcc
	s_cbranch_execz .LBB127_123
; %bb.122:
	v_div_scale_f32 v198, s[4:5], v196, v196, 1.0
	v_rcp_f32_e32 v199, v198
	v_div_scale_f32 v200, vcc, 1.0, v196, 1.0
	v_fma_f32 v201, -v198, v199, 1.0
	v_fmac_f32_e32 v199, v201, v199
	v_mul_f32_e32 v201, v200, v199
	v_fma_f32 v202, -v198, v201, v200
	v_fmac_f32_e32 v201, v202, v199
	v_fma_f32 v198, -v198, v201, v200
	v_div_fmas_f32 v198, v198, v199, v201
	v_div_fixup_f32 v196, v198, v196, 1.0
	ds_write_b32 v195, v196
.LBB127_123:
	s_or_b64 exec, exec, s[2:3]
	s_waitcnt lgkmcnt(0)
	s_barrier
	ds_read_b32 v219, v195
	v_cmp_lt_u32_e32 vcc, 22, v193
	s_and_saveexec_b64 s[2:3], vcc
	s_cbranch_execz .LBB127_125
; %bb.124:
	ds_read_b32 v196, v197 offset:92
	ds_read2_b64 v[220:223], v197 offset0:12 offset1:13
	s_waitcnt vmcnt(58) lgkmcnt(2)
	v_mul_f32_e32 v146, v219, v146
	ds_read2_b64 v[224:227], v197 offset0:14 offset1:15
	ds_read2_b64 v[228:231], v197 offset0:16 offset1:17
	s_waitcnt vmcnt(57) lgkmcnt(3)
	v_fma_f32 v147, -v146, v196, v147
	s_waitcnt vmcnt(55) lgkmcnt(2)
	v_pk_fma_f32 v[172:173], v[146:147], v[220:221], v[172:173] op_sel_hi:[0,1,1] neg_lo:[1,0,0] neg_hi:[1,0,0]
	s_waitcnt vmcnt(53)
	v_pk_fma_f32 v[144:145], v[146:147], v[222:223], v[144:145] op_sel_hi:[0,1,1] neg_lo:[1,0,0] neg_hi:[1,0,0]
	ds_read2_b64 v[220:223], v197 offset0:18 offset1:19
	s_waitcnt vmcnt(51) lgkmcnt(2)
	v_pk_fma_f32 v[170:171], v[146:147], v[224:225], v[170:171] op_sel_hi:[0,1,1] neg_lo:[1,0,0] neg_hi:[1,0,0]
	s_waitcnt vmcnt(49)
	v_pk_fma_f32 v[142:143], v[146:147], v[226:227], v[142:143] op_sel_hi:[0,1,1] neg_lo:[1,0,0] neg_hi:[1,0,0]
	s_waitcnt vmcnt(47) lgkmcnt(1)
	v_pk_fma_f32 v[168:169], v[146:147], v[228:229], v[168:169] op_sel_hi:[0,1,1] neg_lo:[1,0,0] neg_hi:[1,0,0]
	ds_read2_b64 v[224:227], v197 offset0:20 offset1:21
	s_waitcnt vmcnt(45)
	v_pk_fma_f32 v[140:141], v[146:147], v[230:231], v[140:141] op_sel_hi:[0,1,1] neg_lo:[1,0,0] neg_hi:[1,0,0]
	s_waitcnt vmcnt(43) lgkmcnt(1)
	v_pk_fma_f32 v[166:167], v[146:147], v[220:221], v[166:167] op_sel_hi:[0,1,1] neg_lo:[1,0,0] neg_hi:[1,0,0]
	ds_read2_b64 v[228:231], v197 offset0:22 offset1:23
	s_waitcnt vmcnt(41)
	v_pk_fma_f32 v[138:139], v[146:147], v[222:223], v[138:139] op_sel_hi:[0,1,1] neg_lo:[1,0,0] neg_hi:[1,0,0]
	ds_read2_b64 v[220:223], v197 offset0:24 offset1:25
	s_waitcnt vmcnt(39) lgkmcnt(2)
	v_pk_fma_f32 v[164:165], v[146:147], v[224:225], v[164:165] op_sel_hi:[0,1,1] neg_lo:[1,0,0] neg_hi:[1,0,0]
	s_waitcnt vmcnt(37)
	v_pk_fma_f32 v[136:137], v[146:147], v[226:227], v[136:137] op_sel_hi:[0,1,1] neg_lo:[1,0,0] neg_hi:[1,0,0]
	s_waitcnt vmcnt(35) lgkmcnt(1)
	v_pk_fma_f32 v[162:163], v[146:147], v[228:229], v[162:163] op_sel_hi:[0,1,1] neg_lo:[1,0,0] neg_hi:[1,0,0]
	s_waitcnt vmcnt(33)
	v_pk_fma_f32 v[134:135], v[146:147], v[230:231], v[134:135] op_sel_hi:[0,1,1] neg_lo:[1,0,0] neg_hi:[1,0,0]
	ds_read2_b64 v[224:227], v197 offset0:26 offset1:27
	ds_read2_b64 v[228:231], v197 offset0:28 offset1:29
	s_waitcnt vmcnt(31) lgkmcnt(2)
	v_pk_fma_f32 v[160:161], v[146:147], v[220:221], v[160:161] op_sel_hi:[0,1,1] neg_lo:[1,0,0] neg_hi:[1,0,0]
	s_waitcnt vmcnt(29)
	v_pk_fma_f32 v[132:133], v[146:147], v[222:223], v[132:133] op_sel_hi:[0,1,1] neg_lo:[1,0,0] neg_hi:[1,0,0]
	ds_read2_b64 v[220:223], v197 offset0:30 offset1:31
	s_waitcnt vmcnt(27) lgkmcnt(2)
	v_pk_fma_f32 v[158:159], v[146:147], v[224:225], v[158:159] op_sel_hi:[0,1,1] neg_lo:[1,0,0] neg_hi:[1,0,0]
	s_waitcnt vmcnt(25)
	v_pk_fma_f32 v[130:131], v[146:147], v[226:227], v[130:131] op_sel_hi:[0,1,1] neg_lo:[1,0,0] neg_hi:[1,0,0]
	s_waitcnt vmcnt(23) lgkmcnt(1)
	v_pk_fma_f32 v[156:157], v[146:147], v[228:229], v[156:157] op_sel_hi:[0,1,1] neg_lo:[1,0,0] neg_hi:[1,0,0]
	s_waitcnt vmcnt(21)
	v_pk_fma_f32 v[128:129], v[146:147], v[230:231], v[128:129] op_sel_hi:[0,1,1] neg_lo:[1,0,0] neg_hi:[1,0,0]
	;; [unrolled: 4-line block ×3, first 2 shown]
.LBB127_125:
	s_or_b64 exec, exec, s[2:3]
	v_cmp_ne_u32_e32 vcc, 23, v193
	s_waitcnt lgkmcnt(0)
	s_barrier
	s_and_saveexec_b64 s[2:3], vcc
	s_xor_b64 s[2:3], exec, s[2:3]
	s_andn2_saveexec_b64 s[2:3], s[2:3]
	s_cbranch_execz .LBB127_129
; %bb.126:
	s_waitcnt vmcnt(56)
	v_mov_b32_e32 v198, v172
	s_waitcnt vmcnt(55)
	v_mov_b32_e32 v199, v173
	s_waitcnt vmcnt(54)
	v_mov_b32_e32 v200, v144
	s_waitcnt vmcnt(53)
	v_mov_b32_e32 v201, v145
	ds_write_b32 v195, v147
	ds_write2_b64 v197, v[198:199], v[200:201] offset0:12 offset1:13
	s_waitcnt vmcnt(52)
	v_mov_b32_e32 v198, v170
	s_waitcnt vmcnt(51)
	v_mov_b32_e32 v199, v171
	s_waitcnt vmcnt(50)
	v_mov_b32_e32 v200, v142
	s_waitcnt vmcnt(49)
	v_mov_b32_e32 v201, v143
	ds_write2_b64 v197, v[198:199], v[200:201] offset0:14 offset1:15
	s_waitcnt vmcnt(48)
	v_mov_b32_e32 v198, v168
	s_waitcnt vmcnt(47)
	v_mov_b32_e32 v199, v169
	s_waitcnt vmcnt(46)
	v_mov_b32_e32 v200, v140
	s_waitcnt vmcnt(45)
	v_mov_b32_e32 v201, v141
	;; [unrolled: 9-line block ×8, first 2 shown]
	ds_write2_b64 v197, v[198:199], v[200:201] offset0:28 offset1:29
	s_waitcnt vmcnt(20)
	v_mov_b32_e32 v198, v154
	s_waitcnt vmcnt(19)
	v_mov_b32_e32 v199, v155
	s_waitcnt vmcnt(17)
	ds_write2_b64 v197, v[198:199], v[182:183] offset0:30 offset1:31
	ds_read_b32 v196, v195
	s_waitcnt lgkmcnt(0)
	v_cmp_neq_f32_e32 vcc, 0, v196
	s_and_saveexec_b64 s[4:5], vcc
	s_cbranch_execz .LBB127_128
; %bb.127:
	v_div_scale_f32 v198, s[10:11], v196, v196, 1.0
	v_rcp_f32_e32 v199, v198
	v_div_scale_f32 v200, vcc, 1.0, v196, 1.0
	v_fma_f32 v201, -v198, v199, 1.0
	v_fmac_f32_e32 v199, v201, v199
	v_mul_f32_e32 v201, v200, v199
	v_fma_f32 v202, -v198, v201, v200
	v_fmac_f32_e32 v201, v202, v199
	v_fma_f32 v198, -v198, v201, v200
	v_div_fmas_f32 v198, v198, v199, v201
	v_div_fixup_f32 v196, v198, v196, 1.0
	ds_write_b32 v195, v196
.LBB127_128:
	s_or_b64 exec, exec, s[4:5]
.LBB127_129:
	s_or_b64 exec, exec, s[2:3]
	s_waitcnt lgkmcnt(0)
	s_barrier
	ds_read_b32 v220, v195
	v_cmp_lt_u32_e32 vcc, 23, v193
	s_and_saveexec_b64 s[2:3], vcc
	s_cbranch_execz .LBB127_131
; %bb.130:
	ds_read2_b64 v[222:225], v197 offset0:12 offset1:13
	ds_read2_b64 v[226:229], v197 offset0:14 offset1:15
	s_waitcnt vmcnt(57) lgkmcnt(2)
	v_mul_f32_e32 v196, v220, v147
	ds_read2_b64 v[230:233], v197 offset0:16 offset1:17
	v_mov_b32_e32 v147, v196
	s_waitcnt vmcnt(55) lgkmcnt(2)
	v_pk_fma_f32 v[172:173], v[196:197], v[222:223], v[172:173] op_sel_hi:[0,1,1] neg_lo:[1,0,0] neg_hi:[1,0,0]
	s_waitcnt vmcnt(53)
	v_pk_fma_f32 v[144:145], v[196:197], v[224:225], v[144:145] op_sel_hi:[0,1,1] neg_lo:[1,0,0] neg_hi:[1,0,0]
	ds_read2_b64 v[222:225], v197 offset0:18 offset1:19
	s_waitcnt vmcnt(51) lgkmcnt(2)
	v_pk_fma_f32 v[170:171], v[196:197], v[226:227], v[170:171] op_sel_hi:[0,1,1] neg_lo:[1,0,0] neg_hi:[1,0,0]
	s_waitcnt vmcnt(49)
	v_pk_fma_f32 v[142:143], v[196:197], v[228:229], v[142:143] op_sel_hi:[0,1,1] neg_lo:[1,0,0] neg_hi:[1,0,0]
	s_waitcnt vmcnt(47) lgkmcnt(1)
	v_pk_fma_f32 v[168:169], v[196:197], v[230:231], v[168:169] op_sel_hi:[0,1,1] neg_lo:[1,0,0] neg_hi:[1,0,0]
	ds_read2_b64 v[226:229], v197 offset0:20 offset1:21
	s_waitcnt vmcnt(45)
	v_pk_fma_f32 v[140:141], v[196:197], v[232:233], v[140:141] op_sel_hi:[0,1,1] neg_lo:[1,0,0] neg_hi:[1,0,0]
	s_waitcnt vmcnt(43) lgkmcnt(1)
	v_pk_fma_f32 v[166:167], v[196:197], v[222:223], v[166:167] op_sel_hi:[0,1,1] neg_lo:[1,0,0] neg_hi:[1,0,0]
	ds_read2_b64 v[230:233], v197 offset0:22 offset1:23
	s_waitcnt vmcnt(41)
	v_pk_fma_f32 v[138:139], v[196:197], v[224:225], v[138:139] op_sel_hi:[0,1,1] neg_lo:[1,0,0] neg_hi:[1,0,0]
	ds_read2_b64 v[222:225], v197 offset0:24 offset1:25
	s_waitcnt vmcnt(39) lgkmcnt(2)
	v_pk_fma_f32 v[164:165], v[196:197], v[226:227], v[164:165] op_sel_hi:[0,1,1] neg_lo:[1,0,0] neg_hi:[1,0,0]
	s_waitcnt vmcnt(37)
	v_pk_fma_f32 v[136:137], v[196:197], v[228:229], v[136:137] op_sel_hi:[0,1,1] neg_lo:[1,0,0] neg_hi:[1,0,0]
	s_waitcnt vmcnt(35) lgkmcnt(1)
	v_pk_fma_f32 v[162:163], v[196:197], v[230:231], v[162:163] op_sel_hi:[0,1,1] neg_lo:[1,0,0] neg_hi:[1,0,0]
	s_waitcnt vmcnt(33)
	v_pk_fma_f32 v[134:135], v[196:197], v[232:233], v[134:135] op_sel_hi:[0,1,1] neg_lo:[1,0,0] neg_hi:[1,0,0]
	ds_read2_b64 v[226:229], v197 offset0:26 offset1:27
	s_waitcnt vmcnt(31) lgkmcnt(1)
	v_pk_fma_f32 v[160:161], v[196:197], v[222:223], v[160:161] op_sel_hi:[0,1,1] neg_lo:[1,0,0] neg_hi:[1,0,0]
	ds_read2_b64 v[230:233], v197 offset0:28 offset1:29
	s_waitcnt vmcnt(29)
	v_pk_fma_f32 v[132:133], v[196:197], v[224:225], v[132:133] op_sel_hi:[0,1,1] neg_lo:[1,0,0] neg_hi:[1,0,0]
	ds_read2_b64 v[222:225], v197 offset0:30 offset1:31
	s_waitcnt vmcnt(27) lgkmcnt(2)
	v_pk_fma_f32 v[158:159], v[196:197], v[226:227], v[158:159] op_sel_hi:[0,1,1] neg_lo:[1,0,0] neg_hi:[1,0,0]
	s_waitcnt vmcnt(25)
	v_pk_fma_f32 v[130:131], v[196:197], v[228:229], v[130:131] op_sel_hi:[0,1,1] neg_lo:[1,0,0] neg_hi:[1,0,0]
	s_waitcnt vmcnt(23) lgkmcnt(1)
	v_pk_fma_f32 v[156:157], v[196:197], v[230:231], v[156:157] op_sel_hi:[0,1,1] neg_lo:[1,0,0] neg_hi:[1,0,0]
	s_waitcnt vmcnt(21)
	v_pk_fma_f32 v[128:129], v[196:197], v[232:233], v[128:129] op_sel_hi:[0,1,1] neg_lo:[1,0,0] neg_hi:[1,0,0]
	;; [unrolled: 4-line block ×3, first 2 shown]
.LBB127_131:
	s_or_b64 exec, exec, s[2:3]
	v_cmp_eq_u32_e32 vcc, 24, v193
	s_waitcnt lgkmcnt(0)
	s_barrier
	s_and_saveexec_b64 s[2:3], vcc
	s_cbranch_execz .LBB127_134
; %bb.132:
	s_waitcnt vmcnt(53)
	v_pk_mov_b32 v[198:199], v[172:173], v[144:145] op_sel:[1,0]
	ds_write_b32 v195, v172
	ds_write2_b32 v197, v198, v199 offset0:25 offset1:26
	s_waitcnt vmcnt(51)
	v_pk_mov_b32 v[198:199], v[144:145], v[170:171] op_sel:[1,0]
	ds_write2_b32 v197, v198, v199 offset0:27 offset1:28
	s_waitcnt vmcnt(49)
	v_pk_mov_b32 v[198:199], v[170:171], v[142:143] op_sel:[1,0]
	;; [unrolled: 3-line block ×18, first 2 shown]
	ds_write2_b32 v197, v198, v199 offset0:61 offset1:62
	ds_write_b32 v197, v183 offset:252
	ds_read_b32 v196, v195
	s_waitcnt lgkmcnt(0)
	v_cmp_neq_f32_e32 vcc, 0, v196
	s_and_b64 exec, exec, vcc
	s_cbranch_execz .LBB127_134
; %bb.133:
	v_div_scale_f32 v198, s[4:5], v196, v196, 1.0
	v_rcp_f32_e32 v199, v198
	v_div_scale_f32 v200, vcc, 1.0, v196, 1.0
	v_fma_f32 v201, -v198, v199, 1.0
	v_fmac_f32_e32 v199, v201, v199
	v_mul_f32_e32 v201, v200, v199
	v_fma_f32 v202, -v198, v201, v200
	v_fmac_f32_e32 v201, v202, v199
	v_fma_f32 v198, -v198, v201, v200
	v_div_fmas_f32 v198, v198, v199, v201
	v_div_fixup_f32 v196, v198, v196, 1.0
	ds_write_b32 v195, v196
.LBB127_134:
	s_or_b64 exec, exec, s[2:3]
	s_waitcnt lgkmcnt(0)
	s_barrier
	ds_read_b32 v221, v195
	v_cmp_lt_u32_e32 vcc, 24, v193
	s_and_saveexec_b64 s[2:3], vcc
	s_cbranch_execz .LBB127_136
; %bb.135:
	ds_read_b32 v196, v197 offset:100
	ds_read2_b64 v[222:225], v197 offset0:13 offset1:14
	ds_read2_b64 v[226:229], v197 offset0:15 offset1:16
	;; [unrolled: 1-line block ×3, first 2 shown]
	s_waitcnt vmcnt(56) lgkmcnt(4)
	v_mul_f32_e32 v172, v221, v172
	ds_read_b64 v[198:199], v197 offset:248
	s_waitcnt vmcnt(55) lgkmcnt(4)
	v_fma_f32 v173, -v172, v196, v173
	s_waitcnt vmcnt(53) lgkmcnt(3)
	v_pk_fma_f32 v[144:145], v[172:173], v[222:223], v[144:145] op_sel_hi:[0,1,1] neg_lo:[1,0,0] neg_hi:[1,0,0]
	s_waitcnt vmcnt(51)
	v_pk_fma_f32 v[170:171], v[172:173], v[224:225], v[170:171] op_sel_hi:[0,1,1] neg_lo:[1,0,0] neg_hi:[1,0,0]
	s_waitcnt vmcnt(49) lgkmcnt(2)
	v_pk_fma_f32 v[142:143], v[172:173], v[226:227], v[142:143] op_sel_hi:[0,1,1] neg_lo:[1,0,0] neg_hi:[1,0,0]
	ds_read2_b64 v[222:225], v197 offset0:19 offset1:20
	s_waitcnt vmcnt(47)
	v_pk_fma_f32 v[168:169], v[172:173], v[228:229], v[168:169] op_sel_hi:[0,1,1] neg_lo:[1,0,0] neg_hi:[1,0,0]
	s_waitcnt vmcnt(45) lgkmcnt(2)
	v_pk_fma_f32 v[140:141], v[172:173], v[230:231], v[140:141] op_sel_hi:[0,1,1] neg_lo:[1,0,0] neg_hi:[1,0,0]
	ds_read2_b64 v[226:229], v197 offset0:21 offset1:22
	s_waitcnt vmcnt(43)
	v_pk_fma_f32 v[166:167], v[172:173], v[232:233], v[166:167] op_sel_hi:[0,1,1] neg_lo:[1,0,0] neg_hi:[1,0,0]
	ds_read2_b64 v[230:233], v197 offset0:23 offset1:24
	s_waitcnt vmcnt(41) lgkmcnt(2)
	v_pk_fma_f32 v[138:139], v[172:173], v[222:223], v[138:139] op_sel_hi:[0,1,1] neg_lo:[1,0,0] neg_hi:[1,0,0]
	s_waitcnt vmcnt(39)
	v_pk_fma_f32 v[164:165], v[172:173], v[224:225], v[164:165] op_sel_hi:[0,1,1] neg_lo:[1,0,0] neg_hi:[1,0,0]
	s_waitcnt vmcnt(37) lgkmcnt(1)
	v_pk_fma_f32 v[136:137], v[172:173], v[226:227], v[136:137] op_sel_hi:[0,1,1] neg_lo:[1,0,0] neg_hi:[1,0,0]
	ds_read2_b64 v[222:225], v197 offset0:25 offset1:26
	s_waitcnt vmcnt(35)
	v_pk_fma_f32 v[162:163], v[172:173], v[228:229], v[162:163] op_sel_hi:[0,1,1] neg_lo:[1,0,0] neg_hi:[1,0,0]
	s_waitcnt vmcnt(33) lgkmcnt(1)
	v_pk_fma_f32 v[134:135], v[172:173], v[230:231], v[134:135] op_sel_hi:[0,1,1] neg_lo:[1,0,0] neg_hi:[1,0,0]
	s_waitcnt vmcnt(31)
	v_pk_fma_f32 v[160:161], v[172:173], v[232:233], v[160:161] op_sel_hi:[0,1,1] neg_lo:[1,0,0] neg_hi:[1,0,0]
	ds_read2_b64 v[226:229], v197 offset0:27 offset1:28
	ds_read2_b64 v[230:233], v197 offset0:29 offset1:30
	s_waitcnt vmcnt(29) lgkmcnt(2)
	v_pk_fma_f32 v[132:133], v[172:173], v[222:223], v[132:133] op_sel_hi:[0,1,1] neg_lo:[1,0,0] neg_hi:[1,0,0]
	s_waitcnt vmcnt(27)
	v_pk_fma_f32 v[158:159], v[172:173], v[224:225], v[158:159] op_sel_hi:[0,1,1] neg_lo:[1,0,0] neg_hi:[1,0,0]
	s_waitcnt vmcnt(17)
	v_pk_fma_f32 v[182:183], v[172:173], v[198:199], v[182:183] op_sel_hi:[0,1,1] neg_lo:[1,0,0] neg_hi:[1,0,0]
	s_waitcnt lgkmcnt(1)
	v_pk_fma_f32 v[130:131], v[172:173], v[226:227], v[130:131] op_sel_hi:[0,1,1] neg_lo:[1,0,0] neg_hi:[1,0,0]
	v_pk_fma_f32 v[156:157], v[172:173], v[228:229], v[156:157] op_sel_hi:[0,1,1] neg_lo:[1,0,0] neg_hi:[1,0,0]
	s_waitcnt lgkmcnt(0)
	v_pk_fma_f32 v[128:129], v[172:173], v[230:231], v[128:129] op_sel_hi:[0,1,1] neg_lo:[1,0,0] neg_hi:[1,0,0]
	v_pk_fma_f32 v[154:155], v[172:173], v[232:233], v[154:155] op_sel_hi:[0,1,1] neg_lo:[1,0,0] neg_hi:[1,0,0]
.LBB127_136:
	s_or_b64 exec, exec, s[2:3]
	v_cmp_ne_u32_e32 vcc, 25, v193
	s_waitcnt lgkmcnt(0)
	s_barrier
	s_and_saveexec_b64 s[2:3], vcc
	s_xor_b64 s[2:3], exec, s[2:3]
	s_andn2_saveexec_b64 s[2:3], s[2:3]
	s_cbranch_execz .LBB127_140
; %bb.137:
	s_waitcnt vmcnt(55)
	ds_write_b32 v195, v173
	s_waitcnt vmcnt(51)
	ds_write2_b64 v197, v[144:145], v[170:171] offset0:13 offset1:14
	s_waitcnt vmcnt(47)
	ds_write2_b64 v197, v[142:143], v[168:169] offset0:15 offset1:16
	;; [unrolled: 2-line block ×9, first 2 shown]
	s_waitcnt vmcnt(17)
	ds_write_b64 v197, v[182:183] offset:248
	ds_read_b32 v196, v195
	s_waitcnt lgkmcnt(0)
	v_cmp_neq_f32_e32 vcc, 0, v196
	s_and_saveexec_b64 s[4:5], vcc
	s_cbranch_execz .LBB127_139
; %bb.138:
	v_div_scale_f32 v198, s[10:11], v196, v196, 1.0
	v_rcp_f32_e32 v199, v198
	v_div_scale_f32 v200, vcc, 1.0, v196, 1.0
	v_fma_f32 v201, -v198, v199, 1.0
	v_fmac_f32_e32 v199, v201, v199
	v_mul_f32_e32 v201, v200, v199
	v_fma_f32 v202, -v198, v201, v200
	v_fmac_f32_e32 v201, v202, v199
	v_fma_f32 v198, -v198, v201, v200
	v_div_fmas_f32 v198, v198, v199, v201
	v_div_fixup_f32 v196, v198, v196, 1.0
	ds_write_b32 v195, v196
.LBB127_139:
	s_or_b64 exec, exec, s[4:5]
.LBB127_140:
	s_or_b64 exec, exec, s[2:3]
	s_waitcnt lgkmcnt(0)
	s_barrier
	ds_read_b32 v222, v195
	v_cmp_lt_u32_e32 vcc, 25, v193
	s_and_saveexec_b64 s[2:3], vcc
	s_cbranch_execz .LBB127_142
; %bb.141:
	ds_read2_b64 v[224:227], v197 offset0:13 offset1:14
	ds_read2_b64 v[228:231], v197 offset0:15 offset1:16
	ds_read2_b64 v[232:235], v197 offset0:17 offset1:18
	s_waitcnt vmcnt(55) lgkmcnt(3)
	v_mul_f32_e32 v196, v222, v173
	v_mov_b32_e32 v173, v196
	s_waitcnt vmcnt(53) lgkmcnt(2)
	v_pk_fma_f32 v[144:145], v[196:197], v[224:225], v[144:145] op_sel_hi:[0,1,1] neg_lo:[1,0,0] neg_hi:[1,0,0]
	s_waitcnt vmcnt(51)
	v_pk_fma_f32 v[170:171], v[196:197], v[226:227], v[170:171] op_sel_hi:[0,1,1] neg_lo:[1,0,0] neg_hi:[1,0,0]
	s_waitcnt vmcnt(49) lgkmcnt(1)
	v_pk_fma_f32 v[142:143], v[196:197], v[228:229], v[142:143] op_sel_hi:[0,1,1] neg_lo:[1,0,0] neg_hi:[1,0,0]
	ds_read2_b64 v[224:227], v197 offset0:19 offset1:20
	s_waitcnt vmcnt(47)
	v_pk_fma_f32 v[168:169], v[196:197], v[230:231], v[168:169] op_sel_hi:[0,1,1] neg_lo:[1,0,0] neg_hi:[1,0,0]
	s_waitcnt vmcnt(45) lgkmcnt(1)
	v_pk_fma_f32 v[140:141], v[196:197], v[232:233], v[140:141] op_sel_hi:[0,1,1] neg_lo:[1,0,0] neg_hi:[1,0,0]
	ds_read2_b64 v[228:231], v197 offset0:21 offset1:22
	s_waitcnt vmcnt(43)
	v_pk_fma_f32 v[166:167], v[196:197], v[234:235], v[166:167] op_sel_hi:[0,1,1] neg_lo:[1,0,0] neg_hi:[1,0,0]
	ds_read2_b64 v[232:235], v197 offset0:23 offset1:24
	s_waitcnt vmcnt(41) lgkmcnt(2)
	v_pk_fma_f32 v[138:139], v[196:197], v[224:225], v[138:139] op_sel_hi:[0,1,1] neg_lo:[1,0,0] neg_hi:[1,0,0]
	s_waitcnt vmcnt(39)
	v_pk_fma_f32 v[164:165], v[196:197], v[226:227], v[164:165] op_sel_hi:[0,1,1] neg_lo:[1,0,0] neg_hi:[1,0,0]
	s_waitcnt vmcnt(37) lgkmcnt(1)
	v_pk_fma_f32 v[136:137], v[196:197], v[228:229], v[136:137] op_sel_hi:[0,1,1] neg_lo:[1,0,0] neg_hi:[1,0,0]
	ds_read2_b64 v[224:227], v197 offset0:25 offset1:26
	s_waitcnt vmcnt(35)
	v_pk_fma_f32 v[162:163], v[196:197], v[230:231], v[162:163] op_sel_hi:[0,1,1] neg_lo:[1,0,0] neg_hi:[1,0,0]
	s_waitcnt vmcnt(33) lgkmcnt(1)
	v_pk_fma_f32 v[134:135], v[196:197], v[232:233], v[134:135] op_sel_hi:[0,1,1] neg_lo:[1,0,0] neg_hi:[1,0,0]
	s_waitcnt vmcnt(31)
	v_pk_fma_f32 v[160:161], v[196:197], v[234:235], v[160:161] op_sel_hi:[0,1,1] neg_lo:[1,0,0] neg_hi:[1,0,0]
	ds_read2_b64 v[228:231], v197 offset0:27 offset1:28
	ds_read2_b64 v[232:235], v197 offset0:29 offset1:30
	ds_read_b64 v[198:199], v197 offset:248
	s_waitcnt vmcnt(29) lgkmcnt(3)
	v_pk_fma_f32 v[132:133], v[196:197], v[224:225], v[132:133] op_sel_hi:[0,1,1] neg_lo:[1,0,0] neg_hi:[1,0,0]
	s_waitcnt vmcnt(27)
	v_pk_fma_f32 v[158:159], v[196:197], v[226:227], v[158:159] op_sel_hi:[0,1,1] neg_lo:[1,0,0] neg_hi:[1,0,0]
	s_waitcnt vmcnt(25) lgkmcnt(2)
	v_pk_fma_f32 v[130:131], v[196:197], v[228:229], v[130:131] op_sel_hi:[0,1,1] neg_lo:[1,0,0] neg_hi:[1,0,0]
	s_waitcnt vmcnt(23)
	v_pk_fma_f32 v[156:157], v[196:197], v[230:231], v[156:157] op_sel_hi:[0,1,1] neg_lo:[1,0,0] neg_hi:[1,0,0]
	;; [unrolled: 4-line block ×3, first 2 shown]
	s_waitcnt vmcnt(17) lgkmcnt(0)
	v_pk_fma_f32 v[182:183], v[196:197], v[198:199], v[182:183] op_sel_hi:[0,1,1] neg_lo:[1,0,0] neg_hi:[1,0,0]
.LBB127_142:
	s_or_b64 exec, exec, s[2:3]
	v_cmp_eq_u32_e32 vcc, 26, v193
	s_waitcnt lgkmcnt(0)
	s_barrier
	s_and_saveexec_b64 s[2:3], vcc
	s_cbranch_execz .LBB127_145
; %bb.143:
	s_waitcnt vmcnt(51)
	v_pk_mov_b32 v[198:199], v[144:145], v[170:171] op_sel:[1,0]
	ds_write_b32 v195, v144
	ds_write2_b32 v197, v198, v199 offset0:27 offset1:28
	s_waitcnt vmcnt(49)
	v_pk_mov_b32 v[198:199], v[170:171], v[142:143] op_sel:[1,0]
	ds_write2_b32 v197, v198, v199 offset0:29 offset1:30
	s_waitcnt vmcnt(47)
	v_pk_mov_b32 v[198:199], v[142:143], v[168:169] op_sel:[1,0]
	;; [unrolled: 3-line block ×17, first 2 shown]
	ds_write2_b32 v197, v198, v199 offset0:61 offset1:62
	ds_write_b32 v197, v183 offset:252
	ds_read_b32 v196, v195
	s_waitcnt lgkmcnt(0)
	v_cmp_neq_f32_e32 vcc, 0, v196
	s_and_b64 exec, exec, vcc
	s_cbranch_execz .LBB127_145
; %bb.144:
	v_div_scale_f32 v198, s[4:5], v196, v196, 1.0
	v_rcp_f32_e32 v199, v198
	v_div_scale_f32 v200, vcc, 1.0, v196, 1.0
	v_fma_f32 v201, -v198, v199, 1.0
	v_fmac_f32_e32 v199, v201, v199
	v_mul_f32_e32 v201, v200, v199
	v_fma_f32 v202, -v198, v201, v200
	v_fmac_f32_e32 v201, v202, v199
	v_fma_f32 v198, -v198, v201, v200
	v_div_fmas_f32 v198, v198, v199, v201
	v_div_fixup_f32 v196, v198, v196, 1.0
	ds_write_b32 v195, v196
.LBB127_145:
	s_or_b64 exec, exec, s[2:3]
	s_waitcnt lgkmcnt(0)
	s_barrier
	ds_read_b32 v223, v195
	v_cmp_lt_u32_e32 vcc, 26, v193
	s_and_saveexec_b64 s[2:3], vcc
	s_cbranch_execz .LBB127_147
; %bb.146:
	ds_read_b32 v196, v197 offset:108
	ds_read2_b64 v[224:227], v197 offset0:14 offset1:15
	ds_read2_b64 v[228:231], v197 offset0:16 offset1:17
	;; [unrolled: 1-line block ×3, first 2 shown]
	s_waitcnt vmcnt(54) lgkmcnt(4)
	v_mul_f32_e32 v144, v223, v144
	s_waitcnt vmcnt(53) lgkmcnt(3)
	v_fma_f32 v145, -v144, v196, v145
	s_waitcnt vmcnt(51) lgkmcnt(2)
	v_pk_fma_f32 v[170:171], v[144:145], v[224:225], v[170:171] op_sel_hi:[0,1,1] neg_lo:[1,0,0] neg_hi:[1,0,0]
	s_waitcnt vmcnt(49)
	v_pk_fma_f32 v[142:143], v[144:145], v[226:227], v[142:143] op_sel_hi:[0,1,1] neg_lo:[1,0,0] neg_hi:[1,0,0]
	s_waitcnt vmcnt(47) lgkmcnt(1)
	v_pk_fma_f32 v[168:169], v[144:145], v[228:229], v[168:169] op_sel_hi:[0,1,1] neg_lo:[1,0,0] neg_hi:[1,0,0]
	ds_read2_b64 v[224:227], v197 offset0:20 offset1:21
	s_waitcnt vmcnt(45)
	v_pk_fma_f32 v[140:141], v[144:145], v[230:231], v[140:141] op_sel_hi:[0,1,1] neg_lo:[1,0,0] neg_hi:[1,0,0]
	s_waitcnt vmcnt(43) lgkmcnt(1)
	v_pk_fma_f32 v[166:167], v[144:145], v[232:233], v[166:167] op_sel_hi:[0,1,1] neg_lo:[1,0,0] neg_hi:[1,0,0]
	ds_read2_b64 v[228:231], v197 offset0:22 offset1:23
	s_waitcnt vmcnt(41)
	v_pk_fma_f32 v[138:139], v[144:145], v[234:235], v[138:139] op_sel_hi:[0,1,1] neg_lo:[1,0,0] neg_hi:[1,0,0]
	ds_read2_b64 v[232:235], v197 offset0:24 offset1:25
	s_waitcnt vmcnt(39) lgkmcnt(2)
	v_pk_fma_f32 v[164:165], v[144:145], v[224:225], v[164:165] op_sel_hi:[0,1,1] neg_lo:[1,0,0] neg_hi:[1,0,0]
	s_waitcnt vmcnt(37)
	v_pk_fma_f32 v[136:137], v[144:145], v[226:227], v[136:137] op_sel_hi:[0,1,1] neg_lo:[1,0,0] neg_hi:[1,0,0]
	s_waitcnt vmcnt(35) lgkmcnt(1)
	v_pk_fma_f32 v[162:163], v[144:145], v[228:229], v[162:163] op_sel_hi:[0,1,1] neg_lo:[1,0,0] neg_hi:[1,0,0]
	s_waitcnt vmcnt(33)
	v_pk_fma_f32 v[134:135], v[144:145], v[230:231], v[134:135] op_sel_hi:[0,1,1] neg_lo:[1,0,0] neg_hi:[1,0,0]
	ds_read2_b64 v[224:227], v197 offset0:26 offset1:27
	s_waitcnt vmcnt(31) lgkmcnt(1)
	v_pk_fma_f32 v[160:161], v[144:145], v[232:233], v[160:161] op_sel_hi:[0,1,1] neg_lo:[1,0,0] neg_hi:[1,0,0]
	ds_read2_b64 v[228:231], v197 offset0:28 offset1:29
	s_waitcnt vmcnt(29)
	v_pk_fma_f32 v[132:133], v[144:145], v[234:235], v[132:133] op_sel_hi:[0,1,1] neg_lo:[1,0,0] neg_hi:[1,0,0]
	ds_read2_b64 v[232:235], v197 offset0:30 offset1:31
	s_waitcnt vmcnt(27) lgkmcnt(2)
	v_pk_fma_f32 v[158:159], v[144:145], v[224:225], v[158:159] op_sel_hi:[0,1,1] neg_lo:[1,0,0] neg_hi:[1,0,0]
	s_waitcnt vmcnt(25)
	v_pk_fma_f32 v[130:131], v[144:145], v[226:227], v[130:131] op_sel_hi:[0,1,1] neg_lo:[1,0,0] neg_hi:[1,0,0]
	s_waitcnt vmcnt(23) lgkmcnt(1)
	v_pk_fma_f32 v[156:157], v[144:145], v[228:229], v[156:157] op_sel_hi:[0,1,1] neg_lo:[1,0,0] neg_hi:[1,0,0]
	s_waitcnt vmcnt(21)
	v_pk_fma_f32 v[128:129], v[144:145], v[230:231], v[128:129] op_sel_hi:[0,1,1] neg_lo:[1,0,0] neg_hi:[1,0,0]
	;; [unrolled: 4-line block ×3, first 2 shown]
.LBB127_147:
	s_or_b64 exec, exec, s[2:3]
	v_cmp_ne_u32_e32 vcc, 27, v193
	s_waitcnt lgkmcnt(0)
	s_barrier
	s_and_saveexec_b64 s[2:3], vcc
	s_xor_b64 s[2:3], exec, s[2:3]
	s_andn2_saveexec_b64 s[2:3], s[2:3]
	s_cbranch_execz .LBB127_151
; %bb.148:
	s_waitcnt vmcnt(52)
	v_mov_b32_e32 v198, v170
	s_waitcnt vmcnt(51)
	v_mov_b32_e32 v199, v171
	;; [unrolled: 2-line block ×4, first 2 shown]
	ds_write_b32 v195, v145
	ds_write2_b64 v197, v[198:199], v[200:201] offset0:14 offset1:15
	s_waitcnt vmcnt(48)
	v_mov_b32_e32 v198, v168
	s_waitcnt vmcnt(47)
	v_mov_b32_e32 v199, v169
	s_waitcnt vmcnt(46)
	v_mov_b32_e32 v200, v140
	s_waitcnt vmcnt(45)
	v_mov_b32_e32 v201, v141
	ds_write2_b64 v197, v[198:199], v[200:201] offset0:16 offset1:17
	s_waitcnt vmcnt(44)
	v_mov_b32_e32 v198, v166
	s_waitcnt vmcnt(43)
	v_mov_b32_e32 v199, v167
	s_waitcnt vmcnt(42)
	v_mov_b32_e32 v200, v138
	s_waitcnt vmcnt(41)
	v_mov_b32_e32 v201, v139
	;; [unrolled: 9-line block ×7, first 2 shown]
	ds_write2_b64 v197, v[198:199], v[200:201] offset0:28 offset1:29
	s_waitcnt vmcnt(20)
	v_mov_b32_e32 v198, v154
	s_waitcnt vmcnt(19)
	v_mov_b32_e32 v199, v155
	s_waitcnt vmcnt(17)
	ds_write2_b64 v197, v[198:199], v[182:183] offset0:30 offset1:31
	ds_read_b32 v196, v195
	s_waitcnt lgkmcnt(0)
	v_cmp_neq_f32_e32 vcc, 0, v196
	s_and_saveexec_b64 s[4:5], vcc
	s_cbranch_execz .LBB127_150
; %bb.149:
	v_div_scale_f32 v198, s[10:11], v196, v196, 1.0
	v_rcp_f32_e32 v199, v198
	v_div_scale_f32 v200, vcc, 1.0, v196, 1.0
	v_fma_f32 v201, -v198, v199, 1.0
	v_fmac_f32_e32 v199, v201, v199
	v_mul_f32_e32 v201, v200, v199
	v_fma_f32 v202, -v198, v201, v200
	v_fmac_f32_e32 v201, v202, v199
	v_fma_f32 v198, -v198, v201, v200
	v_div_fmas_f32 v198, v198, v199, v201
	v_div_fixup_f32 v196, v198, v196, 1.0
	ds_write_b32 v195, v196
.LBB127_150:
	s_or_b64 exec, exec, s[4:5]
.LBB127_151:
	s_or_b64 exec, exec, s[2:3]
	s_waitcnt lgkmcnt(0)
	s_barrier
	ds_read_b32 v224, v195
	v_cmp_lt_u32_e32 vcc, 27, v193
	s_and_saveexec_b64 s[2:3], vcc
	s_cbranch_execz .LBB127_153
; %bb.152:
	ds_read2_b64 v[226:229], v197 offset0:14 offset1:15
	ds_read2_b64 v[230:233], v197 offset0:16 offset1:17
	;; [unrolled: 1-line block ×3, first 2 shown]
	s_waitcnt vmcnt(53) lgkmcnt(3)
	v_mul_f32_e32 v196, v224, v145
	v_mov_b32_e32 v145, v196
	s_waitcnt vmcnt(51) lgkmcnt(2)
	v_pk_fma_f32 v[170:171], v[196:197], v[226:227], v[170:171] op_sel_hi:[0,1,1] neg_lo:[1,0,0] neg_hi:[1,0,0]
	s_waitcnt vmcnt(49)
	v_pk_fma_f32 v[142:143], v[196:197], v[228:229], v[142:143] op_sel_hi:[0,1,1] neg_lo:[1,0,0] neg_hi:[1,0,0]
	s_waitcnt vmcnt(47) lgkmcnt(1)
	v_pk_fma_f32 v[168:169], v[196:197], v[230:231], v[168:169] op_sel_hi:[0,1,1] neg_lo:[1,0,0] neg_hi:[1,0,0]
	ds_read2_b64 v[226:229], v197 offset0:20 offset1:21
	s_waitcnt vmcnt(45)
	v_pk_fma_f32 v[140:141], v[196:197], v[232:233], v[140:141] op_sel_hi:[0,1,1] neg_lo:[1,0,0] neg_hi:[1,0,0]
	s_waitcnt vmcnt(43) lgkmcnt(1)
	v_pk_fma_f32 v[166:167], v[196:197], v[234:235], v[166:167] op_sel_hi:[0,1,1] neg_lo:[1,0,0] neg_hi:[1,0,0]
	ds_read2_b64 v[230:233], v197 offset0:22 offset1:23
	s_waitcnt vmcnt(41)
	v_pk_fma_f32 v[138:139], v[196:197], v[236:237], v[138:139] op_sel_hi:[0,1,1] neg_lo:[1,0,0] neg_hi:[1,0,0]
	ds_read2_b64 v[234:237], v197 offset0:24 offset1:25
	s_waitcnt vmcnt(39) lgkmcnt(2)
	v_pk_fma_f32 v[164:165], v[196:197], v[226:227], v[164:165] op_sel_hi:[0,1,1] neg_lo:[1,0,0] neg_hi:[1,0,0]
	s_waitcnt vmcnt(37)
	v_pk_fma_f32 v[136:137], v[196:197], v[228:229], v[136:137] op_sel_hi:[0,1,1] neg_lo:[1,0,0] neg_hi:[1,0,0]
	s_waitcnt vmcnt(35) lgkmcnt(1)
	v_pk_fma_f32 v[162:163], v[196:197], v[230:231], v[162:163] op_sel_hi:[0,1,1] neg_lo:[1,0,0] neg_hi:[1,0,0]
	s_waitcnt vmcnt(33)
	v_pk_fma_f32 v[134:135], v[196:197], v[232:233], v[134:135] op_sel_hi:[0,1,1] neg_lo:[1,0,0] neg_hi:[1,0,0]
	ds_read2_b64 v[226:229], v197 offset0:26 offset1:27
	ds_read2_b64 v[230:233], v197 offset0:28 offset1:29
	s_waitcnt vmcnt(31) lgkmcnt(2)
	v_pk_fma_f32 v[160:161], v[196:197], v[234:235], v[160:161] op_sel_hi:[0,1,1] neg_lo:[1,0,0] neg_hi:[1,0,0]
	s_waitcnt vmcnt(29)
	v_pk_fma_f32 v[132:133], v[196:197], v[236:237], v[132:133] op_sel_hi:[0,1,1] neg_lo:[1,0,0] neg_hi:[1,0,0]
	ds_read2_b64 v[234:237], v197 offset0:30 offset1:31
	s_waitcnt vmcnt(27) lgkmcnt(2)
	v_pk_fma_f32 v[158:159], v[196:197], v[226:227], v[158:159] op_sel_hi:[0,1,1] neg_lo:[1,0,0] neg_hi:[1,0,0]
	s_waitcnt vmcnt(25)
	v_pk_fma_f32 v[130:131], v[196:197], v[228:229], v[130:131] op_sel_hi:[0,1,1] neg_lo:[1,0,0] neg_hi:[1,0,0]
	s_waitcnt vmcnt(23) lgkmcnt(1)
	v_pk_fma_f32 v[156:157], v[196:197], v[230:231], v[156:157] op_sel_hi:[0,1,1] neg_lo:[1,0,0] neg_hi:[1,0,0]
	s_waitcnt vmcnt(21)
	v_pk_fma_f32 v[128:129], v[196:197], v[232:233], v[128:129] op_sel_hi:[0,1,1] neg_lo:[1,0,0] neg_hi:[1,0,0]
	;; [unrolled: 4-line block ×3, first 2 shown]
.LBB127_153:
	s_or_b64 exec, exec, s[2:3]
	v_cmp_eq_u32_e32 vcc, 28, v193
	s_waitcnt lgkmcnt(0)
	s_barrier
	s_and_saveexec_b64 s[2:3], vcc
	s_cbranch_execz .LBB127_156
; %bb.154:
	s_waitcnt vmcnt(49)
	v_pk_mov_b32 v[198:199], v[170:171], v[142:143] op_sel:[1,0]
	ds_write_b32 v195, v170
	ds_write2_b32 v197, v198, v199 offset0:29 offset1:30
	s_waitcnt vmcnt(47)
	v_pk_mov_b32 v[198:199], v[142:143], v[168:169] op_sel:[1,0]
	ds_write2_b32 v197, v198, v199 offset0:31 offset1:32
	s_waitcnt vmcnt(45)
	v_pk_mov_b32 v[198:199], v[168:169], v[140:141] op_sel:[1,0]
	;; [unrolled: 3-line block ×16, first 2 shown]
	ds_write2_b32 v197, v198, v199 offset0:61 offset1:62
	ds_write_b32 v197, v183 offset:252
	ds_read_b32 v196, v195
	s_waitcnt lgkmcnt(0)
	v_cmp_neq_f32_e32 vcc, 0, v196
	s_and_b64 exec, exec, vcc
	s_cbranch_execz .LBB127_156
; %bb.155:
	v_div_scale_f32 v198, s[4:5], v196, v196, 1.0
	v_rcp_f32_e32 v199, v198
	v_div_scale_f32 v200, vcc, 1.0, v196, 1.0
	v_fma_f32 v201, -v198, v199, 1.0
	v_fmac_f32_e32 v199, v201, v199
	v_mul_f32_e32 v201, v200, v199
	v_fma_f32 v202, -v198, v201, v200
	v_fmac_f32_e32 v201, v202, v199
	v_fma_f32 v198, -v198, v201, v200
	v_div_fmas_f32 v198, v198, v199, v201
	v_div_fixup_f32 v196, v198, v196, 1.0
	ds_write_b32 v195, v196
.LBB127_156:
	s_or_b64 exec, exec, s[2:3]
	s_waitcnt lgkmcnt(0)
	s_barrier
	ds_read_b32 v225, v195
	v_cmp_lt_u32_e32 vcc, 28, v193
	s_and_saveexec_b64 s[2:3], vcc
	s_cbranch_execz .LBB127_158
; %bb.157:
	ds_read_b32 v196, v197 offset:116
	ds_read2_b64 v[226:229], v197 offset0:15 offset1:16
	ds_read2_b64 v[230:233], v197 offset0:17 offset1:18
	ds_read2_b64 v[234:237], v197 offset0:19 offset1:20
	s_waitcnt vmcnt(52) lgkmcnt(4)
	v_mul_f32_e32 v170, v225, v170
	ds_read_b64 v[198:199], v197 offset:248
	s_waitcnt vmcnt(51) lgkmcnt(4)
	v_fma_f32 v171, -v170, v196, v171
	s_waitcnt vmcnt(49) lgkmcnt(3)
	v_pk_fma_f32 v[142:143], v[170:171], v[226:227], v[142:143] op_sel_hi:[0,1,1] neg_lo:[1,0,0] neg_hi:[1,0,0]
	s_waitcnt vmcnt(47)
	v_pk_fma_f32 v[168:169], v[170:171], v[228:229], v[168:169] op_sel_hi:[0,1,1] neg_lo:[1,0,0] neg_hi:[1,0,0]
	s_waitcnt vmcnt(45) lgkmcnt(2)
	v_pk_fma_f32 v[140:141], v[170:171], v[230:231], v[140:141] op_sel_hi:[0,1,1] neg_lo:[1,0,0] neg_hi:[1,0,0]
	ds_read2_b64 v[226:229], v197 offset0:21 offset1:22
	s_waitcnt vmcnt(43)
	v_pk_fma_f32 v[166:167], v[170:171], v[232:233], v[166:167] op_sel_hi:[0,1,1] neg_lo:[1,0,0] neg_hi:[1,0,0]
	ds_read2_b64 v[230:233], v197 offset0:23 offset1:24
	s_waitcnt vmcnt(41) lgkmcnt(3)
	v_pk_fma_f32 v[138:139], v[170:171], v[234:235], v[138:139] op_sel_hi:[0,1,1] neg_lo:[1,0,0] neg_hi:[1,0,0]
	s_waitcnt vmcnt(39)
	v_pk_fma_f32 v[164:165], v[170:171], v[236:237], v[164:165] op_sel_hi:[0,1,1] neg_lo:[1,0,0] neg_hi:[1,0,0]
	s_waitcnt vmcnt(37) lgkmcnt(1)
	v_pk_fma_f32 v[136:137], v[170:171], v[226:227], v[136:137] op_sel_hi:[0,1,1] neg_lo:[1,0,0] neg_hi:[1,0,0]
	ds_read2_b64 v[234:237], v197 offset0:25 offset1:26
	s_waitcnt vmcnt(35)
	v_pk_fma_f32 v[162:163], v[170:171], v[228:229], v[162:163] op_sel_hi:[0,1,1] neg_lo:[1,0,0] neg_hi:[1,0,0]
	s_waitcnt vmcnt(33) lgkmcnt(1)
	v_pk_fma_f32 v[134:135], v[170:171], v[230:231], v[134:135] op_sel_hi:[0,1,1] neg_lo:[1,0,0] neg_hi:[1,0,0]
	s_waitcnt vmcnt(31)
	v_pk_fma_f32 v[160:161], v[170:171], v[232:233], v[160:161] op_sel_hi:[0,1,1] neg_lo:[1,0,0] neg_hi:[1,0,0]
	ds_read2_b64 v[226:229], v197 offset0:27 offset1:28
	ds_read2_b64 v[230:233], v197 offset0:29 offset1:30
	s_waitcnt vmcnt(29) lgkmcnt(2)
	v_pk_fma_f32 v[132:133], v[170:171], v[234:235], v[132:133] op_sel_hi:[0,1,1] neg_lo:[1,0,0] neg_hi:[1,0,0]
	s_waitcnt vmcnt(27)
	v_pk_fma_f32 v[158:159], v[170:171], v[236:237], v[158:159] op_sel_hi:[0,1,1] neg_lo:[1,0,0] neg_hi:[1,0,0]
	s_waitcnt vmcnt(17)
	v_pk_fma_f32 v[182:183], v[170:171], v[198:199], v[182:183] op_sel_hi:[0,1,1] neg_lo:[1,0,0] neg_hi:[1,0,0]
	s_waitcnt lgkmcnt(1)
	v_pk_fma_f32 v[130:131], v[170:171], v[226:227], v[130:131] op_sel_hi:[0,1,1] neg_lo:[1,0,0] neg_hi:[1,0,0]
	v_pk_fma_f32 v[156:157], v[170:171], v[228:229], v[156:157] op_sel_hi:[0,1,1] neg_lo:[1,0,0] neg_hi:[1,0,0]
	s_waitcnt lgkmcnt(0)
	v_pk_fma_f32 v[128:129], v[170:171], v[230:231], v[128:129] op_sel_hi:[0,1,1] neg_lo:[1,0,0] neg_hi:[1,0,0]
	v_pk_fma_f32 v[154:155], v[170:171], v[232:233], v[154:155] op_sel_hi:[0,1,1] neg_lo:[1,0,0] neg_hi:[1,0,0]
.LBB127_158:
	s_or_b64 exec, exec, s[2:3]
	v_cmp_ne_u32_e32 vcc, 29, v193
	s_waitcnt lgkmcnt(0)
	s_barrier
	s_and_saveexec_b64 s[2:3], vcc
	s_xor_b64 s[2:3], exec, s[2:3]
	s_andn2_saveexec_b64 s[2:3], s[2:3]
	s_cbranch_execz .LBB127_162
; %bb.159:
	s_waitcnt vmcnt(51)
	ds_write_b32 v195, v171
	s_waitcnt vmcnt(47)
	ds_write2_b64 v197, v[142:143], v[168:169] offset0:15 offset1:16
	s_waitcnt vmcnt(43)
	ds_write2_b64 v197, v[140:141], v[166:167] offset0:17 offset1:18
	;; [unrolled: 2-line block ×8, first 2 shown]
	s_waitcnt vmcnt(17)
	ds_write_b64 v197, v[182:183] offset:248
	ds_read_b32 v196, v195
	s_waitcnt lgkmcnt(0)
	v_cmp_neq_f32_e32 vcc, 0, v196
	s_and_saveexec_b64 s[4:5], vcc
	s_cbranch_execz .LBB127_161
; %bb.160:
	v_div_scale_f32 v198, s[10:11], v196, v196, 1.0
	v_rcp_f32_e32 v199, v198
	v_div_scale_f32 v200, vcc, 1.0, v196, 1.0
	v_fma_f32 v201, -v198, v199, 1.0
	v_fmac_f32_e32 v199, v201, v199
	v_mul_f32_e32 v201, v200, v199
	v_fma_f32 v202, -v198, v201, v200
	v_fmac_f32_e32 v201, v202, v199
	v_fma_f32 v198, -v198, v201, v200
	v_div_fmas_f32 v198, v198, v199, v201
	v_div_fixup_f32 v196, v198, v196, 1.0
	ds_write_b32 v195, v196
.LBB127_161:
	s_or_b64 exec, exec, s[4:5]
.LBB127_162:
	s_or_b64 exec, exec, s[2:3]
	s_waitcnt lgkmcnt(0)
	s_barrier
	ds_read_b32 v226, v195
	v_cmp_lt_u32_e32 vcc, 29, v193
	s_and_saveexec_b64 s[2:3], vcc
	s_cbranch_execz .LBB127_164
; %bb.163:
	ds_read2_b64 v[228:231], v197 offset0:15 offset1:16
	ds_read2_b64 v[232:235], v197 offset0:17 offset1:18
	s_waitcnt vmcnt(51) lgkmcnt(2)
	v_mul_f32_e32 v196, v226, v171
	ds_read2_b64 v[236:239], v197 offset0:19 offset1:20
	ds_read_b64 v[198:199], v197 offset:248
	s_waitcnt vmcnt(49) lgkmcnt(3)
	v_pk_fma_f32 v[142:143], v[196:197], v[228:229], v[142:143] op_sel_hi:[0,1,1] neg_lo:[1,0,0] neg_hi:[1,0,0]
	s_waitcnt vmcnt(47)
	v_pk_fma_f32 v[168:169], v[196:197], v[230:231], v[168:169] op_sel_hi:[0,1,1] neg_lo:[1,0,0] neg_hi:[1,0,0]
	s_waitcnt vmcnt(45) lgkmcnt(2)
	v_pk_fma_f32 v[140:141], v[196:197], v[232:233], v[140:141] op_sel_hi:[0,1,1] neg_lo:[1,0,0] neg_hi:[1,0,0]
	ds_read2_b64 v[228:231], v197 offset0:21 offset1:22
	s_waitcnt vmcnt(43)
	v_pk_fma_f32 v[166:167], v[196:197], v[234:235], v[166:167] op_sel_hi:[0,1,1] neg_lo:[1,0,0] neg_hi:[1,0,0]
	ds_read2_b64 v[232:235], v197 offset0:23 offset1:24
	s_waitcnt vmcnt(41) lgkmcnt(3)
	v_pk_fma_f32 v[138:139], v[196:197], v[236:237], v[138:139] op_sel_hi:[0,1,1] neg_lo:[1,0,0] neg_hi:[1,0,0]
	s_waitcnt vmcnt(39)
	v_pk_fma_f32 v[164:165], v[196:197], v[238:239], v[164:165] op_sel_hi:[0,1,1] neg_lo:[1,0,0] neg_hi:[1,0,0]
	s_waitcnt vmcnt(37) lgkmcnt(1)
	v_pk_fma_f32 v[136:137], v[196:197], v[228:229], v[136:137] op_sel_hi:[0,1,1] neg_lo:[1,0,0] neg_hi:[1,0,0]
	ds_read2_b64 v[236:239], v197 offset0:25 offset1:26
	s_waitcnt vmcnt(35)
	v_pk_fma_f32 v[162:163], v[196:197], v[230:231], v[162:163] op_sel_hi:[0,1,1] neg_lo:[1,0,0] neg_hi:[1,0,0]
	s_waitcnt vmcnt(33) lgkmcnt(1)
	v_pk_fma_f32 v[134:135], v[196:197], v[232:233], v[134:135] op_sel_hi:[0,1,1] neg_lo:[1,0,0] neg_hi:[1,0,0]
	s_waitcnt vmcnt(31)
	v_pk_fma_f32 v[160:161], v[196:197], v[234:235], v[160:161] op_sel_hi:[0,1,1] neg_lo:[1,0,0] neg_hi:[1,0,0]
	ds_read2_b64 v[228:231], v197 offset0:27 offset1:28
	ds_read2_b64 v[232:235], v197 offset0:29 offset1:30
	s_waitcnt vmcnt(29) lgkmcnt(2)
	v_pk_fma_f32 v[132:133], v[196:197], v[236:237], v[132:133] op_sel_hi:[0,1,1] neg_lo:[1,0,0] neg_hi:[1,0,0]
	s_waitcnt vmcnt(27)
	v_pk_fma_f32 v[158:159], v[196:197], v[238:239], v[158:159] op_sel_hi:[0,1,1] neg_lo:[1,0,0] neg_hi:[1,0,0]
	s_waitcnt vmcnt(17)
	v_pk_fma_f32 v[182:183], v[196:197], v[198:199], v[182:183] op_sel_hi:[0,1,1] neg_lo:[1,0,0] neg_hi:[1,0,0]
	s_waitcnt lgkmcnt(1)
	v_pk_fma_f32 v[130:131], v[196:197], v[228:229], v[130:131] op_sel_hi:[0,1,1] neg_lo:[1,0,0] neg_hi:[1,0,0]
	v_pk_fma_f32 v[156:157], v[196:197], v[230:231], v[156:157] op_sel_hi:[0,1,1] neg_lo:[1,0,0] neg_hi:[1,0,0]
	s_waitcnt lgkmcnt(0)
	v_pk_fma_f32 v[128:129], v[196:197], v[232:233], v[128:129] op_sel_hi:[0,1,1] neg_lo:[1,0,0] neg_hi:[1,0,0]
	v_pk_fma_f32 v[154:155], v[196:197], v[234:235], v[154:155] op_sel_hi:[0,1,1] neg_lo:[1,0,0] neg_hi:[1,0,0]
	v_mov_b32_e32 v171, v196
.LBB127_164:
	s_or_b64 exec, exec, s[2:3]
	v_cmp_eq_u32_e32 vcc, 30, v193
	s_waitcnt lgkmcnt(0)
	s_barrier
	s_and_saveexec_b64 s[2:3], vcc
	s_cbranch_execz .LBB127_167
; %bb.165:
	s_waitcnt vmcnt(47)
	v_pk_mov_b32 v[198:199], v[142:143], v[168:169] op_sel:[1,0]
	ds_write_b32 v195, v142
	ds_write2_b32 v197, v198, v199 offset0:31 offset1:32
	s_waitcnt vmcnt(45)
	v_pk_mov_b32 v[198:199], v[168:169], v[140:141] op_sel:[1,0]
	ds_write2_b32 v197, v198, v199 offset0:33 offset1:34
	s_waitcnt vmcnt(43)
	v_pk_mov_b32 v[198:199], v[140:141], v[166:167] op_sel:[1,0]
	;; [unrolled: 3-line block ×15, first 2 shown]
	ds_write2_b32 v197, v198, v199 offset0:61 offset1:62
	ds_write_b32 v197, v183 offset:252
	ds_read_b32 v196, v195
	s_waitcnt lgkmcnt(0)
	v_cmp_neq_f32_e32 vcc, 0, v196
	s_and_b64 exec, exec, vcc
	s_cbranch_execz .LBB127_167
; %bb.166:
	v_div_scale_f32 v198, s[4:5], v196, v196, 1.0
	v_rcp_f32_e32 v199, v198
	v_div_scale_f32 v200, vcc, 1.0, v196, 1.0
	v_fma_f32 v201, -v198, v199, 1.0
	v_fmac_f32_e32 v199, v201, v199
	v_mul_f32_e32 v201, v200, v199
	v_fma_f32 v202, -v198, v201, v200
	v_fmac_f32_e32 v201, v202, v199
	v_fma_f32 v198, -v198, v201, v200
	v_div_fmas_f32 v198, v198, v199, v201
	v_div_fixup_f32 v196, v198, v196, 1.0
	ds_write_b32 v195, v196
.LBB127_167:
	s_or_b64 exec, exec, s[2:3]
	s_waitcnt lgkmcnt(0)
	s_barrier
	ds_read_b32 v227, v195
	v_cmp_lt_u32_e32 vcc, 30, v193
	s_and_saveexec_b64 s[2:3], vcc
	s_cbranch_execz .LBB127_169
; %bb.168:
	ds_read_b32 v196, v197 offset:124
	ds_read2_b64 v[228:231], v197 offset0:16 offset1:17
	ds_read2_b64 v[232:235], v197 offset0:18 offset1:19
	;; [unrolled: 1-line block ×3, first 2 shown]
	s_waitcnt vmcnt(50) lgkmcnt(4)
	v_mul_f32_e32 v142, v227, v142
	s_waitcnt vmcnt(49) lgkmcnt(3)
	v_fma_f32 v143, -v142, v196, v143
	s_waitcnt vmcnt(47) lgkmcnt(2)
	v_pk_fma_f32 v[168:169], v[142:143], v[228:229], v[168:169] op_sel_hi:[0,1,1] neg_lo:[1,0,0] neg_hi:[1,0,0]
	s_waitcnt vmcnt(45)
	v_pk_fma_f32 v[140:141], v[142:143], v[230:231], v[140:141] op_sel_hi:[0,1,1] neg_lo:[1,0,0] neg_hi:[1,0,0]
	s_waitcnt vmcnt(43) lgkmcnt(1)
	v_pk_fma_f32 v[166:167], v[142:143], v[232:233], v[166:167] op_sel_hi:[0,1,1] neg_lo:[1,0,0] neg_hi:[1,0,0]
	ds_read2_b64 v[228:231], v197 offset0:22 offset1:23
	s_waitcnt vmcnt(41)
	v_pk_fma_f32 v[138:139], v[142:143], v[234:235], v[138:139] op_sel_hi:[0,1,1] neg_lo:[1,0,0] neg_hi:[1,0,0]
	ds_read2_b64 v[232:235], v197 offset0:24 offset1:25
	s_waitcnt vmcnt(39) lgkmcnt(2)
	v_pk_fma_f32 v[164:165], v[142:143], v[236:237], v[164:165] op_sel_hi:[0,1,1] neg_lo:[1,0,0] neg_hi:[1,0,0]
	s_waitcnt vmcnt(37)
	v_pk_fma_f32 v[136:137], v[142:143], v[238:239], v[136:137] op_sel_hi:[0,1,1] neg_lo:[1,0,0] neg_hi:[1,0,0]
	s_waitcnt vmcnt(35) lgkmcnt(1)
	v_pk_fma_f32 v[162:163], v[142:143], v[228:229], v[162:163] op_sel_hi:[0,1,1] neg_lo:[1,0,0] neg_hi:[1,0,0]
	s_waitcnt vmcnt(33)
	v_pk_fma_f32 v[134:135], v[142:143], v[230:231], v[134:135] op_sel_hi:[0,1,1] neg_lo:[1,0,0] neg_hi:[1,0,0]
	ds_read2_b64 v[228:231], v197 offset0:26 offset1:27
	ds_read2_b64 v[236:239], v197 offset0:28 offset1:29
	s_waitcnt vmcnt(31) lgkmcnt(2)
	v_pk_fma_f32 v[160:161], v[142:143], v[232:233], v[160:161] op_sel_hi:[0,1,1] neg_lo:[1,0,0] neg_hi:[1,0,0]
	s_waitcnt vmcnt(29)
	v_pk_fma_f32 v[132:133], v[142:143], v[234:235], v[132:133] op_sel_hi:[0,1,1] neg_lo:[1,0,0] neg_hi:[1,0,0]
	ds_read2_b64 v[232:235], v197 offset0:30 offset1:31
	s_waitcnt vmcnt(27) lgkmcnt(2)
	v_pk_fma_f32 v[158:159], v[142:143], v[228:229], v[158:159] op_sel_hi:[0,1,1] neg_lo:[1,0,0] neg_hi:[1,0,0]
	s_waitcnt vmcnt(25)
	v_pk_fma_f32 v[130:131], v[142:143], v[230:231], v[130:131] op_sel_hi:[0,1,1] neg_lo:[1,0,0] neg_hi:[1,0,0]
	s_waitcnt vmcnt(23) lgkmcnt(1)
	v_pk_fma_f32 v[156:157], v[142:143], v[236:237], v[156:157] op_sel_hi:[0,1,1] neg_lo:[1,0,0] neg_hi:[1,0,0]
	s_waitcnt vmcnt(21)
	v_pk_fma_f32 v[128:129], v[142:143], v[238:239], v[128:129] op_sel_hi:[0,1,1] neg_lo:[1,0,0] neg_hi:[1,0,0]
	;; [unrolled: 4-line block ×3, first 2 shown]
.LBB127_169:
	s_or_b64 exec, exec, s[2:3]
	v_cmp_ne_u32_e32 vcc, 31, v193
	s_waitcnt lgkmcnt(0)
	s_barrier
	s_and_saveexec_b64 s[2:3], vcc
	s_xor_b64 s[2:3], exec, s[2:3]
	s_andn2_saveexec_b64 s[2:3], s[2:3]
	s_cbranch_execz .LBB127_173
; %bb.170:
	s_waitcnt vmcnt(48)
	v_mov_b32_e32 v198, v168
	s_waitcnt vmcnt(47)
	v_mov_b32_e32 v199, v169
	s_waitcnt vmcnt(46)
	v_mov_b32_e32 v200, v140
	s_waitcnt vmcnt(45)
	v_mov_b32_e32 v201, v141
	ds_write_b32 v195, v143
	ds_write2_b64 v197, v[198:199], v[200:201] offset0:16 offset1:17
	s_waitcnt vmcnt(44)
	v_mov_b32_e32 v198, v166
	s_waitcnt vmcnt(43)
	v_mov_b32_e32 v199, v167
	s_waitcnt vmcnt(42)
	v_mov_b32_e32 v200, v138
	s_waitcnt vmcnt(41)
	v_mov_b32_e32 v201, v139
	ds_write2_b64 v197, v[198:199], v[200:201] offset0:18 offset1:19
	s_waitcnt vmcnt(40)
	v_mov_b32_e32 v198, v164
	s_waitcnt vmcnt(39)
	v_mov_b32_e32 v199, v165
	s_waitcnt vmcnt(38)
	v_mov_b32_e32 v200, v136
	s_waitcnt vmcnt(37)
	v_mov_b32_e32 v201, v137
	;; [unrolled: 9-line block ×6, first 2 shown]
	ds_write2_b64 v197, v[198:199], v[200:201] offset0:28 offset1:29
	s_waitcnt vmcnt(20)
	v_mov_b32_e32 v198, v154
	s_waitcnt vmcnt(19)
	v_mov_b32_e32 v199, v155
	s_waitcnt vmcnt(17)
	ds_write2_b64 v197, v[198:199], v[182:183] offset0:30 offset1:31
	ds_read_b32 v196, v195
	s_waitcnt lgkmcnt(0)
	v_cmp_neq_f32_e32 vcc, 0, v196
	s_and_saveexec_b64 s[4:5], vcc
	s_cbranch_execz .LBB127_172
; %bb.171:
	v_div_scale_f32 v198, s[10:11], v196, v196, 1.0
	v_rcp_f32_e32 v199, v198
	v_div_scale_f32 v200, vcc, 1.0, v196, 1.0
	v_fma_f32 v201, -v198, v199, 1.0
	v_fmac_f32_e32 v199, v201, v199
	v_mul_f32_e32 v201, v200, v199
	v_fma_f32 v202, -v198, v201, v200
	v_fmac_f32_e32 v201, v202, v199
	v_fma_f32 v198, -v198, v201, v200
	v_div_fmas_f32 v198, v198, v199, v201
	v_div_fixup_f32 v196, v198, v196, 1.0
	ds_write_b32 v195, v196
.LBB127_172:
	s_or_b64 exec, exec, s[4:5]
.LBB127_173:
	s_or_b64 exec, exec, s[2:3]
	s_waitcnt lgkmcnt(0)
	s_barrier
	ds_read_b32 v228, v195
	v_cmp_lt_u32_e32 vcc, 31, v193
	s_and_saveexec_b64 s[2:3], vcc
	s_cbranch_execz .LBB127_175
; %bb.174:
	ds_read2_b64 v[230:233], v197 offset0:16 offset1:17
	ds_read2_b64 v[234:237], v197 offset0:18 offset1:19
	s_waitcnt vmcnt(49) lgkmcnt(2)
	v_mul_f32_e32 v196, v228, v143
	ds_read2_b64 v[238:241], v197 offset0:20 offset1:21
	v_mov_b32_e32 v143, v196
	s_waitcnt vmcnt(47) lgkmcnt(2)
	v_pk_fma_f32 v[168:169], v[196:197], v[230:231], v[168:169] op_sel_hi:[0,1,1] neg_lo:[1,0,0] neg_hi:[1,0,0]
	s_waitcnt vmcnt(45)
	v_pk_fma_f32 v[140:141], v[196:197], v[232:233], v[140:141] op_sel_hi:[0,1,1] neg_lo:[1,0,0] neg_hi:[1,0,0]
	s_waitcnt vmcnt(43) lgkmcnt(1)
	v_pk_fma_f32 v[166:167], v[196:197], v[234:235], v[166:167] op_sel_hi:[0,1,1] neg_lo:[1,0,0] neg_hi:[1,0,0]
	ds_read2_b64 v[230:233], v197 offset0:22 offset1:23
	s_waitcnt vmcnt(41)
	v_pk_fma_f32 v[138:139], v[196:197], v[236:237], v[138:139] op_sel_hi:[0,1,1] neg_lo:[1,0,0] neg_hi:[1,0,0]
	ds_read2_b64 v[234:237], v197 offset0:24 offset1:25
	s_waitcnt vmcnt(39) lgkmcnt(2)
	v_pk_fma_f32 v[164:165], v[196:197], v[238:239], v[164:165] op_sel_hi:[0,1,1] neg_lo:[1,0,0] neg_hi:[1,0,0]
	s_waitcnt vmcnt(37)
	v_pk_fma_f32 v[136:137], v[196:197], v[240:241], v[136:137] op_sel_hi:[0,1,1] neg_lo:[1,0,0] neg_hi:[1,0,0]
	s_waitcnt vmcnt(35) lgkmcnt(1)
	v_pk_fma_f32 v[162:163], v[196:197], v[230:231], v[162:163] op_sel_hi:[0,1,1] neg_lo:[1,0,0] neg_hi:[1,0,0]
	s_waitcnt vmcnt(33)
	v_pk_fma_f32 v[134:135], v[196:197], v[232:233], v[134:135] op_sel_hi:[0,1,1] neg_lo:[1,0,0] neg_hi:[1,0,0]
	ds_read2_b64 v[230:233], v197 offset0:26 offset1:27
	s_waitcnt vmcnt(31) lgkmcnt(1)
	v_pk_fma_f32 v[160:161], v[196:197], v[234:235], v[160:161] op_sel_hi:[0,1,1] neg_lo:[1,0,0] neg_hi:[1,0,0]
	ds_read2_b64 v[238:241], v197 offset0:28 offset1:29
	s_waitcnt vmcnt(29)
	v_pk_fma_f32 v[132:133], v[196:197], v[236:237], v[132:133] op_sel_hi:[0,1,1] neg_lo:[1,0,0] neg_hi:[1,0,0]
	ds_read2_b64 v[234:237], v197 offset0:30 offset1:31
	s_waitcnt vmcnt(27) lgkmcnt(2)
	v_pk_fma_f32 v[158:159], v[196:197], v[230:231], v[158:159] op_sel_hi:[0,1,1] neg_lo:[1,0,0] neg_hi:[1,0,0]
	s_waitcnt vmcnt(25)
	v_pk_fma_f32 v[130:131], v[196:197], v[232:233], v[130:131] op_sel_hi:[0,1,1] neg_lo:[1,0,0] neg_hi:[1,0,0]
	s_waitcnt vmcnt(23) lgkmcnt(1)
	v_pk_fma_f32 v[156:157], v[196:197], v[238:239], v[156:157] op_sel_hi:[0,1,1] neg_lo:[1,0,0] neg_hi:[1,0,0]
	s_waitcnt vmcnt(21)
	v_pk_fma_f32 v[128:129], v[196:197], v[240:241], v[128:129] op_sel_hi:[0,1,1] neg_lo:[1,0,0] neg_hi:[1,0,0]
	;; [unrolled: 4-line block ×3, first 2 shown]
.LBB127_175:
	s_or_b64 exec, exec, s[2:3]
	v_cmp_eq_u32_e32 vcc, 32, v193
	s_waitcnt lgkmcnt(0)
	s_barrier
	s_and_saveexec_b64 s[2:3], vcc
	s_cbranch_execz .LBB127_178
; %bb.176:
	s_waitcnt vmcnt(45)
	v_pk_mov_b32 v[198:199], v[168:169], v[140:141] op_sel:[1,0]
	ds_write_b32 v195, v168
	ds_write2_b32 v197, v198, v199 offset0:33 offset1:34
	s_waitcnt vmcnt(43)
	v_pk_mov_b32 v[198:199], v[140:141], v[166:167] op_sel:[1,0]
	ds_write2_b32 v197, v198, v199 offset0:35 offset1:36
	s_waitcnt vmcnt(41)
	v_pk_mov_b32 v[198:199], v[166:167], v[138:139] op_sel:[1,0]
	;; [unrolled: 3-line block ×14, first 2 shown]
	ds_write2_b32 v197, v198, v199 offset0:61 offset1:62
	ds_write_b32 v197, v183 offset:252
	ds_read_b32 v196, v195
	s_waitcnt lgkmcnt(0)
	v_cmp_neq_f32_e32 vcc, 0, v196
	s_and_b64 exec, exec, vcc
	s_cbranch_execz .LBB127_178
; %bb.177:
	v_div_scale_f32 v198, s[4:5], v196, v196, 1.0
	v_rcp_f32_e32 v199, v198
	v_div_scale_f32 v200, vcc, 1.0, v196, 1.0
	v_fma_f32 v201, -v198, v199, 1.0
	v_fmac_f32_e32 v199, v201, v199
	v_mul_f32_e32 v201, v200, v199
	v_fma_f32 v202, -v198, v201, v200
	v_fmac_f32_e32 v201, v202, v199
	v_fma_f32 v198, -v198, v201, v200
	v_div_fmas_f32 v198, v198, v199, v201
	v_div_fixup_f32 v196, v198, v196, 1.0
	ds_write_b32 v195, v196
.LBB127_178:
	s_or_b64 exec, exec, s[2:3]
	s_waitcnt lgkmcnt(0)
	s_barrier
	ds_read_b32 v229, v195
	v_cmp_lt_u32_e32 vcc, 32, v193
	s_and_saveexec_b64 s[2:3], vcc
	s_cbranch_execz .LBB127_180
; %bb.179:
	ds_read_b32 v196, v197 offset:132
	ds_read2_b64 v[230:233], v197 offset0:17 offset1:18
	s_waitcnt vmcnt(48) lgkmcnt(2)
	v_mul_f32_e32 v168, v229, v168
	ds_read2_b64 v[234:237], v197 offset0:19 offset1:20
	ds_read2_b64 v[238:241], v197 offset0:21 offset1:22
	ds_read_b64 v[198:199], v197 offset:248
	s_waitcnt vmcnt(47) lgkmcnt(4)
	v_fma_f32 v169, -v168, v196, v169
	s_waitcnt vmcnt(45) lgkmcnt(3)
	v_pk_fma_f32 v[140:141], v[168:169], v[230:231], v[140:141] op_sel_hi:[0,1,1] neg_lo:[1,0,0] neg_hi:[1,0,0]
	s_waitcnt vmcnt(43)
	v_pk_fma_f32 v[166:167], v[168:169], v[232:233], v[166:167] op_sel_hi:[0,1,1] neg_lo:[1,0,0] neg_hi:[1,0,0]
	ds_read2_b64 v[230:233], v197 offset0:23 offset1:24
	s_waitcnt vmcnt(41) lgkmcnt(3)
	v_pk_fma_f32 v[138:139], v[168:169], v[234:235], v[138:139] op_sel_hi:[0,1,1] neg_lo:[1,0,0] neg_hi:[1,0,0]
	s_waitcnt vmcnt(39)
	v_pk_fma_f32 v[164:165], v[168:169], v[236:237], v[164:165] op_sel_hi:[0,1,1] neg_lo:[1,0,0] neg_hi:[1,0,0]
	s_waitcnt vmcnt(37) lgkmcnt(2)
	v_pk_fma_f32 v[136:137], v[168:169], v[238:239], v[136:137] op_sel_hi:[0,1,1] neg_lo:[1,0,0] neg_hi:[1,0,0]
	ds_read2_b64 v[234:237], v197 offset0:25 offset1:26
	s_waitcnt vmcnt(35)
	v_pk_fma_f32 v[162:163], v[168:169], v[240:241], v[162:163] op_sel_hi:[0,1,1] neg_lo:[1,0,0] neg_hi:[1,0,0]
	s_waitcnt vmcnt(33) lgkmcnt(1)
	v_pk_fma_f32 v[134:135], v[168:169], v[230:231], v[134:135] op_sel_hi:[0,1,1] neg_lo:[1,0,0] neg_hi:[1,0,0]
	s_waitcnt vmcnt(31)
	v_pk_fma_f32 v[160:161], v[168:169], v[232:233], v[160:161] op_sel_hi:[0,1,1] neg_lo:[1,0,0] neg_hi:[1,0,0]
	ds_read2_b64 v[230:233], v197 offset0:27 offset1:28
	ds_read2_b64 v[238:241], v197 offset0:29 offset1:30
	s_waitcnt vmcnt(29) lgkmcnt(2)
	v_pk_fma_f32 v[132:133], v[168:169], v[234:235], v[132:133] op_sel_hi:[0,1,1] neg_lo:[1,0,0] neg_hi:[1,0,0]
	s_waitcnt vmcnt(27)
	v_pk_fma_f32 v[158:159], v[168:169], v[236:237], v[158:159] op_sel_hi:[0,1,1] neg_lo:[1,0,0] neg_hi:[1,0,0]
	s_waitcnt vmcnt(17)
	v_pk_fma_f32 v[182:183], v[168:169], v[198:199], v[182:183] op_sel_hi:[0,1,1] neg_lo:[1,0,0] neg_hi:[1,0,0]
	s_waitcnt lgkmcnt(1)
	v_pk_fma_f32 v[130:131], v[168:169], v[230:231], v[130:131] op_sel_hi:[0,1,1] neg_lo:[1,0,0] neg_hi:[1,0,0]
	v_pk_fma_f32 v[156:157], v[168:169], v[232:233], v[156:157] op_sel_hi:[0,1,1] neg_lo:[1,0,0] neg_hi:[1,0,0]
	s_waitcnt lgkmcnt(0)
	v_pk_fma_f32 v[128:129], v[168:169], v[238:239], v[128:129] op_sel_hi:[0,1,1] neg_lo:[1,0,0] neg_hi:[1,0,0]
	v_pk_fma_f32 v[154:155], v[168:169], v[240:241], v[154:155] op_sel_hi:[0,1,1] neg_lo:[1,0,0] neg_hi:[1,0,0]
.LBB127_180:
	s_or_b64 exec, exec, s[2:3]
	v_cmp_ne_u32_e32 vcc, 33, v193
	s_waitcnt lgkmcnt(0)
	s_barrier
	s_and_saveexec_b64 s[2:3], vcc
	s_xor_b64 s[2:3], exec, s[2:3]
	s_andn2_saveexec_b64 s[2:3], s[2:3]
	s_cbranch_execz .LBB127_184
; %bb.181:
	s_waitcnt vmcnt(47)
	ds_write_b32 v195, v169
	s_waitcnt vmcnt(43)
	ds_write2_b64 v197, v[140:141], v[166:167] offset0:17 offset1:18
	s_waitcnt vmcnt(39)
	ds_write2_b64 v197, v[138:139], v[164:165] offset0:19 offset1:20
	;; [unrolled: 2-line block ×7, first 2 shown]
	s_waitcnt vmcnt(17)
	ds_write_b64 v197, v[182:183] offset:248
	ds_read_b32 v196, v195
	s_waitcnt lgkmcnt(0)
	v_cmp_neq_f32_e32 vcc, 0, v196
	s_and_saveexec_b64 s[4:5], vcc
	s_cbranch_execz .LBB127_183
; %bb.182:
	v_div_scale_f32 v198, s[10:11], v196, v196, 1.0
	v_rcp_f32_e32 v199, v198
	v_div_scale_f32 v200, vcc, 1.0, v196, 1.0
	v_fma_f32 v201, -v198, v199, 1.0
	v_fmac_f32_e32 v199, v201, v199
	v_mul_f32_e32 v201, v200, v199
	v_fma_f32 v202, -v198, v201, v200
	v_fmac_f32_e32 v201, v202, v199
	v_fma_f32 v198, -v198, v201, v200
	v_div_fmas_f32 v198, v198, v199, v201
	v_div_fixup_f32 v196, v198, v196, 1.0
	ds_write_b32 v195, v196
.LBB127_183:
	s_or_b64 exec, exec, s[4:5]
.LBB127_184:
	s_or_b64 exec, exec, s[2:3]
	s_waitcnt lgkmcnt(0)
	s_barrier
	ds_read_b32 v230, v195
	v_cmp_lt_u32_e32 vcc, 33, v193
	s_and_saveexec_b64 s[2:3], vcc
	s_cbranch_execz .LBB127_186
; %bb.185:
	ds_read2_b64 v[232:235], v197 offset0:17 offset1:18
	ds_read2_b64 v[236:239], v197 offset0:19 offset1:20
	s_waitcnt vmcnt(47) lgkmcnt(2)
	v_mul_f32_e32 v196, v230, v169
	ds_read2_b64 v[240:243], v197 offset0:21 offset1:22
	v_mov_b32_e32 v169, v196
	s_waitcnt vmcnt(45) lgkmcnt(2)
	v_pk_fma_f32 v[140:141], v[196:197], v[232:233], v[140:141] op_sel_hi:[0,1,1] neg_lo:[1,0,0] neg_hi:[1,0,0]
	s_waitcnt vmcnt(43)
	v_pk_fma_f32 v[166:167], v[196:197], v[234:235], v[166:167] op_sel_hi:[0,1,1] neg_lo:[1,0,0] neg_hi:[1,0,0]
	ds_read2_b64 v[232:235], v197 offset0:23 offset1:24
	s_waitcnt vmcnt(41) lgkmcnt(2)
	v_pk_fma_f32 v[138:139], v[196:197], v[236:237], v[138:139] op_sel_hi:[0,1,1] neg_lo:[1,0,0] neg_hi:[1,0,0]
	s_waitcnt vmcnt(39)
	v_pk_fma_f32 v[164:165], v[196:197], v[238:239], v[164:165] op_sel_hi:[0,1,1] neg_lo:[1,0,0] neg_hi:[1,0,0]
	s_waitcnt vmcnt(37) lgkmcnt(1)
	v_pk_fma_f32 v[136:137], v[196:197], v[240:241], v[136:137] op_sel_hi:[0,1,1] neg_lo:[1,0,0] neg_hi:[1,0,0]
	ds_read2_b64 v[236:239], v197 offset0:25 offset1:26
	s_waitcnt vmcnt(35)
	v_pk_fma_f32 v[162:163], v[196:197], v[242:243], v[162:163] op_sel_hi:[0,1,1] neg_lo:[1,0,0] neg_hi:[1,0,0]
	s_waitcnt vmcnt(33) lgkmcnt(1)
	v_pk_fma_f32 v[134:135], v[196:197], v[232:233], v[134:135] op_sel_hi:[0,1,1] neg_lo:[1,0,0] neg_hi:[1,0,0]
	s_waitcnt vmcnt(31)
	v_pk_fma_f32 v[160:161], v[196:197], v[234:235], v[160:161] op_sel_hi:[0,1,1] neg_lo:[1,0,0] neg_hi:[1,0,0]
	ds_read2_b64 v[232:235], v197 offset0:27 offset1:28
	ds_read2_b64 v[240:243], v197 offset0:29 offset1:30
	ds_read_b64 v[198:199], v197 offset:248
	s_waitcnt vmcnt(29) lgkmcnt(3)
	v_pk_fma_f32 v[132:133], v[196:197], v[236:237], v[132:133] op_sel_hi:[0,1,1] neg_lo:[1,0,0] neg_hi:[1,0,0]
	s_waitcnt vmcnt(27)
	v_pk_fma_f32 v[158:159], v[196:197], v[238:239], v[158:159] op_sel_hi:[0,1,1] neg_lo:[1,0,0] neg_hi:[1,0,0]
	s_waitcnt vmcnt(25) lgkmcnt(2)
	v_pk_fma_f32 v[130:131], v[196:197], v[232:233], v[130:131] op_sel_hi:[0,1,1] neg_lo:[1,0,0] neg_hi:[1,0,0]
	s_waitcnt vmcnt(23)
	v_pk_fma_f32 v[156:157], v[196:197], v[234:235], v[156:157] op_sel_hi:[0,1,1] neg_lo:[1,0,0] neg_hi:[1,0,0]
	;; [unrolled: 4-line block ×3, first 2 shown]
	s_waitcnt vmcnt(17) lgkmcnt(0)
	v_pk_fma_f32 v[182:183], v[196:197], v[198:199], v[182:183] op_sel_hi:[0,1,1] neg_lo:[1,0,0] neg_hi:[1,0,0]
.LBB127_186:
	s_or_b64 exec, exec, s[2:3]
	v_cmp_eq_u32_e32 vcc, 34, v193
	s_waitcnt lgkmcnt(0)
	s_barrier
	s_and_saveexec_b64 s[2:3], vcc
	s_cbranch_execz .LBB127_189
; %bb.187:
	s_waitcnt vmcnt(43)
	v_pk_mov_b32 v[198:199], v[140:141], v[166:167] op_sel:[1,0]
	ds_write_b32 v195, v140
	ds_write2_b32 v197, v198, v199 offset0:35 offset1:36
	s_waitcnt vmcnt(41)
	v_pk_mov_b32 v[198:199], v[166:167], v[138:139] op_sel:[1,0]
	ds_write2_b32 v197, v198, v199 offset0:37 offset1:38
	s_waitcnt vmcnt(39)
	v_pk_mov_b32 v[198:199], v[138:139], v[164:165] op_sel:[1,0]
	;; [unrolled: 3-line block ×13, first 2 shown]
	ds_write2_b32 v197, v198, v199 offset0:61 offset1:62
	ds_write_b32 v197, v183 offset:252
	ds_read_b32 v196, v195
	s_waitcnt lgkmcnt(0)
	v_cmp_neq_f32_e32 vcc, 0, v196
	s_and_b64 exec, exec, vcc
	s_cbranch_execz .LBB127_189
; %bb.188:
	v_div_scale_f32 v198, s[4:5], v196, v196, 1.0
	v_rcp_f32_e32 v199, v198
	v_div_scale_f32 v200, vcc, 1.0, v196, 1.0
	v_fma_f32 v201, -v198, v199, 1.0
	v_fmac_f32_e32 v199, v201, v199
	v_mul_f32_e32 v201, v200, v199
	v_fma_f32 v202, -v198, v201, v200
	v_fmac_f32_e32 v201, v202, v199
	v_fma_f32 v198, -v198, v201, v200
	v_div_fmas_f32 v198, v198, v199, v201
	v_div_fixup_f32 v196, v198, v196, 1.0
	ds_write_b32 v195, v196
.LBB127_189:
	s_or_b64 exec, exec, s[2:3]
	s_waitcnt lgkmcnt(0)
	s_barrier
	ds_read_b32 v231, v195
	v_cmp_lt_u32_e32 vcc, 34, v193
	s_and_saveexec_b64 s[2:3], vcc
	s_cbranch_execz .LBB127_191
; %bb.190:
	ds_read_b32 v196, v197 offset:140
	ds_read2_b64 v[232:235], v197 offset0:18 offset1:19
	s_waitcnt vmcnt(46) lgkmcnt(2)
	v_mul_f32_e32 v140, v231, v140
	ds_read2_b64 v[236:239], v197 offset0:20 offset1:21
	ds_read2_b64 v[240:243], v197 offset0:22 offset1:23
	s_waitcnt vmcnt(45) lgkmcnt(3)
	v_fma_f32 v141, -v140, v196, v141
	s_waitcnt vmcnt(43) lgkmcnt(2)
	v_pk_fma_f32 v[166:167], v[140:141], v[232:233], v[166:167] op_sel_hi:[0,1,1] neg_lo:[1,0,0] neg_hi:[1,0,0]
	s_waitcnt vmcnt(41)
	v_pk_fma_f32 v[138:139], v[140:141], v[234:235], v[138:139] op_sel_hi:[0,1,1] neg_lo:[1,0,0] neg_hi:[1,0,0]
	ds_read2_b64 v[232:235], v197 offset0:24 offset1:25
	s_waitcnt vmcnt(39) lgkmcnt(2)
	v_pk_fma_f32 v[164:165], v[140:141], v[236:237], v[164:165] op_sel_hi:[0,1,1] neg_lo:[1,0,0] neg_hi:[1,0,0]
	s_waitcnt vmcnt(37)
	v_pk_fma_f32 v[136:137], v[140:141], v[238:239], v[136:137] op_sel_hi:[0,1,1] neg_lo:[1,0,0] neg_hi:[1,0,0]
	s_waitcnt vmcnt(35) lgkmcnt(1)
	v_pk_fma_f32 v[162:163], v[140:141], v[240:241], v[162:163] op_sel_hi:[0,1,1] neg_lo:[1,0,0] neg_hi:[1,0,0]
	s_waitcnt vmcnt(33)
	v_pk_fma_f32 v[134:135], v[140:141], v[242:243], v[134:135] op_sel_hi:[0,1,1] neg_lo:[1,0,0] neg_hi:[1,0,0]
	ds_read2_b64 v[236:239], v197 offset0:26 offset1:27
	s_waitcnt vmcnt(31) lgkmcnt(1)
	v_pk_fma_f32 v[160:161], v[140:141], v[232:233], v[160:161] op_sel_hi:[0,1,1] neg_lo:[1,0,0] neg_hi:[1,0,0]
	ds_read2_b64 v[240:243], v197 offset0:28 offset1:29
	s_waitcnt vmcnt(29)
	v_pk_fma_f32 v[132:133], v[140:141], v[234:235], v[132:133] op_sel_hi:[0,1,1] neg_lo:[1,0,0] neg_hi:[1,0,0]
	ds_read2_b64 v[232:235], v197 offset0:30 offset1:31
	s_waitcnt vmcnt(27) lgkmcnt(2)
	v_pk_fma_f32 v[158:159], v[140:141], v[236:237], v[158:159] op_sel_hi:[0,1,1] neg_lo:[1,0,0] neg_hi:[1,0,0]
	s_waitcnt vmcnt(25)
	v_pk_fma_f32 v[130:131], v[140:141], v[238:239], v[130:131] op_sel_hi:[0,1,1] neg_lo:[1,0,0] neg_hi:[1,0,0]
	s_waitcnt vmcnt(23) lgkmcnt(1)
	v_pk_fma_f32 v[156:157], v[140:141], v[240:241], v[156:157] op_sel_hi:[0,1,1] neg_lo:[1,0,0] neg_hi:[1,0,0]
	s_waitcnt vmcnt(21)
	v_pk_fma_f32 v[128:129], v[140:141], v[242:243], v[128:129] op_sel_hi:[0,1,1] neg_lo:[1,0,0] neg_hi:[1,0,0]
	;; [unrolled: 4-line block ×3, first 2 shown]
.LBB127_191:
	s_or_b64 exec, exec, s[2:3]
	v_cmp_ne_u32_e32 vcc, 35, v193
	s_waitcnt lgkmcnt(0)
	s_barrier
	s_and_saveexec_b64 s[2:3], vcc
	s_xor_b64 s[2:3], exec, s[2:3]
	s_andn2_saveexec_b64 s[2:3], s[2:3]
	s_cbranch_execz .LBB127_195
; %bb.192:
	s_waitcnt vmcnt(44)
	v_mov_b32_e32 v198, v166
	s_waitcnt vmcnt(43)
	v_mov_b32_e32 v199, v167
	s_waitcnt vmcnt(42)
	v_mov_b32_e32 v200, v138
	s_waitcnt vmcnt(41)
	v_mov_b32_e32 v201, v139
	ds_write_b32 v195, v141
	ds_write2_b64 v197, v[198:199], v[200:201] offset0:18 offset1:19
	s_waitcnt vmcnt(40)
	v_mov_b32_e32 v198, v164
	s_waitcnt vmcnt(39)
	v_mov_b32_e32 v199, v165
	s_waitcnt vmcnt(38)
	v_mov_b32_e32 v200, v136
	s_waitcnt vmcnt(37)
	v_mov_b32_e32 v201, v137
	ds_write2_b64 v197, v[198:199], v[200:201] offset0:20 offset1:21
	s_waitcnt vmcnt(36)
	v_mov_b32_e32 v198, v162
	s_waitcnt vmcnt(35)
	v_mov_b32_e32 v199, v163
	s_waitcnt vmcnt(34)
	v_mov_b32_e32 v200, v134
	s_waitcnt vmcnt(33)
	v_mov_b32_e32 v201, v135
	;; [unrolled: 9-line block ×5, first 2 shown]
	ds_write2_b64 v197, v[198:199], v[200:201] offset0:28 offset1:29
	s_waitcnt vmcnt(20)
	v_mov_b32_e32 v198, v154
	s_waitcnt vmcnt(19)
	v_mov_b32_e32 v199, v155
	s_waitcnt vmcnt(17)
	ds_write2_b64 v197, v[198:199], v[182:183] offset0:30 offset1:31
	ds_read_b32 v196, v195
	s_waitcnt lgkmcnt(0)
	v_cmp_neq_f32_e32 vcc, 0, v196
	s_and_saveexec_b64 s[4:5], vcc
	s_cbranch_execz .LBB127_194
; %bb.193:
	v_div_scale_f32 v198, s[10:11], v196, v196, 1.0
	v_rcp_f32_e32 v199, v198
	v_div_scale_f32 v200, vcc, 1.0, v196, 1.0
	v_fma_f32 v201, -v198, v199, 1.0
	v_fmac_f32_e32 v199, v201, v199
	v_mul_f32_e32 v201, v200, v199
	v_fma_f32 v202, -v198, v201, v200
	v_fmac_f32_e32 v201, v202, v199
	v_fma_f32 v198, -v198, v201, v200
	v_div_fmas_f32 v198, v198, v199, v201
	v_div_fixup_f32 v196, v198, v196, 1.0
	ds_write_b32 v195, v196
.LBB127_194:
	s_or_b64 exec, exec, s[4:5]
.LBB127_195:
	s_or_b64 exec, exec, s[2:3]
	s_waitcnt lgkmcnt(0)
	s_barrier
	ds_read_b32 v232, v195
	v_cmp_lt_u32_e32 vcc, 35, v193
	s_and_saveexec_b64 s[2:3], vcc
	s_cbranch_execz .LBB127_197
; %bb.196:
	ds_read2_b64 v[234:237], v197 offset0:18 offset1:19
	ds_read2_b64 v[238:241], v197 offset0:20 offset1:21
	s_waitcnt vmcnt(45) lgkmcnt(2)
	v_mul_f32_e32 v196, v232, v141
	ds_read2_b64 v[242:245], v197 offset0:22 offset1:23
	v_mov_b32_e32 v141, v196
	s_waitcnt vmcnt(43) lgkmcnt(2)
	v_pk_fma_f32 v[166:167], v[196:197], v[234:235], v[166:167] op_sel_hi:[0,1,1] neg_lo:[1,0,0] neg_hi:[1,0,0]
	s_waitcnt vmcnt(41)
	v_pk_fma_f32 v[138:139], v[196:197], v[236:237], v[138:139] op_sel_hi:[0,1,1] neg_lo:[1,0,0] neg_hi:[1,0,0]
	ds_read2_b64 v[234:237], v197 offset0:24 offset1:25
	s_waitcnt vmcnt(39) lgkmcnt(2)
	v_pk_fma_f32 v[164:165], v[196:197], v[238:239], v[164:165] op_sel_hi:[0,1,1] neg_lo:[1,0,0] neg_hi:[1,0,0]
	s_waitcnt vmcnt(37)
	v_pk_fma_f32 v[136:137], v[196:197], v[240:241], v[136:137] op_sel_hi:[0,1,1] neg_lo:[1,0,0] neg_hi:[1,0,0]
	s_waitcnt vmcnt(35) lgkmcnt(1)
	v_pk_fma_f32 v[162:163], v[196:197], v[242:243], v[162:163] op_sel_hi:[0,1,1] neg_lo:[1,0,0] neg_hi:[1,0,0]
	s_waitcnt vmcnt(33)
	v_pk_fma_f32 v[134:135], v[196:197], v[244:245], v[134:135] op_sel_hi:[0,1,1] neg_lo:[1,0,0] neg_hi:[1,0,0]
	ds_read2_b64 v[238:241], v197 offset0:26 offset1:27
	ds_read2_b64 v[242:245], v197 offset0:28 offset1:29
	s_waitcnt vmcnt(31) lgkmcnt(2)
	v_pk_fma_f32 v[160:161], v[196:197], v[234:235], v[160:161] op_sel_hi:[0,1,1] neg_lo:[1,0,0] neg_hi:[1,0,0]
	s_waitcnt vmcnt(29)
	v_pk_fma_f32 v[132:133], v[196:197], v[236:237], v[132:133] op_sel_hi:[0,1,1] neg_lo:[1,0,0] neg_hi:[1,0,0]
	ds_read2_b64 v[234:237], v197 offset0:30 offset1:31
	s_waitcnt vmcnt(27) lgkmcnt(2)
	v_pk_fma_f32 v[158:159], v[196:197], v[238:239], v[158:159] op_sel_hi:[0,1,1] neg_lo:[1,0,0] neg_hi:[1,0,0]
	s_waitcnt vmcnt(25)
	v_pk_fma_f32 v[130:131], v[196:197], v[240:241], v[130:131] op_sel_hi:[0,1,1] neg_lo:[1,0,0] neg_hi:[1,0,0]
	s_waitcnt vmcnt(23) lgkmcnt(1)
	v_pk_fma_f32 v[156:157], v[196:197], v[242:243], v[156:157] op_sel_hi:[0,1,1] neg_lo:[1,0,0] neg_hi:[1,0,0]
	s_waitcnt vmcnt(21)
	v_pk_fma_f32 v[128:129], v[196:197], v[244:245], v[128:129] op_sel_hi:[0,1,1] neg_lo:[1,0,0] neg_hi:[1,0,0]
	;; [unrolled: 4-line block ×3, first 2 shown]
.LBB127_197:
	s_or_b64 exec, exec, s[2:3]
	v_cmp_eq_u32_e32 vcc, 36, v193
	s_waitcnt lgkmcnt(0)
	s_barrier
	s_and_saveexec_b64 s[2:3], vcc
	s_cbranch_execz .LBB127_200
; %bb.198:
	s_waitcnt vmcnt(41)
	v_pk_mov_b32 v[198:199], v[166:167], v[138:139] op_sel:[1,0]
	ds_write_b32 v195, v166
	ds_write2_b32 v197, v198, v199 offset0:37 offset1:38
	s_waitcnt vmcnt(39)
	v_pk_mov_b32 v[198:199], v[138:139], v[164:165] op_sel:[1,0]
	ds_write2_b32 v197, v198, v199 offset0:39 offset1:40
	s_waitcnt vmcnt(37)
	v_pk_mov_b32 v[198:199], v[164:165], v[136:137] op_sel:[1,0]
	;; [unrolled: 3-line block ×12, first 2 shown]
	ds_write2_b32 v197, v198, v199 offset0:61 offset1:62
	ds_write_b32 v197, v183 offset:252
	ds_read_b32 v196, v195
	s_waitcnt lgkmcnt(0)
	v_cmp_neq_f32_e32 vcc, 0, v196
	s_and_b64 exec, exec, vcc
	s_cbranch_execz .LBB127_200
; %bb.199:
	v_div_scale_f32 v198, s[4:5], v196, v196, 1.0
	v_rcp_f32_e32 v199, v198
	v_div_scale_f32 v200, vcc, 1.0, v196, 1.0
	v_fma_f32 v201, -v198, v199, 1.0
	v_fmac_f32_e32 v199, v201, v199
	v_mul_f32_e32 v201, v200, v199
	v_fma_f32 v202, -v198, v201, v200
	v_fmac_f32_e32 v201, v202, v199
	v_fma_f32 v198, -v198, v201, v200
	v_div_fmas_f32 v198, v198, v199, v201
	v_div_fixup_f32 v196, v198, v196, 1.0
	ds_write_b32 v195, v196
.LBB127_200:
	s_or_b64 exec, exec, s[2:3]
	s_waitcnt lgkmcnt(0)
	s_barrier
	ds_read_b32 v233, v195
	v_cmp_lt_u32_e32 vcc, 36, v193
	s_and_saveexec_b64 s[2:3], vcc
	s_cbranch_execz .LBB127_202
; %bb.201:
	ds_read_b32 v196, v197 offset:148
	ds_read2_b64 v[234:237], v197 offset0:19 offset1:20
	ds_read2_b64 v[238:241], v197 offset0:21 offset1:22
	;; [unrolled: 1-line block ×3, first 2 shown]
	s_waitcnt vmcnt(44) lgkmcnt(4)
	v_mul_f32_e32 v166, v233, v166
	ds_read_b64 v[198:199], v197 offset:248
	s_waitcnt vmcnt(43) lgkmcnt(4)
	v_fma_f32 v167, -v166, v196, v167
	s_waitcnt vmcnt(41) lgkmcnt(3)
	v_pk_fma_f32 v[138:139], v[166:167], v[234:235], v[138:139] op_sel_hi:[0,1,1] neg_lo:[1,0,0] neg_hi:[1,0,0]
	s_waitcnt vmcnt(39)
	v_pk_fma_f32 v[164:165], v[166:167], v[236:237], v[164:165] op_sel_hi:[0,1,1] neg_lo:[1,0,0] neg_hi:[1,0,0]
	s_waitcnt vmcnt(37) lgkmcnt(2)
	v_pk_fma_f32 v[136:137], v[166:167], v[238:239], v[136:137] op_sel_hi:[0,1,1] neg_lo:[1,0,0] neg_hi:[1,0,0]
	ds_read2_b64 v[234:237], v197 offset0:25 offset1:26
	s_waitcnt vmcnt(35)
	v_pk_fma_f32 v[162:163], v[166:167], v[240:241], v[162:163] op_sel_hi:[0,1,1] neg_lo:[1,0,0] neg_hi:[1,0,0]
	s_waitcnt vmcnt(33) lgkmcnt(2)
	v_pk_fma_f32 v[134:135], v[166:167], v[242:243], v[134:135] op_sel_hi:[0,1,1] neg_lo:[1,0,0] neg_hi:[1,0,0]
	s_waitcnt vmcnt(31)
	v_pk_fma_f32 v[160:161], v[166:167], v[244:245], v[160:161] op_sel_hi:[0,1,1] neg_lo:[1,0,0] neg_hi:[1,0,0]
	ds_read2_b64 v[238:241], v197 offset0:27 offset1:28
	ds_read2_b64 v[242:245], v197 offset0:29 offset1:30
	s_waitcnt vmcnt(29) lgkmcnt(2)
	v_pk_fma_f32 v[132:133], v[166:167], v[234:235], v[132:133] op_sel_hi:[0,1,1] neg_lo:[1,0,0] neg_hi:[1,0,0]
	s_waitcnt vmcnt(27)
	v_pk_fma_f32 v[158:159], v[166:167], v[236:237], v[158:159] op_sel_hi:[0,1,1] neg_lo:[1,0,0] neg_hi:[1,0,0]
	s_waitcnt vmcnt(17)
	v_pk_fma_f32 v[182:183], v[166:167], v[198:199], v[182:183] op_sel_hi:[0,1,1] neg_lo:[1,0,0] neg_hi:[1,0,0]
	s_waitcnt lgkmcnt(1)
	v_pk_fma_f32 v[130:131], v[166:167], v[238:239], v[130:131] op_sel_hi:[0,1,1] neg_lo:[1,0,0] neg_hi:[1,0,0]
	v_pk_fma_f32 v[156:157], v[166:167], v[240:241], v[156:157] op_sel_hi:[0,1,1] neg_lo:[1,0,0] neg_hi:[1,0,0]
	s_waitcnt lgkmcnt(0)
	v_pk_fma_f32 v[128:129], v[166:167], v[242:243], v[128:129] op_sel_hi:[0,1,1] neg_lo:[1,0,0] neg_hi:[1,0,0]
	v_pk_fma_f32 v[154:155], v[166:167], v[244:245], v[154:155] op_sel_hi:[0,1,1] neg_lo:[1,0,0] neg_hi:[1,0,0]
.LBB127_202:
	s_or_b64 exec, exec, s[2:3]
	v_cmp_ne_u32_e32 vcc, 37, v193
	s_waitcnt lgkmcnt(0)
	s_barrier
	s_and_saveexec_b64 s[2:3], vcc
	s_xor_b64 s[2:3], exec, s[2:3]
	s_andn2_saveexec_b64 s[2:3], s[2:3]
	s_cbranch_execz .LBB127_206
; %bb.203:
	s_waitcnt vmcnt(43)
	ds_write_b32 v195, v167
	s_waitcnt vmcnt(39)
	ds_write2_b64 v197, v[138:139], v[164:165] offset0:19 offset1:20
	s_waitcnt vmcnt(35)
	ds_write2_b64 v197, v[136:137], v[162:163] offset0:21 offset1:22
	;; [unrolled: 2-line block ×6, first 2 shown]
	s_waitcnt vmcnt(17)
	ds_write_b64 v197, v[182:183] offset:248
	ds_read_b32 v196, v195
	s_waitcnt lgkmcnt(0)
	v_cmp_neq_f32_e32 vcc, 0, v196
	s_and_saveexec_b64 s[4:5], vcc
	s_cbranch_execz .LBB127_205
; %bb.204:
	v_div_scale_f32 v198, s[10:11], v196, v196, 1.0
	v_rcp_f32_e32 v199, v198
	v_div_scale_f32 v200, vcc, 1.0, v196, 1.0
	v_fma_f32 v201, -v198, v199, 1.0
	v_fmac_f32_e32 v199, v201, v199
	v_mul_f32_e32 v201, v200, v199
	v_fma_f32 v202, -v198, v201, v200
	v_fmac_f32_e32 v201, v202, v199
	v_fma_f32 v198, -v198, v201, v200
	v_div_fmas_f32 v198, v198, v199, v201
	v_div_fixup_f32 v196, v198, v196, 1.0
	ds_write_b32 v195, v196
.LBB127_205:
	s_or_b64 exec, exec, s[4:5]
.LBB127_206:
	s_or_b64 exec, exec, s[2:3]
	s_waitcnt lgkmcnt(0)
	s_barrier
	ds_read_b32 v234, v195
	v_cmp_lt_u32_e32 vcc, 37, v193
	s_and_saveexec_b64 s[2:3], vcc
	s_cbranch_execz .LBB127_208
; %bb.207:
	ds_read2_b64 v[236:239], v197 offset0:19 offset1:20
	ds_read2_b64 v[240:243], v197 offset0:21 offset1:22
	;; [unrolled: 1-line block ×3, first 2 shown]
	s_waitcnt vmcnt(43) lgkmcnt(3)
	v_mul_f32_e32 v196, v234, v167
	ds_read_b64 v[198:199], v197 offset:248
	s_waitcnt vmcnt(41) lgkmcnt(3)
	v_pk_fma_f32 v[138:139], v[196:197], v[236:237], v[138:139] op_sel_hi:[0,1,1] neg_lo:[1,0,0] neg_hi:[1,0,0]
	s_waitcnt vmcnt(39)
	v_pk_fma_f32 v[164:165], v[196:197], v[238:239], v[164:165] op_sel_hi:[0,1,1] neg_lo:[1,0,0] neg_hi:[1,0,0]
	s_waitcnt vmcnt(37) lgkmcnt(2)
	v_pk_fma_f32 v[136:137], v[196:197], v[240:241], v[136:137] op_sel_hi:[0,1,1] neg_lo:[1,0,0] neg_hi:[1,0,0]
	ds_read2_b64 v[236:239], v197 offset0:25 offset1:26
	s_waitcnt vmcnt(35)
	v_pk_fma_f32 v[162:163], v[196:197], v[242:243], v[162:163] op_sel_hi:[0,1,1] neg_lo:[1,0,0] neg_hi:[1,0,0]
	s_waitcnt vmcnt(33) lgkmcnt(2)
	v_pk_fma_f32 v[134:135], v[196:197], v[244:245], v[134:135] op_sel_hi:[0,1,1] neg_lo:[1,0,0] neg_hi:[1,0,0]
	s_waitcnt vmcnt(31)
	v_pk_fma_f32 v[160:161], v[196:197], v[246:247], v[160:161] op_sel_hi:[0,1,1] neg_lo:[1,0,0] neg_hi:[1,0,0]
	ds_read2_b64 v[240:243], v197 offset0:27 offset1:28
	ds_read2_b64 v[244:247], v197 offset0:29 offset1:30
	s_waitcnt vmcnt(29) lgkmcnt(2)
	v_pk_fma_f32 v[132:133], v[196:197], v[236:237], v[132:133] op_sel_hi:[0,1,1] neg_lo:[1,0,0] neg_hi:[1,0,0]
	s_waitcnt vmcnt(27)
	v_pk_fma_f32 v[158:159], v[196:197], v[238:239], v[158:159] op_sel_hi:[0,1,1] neg_lo:[1,0,0] neg_hi:[1,0,0]
	s_waitcnt vmcnt(17)
	v_pk_fma_f32 v[182:183], v[196:197], v[198:199], v[182:183] op_sel_hi:[0,1,1] neg_lo:[1,0,0] neg_hi:[1,0,0]
	s_waitcnt lgkmcnt(1)
	v_pk_fma_f32 v[130:131], v[196:197], v[240:241], v[130:131] op_sel_hi:[0,1,1] neg_lo:[1,0,0] neg_hi:[1,0,0]
	v_pk_fma_f32 v[156:157], v[196:197], v[242:243], v[156:157] op_sel_hi:[0,1,1] neg_lo:[1,0,0] neg_hi:[1,0,0]
	s_waitcnt lgkmcnt(0)
	v_pk_fma_f32 v[128:129], v[196:197], v[244:245], v[128:129] op_sel_hi:[0,1,1] neg_lo:[1,0,0] neg_hi:[1,0,0]
	v_pk_fma_f32 v[154:155], v[196:197], v[246:247], v[154:155] op_sel_hi:[0,1,1] neg_lo:[1,0,0] neg_hi:[1,0,0]
	v_mov_b32_e32 v167, v196
.LBB127_208:
	s_or_b64 exec, exec, s[2:3]
	v_cmp_eq_u32_e32 vcc, 38, v193
	s_waitcnt lgkmcnt(0)
	s_barrier
	s_and_saveexec_b64 s[2:3], vcc
	s_cbranch_execz .LBB127_211
; %bb.209:
	s_waitcnt vmcnt(39)
	v_pk_mov_b32 v[198:199], v[138:139], v[164:165] op_sel:[1,0]
	ds_write_b32 v195, v138
	ds_write2_b32 v197, v198, v199 offset0:39 offset1:40
	s_waitcnt vmcnt(37)
	v_pk_mov_b32 v[198:199], v[164:165], v[136:137] op_sel:[1,0]
	ds_write2_b32 v197, v198, v199 offset0:41 offset1:42
	s_waitcnt vmcnt(35)
	v_pk_mov_b32 v[198:199], v[136:137], v[162:163] op_sel:[1,0]
	ds_write2_b32 v197, v198, v199 offset0:43 offset1:44
	s_waitcnt vmcnt(33)
	v_pk_mov_b32 v[198:199], v[162:163], v[134:135] op_sel:[1,0]
	ds_write2_b32 v197, v198, v199 offset0:45 offset1:46
	s_waitcnt vmcnt(31)
	v_pk_mov_b32 v[198:199], v[134:135], v[160:161] op_sel:[1,0]
	ds_write2_b32 v197, v198, v199 offset0:47 offset1:48
	s_waitcnt vmcnt(29)
	v_pk_mov_b32 v[198:199], v[160:161], v[132:133] op_sel:[1,0]
	ds_write2_b32 v197, v198, v199 offset0:49 offset1:50
	s_waitcnt vmcnt(27)
	v_pk_mov_b32 v[198:199], v[132:133], v[158:159] op_sel:[1,0]
	ds_write2_b32 v197, v198, v199 offset0:51 offset1:52
	s_waitcnt vmcnt(25)
	v_pk_mov_b32 v[198:199], v[158:159], v[130:131] op_sel:[1,0]
	ds_write2_b32 v197, v198, v199 offset0:53 offset1:54
	s_waitcnt vmcnt(23)
	v_pk_mov_b32 v[198:199], v[130:131], v[156:157] op_sel:[1,0]
	ds_write2_b32 v197, v198, v199 offset0:55 offset1:56
	s_waitcnt vmcnt(21)
	v_pk_mov_b32 v[198:199], v[156:157], v[128:129] op_sel:[1,0]
	ds_write2_b32 v197, v198, v199 offset0:57 offset1:58
	s_waitcnt vmcnt(19)
	v_pk_mov_b32 v[198:199], v[128:129], v[154:155] op_sel:[1,0]
	ds_write2_b32 v197, v198, v199 offset0:59 offset1:60
	s_waitcnt vmcnt(17)
	v_pk_mov_b32 v[198:199], v[154:155], v[182:183] op_sel:[1,0]
	ds_write2_b32 v197, v198, v199 offset0:61 offset1:62
	ds_write_b32 v197, v183 offset:252
	ds_read_b32 v196, v195
	s_waitcnt lgkmcnt(0)
	v_cmp_neq_f32_e32 vcc, 0, v196
	s_and_b64 exec, exec, vcc
	s_cbranch_execz .LBB127_211
; %bb.210:
	v_div_scale_f32 v198, s[4:5], v196, v196, 1.0
	v_rcp_f32_e32 v199, v198
	v_div_scale_f32 v200, vcc, 1.0, v196, 1.0
	v_fma_f32 v201, -v198, v199, 1.0
	v_fmac_f32_e32 v199, v201, v199
	v_mul_f32_e32 v201, v200, v199
	v_fma_f32 v202, -v198, v201, v200
	v_fmac_f32_e32 v201, v202, v199
	v_fma_f32 v198, -v198, v201, v200
	v_div_fmas_f32 v198, v198, v199, v201
	v_div_fixup_f32 v196, v198, v196, 1.0
	ds_write_b32 v195, v196
.LBB127_211:
	s_or_b64 exec, exec, s[2:3]
	s_waitcnt lgkmcnt(0)
	s_barrier
	ds_read_b32 v235, v195
	v_cmp_lt_u32_e32 vcc, 38, v193
	s_and_saveexec_b64 s[2:3], vcc
	s_cbranch_execz .LBB127_213
; %bb.212:
	ds_read_b32 v196, v197 offset:156
	ds_read2_b64 v[236:239], v197 offset0:20 offset1:21
	ds_read2_b64 v[240:243], v197 offset0:22 offset1:23
	;; [unrolled: 1-line block ×3, first 2 shown]
	s_waitcnt vmcnt(42) lgkmcnt(4)
	v_mul_f32_e32 v138, v235, v138
	s_waitcnt vmcnt(41) lgkmcnt(3)
	v_fma_f32 v139, -v138, v196, v139
	s_waitcnt vmcnt(39) lgkmcnt(2)
	v_pk_fma_f32 v[164:165], v[138:139], v[236:237], v[164:165] op_sel_hi:[0,1,1] neg_lo:[1,0,0] neg_hi:[1,0,0]
	s_waitcnt vmcnt(37)
	v_pk_fma_f32 v[136:137], v[138:139], v[238:239], v[136:137] op_sel_hi:[0,1,1] neg_lo:[1,0,0] neg_hi:[1,0,0]
	s_waitcnt vmcnt(35) lgkmcnt(1)
	v_pk_fma_f32 v[162:163], v[138:139], v[240:241], v[162:163] op_sel_hi:[0,1,1] neg_lo:[1,0,0] neg_hi:[1,0,0]
	s_waitcnt vmcnt(33)
	v_pk_fma_f32 v[134:135], v[138:139], v[242:243], v[134:135] op_sel_hi:[0,1,1] neg_lo:[1,0,0] neg_hi:[1,0,0]
	ds_read2_b64 v[236:239], v197 offset0:26 offset1:27
	ds_read2_b64 v[240:243], v197 offset0:28 offset1:29
	s_waitcnt vmcnt(31) lgkmcnt(2)
	v_pk_fma_f32 v[160:161], v[138:139], v[244:245], v[160:161] op_sel_hi:[0,1,1] neg_lo:[1,0,0] neg_hi:[1,0,0]
	s_waitcnt vmcnt(29)
	v_pk_fma_f32 v[132:133], v[138:139], v[246:247], v[132:133] op_sel_hi:[0,1,1] neg_lo:[1,0,0] neg_hi:[1,0,0]
	ds_read2_b64 v[244:247], v197 offset0:30 offset1:31
	s_waitcnt vmcnt(27) lgkmcnt(2)
	v_pk_fma_f32 v[158:159], v[138:139], v[236:237], v[158:159] op_sel_hi:[0,1,1] neg_lo:[1,0,0] neg_hi:[1,0,0]
	s_waitcnt vmcnt(25)
	v_pk_fma_f32 v[130:131], v[138:139], v[238:239], v[130:131] op_sel_hi:[0,1,1] neg_lo:[1,0,0] neg_hi:[1,0,0]
	s_waitcnt vmcnt(23) lgkmcnt(1)
	v_pk_fma_f32 v[156:157], v[138:139], v[240:241], v[156:157] op_sel_hi:[0,1,1] neg_lo:[1,0,0] neg_hi:[1,0,0]
	s_waitcnt vmcnt(21)
	v_pk_fma_f32 v[128:129], v[138:139], v[242:243], v[128:129] op_sel_hi:[0,1,1] neg_lo:[1,0,0] neg_hi:[1,0,0]
	;; [unrolled: 4-line block ×3, first 2 shown]
.LBB127_213:
	s_or_b64 exec, exec, s[2:3]
	v_cmp_ne_u32_e32 vcc, 39, v193
	s_waitcnt lgkmcnt(0)
	s_barrier
	s_and_saveexec_b64 s[2:3], vcc
	s_xor_b64 s[2:3], exec, s[2:3]
	s_andn2_saveexec_b64 s[2:3], s[2:3]
	s_cbranch_execz .LBB127_217
; %bb.214:
	s_waitcnt vmcnt(40)
	v_mov_b32_e32 v198, v164
	s_waitcnt vmcnt(39)
	v_mov_b32_e32 v199, v165
	;; [unrolled: 2-line block ×4, first 2 shown]
	ds_write_b32 v195, v139
	ds_write2_b64 v197, v[198:199], v[200:201] offset0:20 offset1:21
	s_waitcnt vmcnt(36)
	v_mov_b32_e32 v198, v162
	s_waitcnt vmcnt(35)
	v_mov_b32_e32 v199, v163
	s_waitcnt vmcnt(34)
	v_mov_b32_e32 v200, v134
	s_waitcnt vmcnt(33)
	v_mov_b32_e32 v201, v135
	ds_write2_b64 v197, v[198:199], v[200:201] offset0:22 offset1:23
	s_waitcnt vmcnt(32)
	v_mov_b32_e32 v198, v160
	s_waitcnt vmcnt(31)
	v_mov_b32_e32 v199, v161
	s_waitcnt vmcnt(30)
	v_mov_b32_e32 v200, v132
	s_waitcnt vmcnt(29)
	v_mov_b32_e32 v201, v133
	;; [unrolled: 9-line block ×4, first 2 shown]
	ds_write2_b64 v197, v[198:199], v[200:201] offset0:28 offset1:29
	s_waitcnt vmcnt(20)
	v_mov_b32_e32 v198, v154
	s_waitcnt vmcnt(19)
	v_mov_b32_e32 v199, v155
	s_waitcnt vmcnt(17)
	ds_write2_b64 v197, v[198:199], v[182:183] offset0:30 offset1:31
	ds_read_b32 v196, v195
	s_waitcnt lgkmcnt(0)
	v_cmp_neq_f32_e32 vcc, 0, v196
	s_and_saveexec_b64 s[4:5], vcc
	s_cbranch_execz .LBB127_216
; %bb.215:
	v_div_scale_f32 v198, s[10:11], v196, v196, 1.0
	v_rcp_f32_e32 v199, v198
	v_div_scale_f32 v200, vcc, 1.0, v196, 1.0
	v_fma_f32 v201, -v198, v199, 1.0
	v_fmac_f32_e32 v199, v201, v199
	v_mul_f32_e32 v201, v200, v199
	v_fma_f32 v202, -v198, v201, v200
	v_fmac_f32_e32 v201, v202, v199
	v_fma_f32 v198, -v198, v201, v200
	v_div_fmas_f32 v198, v198, v199, v201
	v_div_fixup_f32 v196, v198, v196, 1.0
	ds_write_b32 v195, v196
.LBB127_216:
	s_or_b64 exec, exec, s[4:5]
.LBB127_217:
	s_or_b64 exec, exec, s[2:3]
	s_waitcnt lgkmcnt(0)
	s_barrier
	ds_read_b32 v236, v195
	v_cmp_lt_u32_e32 vcc, 39, v193
	s_and_saveexec_b64 s[2:3], vcc
	s_cbranch_execz .LBB127_219
; %bb.218:
	ds_read2_b64 v[238:241], v197 offset0:20 offset1:21
	ds_read2_b64 v[242:245], v197 offset0:22 offset1:23
	;; [unrolled: 1-line block ×3, first 2 shown]
	s_waitcnt vmcnt(41) lgkmcnt(3)
	v_mul_f32_e32 v196, v236, v139
	v_mov_b32_e32 v139, v196
	s_waitcnt vmcnt(39) lgkmcnt(2)
	v_pk_fma_f32 v[164:165], v[196:197], v[238:239], v[164:165] op_sel_hi:[0,1,1] neg_lo:[1,0,0] neg_hi:[1,0,0]
	s_waitcnt vmcnt(37)
	v_pk_fma_f32 v[136:137], v[196:197], v[240:241], v[136:137] op_sel_hi:[0,1,1] neg_lo:[1,0,0] neg_hi:[1,0,0]
	s_waitcnt vmcnt(35) lgkmcnt(1)
	v_pk_fma_f32 v[162:163], v[196:197], v[242:243], v[162:163] op_sel_hi:[0,1,1] neg_lo:[1,0,0] neg_hi:[1,0,0]
	s_waitcnt vmcnt(33)
	v_pk_fma_f32 v[134:135], v[196:197], v[244:245], v[134:135] op_sel_hi:[0,1,1] neg_lo:[1,0,0] neg_hi:[1,0,0]
	ds_read2_b64 v[238:241], v197 offset0:26 offset1:27
	s_waitcnt vmcnt(31) lgkmcnt(1)
	v_pk_fma_f32 v[160:161], v[196:197], v[246:247], v[160:161] op_sel_hi:[0,1,1] neg_lo:[1,0,0] neg_hi:[1,0,0]
	ds_read2_b64 v[242:245], v197 offset0:28 offset1:29
	s_waitcnt vmcnt(29)
	v_pk_fma_f32 v[132:133], v[196:197], v[248:249], v[132:133] op_sel_hi:[0,1,1] neg_lo:[1,0,0] neg_hi:[1,0,0]
	ds_read2_b64 v[246:249], v197 offset0:30 offset1:31
	s_waitcnt vmcnt(27) lgkmcnt(2)
	v_pk_fma_f32 v[158:159], v[196:197], v[238:239], v[158:159] op_sel_hi:[0,1,1] neg_lo:[1,0,0] neg_hi:[1,0,0]
	s_waitcnt vmcnt(25)
	v_pk_fma_f32 v[130:131], v[196:197], v[240:241], v[130:131] op_sel_hi:[0,1,1] neg_lo:[1,0,0] neg_hi:[1,0,0]
	s_waitcnt vmcnt(23) lgkmcnt(1)
	v_pk_fma_f32 v[156:157], v[196:197], v[242:243], v[156:157] op_sel_hi:[0,1,1] neg_lo:[1,0,0] neg_hi:[1,0,0]
	s_waitcnt vmcnt(21)
	v_pk_fma_f32 v[128:129], v[196:197], v[244:245], v[128:129] op_sel_hi:[0,1,1] neg_lo:[1,0,0] neg_hi:[1,0,0]
	;; [unrolled: 4-line block ×3, first 2 shown]
.LBB127_219:
	s_or_b64 exec, exec, s[2:3]
	v_cmp_eq_u32_e32 vcc, 40, v193
	s_waitcnt lgkmcnt(0)
	s_barrier
	s_and_saveexec_b64 s[2:3], vcc
	s_cbranch_execz .LBB127_222
; %bb.220:
	s_waitcnt vmcnt(37)
	v_pk_mov_b32 v[198:199], v[164:165], v[136:137] op_sel:[1,0]
	ds_write_b32 v195, v164
	ds_write2_b32 v197, v198, v199 offset0:41 offset1:42
	s_waitcnt vmcnt(35)
	v_pk_mov_b32 v[198:199], v[136:137], v[162:163] op_sel:[1,0]
	ds_write2_b32 v197, v198, v199 offset0:43 offset1:44
	s_waitcnt vmcnt(33)
	v_pk_mov_b32 v[198:199], v[162:163], v[134:135] op_sel:[1,0]
	ds_write2_b32 v197, v198, v199 offset0:45 offset1:46
	s_waitcnt vmcnt(31)
	v_pk_mov_b32 v[198:199], v[134:135], v[160:161] op_sel:[1,0]
	ds_write2_b32 v197, v198, v199 offset0:47 offset1:48
	s_waitcnt vmcnt(29)
	v_pk_mov_b32 v[198:199], v[160:161], v[132:133] op_sel:[1,0]
	ds_write2_b32 v197, v198, v199 offset0:49 offset1:50
	s_waitcnt vmcnt(27)
	v_pk_mov_b32 v[198:199], v[132:133], v[158:159] op_sel:[1,0]
	ds_write2_b32 v197, v198, v199 offset0:51 offset1:52
	s_waitcnt vmcnt(25)
	v_pk_mov_b32 v[198:199], v[158:159], v[130:131] op_sel:[1,0]
	ds_write2_b32 v197, v198, v199 offset0:53 offset1:54
	s_waitcnt vmcnt(23)
	v_pk_mov_b32 v[198:199], v[130:131], v[156:157] op_sel:[1,0]
	ds_write2_b32 v197, v198, v199 offset0:55 offset1:56
	s_waitcnt vmcnt(21)
	v_pk_mov_b32 v[198:199], v[156:157], v[128:129] op_sel:[1,0]
	ds_write2_b32 v197, v198, v199 offset0:57 offset1:58
	s_waitcnt vmcnt(19)
	v_pk_mov_b32 v[198:199], v[128:129], v[154:155] op_sel:[1,0]
	ds_write2_b32 v197, v198, v199 offset0:59 offset1:60
	s_waitcnt vmcnt(17)
	v_pk_mov_b32 v[198:199], v[154:155], v[182:183] op_sel:[1,0]
	ds_write2_b32 v197, v198, v199 offset0:61 offset1:62
	ds_write_b32 v197, v183 offset:252
	ds_read_b32 v196, v195
	s_waitcnt lgkmcnt(0)
	v_cmp_neq_f32_e32 vcc, 0, v196
	s_and_b64 exec, exec, vcc
	s_cbranch_execz .LBB127_222
; %bb.221:
	v_div_scale_f32 v198, s[4:5], v196, v196, 1.0
	v_rcp_f32_e32 v199, v198
	v_div_scale_f32 v200, vcc, 1.0, v196, 1.0
	v_fma_f32 v201, -v198, v199, 1.0
	v_fmac_f32_e32 v199, v201, v199
	v_mul_f32_e32 v201, v200, v199
	v_fma_f32 v202, -v198, v201, v200
	v_fmac_f32_e32 v201, v202, v199
	v_fma_f32 v198, -v198, v201, v200
	v_div_fmas_f32 v198, v198, v199, v201
	v_div_fixup_f32 v196, v198, v196, 1.0
	ds_write_b32 v195, v196
.LBB127_222:
	s_or_b64 exec, exec, s[2:3]
	s_waitcnt lgkmcnt(0)
	s_barrier
	ds_read_b32 v237, v195
	v_cmp_lt_u32_e32 vcc, 40, v193
	s_and_saveexec_b64 s[2:3], vcc
	s_cbranch_execz .LBB127_224
; %bb.223:
	ds_read_b32 v196, v197 offset:164
	ds_read2_b64 v[238:241], v197 offset0:21 offset1:22
	ds_read2_b64 v[242:245], v197 offset0:23 offset1:24
	;; [unrolled: 1-line block ×3, first 2 shown]
	s_waitcnt vmcnt(40) lgkmcnt(4)
	v_mul_f32_e32 v164, v237, v164
	ds_read_b64 v[198:199], v197 offset:248
	s_waitcnt vmcnt(39) lgkmcnt(4)
	v_fma_f32 v165, -v164, v196, v165
	s_waitcnt vmcnt(37) lgkmcnt(3)
	v_pk_fma_f32 v[136:137], v[164:165], v[238:239], v[136:137] op_sel_hi:[0,1,1] neg_lo:[1,0,0] neg_hi:[1,0,0]
	s_waitcnt vmcnt(35)
	v_pk_fma_f32 v[162:163], v[164:165], v[240:241], v[162:163] op_sel_hi:[0,1,1] neg_lo:[1,0,0] neg_hi:[1,0,0]
	s_waitcnt vmcnt(33) lgkmcnt(2)
	v_pk_fma_f32 v[134:135], v[164:165], v[242:243], v[134:135] op_sel_hi:[0,1,1] neg_lo:[1,0,0] neg_hi:[1,0,0]
	s_waitcnt vmcnt(31)
	v_pk_fma_f32 v[160:161], v[164:165], v[244:245], v[160:161] op_sel_hi:[0,1,1] neg_lo:[1,0,0] neg_hi:[1,0,0]
	ds_read2_b64 v[238:241], v197 offset0:27 offset1:28
	ds_read2_b64 v[242:245], v197 offset0:29 offset1:30
	s_waitcnt vmcnt(29) lgkmcnt(3)
	v_pk_fma_f32 v[132:133], v[164:165], v[246:247], v[132:133] op_sel_hi:[0,1,1] neg_lo:[1,0,0] neg_hi:[1,0,0]
	s_waitcnt vmcnt(27)
	v_pk_fma_f32 v[158:159], v[164:165], v[248:249], v[158:159] op_sel_hi:[0,1,1] neg_lo:[1,0,0] neg_hi:[1,0,0]
	s_waitcnt vmcnt(17) lgkmcnt(2)
	v_pk_fma_f32 v[182:183], v[164:165], v[198:199], v[182:183] op_sel_hi:[0,1,1] neg_lo:[1,0,0] neg_hi:[1,0,0]
	s_waitcnt lgkmcnt(1)
	v_pk_fma_f32 v[130:131], v[164:165], v[238:239], v[130:131] op_sel_hi:[0,1,1] neg_lo:[1,0,0] neg_hi:[1,0,0]
	v_pk_fma_f32 v[156:157], v[164:165], v[240:241], v[156:157] op_sel_hi:[0,1,1] neg_lo:[1,0,0] neg_hi:[1,0,0]
	s_waitcnt lgkmcnt(0)
	v_pk_fma_f32 v[128:129], v[164:165], v[242:243], v[128:129] op_sel_hi:[0,1,1] neg_lo:[1,0,0] neg_hi:[1,0,0]
	v_pk_fma_f32 v[154:155], v[164:165], v[244:245], v[154:155] op_sel_hi:[0,1,1] neg_lo:[1,0,0] neg_hi:[1,0,0]
.LBB127_224:
	s_or_b64 exec, exec, s[2:3]
	v_cmp_ne_u32_e32 vcc, 41, v193
	s_waitcnt lgkmcnt(0)
	s_barrier
	s_and_saveexec_b64 s[2:3], vcc
	s_xor_b64 s[2:3], exec, s[2:3]
	s_andn2_saveexec_b64 s[2:3], s[2:3]
	s_cbranch_execz .LBB127_228
; %bb.225:
	s_waitcnt vmcnt(39)
	ds_write_b32 v195, v165
	s_waitcnt vmcnt(35)
	ds_write2_b64 v197, v[136:137], v[162:163] offset0:21 offset1:22
	s_waitcnt vmcnt(31)
	ds_write2_b64 v197, v[134:135], v[160:161] offset0:23 offset1:24
	;; [unrolled: 2-line block ×5, first 2 shown]
	s_waitcnt vmcnt(17)
	ds_write_b64 v197, v[182:183] offset:248
	ds_read_b32 v196, v195
	s_waitcnt lgkmcnt(0)
	v_cmp_neq_f32_e32 vcc, 0, v196
	s_and_saveexec_b64 s[4:5], vcc
	s_cbranch_execz .LBB127_227
; %bb.226:
	v_div_scale_f32 v198, s[10:11], v196, v196, 1.0
	v_rcp_f32_e32 v199, v198
	v_div_scale_f32 v200, vcc, 1.0, v196, 1.0
	v_fma_f32 v201, -v198, v199, 1.0
	v_fmac_f32_e32 v199, v201, v199
	v_mul_f32_e32 v201, v200, v199
	v_fma_f32 v202, -v198, v201, v200
	v_fmac_f32_e32 v201, v202, v199
	v_fma_f32 v198, -v198, v201, v200
	v_div_fmas_f32 v198, v198, v199, v201
	v_div_fixup_f32 v196, v198, v196, 1.0
	ds_write_b32 v195, v196
.LBB127_227:
	s_or_b64 exec, exec, s[4:5]
.LBB127_228:
	s_or_b64 exec, exec, s[2:3]
	s_waitcnt lgkmcnt(0)
	s_barrier
	ds_read_b32 v238, v195
	v_cmp_lt_u32_e32 vcc, 41, v193
	s_and_saveexec_b64 s[2:3], vcc
	s_cbranch_execz .LBB127_230
; %bb.229:
	ds_read2_b64 v[240:243], v197 offset0:21 offset1:22
	ds_read2_b64 v[244:247], v197 offset0:23 offset1:24
	s_waitcnt vmcnt(39) lgkmcnt(2)
	v_mul_f32_e32 v196, v238, v165
	ds_read2_b64 v[248:251], v197 offset0:25 offset1:26
	v_mov_b32_e32 v165, v196
	s_waitcnt vmcnt(37) lgkmcnt(2)
	v_pk_fma_f32 v[136:137], v[196:197], v[240:241], v[136:137] op_sel_hi:[0,1,1] neg_lo:[1,0,0] neg_hi:[1,0,0]
	s_waitcnt vmcnt(35)
	v_pk_fma_f32 v[162:163], v[196:197], v[242:243], v[162:163] op_sel_hi:[0,1,1] neg_lo:[1,0,0] neg_hi:[1,0,0]
	s_waitcnt vmcnt(33) lgkmcnt(1)
	v_pk_fma_f32 v[134:135], v[196:197], v[244:245], v[134:135] op_sel_hi:[0,1,1] neg_lo:[1,0,0] neg_hi:[1,0,0]
	s_waitcnt vmcnt(31)
	v_pk_fma_f32 v[160:161], v[196:197], v[246:247], v[160:161] op_sel_hi:[0,1,1] neg_lo:[1,0,0] neg_hi:[1,0,0]
	ds_read2_b64 v[240:243], v197 offset0:27 offset1:28
	ds_read2_b64 v[244:247], v197 offset0:29 offset1:30
	ds_read_b64 v[198:199], v197 offset:248
	s_waitcnt vmcnt(29) lgkmcnt(3)
	v_pk_fma_f32 v[132:133], v[196:197], v[248:249], v[132:133] op_sel_hi:[0,1,1] neg_lo:[1,0,0] neg_hi:[1,0,0]
	s_waitcnt vmcnt(27)
	v_pk_fma_f32 v[158:159], v[196:197], v[250:251], v[158:159] op_sel_hi:[0,1,1] neg_lo:[1,0,0] neg_hi:[1,0,0]
	s_waitcnt vmcnt(25) lgkmcnt(2)
	v_pk_fma_f32 v[130:131], v[196:197], v[240:241], v[130:131] op_sel_hi:[0,1,1] neg_lo:[1,0,0] neg_hi:[1,0,0]
	s_waitcnt vmcnt(23)
	v_pk_fma_f32 v[156:157], v[196:197], v[242:243], v[156:157] op_sel_hi:[0,1,1] neg_lo:[1,0,0] neg_hi:[1,0,0]
	;; [unrolled: 4-line block ×3, first 2 shown]
	s_waitcnt vmcnt(17) lgkmcnt(0)
	v_pk_fma_f32 v[182:183], v[196:197], v[198:199], v[182:183] op_sel_hi:[0,1,1] neg_lo:[1,0,0] neg_hi:[1,0,0]
.LBB127_230:
	s_or_b64 exec, exec, s[2:3]
	v_cmp_eq_u32_e32 vcc, 42, v193
	s_waitcnt lgkmcnt(0)
	s_barrier
	s_and_saveexec_b64 s[2:3], vcc
	s_cbranch_execz .LBB127_233
; %bb.231:
	s_waitcnt vmcnt(35)
	v_pk_mov_b32 v[198:199], v[136:137], v[162:163] op_sel:[1,0]
	ds_write_b32 v195, v136
	ds_write2_b32 v197, v198, v199 offset0:43 offset1:44
	s_waitcnt vmcnt(33)
	v_pk_mov_b32 v[198:199], v[162:163], v[134:135] op_sel:[1,0]
	ds_write2_b32 v197, v198, v199 offset0:45 offset1:46
	s_waitcnt vmcnt(31)
	v_pk_mov_b32 v[198:199], v[134:135], v[160:161] op_sel:[1,0]
	;; [unrolled: 3-line block ×9, first 2 shown]
	ds_write2_b32 v197, v198, v199 offset0:61 offset1:62
	ds_write_b32 v197, v183 offset:252
	ds_read_b32 v196, v195
	s_waitcnt lgkmcnt(0)
	v_cmp_neq_f32_e32 vcc, 0, v196
	s_and_b64 exec, exec, vcc
	s_cbranch_execz .LBB127_233
; %bb.232:
	v_div_scale_f32 v198, s[4:5], v196, v196, 1.0
	v_rcp_f32_e32 v199, v198
	v_div_scale_f32 v200, vcc, 1.0, v196, 1.0
	v_fma_f32 v201, -v198, v199, 1.0
	v_fmac_f32_e32 v199, v201, v199
	v_mul_f32_e32 v201, v200, v199
	v_fma_f32 v202, -v198, v201, v200
	v_fmac_f32_e32 v201, v202, v199
	v_fma_f32 v198, -v198, v201, v200
	v_div_fmas_f32 v198, v198, v199, v201
	v_div_fixup_f32 v196, v198, v196, 1.0
	ds_write_b32 v195, v196
.LBB127_233:
	s_or_b64 exec, exec, s[2:3]
	s_waitcnt lgkmcnt(0)
	s_barrier
	ds_read_b32 v239, v195
	v_cmp_lt_u32_e32 vcc, 42, v193
	s_and_saveexec_b64 s[2:3], vcc
	s_cbranch_execz .LBB127_235
; %bb.234:
	ds_read_b32 v196, v197 offset:172
	ds_read2_b64 v[240:243], v197 offset0:22 offset1:23
	ds_read2_b64 v[244:247], v197 offset0:24 offset1:25
	s_waitcnt vmcnt(38) lgkmcnt(3)
	v_mul_f32_e32 v136, v239, v136
	ds_read2_b64 v[248:251], v197 offset0:28 offset1:29
	s_waitcnt vmcnt(37) lgkmcnt(3)
	v_fma_f32 v137, -v136, v196, v137
	s_waitcnt vmcnt(35) lgkmcnt(2)
	v_pk_fma_f32 v[162:163], v[136:137], v[240:241], v[162:163] op_sel_hi:[0,1,1] neg_lo:[1,0,0] neg_hi:[1,0,0]
	s_waitcnt vmcnt(33)
	v_pk_fma_f32 v[134:135], v[136:137], v[242:243], v[134:135] op_sel_hi:[0,1,1] neg_lo:[1,0,0] neg_hi:[1,0,0]
	ds_read2_b64 v[240:243], v197 offset0:26 offset1:27
	s_waitcnt vmcnt(31) lgkmcnt(2)
	v_pk_fma_f32 v[160:161], v[136:137], v[244:245], v[160:161] op_sel_hi:[0,1,1] neg_lo:[1,0,0] neg_hi:[1,0,0]
	s_waitcnt vmcnt(29)
	v_pk_fma_f32 v[132:133], v[136:137], v[246:247], v[132:133] op_sel_hi:[0,1,1] neg_lo:[1,0,0] neg_hi:[1,0,0]
	ds_read2_b64 v[244:247], v197 offset0:30 offset1:31
	s_waitcnt vmcnt(23) lgkmcnt(2)
	v_pk_fma_f32 v[156:157], v[136:137], v[248:249], v[156:157] op_sel_hi:[0,1,1] neg_lo:[1,0,0] neg_hi:[1,0,0]
	s_waitcnt lgkmcnt(1)
	v_pk_fma_f32 v[158:159], v[136:137], v[240:241], v[158:159] op_sel_hi:[0,1,1] neg_lo:[1,0,0] neg_hi:[1,0,0]
	v_pk_fma_f32 v[130:131], v[136:137], v[242:243], v[130:131] op_sel_hi:[0,1,1] neg_lo:[1,0,0] neg_hi:[1,0,0]
	s_waitcnt vmcnt(21)
	v_pk_fma_f32 v[128:129], v[136:137], v[250:251], v[128:129] op_sel_hi:[0,1,1] neg_lo:[1,0,0] neg_hi:[1,0,0]
	s_waitcnt vmcnt(19) lgkmcnt(0)
	v_pk_fma_f32 v[154:155], v[136:137], v[244:245], v[154:155] op_sel_hi:[0,1,1] neg_lo:[1,0,0] neg_hi:[1,0,0]
	s_waitcnt vmcnt(17)
	v_pk_fma_f32 v[182:183], v[136:137], v[246:247], v[182:183] op_sel_hi:[0,1,1] neg_lo:[1,0,0] neg_hi:[1,0,0]
.LBB127_235:
	s_or_b64 exec, exec, s[2:3]
	v_cmp_ne_u32_e32 vcc, 43, v193
	s_waitcnt lgkmcnt(0)
	s_barrier
	s_and_saveexec_b64 s[2:3], vcc
	s_xor_b64 s[2:3], exec, s[2:3]
	s_andn2_saveexec_b64 s[2:3], s[2:3]
	s_cbranch_execz .LBB127_239
; %bb.236:
	s_waitcnt vmcnt(36)
	v_mov_b32_e32 v198, v162
	s_waitcnt vmcnt(35)
	v_mov_b32_e32 v199, v163
	s_waitcnt vmcnt(34)
	v_mov_b32_e32 v200, v134
	s_waitcnt vmcnt(33)
	v_mov_b32_e32 v201, v135
	ds_write_b32 v195, v137
	ds_write2_b64 v197, v[198:199], v[200:201] offset0:22 offset1:23
	s_waitcnt vmcnt(32)
	v_mov_b32_e32 v198, v160
	s_waitcnt vmcnt(31)
	v_mov_b32_e32 v199, v161
	s_waitcnt vmcnt(30)
	v_mov_b32_e32 v200, v132
	s_waitcnt vmcnt(29)
	v_mov_b32_e32 v201, v133
	ds_write2_b64 v197, v[198:199], v[200:201] offset0:24 offset1:25
	s_waitcnt vmcnt(28)
	v_mov_b32_e32 v198, v158
	s_waitcnt vmcnt(27)
	v_mov_b32_e32 v199, v159
	s_waitcnt vmcnt(26)
	v_mov_b32_e32 v200, v130
	s_waitcnt vmcnt(25)
	v_mov_b32_e32 v201, v131
	;; [unrolled: 9-line block ×3, first 2 shown]
	ds_write2_b64 v197, v[198:199], v[200:201] offset0:28 offset1:29
	s_waitcnt vmcnt(20)
	v_mov_b32_e32 v198, v154
	s_waitcnt vmcnt(19)
	v_mov_b32_e32 v199, v155
	s_waitcnt vmcnt(17)
	ds_write2_b64 v197, v[198:199], v[182:183] offset0:30 offset1:31
	ds_read_b32 v196, v195
	s_waitcnt lgkmcnt(0)
	v_cmp_neq_f32_e32 vcc, 0, v196
	s_and_saveexec_b64 s[4:5], vcc
	s_cbranch_execz .LBB127_238
; %bb.237:
	v_div_scale_f32 v198, s[10:11], v196, v196, 1.0
	v_rcp_f32_e32 v199, v198
	v_div_scale_f32 v200, vcc, 1.0, v196, 1.0
	v_fma_f32 v201, -v198, v199, 1.0
	v_fmac_f32_e32 v199, v201, v199
	v_mul_f32_e32 v201, v200, v199
	v_fma_f32 v202, -v198, v201, v200
	v_fmac_f32_e32 v201, v202, v199
	v_fma_f32 v198, -v198, v201, v200
	v_div_fmas_f32 v198, v198, v199, v201
	v_div_fixup_f32 v196, v198, v196, 1.0
	ds_write_b32 v195, v196
.LBB127_238:
	s_or_b64 exec, exec, s[4:5]
.LBB127_239:
	s_or_b64 exec, exec, s[2:3]
	s_waitcnt lgkmcnt(0)
	s_barrier
	ds_read_b32 v240, v195
	v_cmp_lt_u32_e32 vcc, 43, v193
	s_and_saveexec_b64 s[2:3], vcc
	s_cbranch_execz .LBB127_241
; %bb.240:
	ds_read2_b64 v[242:245], v197 offset0:22 offset1:23
	ds_read2_b64 v[246:249], v197 offset0:24 offset1:25
	s_waitcnt vmcnt(37) lgkmcnt(2)
	v_mul_f32_e32 v196, v240, v137
	ds_read2_b64 v[250:253], v197 offset0:26 offset1:27
	v_mov_b32_e32 v137, v196
	s_waitcnt vmcnt(35) lgkmcnt(2)
	v_pk_fma_f32 v[162:163], v[196:197], v[242:243], v[162:163] op_sel_hi:[0,1,1] neg_lo:[1,0,0] neg_hi:[1,0,0]
	s_waitcnt vmcnt(33)
	v_pk_fma_f32 v[134:135], v[196:197], v[244:245], v[134:135] op_sel_hi:[0,1,1] neg_lo:[1,0,0] neg_hi:[1,0,0]
	s_waitcnt vmcnt(31) lgkmcnt(1)
	v_pk_fma_f32 v[160:161], v[196:197], v[246:247], v[160:161] op_sel_hi:[0,1,1] neg_lo:[1,0,0] neg_hi:[1,0,0]
	ds_read2_b64 v[242:245], v197 offset0:28 offset1:29
	s_waitcnt vmcnt(29)
	v_pk_fma_f32 v[132:133], v[196:197], v[248:249], v[132:133] op_sel_hi:[0,1,1] neg_lo:[1,0,0] neg_hi:[1,0,0]
	ds_read2_b64 v[246:249], v197 offset0:30 offset1:31
	s_waitcnt vmcnt(27) lgkmcnt(2)
	v_pk_fma_f32 v[158:159], v[196:197], v[250:251], v[158:159] op_sel_hi:[0,1,1] neg_lo:[1,0,0] neg_hi:[1,0,0]
	s_waitcnt vmcnt(25)
	v_pk_fma_f32 v[130:131], v[196:197], v[252:253], v[130:131] op_sel_hi:[0,1,1] neg_lo:[1,0,0] neg_hi:[1,0,0]
	s_waitcnt vmcnt(23) lgkmcnt(1)
	v_pk_fma_f32 v[156:157], v[196:197], v[242:243], v[156:157] op_sel_hi:[0,1,1] neg_lo:[1,0,0] neg_hi:[1,0,0]
	s_waitcnt vmcnt(21)
	v_pk_fma_f32 v[128:129], v[196:197], v[244:245], v[128:129] op_sel_hi:[0,1,1] neg_lo:[1,0,0] neg_hi:[1,0,0]
	;; [unrolled: 4-line block ×3, first 2 shown]
.LBB127_241:
	s_or_b64 exec, exec, s[2:3]
	v_cmp_eq_u32_e32 vcc, 44, v193
	s_waitcnt lgkmcnt(0)
	s_barrier
	s_and_saveexec_b64 s[2:3], vcc
	s_cbranch_execz .LBB127_244
; %bb.242:
	s_waitcnt vmcnt(33)
	v_pk_mov_b32 v[198:199], v[162:163], v[134:135] op_sel:[1,0]
	ds_write_b32 v195, v162
	ds_write2_b32 v197, v198, v199 offset0:45 offset1:46
	s_waitcnt vmcnt(31)
	v_pk_mov_b32 v[198:199], v[134:135], v[160:161] op_sel:[1,0]
	ds_write2_b32 v197, v198, v199 offset0:47 offset1:48
	s_waitcnt vmcnt(29)
	v_pk_mov_b32 v[198:199], v[160:161], v[132:133] op_sel:[1,0]
	;; [unrolled: 3-line block ×8, first 2 shown]
	ds_write2_b32 v197, v198, v199 offset0:61 offset1:62
	ds_write_b32 v197, v183 offset:252
	ds_read_b32 v196, v195
	s_waitcnt lgkmcnt(0)
	v_cmp_neq_f32_e32 vcc, 0, v196
	s_and_b64 exec, exec, vcc
	s_cbranch_execz .LBB127_244
; %bb.243:
	v_div_scale_f32 v198, s[4:5], v196, v196, 1.0
	v_rcp_f32_e32 v199, v198
	v_div_scale_f32 v200, vcc, 1.0, v196, 1.0
	v_fma_f32 v201, -v198, v199, 1.0
	v_fmac_f32_e32 v199, v201, v199
	v_mul_f32_e32 v201, v200, v199
	v_fma_f32 v202, -v198, v201, v200
	v_fmac_f32_e32 v201, v202, v199
	v_fma_f32 v198, -v198, v201, v200
	v_div_fmas_f32 v198, v198, v199, v201
	v_div_fixup_f32 v196, v198, v196, 1.0
	ds_write_b32 v195, v196
.LBB127_244:
	s_or_b64 exec, exec, s[2:3]
	s_waitcnt lgkmcnt(0)
	s_barrier
	ds_read_b32 v241, v195
	v_cmp_lt_u32_e32 vcc, 44, v193
	s_and_saveexec_b64 s[2:3], vcc
	s_cbranch_execz .LBB127_246
; %bb.245:
	ds_read_b32 v196, v197 offset:180
	ds_read2_b64 v[242:245], v197 offset0:23 offset1:24
	s_waitcnt vmcnt(36) lgkmcnt(2)
	v_mul_f32_e32 v162, v241, v162
	ds_read2_b64 v[246:249], v197 offset0:25 offset1:26
	ds_read2_b64 v[250:253], v197 offset0:29 offset1:30
	ds_read_b64 v[198:199], v197 offset:248
	s_waitcnt vmcnt(35) lgkmcnt(4)
	v_fma_f32 v163, -v162, v196, v163
	s_waitcnt vmcnt(33) lgkmcnt(3)
	v_pk_fma_f32 v[134:135], v[162:163], v[242:243], v[134:135] op_sel_hi:[0,1,1] neg_lo:[1,0,0] neg_hi:[1,0,0]
	s_waitcnt vmcnt(31)
	v_pk_fma_f32 v[160:161], v[162:163], v[244:245], v[160:161] op_sel_hi:[0,1,1] neg_lo:[1,0,0] neg_hi:[1,0,0]
	ds_read2_b64 v[242:245], v197 offset0:27 offset1:28
	s_waitcnt vmcnt(29) lgkmcnt(3)
	v_pk_fma_f32 v[132:133], v[162:163], v[246:247], v[132:133] op_sel_hi:[0,1,1] neg_lo:[1,0,0] neg_hi:[1,0,0]
	s_waitcnt vmcnt(27)
	v_pk_fma_f32 v[158:159], v[162:163], v[248:249], v[158:159] op_sel_hi:[0,1,1] neg_lo:[1,0,0] neg_hi:[1,0,0]
	s_waitcnt vmcnt(21) lgkmcnt(2)
	v_pk_fma_f32 v[128:129], v[162:163], v[250:251], v[128:129] op_sel_hi:[0,1,1] neg_lo:[1,0,0] neg_hi:[1,0,0]
	s_waitcnt vmcnt(19)
	v_pk_fma_f32 v[154:155], v[162:163], v[252:253], v[154:155] op_sel_hi:[0,1,1] neg_lo:[1,0,0] neg_hi:[1,0,0]
	s_waitcnt lgkmcnt(0)
	v_pk_fma_f32 v[130:131], v[162:163], v[242:243], v[130:131] op_sel_hi:[0,1,1] neg_lo:[1,0,0] neg_hi:[1,0,0]
	v_pk_fma_f32 v[156:157], v[162:163], v[244:245], v[156:157] op_sel_hi:[0,1,1] neg_lo:[1,0,0] neg_hi:[1,0,0]
	s_waitcnt vmcnt(17)
	v_pk_fma_f32 v[182:183], v[162:163], v[198:199], v[182:183] op_sel_hi:[0,1,1] neg_lo:[1,0,0] neg_hi:[1,0,0]
.LBB127_246:
	s_or_b64 exec, exec, s[2:3]
	v_cmp_ne_u32_e32 vcc, 45, v193
	s_waitcnt lgkmcnt(0)
	s_barrier
	s_and_saveexec_b64 s[2:3], vcc
	s_xor_b64 s[2:3], exec, s[2:3]
	s_andn2_saveexec_b64 s[2:3], s[2:3]
	s_cbranch_execz .LBB127_250
; %bb.247:
	s_waitcnt vmcnt(35)
	ds_write_b32 v195, v163
	s_waitcnt vmcnt(31)
	ds_write2_b64 v197, v[134:135], v[160:161] offset0:23 offset1:24
	s_waitcnt vmcnt(27)
	ds_write2_b64 v197, v[132:133], v[158:159] offset0:25 offset1:26
	;; [unrolled: 2-line block ×4, first 2 shown]
	s_waitcnt vmcnt(17)
	ds_write_b64 v197, v[182:183] offset:248
	ds_read_b32 v196, v195
	s_waitcnt lgkmcnt(0)
	v_cmp_neq_f32_e32 vcc, 0, v196
	s_and_saveexec_b64 s[4:5], vcc
	s_cbranch_execz .LBB127_249
; %bb.248:
	v_div_scale_f32 v198, s[10:11], v196, v196, 1.0
	v_rcp_f32_e32 v199, v198
	v_div_scale_f32 v200, vcc, 1.0, v196, 1.0
	v_fma_f32 v201, -v198, v199, 1.0
	v_fmac_f32_e32 v199, v201, v199
	v_mul_f32_e32 v201, v200, v199
	v_fma_f32 v202, -v198, v201, v200
	v_fmac_f32_e32 v201, v202, v199
	v_fma_f32 v198, -v198, v201, v200
	v_div_fmas_f32 v198, v198, v199, v201
	v_div_fixup_f32 v196, v198, v196, 1.0
	ds_write_b32 v195, v196
.LBB127_249:
	s_or_b64 exec, exec, s[4:5]
.LBB127_250:
	s_or_b64 exec, exec, s[2:3]
	s_waitcnt lgkmcnt(0)
	s_barrier
	ds_read_b32 v242, v195
	v_cmp_lt_u32_e32 vcc, 45, v193
	s_and_saveexec_b64 s[2:3], vcc
	s_cbranch_execz .LBB127_252
; %bb.251:
	ds_read2_b64 v[244:247], v197 offset0:23 offset1:24
	ds_read2_b64 v[248:251], v197 offset0:25 offset1:26
	s_waitcnt vmcnt(35) lgkmcnt(2)
	v_mul_f32_e32 v196, v242, v163
	ds_read2_b64 v[252:255], v197 offset0:27 offset1:28
	ds_read_b64 v[198:199], v197 offset:248
	s_waitcnt vmcnt(33) lgkmcnt(3)
	v_pk_fma_f32 v[134:135], v[196:197], v[244:245], v[134:135] op_sel_hi:[0,1,1] neg_lo:[1,0,0] neg_hi:[1,0,0]
	s_waitcnt vmcnt(31)
	v_pk_fma_f32 v[160:161], v[196:197], v[246:247], v[160:161] op_sel_hi:[0,1,1] neg_lo:[1,0,0] neg_hi:[1,0,0]
	ds_read2_b64 v[244:247], v197 offset0:29 offset1:30
	s_waitcnt vmcnt(29) lgkmcnt(3)
	v_pk_fma_f32 v[132:133], v[196:197], v[248:249], v[132:133] op_sel_hi:[0,1,1] neg_lo:[1,0,0] neg_hi:[1,0,0]
	s_waitcnt vmcnt(27)
	v_pk_fma_f32 v[158:159], v[196:197], v[250:251], v[158:159] op_sel_hi:[0,1,1] neg_lo:[1,0,0] neg_hi:[1,0,0]
	s_waitcnt vmcnt(25) lgkmcnt(2)
	v_pk_fma_f32 v[130:131], v[196:197], v[252:253], v[130:131] op_sel_hi:[0,1,1] neg_lo:[1,0,0] neg_hi:[1,0,0]
	s_waitcnt vmcnt(23)
	v_pk_fma_f32 v[156:157], v[196:197], v[254:255], v[156:157] op_sel_hi:[0,1,1] neg_lo:[1,0,0] neg_hi:[1,0,0]
	;; [unrolled: 4-line block ×3, first 2 shown]
	s_waitcnt vmcnt(17)
	v_pk_fma_f32 v[182:183], v[196:197], v[198:199], v[182:183] op_sel_hi:[0,1,1] neg_lo:[1,0,0] neg_hi:[1,0,0]
	v_mov_b32_e32 v163, v196
.LBB127_252:
	s_or_b64 exec, exec, s[2:3]
	v_cmp_eq_u32_e32 vcc, 46, v193
	s_waitcnt lgkmcnt(0)
	s_barrier
	s_and_saveexec_b64 s[2:3], vcc
	s_cbranch_execz .LBB127_255
; %bb.253:
	s_waitcnt vmcnt(31)
	v_pk_mov_b32 v[198:199], v[134:135], v[160:161] op_sel:[1,0]
	ds_write_b32 v195, v134
	ds_write2_b32 v197, v198, v199 offset0:47 offset1:48
	s_waitcnt vmcnt(29)
	v_pk_mov_b32 v[198:199], v[160:161], v[132:133] op_sel:[1,0]
	ds_write2_b32 v197, v198, v199 offset0:49 offset1:50
	s_waitcnt vmcnt(27)
	v_pk_mov_b32 v[198:199], v[132:133], v[158:159] op_sel:[1,0]
	;; [unrolled: 3-line block ×7, first 2 shown]
	ds_write2_b32 v197, v198, v199 offset0:61 offset1:62
	ds_write_b32 v197, v183 offset:252
	ds_read_b32 v196, v195
	s_waitcnt lgkmcnt(0)
	v_cmp_neq_f32_e32 vcc, 0, v196
	s_and_b64 exec, exec, vcc
	s_cbranch_execz .LBB127_255
; %bb.254:
	v_div_scale_f32 v198, s[4:5], v196, v196, 1.0
	v_rcp_f32_e32 v199, v198
	v_div_scale_f32 v200, vcc, 1.0, v196, 1.0
	v_fma_f32 v201, -v198, v199, 1.0
	v_fmac_f32_e32 v199, v201, v199
	v_mul_f32_e32 v201, v200, v199
	v_fma_f32 v202, -v198, v201, v200
	v_fmac_f32_e32 v201, v202, v199
	v_fma_f32 v198, -v198, v201, v200
	v_div_fmas_f32 v198, v198, v199, v201
	v_div_fixup_f32 v196, v198, v196, 1.0
	ds_write_b32 v195, v196
.LBB127_255:
	s_or_b64 exec, exec, s[2:3]
	s_waitcnt lgkmcnt(0)
	s_barrier
	ds_read_b32 v243, v195
	v_cmp_lt_u32_e32 vcc, 46, v193
	s_and_saveexec_b64 s[2:3], vcc
	s_cbranch_execz .LBB127_257
; %bb.256:
	ds_read_b32 v196, v197 offset:188
	ds_read2_b64 v[244:247], v197 offset0:24 offset1:25
	s_waitcnt vmcnt(34) lgkmcnt(2)
	v_mul_f32_e32 v134, v243, v134
	s_waitcnt vmcnt(33) lgkmcnt(1)
	v_fma_f32 v135, -v134, v196, v135
	s_waitcnt vmcnt(31) lgkmcnt(0)
	v_pk_fma_f32 v[160:161], v[134:135], v[244:245], v[160:161] op_sel_hi:[0,1,1] neg_lo:[1,0,0] neg_hi:[1,0,0]
	s_waitcnt vmcnt(29)
	v_pk_fma_f32 v[132:133], v[134:135], v[246:247], v[132:133] op_sel_hi:[0,1,1] neg_lo:[1,0,0] neg_hi:[1,0,0]
	ds_read2_b64 v[244:247], v197 offset0:26 offset1:27
	s_waitcnt vmcnt(27) lgkmcnt(0)
	v_pk_fma_f32 v[158:159], v[134:135], v[244:245], v[158:159] op_sel_hi:[0,1,1] neg_lo:[1,0,0] neg_hi:[1,0,0]
	s_waitcnt vmcnt(25)
	v_pk_fma_f32 v[130:131], v[134:135], v[246:247], v[130:131] op_sel_hi:[0,1,1] neg_lo:[1,0,0] neg_hi:[1,0,0]
	ds_read2_b64 v[244:247], v197 offset0:28 offset1:29
	;; [unrolled: 5-line block ×3, first 2 shown]
	s_waitcnt vmcnt(19) lgkmcnt(0)
	v_pk_fma_f32 v[154:155], v[134:135], v[244:245], v[154:155] op_sel_hi:[0,1,1] neg_lo:[1,0,0] neg_hi:[1,0,0]
	s_waitcnt vmcnt(17)
	v_pk_fma_f32 v[182:183], v[134:135], v[246:247], v[182:183] op_sel_hi:[0,1,1] neg_lo:[1,0,0] neg_hi:[1,0,0]
.LBB127_257:
	s_or_b64 exec, exec, s[2:3]
	v_cmp_ne_u32_e32 vcc, 47, v193
	s_waitcnt lgkmcnt(0)
	s_barrier
	s_and_saveexec_b64 s[2:3], vcc
	s_xor_b64 s[2:3], exec, s[2:3]
	s_andn2_saveexec_b64 s[2:3], s[2:3]
	s_cbranch_execz .LBB127_261
; %bb.258:
	s_waitcnt vmcnt(32)
	v_mov_b32_e32 v198, v160
	s_waitcnt vmcnt(31)
	v_mov_b32_e32 v199, v161
	;; [unrolled: 2-line block ×4, first 2 shown]
	ds_write_b32 v195, v135
	ds_write2_b64 v197, v[198:199], v[200:201] offset0:24 offset1:25
	s_waitcnt vmcnt(28)
	v_mov_b32_e32 v198, v158
	s_waitcnt vmcnt(27)
	v_mov_b32_e32 v199, v159
	;; [unrolled: 2-line block ×4, first 2 shown]
	ds_write2_b64 v197, v[198:199], v[200:201] offset0:26 offset1:27
	s_waitcnt vmcnt(24)
	v_mov_b32_e32 v198, v156
	s_waitcnt vmcnt(23)
	v_mov_b32_e32 v199, v157
	;; [unrolled: 2-line block ×4, first 2 shown]
	ds_write2_b64 v197, v[198:199], v[200:201] offset0:28 offset1:29
	s_waitcnt vmcnt(20)
	v_mov_b32_e32 v198, v154
	s_waitcnt vmcnt(19)
	v_mov_b32_e32 v199, v155
	s_waitcnt vmcnt(17)
	ds_write2_b64 v197, v[198:199], v[182:183] offset0:30 offset1:31
	ds_read_b32 v196, v195
	s_waitcnt lgkmcnt(0)
	v_cmp_neq_f32_e32 vcc, 0, v196
	s_and_saveexec_b64 s[4:5], vcc
	s_cbranch_execz .LBB127_260
; %bb.259:
	v_div_scale_f32 v198, s[10:11], v196, v196, 1.0
	v_rcp_f32_e32 v199, v198
	v_div_scale_f32 v200, vcc, 1.0, v196, 1.0
	v_fma_f32 v201, -v198, v199, 1.0
	v_fmac_f32_e32 v199, v201, v199
	v_mul_f32_e32 v201, v200, v199
	v_fma_f32 v202, -v198, v201, v200
	v_fmac_f32_e32 v201, v202, v199
	v_fma_f32 v198, -v198, v201, v200
	v_div_fmas_f32 v198, v198, v199, v201
	v_div_fixup_f32 v196, v198, v196, 1.0
	ds_write_b32 v195, v196
.LBB127_260:
	s_or_b64 exec, exec, s[4:5]
.LBB127_261:
	s_or_b64 exec, exec, s[2:3]
	s_waitcnt lgkmcnt(0)
	s_barrier
	ds_read_b32 v244, v195
	v_cmp_lt_u32_e32 vcc, 47, v193
	s_and_saveexec_b64 s[2:3], vcc
	s_cbranch_execz .LBB127_263
; %bb.262:
	ds_read2_b64 v[246:249], v197 offset0:24 offset1:25
	s_waitcnt vmcnt(33) lgkmcnt(1)
	v_mul_f32_e32 v196, v244, v135
	v_mov_b32_e32 v135, v196
	s_waitcnt vmcnt(31) lgkmcnt(0)
	v_pk_fma_f32 v[160:161], v[196:197], v[246:247], v[160:161] op_sel_hi:[0,1,1] neg_lo:[1,0,0] neg_hi:[1,0,0]
	s_waitcnt vmcnt(29)
	v_pk_fma_f32 v[132:133], v[196:197], v[248:249], v[132:133] op_sel_hi:[0,1,1] neg_lo:[1,0,0] neg_hi:[1,0,0]
	ds_read2_b64 v[246:249], v197 offset0:26 offset1:27
	s_waitcnt vmcnt(27) lgkmcnt(0)
	v_pk_fma_f32 v[158:159], v[196:197], v[246:247], v[158:159] op_sel_hi:[0,1,1] neg_lo:[1,0,0] neg_hi:[1,0,0]
	s_waitcnt vmcnt(25)
	v_pk_fma_f32 v[130:131], v[196:197], v[248:249], v[130:131] op_sel_hi:[0,1,1] neg_lo:[1,0,0] neg_hi:[1,0,0]
	ds_read2_b64 v[246:249], v197 offset0:28 offset1:29
	;; [unrolled: 5-line block ×3, first 2 shown]
	s_waitcnt vmcnt(19) lgkmcnt(0)
	v_pk_fma_f32 v[154:155], v[196:197], v[246:247], v[154:155] op_sel_hi:[0,1,1] neg_lo:[1,0,0] neg_hi:[1,0,0]
	s_waitcnt vmcnt(17)
	v_pk_fma_f32 v[182:183], v[196:197], v[248:249], v[182:183] op_sel_hi:[0,1,1] neg_lo:[1,0,0] neg_hi:[1,0,0]
.LBB127_263:
	s_or_b64 exec, exec, s[2:3]
	v_cmp_eq_u32_e32 vcc, 48, v193
	s_waitcnt lgkmcnt(0)
	s_barrier
	s_and_saveexec_b64 s[2:3], vcc
	s_cbranch_execz .LBB127_266
; %bb.264:
	s_waitcnt vmcnt(29)
	v_pk_mov_b32 v[198:199], v[160:161], v[132:133] op_sel:[1,0]
	ds_write_b32 v195, v160
	ds_write2_b32 v197, v198, v199 offset0:49 offset1:50
	s_waitcnt vmcnt(27)
	v_pk_mov_b32 v[198:199], v[132:133], v[158:159] op_sel:[1,0]
	ds_write2_b32 v197, v198, v199 offset0:51 offset1:52
	s_waitcnt vmcnt(25)
	v_pk_mov_b32 v[198:199], v[158:159], v[130:131] op_sel:[1,0]
	;; [unrolled: 3-line block ×6, first 2 shown]
	ds_write2_b32 v197, v198, v199 offset0:61 offset1:62
	ds_write_b32 v197, v183 offset:252
	ds_read_b32 v196, v195
	s_waitcnt lgkmcnt(0)
	v_cmp_neq_f32_e32 vcc, 0, v196
	s_and_b64 exec, exec, vcc
	s_cbranch_execz .LBB127_266
; %bb.265:
	v_div_scale_f32 v198, s[4:5], v196, v196, 1.0
	v_rcp_f32_e32 v199, v198
	v_div_scale_f32 v200, vcc, 1.0, v196, 1.0
	v_fma_f32 v201, -v198, v199, 1.0
	v_fmac_f32_e32 v199, v201, v199
	v_mul_f32_e32 v201, v200, v199
	v_fma_f32 v202, -v198, v201, v200
	v_fmac_f32_e32 v201, v202, v199
	v_fma_f32 v198, -v198, v201, v200
	v_div_fmas_f32 v198, v198, v199, v201
	v_div_fixup_f32 v196, v198, v196, 1.0
	ds_write_b32 v195, v196
.LBB127_266:
	s_or_b64 exec, exec, s[2:3]
	s_waitcnt lgkmcnt(0)
	s_barrier
	ds_read_b32 v245, v195
	v_cmp_lt_u32_e32 vcc, 48, v193
	s_and_saveexec_b64 s[2:3], vcc
	s_cbranch_execz .LBB127_268
; %bb.267:
	ds_read_b32 v196, v197 offset:196
	ds_read_b64 v[198:199], v197 offset:248
	ds_read2_b64 v[246:249], v197 offset0:25 offset1:26
	s_waitcnt vmcnt(32) lgkmcnt(3)
	v_mul_f32_e32 v160, v245, v160
	s_waitcnt vmcnt(31) lgkmcnt(2)
	v_fma_f32 v161, -v160, v196, v161
	s_waitcnt vmcnt(17) lgkmcnt(1)
	v_pk_fma_f32 v[182:183], v[160:161], v[198:199], v[182:183] op_sel_hi:[0,1,1] neg_lo:[1,0,0] neg_hi:[1,0,0]
	s_waitcnt lgkmcnt(0)
	v_pk_fma_f32 v[132:133], v[160:161], v[246:247], v[132:133] op_sel_hi:[0,1,1] neg_lo:[1,0,0] neg_hi:[1,0,0]
	v_pk_fma_f32 v[158:159], v[160:161], v[248:249], v[158:159] op_sel_hi:[0,1,1] neg_lo:[1,0,0] neg_hi:[1,0,0]
	ds_read2_b64 v[246:249], v197 offset0:27 offset1:28
	s_waitcnt lgkmcnt(0)
	v_pk_fma_f32 v[130:131], v[160:161], v[246:247], v[130:131] op_sel_hi:[0,1,1] neg_lo:[1,0,0] neg_hi:[1,0,0]
	v_pk_fma_f32 v[156:157], v[160:161], v[248:249], v[156:157] op_sel_hi:[0,1,1] neg_lo:[1,0,0] neg_hi:[1,0,0]
	ds_read2_b64 v[246:249], v197 offset0:29 offset1:30
	s_waitcnt lgkmcnt(0)
	v_pk_fma_f32 v[128:129], v[160:161], v[246:247], v[128:129] op_sel_hi:[0,1,1] neg_lo:[1,0,0] neg_hi:[1,0,0]
	v_pk_fma_f32 v[154:155], v[160:161], v[248:249], v[154:155] op_sel_hi:[0,1,1] neg_lo:[1,0,0] neg_hi:[1,0,0]
.LBB127_268:
	s_or_b64 exec, exec, s[2:3]
	v_cmp_ne_u32_e32 vcc, 49, v193
	s_waitcnt lgkmcnt(0)
	s_barrier
	s_and_saveexec_b64 s[2:3], vcc
	s_xor_b64 s[2:3], exec, s[2:3]
	s_andn2_saveexec_b64 s[2:3], s[2:3]
	s_cbranch_execz .LBB127_272
; %bb.269:
	s_waitcnt vmcnt(31)
	ds_write_b32 v195, v161
	s_waitcnt vmcnt(27)
	ds_write2_b64 v197, v[132:133], v[158:159] offset0:25 offset1:26
	s_waitcnt vmcnt(23)
	ds_write2_b64 v197, v[130:131], v[156:157] offset0:27 offset1:28
	;; [unrolled: 2-line block ×3, first 2 shown]
	s_waitcnt vmcnt(17)
	ds_write_b64 v197, v[182:183] offset:248
	ds_read_b32 v196, v195
	s_waitcnt lgkmcnt(0)
	v_cmp_neq_f32_e32 vcc, 0, v196
	s_and_saveexec_b64 s[4:5], vcc
	s_cbranch_execz .LBB127_271
; %bb.270:
	v_div_scale_f32 v198, s[10:11], v196, v196, 1.0
	v_rcp_f32_e32 v199, v198
	v_div_scale_f32 v200, vcc, 1.0, v196, 1.0
	v_fma_f32 v201, -v198, v199, 1.0
	v_fmac_f32_e32 v199, v201, v199
	v_mul_f32_e32 v201, v200, v199
	v_fma_f32 v202, -v198, v201, v200
	v_fmac_f32_e32 v201, v202, v199
	v_fma_f32 v198, -v198, v201, v200
	v_div_fmas_f32 v198, v198, v199, v201
	v_div_fixup_f32 v196, v198, v196, 1.0
	ds_write_b32 v195, v196
.LBB127_271:
	s_or_b64 exec, exec, s[4:5]
.LBB127_272:
	s_or_b64 exec, exec, s[2:3]
	s_waitcnt lgkmcnt(0)
	s_barrier
	ds_read_b32 v246, v195
	v_cmp_lt_u32_e32 vcc, 49, v193
	s_and_saveexec_b64 s[2:3], vcc
	s_cbranch_execz .LBB127_274
; %bb.273:
	ds_read2_b64 v[248:251], v197 offset0:25 offset1:26
	ds_read_b64 v[198:199], v197 offset:248
	s_waitcnt vmcnt(31) lgkmcnt(2)
	v_mul_f32_e32 v196, v246, v161
	v_mov_b32_e32 v161, v196
	s_waitcnt vmcnt(29) lgkmcnt(1)
	v_pk_fma_f32 v[132:133], v[196:197], v[248:249], v[132:133] op_sel_hi:[0,1,1] neg_lo:[1,0,0] neg_hi:[1,0,0]
	s_waitcnt vmcnt(27)
	v_pk_fma_f32 v[158:159], v[196:197], v[250:251], v[158:159] op_sel_hi:[0,1,1] neg_lo:[1,0,0] neg_hi:[1,0,0]
	ds_read2_b64 v[248:251], v197 offset0:27 offset1:28
	s_waitcnt vmcnt(17) lgkmcnt(1)
	v_pk_fma_f32 v[182:183], v[196:197], v[198:199], v[182:183] op_sel_hi:[0,1,1] neg_lo:[1,0,0] neg_hi:[1,0,0]
	s_waitcnt lgkmcnt(0)
	v_pk_fma_f32 v[130:131], v[196:197], v[248:249], v[130:131] op_sel_hi:[0,1,1] neg_lo:[1,0,0] neg_hi:[1,0,0]
	v_pk_fma_f32 v[156:157], v[196:197], v[250:251], v[156:157] op_sel_hi:[0,1,1] neg_lo:[1,0,0] neg_hi:[1,0,0]
	ds_read2_b64 v[248:251], v197 offset0:29 offset1:30
	s_waitcnt lgkmcnt(0)
	v_pk_fma_f32 v[128:129], v[196:197], v[248:249], v[128:129] op_sel_hi:[0,1,1] neg_lo:[1,0,0] neg_hi:[1,0,0]
	v_pk_fma_f32 v[154:155], v[196:197], v[250:251], v[154:155] op_sel_hi:[0,1,1] neg_lo:[1,0,0] neg_hi:[1,0,0]
.LBB127_274:
	s_or_b64 exec, exec, s[2:3]
	v_cmp_eq_u32_e32 vcc, 50, v193
	s_waitcnt lgkmcnt(0)
	s_barrier
	s_and_saveexec_b64 s[2:3], vcc
	s_cbranch_execz .LBB127_277
; %bb.275:
	s_waitcnt vmcnt(27)
	v_pk_mov_b32 v[198:199], v[132:133], v[158:159] op_sel:[1,0]
	ds_write_b32 v195, v132
	ds_write2_b32 v197, v198, v199 offset0:51 offset1:52
	s_waitcnt vmcnt(25)
	v_pk_mov_b32 v[198:199], v[158:159], v[130:131] op_sel:[1,0]
	ds_write2_b32 v197, v198, v199 offset0:53 offset1:54
	s_waitcnt vmcnt(23)
	v_pk_mov_b32 v[198:199], v[130:131], v[156:157] op_sel:[1,0]
	;; [unrolled: 3-line block ×5, first 2 shown]
	ds_write2_b32 v197, v198, v199 offset0:61 offset1:62
	ds_write_b32 v197, v183 offset:252
	ds_read_b32 v196, v195
	s_waitcnt lgkmcnt(0)
	v_cmp_neq_f32_e32 vcc, 0, v196
	s_and_b64 exec, exec, vcc
	s_cbranch_execz .LBB127_277
; %bb.276:
	v_div_scale_f32 v198, s[4:5], v196, v196, 1.0
	v_rcp_f32_e32 v199, v198
	v_div_scale_f32 v200, vcc, 1.0, v196, 1.0
	v_fma_f32 v201, -v198, v199, 1.0
	v_fmac_f32_e32 v199, v201, v199
	v_mul_f32_e32 v201, v200, v199
	v_fma_f32 v202, -v198, v201, v200
	v_fmac_f32_e32 v201, v202, v199
	v_fma_f32 v198, -v198, v201, v200
	v_div_fmas_f32 v198, v198, v199, v201
	v_div_fixup_f32 v196, v198, v196, 1.0
	ds_write_b32 v195, v196
.LBB127_277:
	s_or_b64 exec, exec, s[2:3]
	s_waitcnt lgkmcnt(0)
	s_barrier
	ds_read_b32 v247, v195
	v_cmp_lt_u32_e32 vcc, 50, v193
	s_and_saveexec_b64 s[2:3], vcc
	s_cbranch_execz .LBB127_279
; %bb.278:
	ds_read_b32 v196, v197 offset:204
	ds_read2_b64 v[248:251], v197 offset0:26 offset1:27
	s_waitcnt vmcnt(30) lgkmcnt(2)
	v_mul_f32_e32 v132, v247, v132
	s_waitcnt vmcnt(29) lgkmcnt(1)
	v_fma_f32 v133, -v132, v196, v133
	s_waitcnt vmcnt(27) lgkmcnt(0)
	v_pk_fma_f32 v[158:159], v[132:133], v[248:249], v[158:159] op_sel_hi:[0,1,1] neg_lo:[1,0,0] neg_hi:[1,0,0]
	s_waitcnt vmcnt(25)
	v_pk_fma_f32 v[130:131], v[132:133], v[250:251], v[130:131] op_sel_hi:[0,1,1] neg_lo:[1,0,0] neg_hi:[1,0,0]
	ds_read2_b64 v[248:251], v197 offset0:28 offset1:29
	s_waitcnt vmcnt(23) lgkmcnt(0)
	v_pk_fma_f32 v[156:157], v[132:133], v[248:249], v[156:157] op_sel_hi:[0,1,1] neg_lo:[1,0,0] neg_hi:[1,0,0]
	s_waitcnt vmcnt(21)
	v_pk_fma_f32 v[128:129], v[132:133], v[250:251], v[128:129] op_sel_hi:[0,1,1] neg_lo:[1,0,0] neg_hi:[1,0,0]
	ds_read2_b64 v[248:251], v197 offset0:30 offset1:31
	s_waitcnt vmcnt(19) lgkmcnt(0)
	v_pk_fma_f32 v[154:155], v[132:133], v[248:249], v[154:155] op_sel_hi:[0,1,1] neg_lo:[1,0,0] neg_hi:[1,0,0]
	s_waitcnt vmcnt(17)
	v_pk_fma_f32 v[182:183], v[132:133], v[250:251], v[182:183] op_sel_hi:[0,1,1] neg_lo:[1,0,0] neg_hi:[1,0,0]
.LBB127_279:
	s_or_b64 exec, exec, s[2:3]
	v_cmp_ne_u32_e32 vcc, 51, v193
	s_waitcnt lgkmcnt(0)
	s_barrier
	s_and_saveexec_b64 s[2:3], vcc
	s_xor_b64 s[2:3], exec, s[2:3]
	s_andn2_saveexec_b64 s[2:3], s[2:3]
	s_cbranch_execz .LBB127_283
; %bb.280:
	s_waitcnt vmcnt(28)
	v_mov_b32_e32 v198, v158
	s_waitcnt vmcnt(27)
	v_mov_b32_e32 v199, v159
	;; [unrolled: 2-line block ×4, first 2 shown]
	ds_write_b32 v195, v133
	ds_write2_b64 v197, v[198:199], v[200:201] offset0:26 offset1:27
	s_waitcnt vmcnt(24)
	v_mov_b32_e32 v198, v156
	s_waitcnt vmcnt(23)
	v_mov_b32_e32 v199, v157
	;; [unrolled: 2-line block ×4, first 2 shown]
	ds_write2_b64 v197, v[198:199], v[200:201] offset0:28 offset1:29
	s_waitcnt vmcnt(20)
	v_mov_b32_e32 v198, v154
	s_waitcnt vmcnt(19)
	v_mov_b32_e32 v199, v155
	s_waitcnt vmcnt(17)
	ds_write2_b64 v197, v[198:199], v[182:183] offset0:30 offset1:31
	ds_read_b32 v196, v195
	s_waitcnt lgkmcnt(0)
	v_cmp_neq_f32_e32 vcc, 0, v196
	s_and_saveexec_b64 s[4:5], vcc
	s_cbranch_execz .LBB127_282
; %bb.281:
	v_div_scale_f32 v198, s[10:11], v196, v196, 1.0
	v_rcp_f32_e32 v199, v198
	v_div_scale_f32 v200, vcc, 1.0, v196, 1.0
	v_fma_f32 v201, -v198, v199, 1.0
	v_fmac_f32_e32 v199, v201, v199
	v_mul_f32_e32 v201, v200, v199
	v_fma_f32 v202, -v198, v201, v200
	v_fmac_f32_e32 v201, v202, v199
	v_fma_f32 v198, -v198, v201, v200
	v_div_fmas_f32 v198, v198, v199, v201
	v_div_fixup_f32 v196, v198, v196, 1.0
	ds_write_b32 v195, v196
.LBB127_282:
	s_or_b64 exec, exec, s[4:5]
.LBB127_283:
	s_or_b64 exec, exec, s[2:3]
	s_waitcnt lgkmcnt(0)
	s_barrier
	ds_read_b32 v248, v195
	v_cmp_lt_u32_e32 vcc, 51, v193
	s_and_saveexec_b64 s[2:3], vcc
	s_cbranch_execz .LBB127_285
; %bb.284:
	ds_read2_b64 v[250:253], v197 offset0:26 offset1:27
	s_waitcnt vmcnt(29) lgkmcnt(1)
	v_mul_f32_e32 v196, v248, v133
	v_mov_b32_e32 v133, v196
	s_waitcnt vmcnt(27) lgkmcnt(0)
	v_pk_fma_f32 v[158:159], v[196:197], v[250:251], v[158:159] op_sel_hi:[0,1,1] neg_lo:[1,0,0] neg_hi:[1,0,0]
	s_waitcnt vmcnt(25)
	v_pk_fma_f32 v[130:131], v[196:197], v[252:253], v[130:131] op_sel_hi:[0,1,1] neg_lo:[1,0,0] neg_hi:[1,0,0]
	ds_read2_b64 v[250:253], v197 offset0:28 offset1:29
	s_waitcnt vmcnt(23) lgkmcnt(0)
	v_pk_fma_f32 v[156:157], v[196:197], v[250:251], v[156:157] op_sel_hi:[0,1,1] neg_lo:[1,0,0] neg_hi:[1,0,0]
	s_waitcnt vmcnt(21)
	v_pk_fma_f32 v[128:129], v[196:197], v[252:253], v[128:129] op_sel_hi:[0,1,1] neg_lo:[1,0,0] neg_hi:[1,0,0]
	ds_read2_b64 v[250:253], v197 offset0:30 offset1:31
	s_waitcnt vmcnt(19) lgkmcnt(0)
	v_pk_fma_f32 v[154:155], v[196:197], v[250:251], v[154:155] op_sel_hi:[0,1,1] neg_lo:[1,0,0] neg_hi:[1,0,0]
	s_waitcnt vmcnt(17)
	v_pk_fma_f32 v[182:183], v[196:197], v[252:253], v[182:183] op_sel_hi:[0,1,1] neg_lo:[1,0,0] neg_hi:[1,0,0]
.LBB127_285:
	s_or_b64 exec, exec, s[2:3]
	v_cmp_eq_u32_e32 vcc, 52, v193
	s_waitcnt lgkmcnt(0)
	s_barrier
	s_and_saveexec_b64 s[2:3], vcc
	s_cbranch_execz .LBB127_288
; %bb.286:
	s_waitcnt vmcnt(25)
	v_pk_mov_b32 v[198:199], v[158:159], v[130:131] op_sel:[1,0]
	ds_write_b32 v195, v158
	ds_write2_b32 v197, v198, v199 offset0:53 offset1:54
	s_waitcnt vmcnt(23)
	v_pk_mov_b32 v[198:199], v[130:131], v[156:157] op_sel:[1,0]
	ds_write2_b32 v197, v198, v199 offset0:55 offset1:56
	s_waitcnt vmcnt(21)
	v_pk_mov_b32 v[198:199], v[156:157], v[128:129] op_sel:[1,0]
	;; [unrolled: 3-line block ×4, first 2 shown]
	ds_write2_b32 v197, v198, v199 offset0:61 offset1:62
	ds_write_b32 v197, v183 offset:252
	ds_read_b32 v196, v195
	s_waitcnt lgkmcnt(0)
	v_cmp_neq_f32_e32 vcc, 0, v196
	s_and_b64 exec, exec, vcc
	s_cbranch_execz .LBB127_288
; %bb.287:
	v_div_scale_f32 v198, s[4:5], v196, v196, 1.0
	v_rcp_f32_e32 v199, v198
	v_div_scale_f32 v200, vcc, 1.0, v196, 1.0
	v_fma_f32 v201, -v198, v199, 1.0
	v_fmac_f32_e32 v199, v201, v199
	v_mul_f32_e32 v201, v200, v199
	v_fma_f32 v202, -v198, v201, v200
	v_fmac_f32_e32 v201, v202, v199
	v_fma_f32 v198, -v198, v201, v200
	v_div_fmas_f32 v198, v198, v199, v201
	v_div_fixup_f32 v196, v198, v196, 1.0
	ds_write_b32 v195, v196
.LBB127_288:
	s_or_b64 exec, exec, s[2:3]
	s_waitcnt lgkmcnt(0)
	s_barrier
	ds_read_b32 v249, v195
	v_cmp_lt_u32_e32 vcc, 52, v193
	s_and_saveexec_b64 s[2:3], vcc
	s_cbranch_execz .LBB127_290
; %bb.289:
	ds_read_b32 v196, v197 offset:212
	ds_read_b64 v[198:199], v197 offset:248
	ds_read2_b64 v[250:253], v197 offset0:27 offset1:28
	s_waitcnt vmcnt(28) lgkmcnt(3)
	v_mul_f32_e32 v158, v249, v158
	s_waitcnt vmcnt(27) lgkmcnt(2)
	v_fma_f32 v159, -v158, v196, v159
	s_waitcnt vmcnt(17) lgkmcnt(1)
	v_pk_fma_f32 v[182:183], v[158:159], v[198:199], v[182:183] op_sel_hi:[0,1,1] neg_lo:[1,0,0] neg_hi:[1,0,0]
	s_waitcnt lgkmcnt(0)
	v_pk_fma_f32 v[130:131], v[158:159], v[250:251], v[130:131] op_sel_hi:[0,1,1] neg_lo:[1,0,0] neg_hi:[1,0,0]
	v_pk_fma_f32 v[156:157], v[158:159], v[252:253], v[156:157] op_sel_hi:[0,1,1] neg_lo:[1,0,0] neg_hi:[1,0,0]
	ds_read2_b64 v[250:253], v197 offset0:29 offset1:30
	s_waitcnt lgkmcnt(0)
	v_pk_fma_f32 v[128:129], v[158:159], v[250:251], v[128:129] op_sel_hi:[0,1,1] neg_lo:[1,0,0] neg_hi:[1,0,0]
	v_pk_fma_f32 v[154:155], v[158:159], v[252:253], v[154:155] op_sel_hi:[0,1,1] neg_lo:[1,0,0] neg_hi:[1,0,0]
.LBB127_290:
	s_or_b64 exec, exec, s[2:3]
	v_cmp_ne_u32_e32 vcc, 53, v193
	s_waitcnt lgkmcnt(0)
	s_barrier
	s_and_saveexec_b64 s[2:3], vcc
	s_xor_b64 s[2:3], exec, s[2:3]
	s_andn2_saveexec_b64 s[2:3], s[2:3]
	s_cbranch_execz .LBB127_294
; %bb.291:
	s_waitcnt vmcnt(27)
	ds_write_b32 v195, v159
	s_waitcnt vmcnt(23)
	ds_write2_b64 v197, v[130:131], v[156:157] offset0:27 offset1:28
	s_waitcnt vmcnt(19)
	ds_write2_b64 v197, v[128:129], v[154:155] offset0:29 offset1:30
	s_waitcnt vmcnt(17)
	ds_write_b64 v197, v[182:183] offset:248
	ds_read_b32 v196, v195
	s_waitcnt lgkmcnt(0)
	v_cmp_neq_f32_e32 vcc, 0, v196
	s_and_saveexec_b64 s[4:5], vcc
	s_cbranch_execz .LBB127_293
; %bb.292:
	v_div_scale_f32 v198, s[10:11], v196, v196, 1.0
	v_rcp_f32_e32 v199, v198
	v_div_scale_f32 v200, vcc, 1.0, v196, 1.0
	v_fma_f32 v201, -v198, v199, 1.0
	v_fmac_f32_e32 v199, v201, v199
	v_mul_f32_e32 v201, v200, v199
	v_fma_f32 v202, -v198, v201, v200
	v_fmac_f32_e32 v201, v202, v199
	v_fma_f32 v198, -v198, v201, v200
	v_div_fmas_f32 v198, v198, v199, v201
	v_div_fixup_f32 v196, v198, v196, 1.0
	ds_write_b32 v195, v196
.LBB127_293:
	s_or_b64 exec, exec, s[4:5]
.LBB127_294:
	s_or_b64 exec, exec, s[2:3]
	s_waitcnt lgkmcnt(0)
	s_barrier
	ds_read_b32 v250, v195
	v_cmp_lt_u32_e32 vcc, 53, v193
	s_and_saveexec_b64 s[2:3], vcc
	s_cbranch_execz .LBB127_296
; %bb.295:
	ds_read2_b64 v[252:255], v197 offset0:27 offset1:28
	ds_read_b64 v[198:199], v197 offset:248
	s_waitcnt vmcnt(27) lgkmcnt(2)
	v_mul_f32_e32 v196, v250, v159
	v_mov_b32_e32 v159, v196
	s_waitcnt vmcnt(25) lgkmcnt(1)
	v_pk_fma_f32 v[130:131], v[196:197], v[252:253], v[130:131] op_sel_hi:[0,1,1] neg_lo:[1,0,0] neg_hi:[1,0,0]
	s_waitcnt vmcnt(23)
	v_pk_fma_f32 v[156:157], v[196:197], v[254:255], v[156:157] op_sel_hi:[0,1,1] neg_lo:[1,0,0] neg_hi:[1,0,0]
	ds_read2_b64 v[252:255], v197 offset0:29 offset1:30
	s_waitcnt vmcnt(17) lgkmcnt(1)
	v_pk_fma_f32 v[182:183], v[196:197], v[198:199], v[182:183] op_sel_hi:[0,1,1] neg_lo:[1,0,0] neg_hi:[1,0,0]
	s_waitcnt lgkmcnt(0)
	v_pk_fma_f32 v[128:129], v[196:197], v[252:253], v[128:129] op_sel_hi:[0,1,1] neg_lo:[1,0,0] neg_hi:[1,0,0]
	v_pk_fma_f32 v[154:155], v[196:197], v[254:255], v[154:155] op_sel_hi:[0,1,1] neg_lo:[1,0,0] neg_hi:[1,0,0]
.LBB127_296:
	s_or_b64 exec, exec, s[2:3]
	v_cmp_eq_u32_e32 vcc, 54, v193
	s_waitcnt lgkmcnt(0)
	s_barrier
	s_and_saveexec_b64 s[2:3], vcc
	s_cbranch_execz .LBB127_299
; %bb.297:
	s_waitcnt vmcnt(23)
	v_pk_mov_b32 v[198:199], v[130:131], v[156:157] op_sel:[1,0]
	ds_write_b32 v195, v130
	ds_write2_b32 v197, v198, v199 offset0:55 offset1:56
	s_waitcnt vmcnt(21)
	v_pk_mov_b32 v[198:199], v[156:157], v[128:129] op_sel:[1,0]
	ds_write2_b32 v197, v198, v199 offset0:57 offset1:58
	s_waitcnt vmcnt(19)
	v_pk_mov_b32 v[198:199], v[128:129], v[154:155] op_sel:[1,0]
	;; [unrolled: 3-line block ×3, first 2 shown]
	ds_write2_b32 v197, v198, v199 offset0:61 offset1:62
	ds_write_b32 v197, v183 offset:252
	ds_read_b32 v196, v195
	s_waitcnt lgkmcnt(0)
	v_cmp_neq_f32_e32 vcc, 0, v196
	s_and_b64 exec, exec, vcc
	s_cbranch_execz .LBB127_299
; %bb.298:
	v_div_scale_f32 v198, s[4:5], v196, v196, 1.0
	v_rcp_f32_e32 v199, v198
	v_div_scale_f32 v200, vcc, 1.0, v196, 1.0
	v_fma_f32 v201, -v198, v199, 1.0
	v_fmac_f32_e32 v199, v201, v199
	v_mul_f32_e32 v201, v200, v199
	v_fma_f32 v202, -v198, v201, v200
	v_fmac_f32_e32 v201, v202, v199
	v_fma_f32 v198, -v198, v201, v200
	v_div_fmas_f32 v198, v198, v199, v201
	v_div_fixup_f32 v196, v198, v196, 1.0
	ds_write_b32 v195, v196
.LBB127_299:
	s_or_b64 exec, exec, s[2:3]
	s_waitcnt lgkmcnt(0)
	s_barrier
	ds_read_b32 v251, v195
	v_cmp_lt_u32_e32 vcc, 54, v193
	s_and_saveexec_b64 s[2:3], vcc
	s_cbranch_execz .LBB127_301
; %bb.300:
	ds_read_b32 v196, v197 offset:220
	ds_read2_b64 v[252:255], v197 offset0:28 offset1:29
	s_waitcnt vmcnt(26) lgkmcnt(2)
	v_mul_f32_e32 v130, v251, v130
	s_waitcnt vmcnt(25) lgkmcnt(1)
	v_fma_f32 v131, -v130, v196, v131
	s_waitcnt vmcnt(23) lgkmcnt(0)
	v_pk_fma_f32 v[156:157], v[130:131], v[252:253], v[156:157] op_sel_hi:[0,1,1] neg_lo:[1,0,0] neg_hi:[1,0,0]
	s_waitcnt vmcnt(21)
	v_pk_fma_f32 v[128:129], v[130:131], v[254:255], v[128:129] op_sel_hi:[0,1,1] neg_lo:[1,0,0] neg_hi:[1,0,0]
	ds_read2_b64 v[252:255], v197 offset0:30 offset1:31
	s_waitcnt vmcnt(19) lgkmcnt(0)
	v_pk_fma_f32 v[154:155], v[130:131], v[252:253], v[154:155] op_sel_hi:[0,1,1] neg_lo:[1,0,0] neg_hi:[1,0,0]
	s_waitcnt vmcnt(17)
	v_pk_fma_f32 v[182:183], v[130:131], v[254:255], v[182:183] op_sel_hi:[0,1,1] neg_lo:[1,0,0] neg_hi:[1,0,0]
.LBB127_301:
	s_or_b64 exec, exec, s[2:3]
	v_cmp_ne_u32_e32 vcc, 55, v193
	s_waitcnt lgkmcnt(0)
	s_barrier
	s_and_saveexec_b64 s[2:3], vcc
	s_xor_b64 s[2:3], exec, s[2:3]
	s_andn2_saveexec_b64 s[2:3], s[2:3]
	s_cbranch_execz .LBB127_305
; %bb.302:
	s_waitcnt vmcnt(24)
	v_mov_b32_e32 v198, v156
	s_waitcnt vmcnt(23)
	v_mov_b32_e32 v199, v157
	s_waitcnt vmcnt(22)
	v_mov_b32_e32 v200, v128
	s_waitcnt vmcnt(21)
	v_mov_b32_e32 v201, v129
	ds_write_b32 v195, v131
	ds_write2_b64 v197, v[198:199], v[200:201] offset0:28 offset1:29
	s_waitcnt vmcnt(20)
	v_mov_b32_e32 v198, v154
	s_waitcnt vmcnt(19)
	v_mov_b32_e32 v199, v155
	s_waitcnt vmcnt(17)
	ds_write2_b64 v197, v[198:199], v[182:183] offset0:30 offset1:31
	ds_read_b32 v196, v195
	s_waitcnt lgkmcnt(0)
	v_cmp_neq_f32_e32 vcc, 0, v196
	s_and_saveexec_b64 s[4:5], vcc
	s_cbranch_execz .LBB127_304
; %bb.303:
	v_div_scale_f32 v198, s[10:11], v196, v196, 1.0
	v_rcp_f32_e32 v199, v198
	v_div_scale_f32 v200, vcc, 1.0, v196, 1.0
	v_fma_f32 v201, -v198, v199, 1.0
	v_fmac_f32_e32 v199, v201, v199
	v_mul_f32_e32 v201, v200, v199
	v_fma_f32 v202, -v198, v201, v200
	v_fmac_f32_e32 v201, v202, v199
	v_fma_f32 v198, -v198, v201, v200
	v_div_fmas_f32 v198, v198, v199, v201
	v_div_fixup_f32 v196, v198, v196, 1.0
	ds_write_b32 v195, v196
.LBB127_304:
	s_or_b64 exec, exec, s[4:5]
.LBB127_305:
	s_or_b64 exec, exec, s[2:3]
	s_waitcnt lgkmcnt(0)
	s_barrier
	ds_read_b32 v252, v195
	v_cmp_lt_u32_e32 vcc, 55, v193
	s_and_saveexec_b64 s[2:3], vcc
	s_cbranch_execz .LBB127_307
; %bb.306:
	ds_read2_b64 v[198:201], v197 offset0:28 offset1:29
	s_waitcnt vmcnt(25) lgkmcnt(1)
	v_mul_f32_e32 v196, v252, v131
	v_mov_b32_e32 v131, v196
	s_waitcnt vmcnt(23) lgkmcnt(0)
	v_pk_fma_f32 v[156:157], v[196:197], v[198:199], v[156:157] op_sel_hi:[0,1,1] neg_lo:[1,0,0] neg_hi:[1,0,0]
	s_waitcnt vmcnt(21)
	v_pk_fma_f32 v[128:129], v[196:197], v[200:201], v[128:129] op_sel_hi:[0,1,1] neg_lo:[1,0,0] neg_hi:[1,0,0]
	ds_read2_b64 v[198:201], v197 offset0:30 offset1:31
	s_waitcnt vmcnt(19) lgkmcnt(0)
	v_pk_fma_f32 v[154:155], v[196:197], v[198:199], v[154:155] op_sel_hi:[0,1,1] neg_lo:[1,0,0] neg_hi:[1,0,0]
	s_waitcnt vmcnt(17)
	v_pk_fma_f32 v[182:183], v[196:197], v[200:201], v[182:183] op_sel_hi:[0,1,1] neg_lo:[1,0,0] neg_hi:[1,0,0]
.LBB127_307:
	s_or_b64 exec, exec, s[2:3]
	v_cmp_eq_u32_e32 vcc, 56, v193
	s_waitcnt lgkmcnt(0)
	s_barrier
	s_and_saveexec_b64 s[2:3], vcc
	s_cbranch_execz .LBB127_310
; %bb.308:
	s_waitcnt vmcnt(21)
	v_pk_mov_b32 v[198:199], v[156:157], v[128:129] op_sel:[1,0]
	ds_write_b32 v195, v156
	ds_write2_b32 v197, v198, v199 offset0:57 offset1:58
	s_waitcnt vmcnt(19)
	v_pk_mov_b32 v[198:199], v[128:129], v[154:155] op_sel:[1,0]
	ds_write2_b32 v197, v198, v199 offset0:59 offset1:60
	s_waitcnt vmcnt(17)
	v_pk_mov_b32 v[198:199], v[154:155], v[182:183] op_sel:[1,0]
	ds_write2_b32 v197, v198, v199 offset0:61 offset1:62
	ds_write_b32 v197, v183 offset:252
	ds_read_b32 v196, v195
	s_waitcnt lgkmcnt(0)
	v_cmp_neq_f32_e32 vcc, 0, v196
	s_and_b64 exec, exec, vcc
	s_cbranch_execz .LBB127_310
; %bb.309:
	v_div_scale_f32 v198, s[4:5], v196, v196, 1.0
	v_rcp_f32_e32 v199, v198
	v_div_scale_f32 v200, vcc, 1.0, v196, 1.0
	v_fma_f32 v201, -v198, v199, 1.0
	v_fmac_f32_e32 v199, v201, v199
	v_mul_f32_e32 v201, v200, v199
	v_fma_f32 v202, -v198, v201, v200
	v_fmac_f32_e32 v201, v202, v199
	v_fma_f32 v198, -v198, v201, v200
	v_div_fmas_f32 v198, v198, v199, v201
	v_div_fixup_f32 v196, v198, v196, 1.0
	ds_write_b32 v195, v196
.LBB127_310:
	s_or_b64 exec, exec, s[2:3]
	s_waitcnt lgkmcnt(0)
	s_barrier
	ds_read_b32 v253, v195
	v_cmp_lt_u32_e32 vcc, 56, v193
	s_and_saveexec_b64 s[2:3], vcc
	s_cbranch_execz .LBB127_312
; %bb.311:
	ds_read_b32 v196, v197 offset:228
	ds_read_b64 v[254:255], v197 offset:248
	ds_read2_b64 v[198:201], v197 offset0:29 offset1:30
	s_waitcnt vmcnt(24) lgkmcnt(3)
	v_mul_f32_e32 v156, v253, v156
	s_waitcnt vmcnt(23) lgkmcnt(2)
	v_fma_f32 v157, -v156, v196, v157
	s_waitcnt vmcnt(17) lgkmcnt(1)
	v_pk_fma_f32 v[182:183], v[156:157], v[254:255], v[182:183] op_sel_hi:[0,1,1] neg_lo:[1,0,0] neg_hi:[1,0,0]
	s_waitcnt lgkmcnt(0)
	v_pk_fma_f32 v[128:129], v[156:157], v[198:199], v[128:129] op_sel_hi:[0,1,1] neg_lo:[1,0,0] neg_hi:[1,0,0]
	v_pk_fma_f32 v[154:155], v[156:157], v[200:201], v[154:155] op_sel_hi:[0,1,1] neg_lo:[1,0,0] neg_hi:[1,0,0]
.LBB127_312:
	s_or_b64 exec, exec, s[2:3]
	v_cmp_ne_u32_e32 vcc, 57, v193
	s_waitcnt lgkmcnt(0)
	s_barrier
	s_and_saveexec_b64 s[2:3], vcc
	s_xor_b64 s[2:3], exec, s[2:3]
	s_andn2_saveexec_b64 s[2:3], s[2:3]
	s_cbranch_execz .LBB127_316
; %bb.313:
	s_waitcnt vmcnt(23)
	ds_write_b32 v195, v157
	s_waitcnt vmcnt(19)
	ds_write2_b64 v197, v[128:129], v[154:155] offset0:29 offset1:30
	s_waitcnt vmcnt(17)
	ds_write_b64 v197, v[182:183] offset:248
	ds_read_b32 v196, v195
	s_waitcnt lgkmcnt(0)
	v_cmp_neq_f32_e32 vcc, 0, v196
	s_and_saveexec_b64 s[4:5], vcc
	s_cbranch_execz .LBB127_315
; %bb.314:
	v_div_scale_f32 v198, s[10:11], v196, v196, 1.0
	v_rcp_f32_e32 v199, v198
	v_div_scale_f32 v200, vcc, 1.0, v196, 1.0
	v_fma_f32 v201, -v198, v199, 1.0
	v_fmac_f32_e32 v199, v201, v199
	v_mul_f32_e32 v201, v200, v199
	v_fma_f32 v202, -v198, v201, v200
	v_fmac_f32_e32 v201, v202, v199
	v_fma_f32 v198, -v198, v201, v200
	v_div_fmas_f32 v198, v198, v199, v201
	v_div_fixup_f32 v196, v198, v196, 1.0
	ds_write_b32 v195, v196
.LBB127_315:
	s_or_b64 exec, exec, s[4:5]
.LBB127_316:
	s_or_b64 exec, exec, s[2:3]
	s_waitcnt lgkmcnt(0)
	s_barrier
	ds_read_b32 v254, v195
	v_cmp_lt_u32_e32 vcc, 57, v193
	s_and_saveexec_b64 s[2:3], vcc
	s_cbranch_execz .LBB127_318
; %bb.317:
	ds_read2_b64 v[198:201], v197 offset0:29 offset1:30
	s_waitcnt vmcnt(23) lgkmcnt(1)
	v_mul_f32_e32 v196, v254, v157
	v_mov_b32_e32 v157, v196
	s_waitcnt vmcnt(21) lgkmcnt(0)
	v_pk_fma_f32 v[128:129], v[196:197], v[198:199], v[128:129] op_sel_hi:[0,1,1] neg_lo:[1,0,0] neg_hi:[1,0,0]
	ds_read_b64 v[198:199], v197 offset:248
	s_waitcnt vmcnt(19)
	v_pk_fma_f32 v[154:155], v[196:197], v[200:201], v[154:155] op_sel_hi:[0,1,1] neg_lo:[1,0,0] neg_hi:[1,0,0]
	s_waitcnt vmcnt(17) lgkmcnt(0)
	v_pk_fma_f32 v[182:183], v[196:197], v[198:199], v[182:183] op_sel_hi:[0,1,1] neg_lo:[1,0,0] neg_hi:[1,0,0]
.LBB127_318:
	s_or_b64 exec, exec, s[2:3]
	v_cmp_eq_u32_e32 vcc, 58, v193
	s_waitcnt lgkmcnt(0)
	s_barrier
	s_and_saveexec_b64 s[2:3], vcc
	s_cbranch_execz .LBB127_321
; %bb.319:
	s_waitcnt vmcnt(19)
	v_pk_mov_b32 v[198:199], v[128:129], v[154:155] op_sel:[1,0]
	ds_write_b32 v195, v128
	ds_write2_b32 v197, v198, v199 offset0:59 offset1:60
	s_waitcnt vmcnt(17)
	v_pk_mov_b32 v[198:199], v[154:155], v[182:183] op_sel:[1,0]
	ds_write2_b32 v197, v198, v199 offset0:61 offset1:62
	ds_write_b32 v197, v183 offset:252
	ds_read_b32 v196, v195
	s_waitcnt lgkmcnt(0)
	v_cmp_neq_f32_e32 vcc, 0, v196
	s_and_b64 exec, exec, vcc
	s_cbranch_execz .LBB127_321
; %bb.320:
	v_div_scale_f32 v198, s[4:5], v196, v196, 1.0
	v_rcp_f32_e32 v199, v198
	v_div_scale_f32 v200, vcc, 1.0, v196, 1.0
	v_fma_f32 v201, -v198, v199, 1.0
	v_fmac_f32_e32 v199, v201, v199
	v_mul_f32_e32 v201, v200, v199
	v_fma_f32 v202, -v198, v201, v200
	v_fmac_f32_e32 v201, v202, v199
	v_fma_f32 v198, -v198, v201, v200
	v_div_fmas_f32 v198, v198, v199, v201
	v_div_fixup_f32 v196, v198, v196, 1.0
	ds_write_b32 v195, v196
.LBB127_321:
	s_or_b64 exec, exec, s[2:3]
	s_waitcnt lgkmcnt(0)
	s_barrier
	ds_read_b32 v255, v195
	v_cmp_lt_u32_e32 vcc, 58, v193
	s_and_saveexec_b64 s[2:3], vcc
	s_cbranch_execz .LBB127_323
; %bb.322:
	ds_read_b32 v196, v197 offset:236
	ds_read2_b64 v[198:201], v197 offset0:30 offset1:31
	s_waitcnt vmcnt(22) lgkmcnt(2)
	v_mul_f32_e32 v128, v255, v128
	s_waitcnt vmcnt(21) lgkmcnt(1)
	v_fma_f32 v129, -v128, v196, v129
	s_waitcnt vmcnt(19) lgkmcnt(0)
	v_pk_fma_f32 v[154:155], v[128:129], v[198:199], v[154:155] op_sel_hi:[0,1,1] neg_lo:[1,0,0] neg_hi:[1,0,0]
	s_waitcnt vmcnt(17)
	v_pk_fma_f32 v[182:183], v[128:129], v[200:201], v[182:183] op_sel_hi:[0,1,1] neg_lo:[1,0,0] neg_hi:[1,0,0]
.LBB127_323:
	s_or_b64 exec, exec, s[2:3]
	v_cmp_ne_u32_e32 vcc, 59, v193
	s_waitcnt lgkmcnt(0)
	s_barrier
	s_and_saveexec_b64 s[2:3], vcc
	s_xor_b64 s[2:3], exec, s[2:3]
	s_andn2_saveexec_b64 s[2:3], s[2:3]
	s_cbranch_execz .LBB127_327
; %bb.324:
	s_waitcnt vmcnt(20)
	v_mov_b32_e32 v198, v154
	s_waitcnt vmcnt(19)
	v_mov_b32_e32 v199, v155
	ds_write_b32 v195, v129
	s_waitcnt vmcnt(17)
	ds_write2_b64 v197, v[198:199], v[182:183] offset0:30 offset1:31
	ds_read_b32 v196, v195
	s_waitcnt lgkmcnt(0)
	v_cmp_neq_f32_e32 vcc, 0, v196
	s_and_saveexec_b64 s[4:5], vcc
	s_cbranch_execz .LBB127_326
; %bb.325:
	v_div_scale_f32 v198, s[10:11], v196, v196, 1.0
	v_rcp_f32_e32 v199, v198
	v_div_scale_f32 v200, vcc, 1.0, v196, 1.0
	v_fma_f32 v201, -v198, v199, 1.0
	v_fmac_f32_e32 v199, v201, v199
	v_mul_f32_e32 v201, v200, v199
	v_fma_f32 v202, -v198, v201, v200
	v_fmac_f32_e32 v201, v202, v199
	v_fma_f32 v198, -v198, v201, v200
	v_div_fmas_f32 v198, v198, v199, v201
	v_div_fixup_f32 v196, v198, v196, 1.0
	ds_write_b32 v195, v196
.LBB127_326:
	s_or_b64 exec, exec, s[4:5]
.LBB127_327:
	s_or_b64 exec, exec, s[2:3]
	s_waitcnt lgkmcnt(0)
	s_barrier
	ds_read_b32 v196, v195
	v_cmp_lt_u32_e32 vcc, 59, v193
	s_and_saveexec_b64 s[2:3], vcc
	s_cbranch_execz .LBB127_329
; %bb.328:
	ds_read2_b64 v[198:201], v197 offset0:30 offset1:31
	s_waitcnt vmcnt(21) lgkmcnt(1)
	v_mul_f32_e32 v202, v196, v129
	v_mov_b32_e32 v129, v202
	s_waitcnt vmcnt(19) lgkmcnt(0)
	v_pk_fma_f32 v[154:155], v[202:203], v[198:199], v[154:155] op_sel_hi:[0,1,1] neg_lo:[1,0,0] neg_hi:[1,0,0]
	s_waitcnt vmcnt(17)
	v_pk_fma_f32 v[182:183], v[202:203], v[200:201], v[182:183] op_sel_hi:[0,1,1] neg_lo:[1,0,0] neg_hi:[1,0,0]
.LBB127_329:
	s_or_b64 exec, exec, s[2:3]
	v_cmp_eq_u32_e32 vcc, 60, v193
	s_waitcnt lgkmcnt(0)
	s_barrier
	s_and_saveexec_b64 s[2:3], vcc
	s_cbranch_execz .LBB127_332
; %bb.330:
	s_waitcnt vmcnt(17)
	v_pk_mov_b32 v[198:199], v[154:155], v[182:183] op_sel:[1,0]
	ds_write_b32 v195, v154
	ds_write2_b32 v197, v198, v199 offset0:61 offset1:62
	ds_write_b32 v197, v183 offset:252
	ds_read_b32 v198, v195
	s_waitcnt lgkmcnt(0)
	v_cmp_neq_f32_e32 vcc, 0, v198
	s_and_b64 exec, exec, vcc
	s_cbranch_execz .LBB127_332
; %bb.331:
	v_div_scale_f32 v199, s[4:5], v198, v198, 1.0
	v_rcp_f32_e32 v200, v199
	v_div_scale_f32 v201, vcc, 1.0, v198, 1.0
	v_fma_f32 v202, -v199, v200, 1.0
	v_fmac_f32_e32 v200, v202, v200
	v_mul_f32_e32 v202, v201, v200
	v_fma_f32 v203, -v199, v202, v201
	v_fmac_f32_e32 v202, v203, v200
	v_fma_f32 v199, -v199, v202, v201
	v_div_fmas_f32 v199, v199, v200, v202
	v_div_fixup_f32 v198, v199, v198, 1.0
	ds_write_b32 v195, v198
.LBB127_332:
	s_or_b64 exec, exec, s[2:3]
	s_waitcnt lgkmcnt(0)
	s_barrier
	ds_read_b32 v198, v195
	v_cmp_lt_u32_e32 vcc, 60, v193
	s_and_saveexec_b64 s[2:3], vcc
	s_cbranch_execz .LBB127_334
; %bb.333:
	ds_read_b32 v199, v197 offset:244
	ds_read_b64 v[200:201], v197 offset:248
	s_waitcnt vmcnt(20) lgkmcnt(2)
	v_mul_f32_e32 v154, v198, v154
	s_waitcnt vmcnt(19) lgkmcnt(1)
	v_fma_f32 v155, -v154, v199, v155
	s_waitcnt vmcnt(17) lgkmcnt(0)
	v_pk_fma_f32 v[182:183], v[154:155], v[200:201], v[182:183] op_sel_hi:[0,1,1] neg_lo:[1,0,0] neg_hi:[1,0,0]
.LBB127_334:
	s_or_b64 exec, exec, s[2:3]
	v_cmp_ne_u32_e32 vcc, 61, v193
	s_waitcnt lgkmcnt(0)
	s_barrier
	s_and_saveexec_b64 s[2:3], vcc
	s_xor_b64 s[2:3], exec, s[2:3]
	s_andn2_saveexec_b64 s[2:3], s[2:3]
	s_cbranch_execz .LBB127_338
; %bb.335:
	s_waitcnt vmcnt(19)
	ds_write_b32 v195, v155
	s_waitcnt vmcnt(17)
	ds_write_b64 v197, v[182:183] offset:248
	ds_read_b32 v199, v195
	s_waitcnt lgkmcnt(0)
	v_cmp_neq_f32_e32 vcc, 0, v199
	s_and_saveexec_b64 s[4:5], vcc
	s_cbranch_execz .LBB127_337
; %bb.336:
	v_div_scale_f32 v200, s[10:11], v199, v199, 1.0
	v_rcp_f32_e32 v201, v200
	v_div_scale_f32 v202, vcc, 1.0, v199, 1.0
	v_mov_b32_e32 v212, v210
	v_fma_f32 v203, -v200, v201, 1.0
	v_fmac_f32_e32 v201, v203, v201
	v_mul_f32_e32 v203, v202, v201
	v_mov_b32_e32 v210, v208
	v_mov_b32_e32 v208, v206
	;; [unrolled: 1-line block ×3, first 2 shown]
	v_fma_f32 v204, -v200, v203, v202
	v_fmac_f32_e32 v203, v204, v201
	v_fma_f32 v200, -v200, v203, v202
	v_div_fmas_f32 v200, v200, v201, v203
	v_mov_b32_e32 v204, v206
	v_mov_b32_e32 v206, v208
	;; [unrolled: 1-line block ×4, first 2 shown]
	v_div_fixup_f32 v199, v200, v199, 1.0
	ds_write_b32 v195, v199
.LBB127_337:
	s_or_b64 exec, exec, s[4:5]
.LBB127_338:
	s_or_b64 exec, exec, s[2:3]
	s_waitcnt lgkmcnt(0)
	s_barrier
	ds_read_b32 v199, v195
	v_cmp_lt_u32_e32 vcc, 61, v193
	s_and_saveexec_b64 s[2:3], vcc
	s_cbranch_execz .LBB127_340
; %bb.339:
	ds_read_b64 v[202:203], v197 offset:248
	s_waitcnt vmcnt(19) lgkmcnt(1)
	v_mul_f32_e32 v200, v199, v155
	v_mov_b32_e32 v155, v200
	s_waitcnt vmcnt(17) lgkmcnt(0)
	v_pk_fma_f32 v[182:183], v[200:201], v[202:203], v[182:183] op_sel_hi:[0,1,1] neg_lo:[1,0,0] neg_hi:[1,0,0]
.LBB127_340:
	s_or_b64 exec, exec, s[2:3]
	v_cmp_eq_u32_e32 vcc, 62, v193
	s_waitcnt lgkmcnt(0)
	s_barrier
	s_and_saveexec_b64 s[2:3], vcc
	s_cbranch_execz .LBB127_343
; %bb.341:
	s_waitcnt vmcnt(18)
	ds_write_b32 v195, v182
	s_waitcnt vmcnt(17)
	ds_write_b32 v197, v183 offset:252
	ds_read_b32 v200, v195
	s_waitcnt lgkmcnt(0)
	v_cmp_neq_f32_e32 vcc, 0, v200
	s_and_b64 exec, exec, vcc
	s_cbranch_execz .LBB127_343
; %bb.342:
	v_div_scale_f32 v201, s[4:5], v200, v200, 1.0
	v_rcp_f32_e32 v202, v201
	v_mov_b32_e32 v212, v208
	v_mov_b32_e32 v208, v207
	;; [unrolled: 1-line block ×3, first 2 shown]
	v_fma_f32 v204, -v201, v202, 1.0
	v_div_scale_f32 v203, vcc, 1.0, v200, 1.0
	v_fmac_f32_e32 v202, v204, v202
	v_mul_f32_e32 v204, v203, v202
	v_mov_b32_e32 v4, v2
	v_mov_b32_e32 v2, v209
	;; [unrolled: 1-line block ×4, first 2 shown]
	v_fma_f32 v205, -v201, v204, v203
	v_fmac_f32_e32 v204, v205, v202
	v_fma_f32 v201, -v201, v204, v203
	v_mov_b32_e32 v3, v213
	v_mov_b32_e32 v213, v211
	v_mov_b32_e32 v214, v210
	v_mov_b64_e32 v[210:211], v[190:191]
	v_mov_b64_e32 v[190:191], v[126:127]
	;; [unrolled: 1-line block ×59, first 2 shown]
	v_div_fmas_f32 v201, v201, v202, v204
	v_mov_b32_e32 v205, v206
	v_mov_b32_e32 v206, v209
	;; [unrolled: 1-line block ×4, first 2 shown]
	v_mov_b64_e32 v[10:11], v[12:13]
	v_mov_b64_e32 v[12:13], v[14:15]
	;; [unrolled: 1-line block ×59, first 2 shown]
	v_mov_b32_e32 v210, v214
	v_mov_b32_e32 v211, v213
	;; [unrolled: 1-line block ×6, first 2 shown]
	v_div_fixup_f32 v200, v201, v200, 1.0
	ds_write_b32 v195, v200
.LBB127_343:
	s_or_b64 exec, exec, s[2:3]
	s_waitcnt lgkmcnt(0)
	s_barrier
	ds_read_b32 v200, v195
	v_cmp_lt_u32_e32 vcc, 62, v193
	s_and_saveexec_b64 s[2:3], vcc
	s_cbranch_execz .LBB127_345
; %bb.344:
	ds_read_b32 v197, v197 offset:252
	s_waitcnt vmcnt(18) lgkmcnt(1)
	v_mul_f32_e32 v182, v200, v182
	s_waitcnt vmcnt(17) lgkmcnt(0)
	v_fma_f32 v183, -v182, v197, v183
.LBB127_345:
	s_or_b64 exec, exec, s[2:3]
	v_cmp_ne_u32_e32 vcc, 63, v193
	s_waitcnt lgkmcnt(0)
	s_barrier
	s_and_saveexec_b64 s[2:3], vcc
	s_xor_b64 s[2:3], exec, s[2:3]
	s_andn2_saveexec_b64 s[2:3], s[2:3]
	s_cbranch_execz .LBB127_349
; %bb.346:
	s_waitcnt vmcnt(17)
	v_cmp_neq_f32_e32 vcc, 0, v183
	ds_write_b32 v195, v183
	s_and_saveexec_b64 s[4:5], vcc
	s_cbranch_execz .LBB127_348
; %bb.347:
	v_div_scale_f32 v197, s[10:11], v183, v183, 1.0
	v_rcp_f32_e32 v201, v197
	v_div_scale_f32 v202, vcc, 1.0, v183, 1.0
	v_mov_b32_e32 v212, v210
	v_fma_f32 v203, -v197, v201, 1.0
	v_fmac_f32_e32 v201, v203, v201
	v_mul_f32_e32 v203, v202, v201
	v_mov_b32_e32 v210, v208
	v_mov_b32_e32 v208, v206
	;; [unrolled: 1-line block ×3, first 2 shown]
	v_fma_f32 v204, -v197, v203, v202
	v_fmac_f32_e32 v203, v204, v201
	v_fma_f32 v197, -v197, v203, v202
	v_div_fmas_f32 v197, v197, v201, v203
	v_mov_b32_e32 v204, v206
	v_mov_b32_e32 v206, v208
	;; [unrolled: 1-line block ×4, first 2 shown]
	v_div_fixup_f32 v197, v197, v183, 1.0
	ds_write_b32 v195, v197
.LBB127_348:
	s_or_b64 exec, exec, s[4:5]
.LBB127_349:
	s_or_b64 exec, exec, s[2:3]
	s_waitcnt lgkmcnt(0)
	s_barrier
	ds_read_b32 v195, v195
	s_waitcnt lgkmcnt(0)
	s_barrier
	s_and_saveexec_b64 s[2:3], s[0:1]
	s_cbranch_execz .LBB127_352
; %bb.350:
	scratch_load_dword v201, off, off offset:40 ; 4-byte Folded Reload
	scratch_load_dword v197, off, off       ; 4-byte Folded Reload
	v_mov_b32_e32 v202, s6
	v_mov_b32_e32 v203, s7
	v_lshl_add_u64 v[24:25], v[24:25], 2, v[202:203]
	s_waitcnt vmcnt(1)
	v_cmp_neq_f32_e64 s[0:1], 0, v201
	scratch_load_dword v201, off, off offset:4 ; 4-byte Folded Reload
	s_waitcnt vmcnt(1)
	v_cmp_eq_f32_e32 vcc, 0, v197
	s_nop 1
	v_cndmask_b32_e64 v197, 0, 1, vcc
	s_or_b64 vcc, s[0:1], vcc
	v_cndmask_b32_e32 v197, 2, v197, vcc
	v_cmp_eq_u32_e64 s[0:1], 0, v197
	s_waitcnt vmcnt(0)
	v_cmp_eq_f32_e32 vcc, 0, v201
	scratch_load_dword v201, off, off offset:8 ; 4-byte Folded Reload
	s_and_b64 s[0:1], vcc, s[0:1]
	v_cndmask_b32_e64 v197, v197, 3, s[0:1]
	v_cmp_eq_u32_e64 s[0:1], 0, v197
	s_waitcnt vmcnt(0)
	v_cmp_eq_f32_e32 vcc, 0, v201
	scratch_load_dword v201, off, off offset:12 ; 4-byte Folded Reload
	s_and_b64 s[0:1], vcc, s[0:1]
	v_cndmask_b32_e64 v197, v197, 4, s[0:1]
	;; [unrolled: 6-line block ×4, first 2 shown]
	v_cmp_eq_u32_e64 s[0:1], 0, v197
	s_waitcnt vmcnt(0)
	v_cmp_eq_f32_e32 vcc, 0, v201
	s_and_b64 s[0:1], vcc, s[0:1]
	v_cndmask_b32_e64 v197, v197, 7, s[0:1]
	v_cmp_eq_f32_e32 vcc, 0, v205
	v_cmp_eq_u32_e64 s[0:1], 0, v197
	s_and_b64 s[0:1], vcc, s[0:1]
	v_cmp_eq_f32_e32 vcc, 0, v204
	v_cndmask_b32_e64 v197, v197, 8, s[0:1]
	v_cmp_eq_u32_e64 s[0:1], 0, v197
	s_and_b64 s[0:1], vcc, s[0:1]
	v_cmp_eq_f32_e32 vcc, 0, v207
	v_cndmask_b32_e64 v197, v197, 9, s[0:1]
	;; [unrolled: 4-line block ×30, first 2 shown]
	v_cmp_eq_u32_e64 s[0:1], 0, v197
	s_and_b64 s[0:1], vcc, s[0:1]
	global_load_dword v201, v[24:25], off
	v_cndmask_b32_e64 v197, v197, 38, s[0:1]
	v_cmp_eq_f32_e32 vcc, 0, v235
	v_cmp_eq_u32_e64 s[0:1], 0, v197
	s_and_b64 s[0:1], vcc, s[0:1]
	v_cmp_eq_f32_e32 vcc, 0, v236
	v_cndmask_b32_e64 v197, v197, 39, s[0:1]
	v_cmp_eq_u32_e64 s[0:1], 0, v197
	s_and_b64 s[0:1], vcc, s[0:1]
	v_cmp_eq_f32_e32 vcc, 0, v237
	v_cndmask_b32_e64 v197, v197, 40, s[0:1]
	;; [unrolled: 4-line block ×25, first 2 shown]
	v_cmp_eq_u32_e64 s[0:1], 0, v196
	s_and_b64 s[0:1], vcc, s[0:1]
	s_waitcnt vmcnt(0)
	v_cmp_eq_u32_e32 vcc, 0, v201
	v_cndmask_b32_e64 v196, v196, 64, s[0:1]
	v_cmp_ne_u32_e64 s[0:1], 0, v196
	s_and_b64 s[0:1], vcc, s[0:1]
	s_and_b64 exec, exec, s[0:1]
	s_cbranch_execz .LBB127_352
; %bb.351:
	v_add_u32_e32 v196, s9, v196
	global_store_dword v[24:25], v196, off
.LBB127_352:
	s_or_b64 exec, exec, s[2:3]
	s_waitcnt vmcnt(8)
	global_store_dword v[0:1], v192, off
	s_waitcnt vmcnt(8)
	global_store_dword v[190:191], v194, off
	scratch_load_dwordx2 v[0:1], off, off offset:24 ; 8-byte Folded Reload
	v_mul_f32_e32 v24, v195, v183
	v_cmp_lt_u32_e32 vcc, 63, v193
	s_waitcnt vmcnt(0)
	global_store_dword v[0:1], v186, off
	scratch_load_dwordx2 v[0:1], off, off offset:32 ; 8-byte Folded Reload
	v_cndmask_b32_e32 v24, v183, v24, vcc
	s_waitcnt vmcnt(0)
	global_store_dword v[0:1], v187, off
	global_store_dword v[6:7], v188, off
	;; [unrolled: 1-line block ×61, first 2 shown]
.LBB127_353:
	s_endpgm
	.section	.rodata,"a",@progbits
	.p2align	6, 0x0
	.amdhsa_kernel _ZN9rocsolver6v33100L23getf2_npvt_small_kernelILi64EfiiPfEEvT1_T3_lS3_lPT2_S3_S3_
		.amdhsa_group_segment_fixed_size 0
		.amdhsa_private_segment_fixed_size 48
		.amdhsa_kernarg_size 312
		.amdhsa_user_sgpr_count 2
		.amdhsa_user_sgpr_dispatch_ptr 0
		.amdhsa_user_sgpr_queue_ptr 0
		.amdhsa_user_sgpr_kernarg_segment_ptr 1
		.amdhsa_user_sgpr_dispatch_id 0
		.amdhsa_user_sgpr_kernarg_preload_length 0
		.amdhsa_user_sgpr_kernarg_preload_offset 0
		.amdhsa_user_sgpr_private_segment_size 0
		.amdhsa_uses_dynamic_stack 0
		.amdhsa_enable_private_segment 1
		.amdhsa_system_sgpr_workgroup_id_x 1
		.amdhsa_system_sgpr_workgroup_id_y 1
		.amdhsa_system_sgpr_workgroup_id_z 0
		.amdhsa_system_sgpr_workgroup_info 0
		.amdhsa_system_vgpr_workitem_id 1
		.amdhsa_next_free_vgpr 256
		.amdhsa_next_free_sgpr 16
		.amdhsa_accum_offset 256
		.amdhsa_reserve_vcc 1
		.amdhsa_float_round_mode_32 0
		.amdhsa_float_round_mode_16_64 0
		.amdhsa_float_denorm_mode_32 3
		.amdhsa_float_denorm_mode_16_64 3
		.amdhsa_dx10_clamp 1
		.amdhsa_ieee_mode 1
		.amdhsa_fp16_overflow 0
		.amdhsa_tg_split 0
		.amdhsa_exception_fp_ieee_invalid_op 0
		.amdhsa_exception_fp_denorm_src 0
		.amdhsa_exception_fp_ieee_div_zero 0
		.amdhsa_exception_fp_ieee_overflow 0
		.amdhsa_exception_fp_ieee_underflow 0
		.amdhsa_exception_fp_ieee_inexact 0
		.amdhsa_exception_int_div_zero 0
	.end_amdhsa_kernel
	.section	.text._ZN9rocsolver6v33100L23getf2_npvt_small_kernelILi64EfiiPfEEvT1_T3_lS3_lPT2_S3_S3_,"axG",@progbits,_ZN9rocsolver6v33100L23getf2_npvt_small_kernelILi64EfiiPfEEvT1_T3_lS3_lPT2_S3_S3_,comdat
.Lfunc_end127:
	.size	_ZN9rocsolver6v33100L23getf2_npvt_small_kernelILi64EfiiPfEEvT1_T3_lS3_lPT2_S3_S3_, .Lfunc_end127-_ZN9rocsolver6v33100L23getf2_npvt_small_kernelILi64EfiiPfEEvT1_T3_lS3_lPT2_S3_S3_
                                        ; -- End function
	.set _ZN9rocsolver6v33100L23getf2_npvt_small_kernelILi64EfiiPfEEvT1_T3_lS3_lPT2_S3_S3_.num_vgpr, 256
	.set _ZN9rocsolver6v33100L23getf2_npvt_small_kernelILi64EfiiPfEEvT1_T3_lS3_lPT2_S3_S3_.num_agpr, 0
	.set _ZN9rocsolver6v33100L23getf2_npvt_small_kernelILi64EfiiPfEEvT1_T3_lS3_lPT2_S3_S3_.numbered_sgpr, 16
	.set _ZN9rocsolver6v33100L23getf2_npvt_small_kernelILi64EfiiPfEEvT1_T3_lS3_lPT2_S3_S3_.num_named_barrier, 0
	.set _ZN9rocsolver6v33100L23getf2_npvt_small_kernelILi64EfiiPfEEvT1_T3_lS3_lPT2_S3_S3_.private_seg_size, 48
	.set _ZN9rocsolver6v33100L23getf2_npvt_small_kernelILi64EfiiPfEEvT1_T3_lS3_lPT2_S3_S3_.uses_vcc, 1
	.set _ZN9rocsolver6v33100L23getf2_npvt_small_kernelILi64EfiiPfEEvT1_T3_lS3_lPT2_S3_S3_.uses_flat_scratch, 0
	.set _ZN9rocsolver6v33100L23getf2_npvt_small_kernelILi64EfiiPfEEvT1_T3_lS3_lPT2_S3_S3_.has_dyn_sized_stack, 0
	.set _ZN9rocsolver6v33100L23getf2_npvt_small_kernelILi64EfiiPfEEvT1_T3_lS3_lPT2_S3_S3_.has_recursion, 0
	.set _ZN9rocsolver6v33100L23getf2_npvt_small_kernelILi64EfiiPfEEvT1_T3_lS3_lPT2_S3_S3_.has_indirect_call, 0
	.section	.AMDGPU.csdata,"",@progbits
; Kernel info:
; codeLenInByte = 47572
; TotalNumSgprs: 22
; NumVgprs: 256
; NumAgprs: 0
; TotalNumVgprs: 256
; ScratchSize: 48
; MemoryBound: 0
; FloatMode: 240
; IeeeMode: 1
; LDSByteSize: 0 bytes/workgroup (compile time only)
; SGPRBlocks: 2
; VGPRBlocks: 31
; NumSGPRsForWavesPerEU: 22
; NumVGPRsForWavesPerEU: 256
; AccumOffset: 256
; Occupancy: 2
; WaveLimiterHint : 0
; COMPUTE_PGM_RSRC2:SCRATCH_EN: 1
; COMPUTE_PGM_RSRC2:USER_SGPR: 2
; COMPUTE_PGM_RSRC2:TRAP_HANDLER: 0
; COMPUTE_PGM_RSRC2:TGID_X_EN: 1
; COMPUTE_PGM_RSRC2:TGID_Y_EN: 1
; COMPUTE_PGM_RSRC2:TGID_Z_EN: 0
; COMPUTE_PGM_RSRC2:TIDIG_COMP_CNT: 1
; COMPUTE_PGM_RSRC3_GFX90A:ACCUM_OFFSET: 63
; COMPUTE_PGM_RSRC3_GFX90A:TG_SPLIT: 0
	.section	.AMDGPU.gpr_maximums,"",@progbits
	.set amdgpu.max_num_vgpr, 0
	.set amdgpu.max_num_agpr, 0
	.set amdgpu.max_num_sgpr, 0
	.section	.AMDGPU.csdata,"",@progbits
	.type	__hip_cuid_28c8f50c3b42f69a,@object ; @__hip_cuid_28c8f50c3b42f69a
	.section	.bss,"aw",@nobits
	.globl	__hip_cuid_28c8f50c3b42f69a
__hip_cuid_28c8f50c3b42f69a:
	.byte	0                               ; 0x0
	.size	__hip_cuid_28c8f50c3b42f69a, 1

	.ident	"AMD clang version 22.0.0git (https://github.com/RadeonOpenCompute/llvm-project roc-7.2.4 26084 f58b06dce1f9c15707c5f808fd002e18c2accf7e)"
	.section	".note.GNU-stack","",@progbits
	.addrsig
	.addrsig_sym __hip_cuid_28c8f50c3b42f69a
	.amdgpu_metadata
---
amdhsa.kernels:
  - .agpr_count:     0
    .args:
      - .offset:         0
        .size:           4
        .value_kind:     by_value
      - .address_space:  global
        .offset:         8
        .size:           8
        .value_kind:     global_buffer
      - .offset:         16
        .size:           8
        .value_kind:     by_value
      - .offset:         24
        .size:           4
        .value_kind:     by_value
      - .offset:         32
        .size:           8
        .value_kind:     by_value
      - .address_space:  global
        .offset:         40
        .size:           8
        .value_kind:     global_buffer
      - .offset:         48
        .size:           8
        .value_kind:     by_value
      - .offset:         56
        .size:           8
        .value_kind:     by_value
      - .address_space:  global
        .offset:         64
        .size:           8
        .value_kind:     global_buffer
      - .offset:         72
        .size:           4
        .value_kind:     by_value
      - .offset:         76
        .size:           4
        .value_kind:     by_value
      - .address_space:  global
        .offset:         80
        .size:           8
        .value_kind:     global_buffer
      - .offset:         88
        .size:           8
        .value_kind:     by_value
      - .offset:         96
        .size:           4
        .value_kind:     hidden_block_count_x
      - .offset:         100
        .size:           4
        .value_kind:     hidden_block_count_y
      - .offset:         104
        .size:           4
        .value_kind:     hidden_block_count_z
      - .offset:         108
        .size:           2
        .value_kind:     hidden_group_size_x
      - .offset:         110
        .size:           2
        .value_kind:     hidden_group_size_y
      - .offset:         112
        .size:           2
        .value_kind:     hidden_group_size_z
      - .offset:         114
        .size:           2
        .value_kind:     hidden_remainder_x
      - .offset:         116
        .size:           2
        .value_kind:     hidden_remainder_y
      - .offset:         118
        .size:           2
        .value_kind:     hidden_remainder_z
      - .offset:         136
        .size:           8
        .value_kind:     hidden_global_offset_x
      - .offset:         144
        .size:           8
        .value_kind:     hidden_global_offset_y
      - .offset:         152
        .size:           8
        .value_kind:     hidden_global_offset_z
      - .offset:         160
        .size:           2
        .value_kind:     hidden_grid_dims
      - .offset:         216
        .size:           4
        .value_kind:     hidden_dynamic_lds_size
    .group_segment_fixed_size: 0
    .kernarg_segment_align: 8
    .kernarg_segment_size: 352
    .language:       OpenCL C
    .language_version:
      - 2
      - 0
    .max_flat_workgroup_size: 512
    .name:           _ZN9rocsolver6v33100L18getf2_small_kernelILi1EfiiPfEEvT1_T3_lS3_lPS3_llPT2_S3_S3_S5_l
    .private_segment_fixed_size: 0
    .sgpr_count:     26
    .sgpr_spill_count: 0
    .symbol:         _ZN9rocsolver6v33100L18getf2_small_kernelILi1EfiiPfEEvT1_T3_lS3_lPS3_llPT2_S3_S3_S5_l.kd
    .uniform_work_group_size: 1
    .uses_dynamic_stack: false
    .vgpr_count:     15
    .vgpr_spill_count: 0
    .wavefront_size: 64
  - .agpr_count:     0
    .args:
      - .offset:         0
        .size:           4
        .value_kind:     by_value
      - .address_space:  global
        .offset:         8
        .size:           8
        .value_kind:     global_buffer
      - .offset:         16
        .size:           8
        .value_kind:     by_value
      - .offset:         24
        .size:           4
        .value_kind:     by_value
      - .offset:         32
        .size:           8
        .value_kind:     by_value
      - .address_space:  global
        .offset:         40
        .size:           8
        .value_kind:     global_buffer
      - .offset:         48
        .size:           4
        .value_kind:     by_value
      - .offset:         52
        .size:           4
        .value_kind:     by_value
      - .offset:         56
        .size:           4
        .value_kind:     hidden_block_count_x
      - .offset:         60
        .size:           4
        .value_kind:     hidden_block_count_y
      - .offset:         64
        .size:           4
        .value_kind:     hidden_block_count_z
      - .offset:         68
        .size:           2
        .value_kind:     hidden_group_size_x
      - .offset:         70
        .size:           2
        .value_kind:     hidden_group_size_y
      - .offset:         72
        .size:           2
        .value_kind:     hidden_group_size_z
      - .offset:         74
        .size:           2
        .value_kind:     hidden_remainder_x
      - .offset:         76
        .size:           2
        .value_kind:     hidden_remainder_y
      - .offset:         78
        .size:           2
        .value_kind:     hidden_remainder_z
      - .offset:         96
        .size:           8
        .value_kind:     hidden_global_offset_x
      - .offset:         104
        .size:           8
        .value_kind:     hidden_global_offset_y
      - .offset:         112
        .size:           8
        .value_kind:     hidden_global_offset_z
      - .offset:         120
        .size:           2
        .value_kind:     hidden_grid_dims
      - .offset:         176
        .size:           4
        .value_kind:     hidden_dynamic_lds_size
    .group_segment_fixed_size: 0
    .kernarg_segment_align: 8
    .kernarg_segment_size: 312
    .language:       OpenCL C
    .language_version:
      - 2
      - 0
    .max_flat_workgroup_size: 512
    .name:           _ZN9rocsolver6v33100L23getf2_npvt_small_kernelILi1EfiiPfEEvT1_T3_lS3_lPT2_S3_S3_
    .private_segment_fixed_size: 0
    .sgpr_count:     22
    .sgpr_spill_count: 0
    .symbol:         _ZN9rocsolver6v33100L23getf2_npvt_small_kernelILi1EfiiPfEEvT1_T3_lS3_lPT2_S3_S3_.kd
    .uniform_work_group_size: 1
    .uses_dynamic_stack: false
    .vgpr_count:     11
    .vgpr_spill_count: 0
    .wavefront_size: 64
  - .agpr_count:     0
    .args:
      - .offset:         0
        .size:           4
        .value_kind:     by_value
      - .address_space:  global
        .offset:         8
        .size:           8
        .value_kind:     global_buffer
      - .offset:         16
        .size:           8
        .value_kind:     by_value
      - .offset:         24
        .size:           4
        .value_kind:     by_value
      - .offset:         32
        .size:           8
        .value_kind:     by_value
      - .address_space:  global
        .offset:         40
        .size:           8
        .value_kind:     global_buffer
      - .offset:         48
        .size:           8
        .value_kind:     by_value
      - .offset:         56
        .size:           8
        .value_kind:     by_value
      - .address_space:  global
        .offset:         64
        .size:           8
        .value_kind:     global_buffer
      - .offset:         72
        .size:           4
        .value_kind:     by_value
      - .offset:         76
        .size:           4
        .value_kind:     by_value
      - .address_space:  global
        .offset:         80
        .size:           8
        .value_kind:     global_buffer
      - .offset:         88
        .size:           8
        .value_kind:     by_value
      - .offset:         96
        .size:           4
        .value_kind:     hidden_block_count_x
      - .offset:         100
        .size:           4
        .value_kind:     hidden_block_count_y
      - .offset:         104
        .size:           4
        .value_kind:     hidden_block_count_z
      - .offset:         108
        .size:           2
        .value_kind:     hidden_group_size_x
      - .offset:         110
        .size:           2
        .value_kind:     hidden_group_size_y
      - .offset:         112
        .size:           2
        .value_kind:     hidden_group_size_z
      - .offset:         114
        .size:           2
        .value_kind:     hidden_remainder_x
      - .offset:         116
        .size:           2
        .value_kind:     hidden_remainder_y
      - .offset:         118
        .size:           2
        .value_kind:     hidden_remainder_z
      - .offset:         136
        .size:           8
        .value_kind:     hidden_global_offset_x
      - .offset:         144
        .size:           8
        .value_kind:     hidden_global_offset_y
      - .offset:         152
        .size:           8
        .value_kind:     hidden_global_offset_z
      - .offset:         160
        .size:           2
        .value_kind:     hidden_grid_dims
      - .offset:         216
        .size:           4
        .value_kind:     hidden_dynamic_lds_size
    .group_segment_fixed_size: 0
    .kernarg_segment_align: 8
    .kernarg_segment_size: 352
    .language:       OpenCL C
    .language_version:
      - 2
      - 0
    .max_flat_workgroup_size: 512
    .name:           _ZN9rocsolver6v33100L18getf2_small_kernelILi2EfiiPfEEvT1_T3_lS3_lPS3_llPT2_S3_S3_S5_l
    .private_segment_fixed_size: 0
    .sgpr_count:     28
    .sgpr_spill_count: 0
    .symbol:         _ZN9rocsolver6v33100L18getf2_small_kernelILi2EfiiPfEEvT1_T3_lS3_lPS3_llPT2_S3_S3_S5_l.kd
    .uniform_work_group_size: 1
    .uses_dynamic_stack: false
    .vgpr_count:     18
    .vgpr_spill_count: 0
    .wavefront_size: 64
  - .agpr_count:     0
    .args:
      - .offset:         0
        .size:           4
        .value_kind:     by_value
      - .address_space:  global
        .offset:         8
        .size:           8
        .value_kind:     global_buffer
      - .offset:         16
        .size:           8
        .value_kind:     by_value
      - .offset:         24
        .size:           4
        .value_kind:     by_value
      - .offset:         32
        .size:           8
        .value_kind:     by_value
      - .address_space:  global
        .offset:         40
        .size:           8
        .value_kind:     global_buffer
      - .offset:         48
        .size:           4
        .value_kind:     by_value
      - .offset:         52
        .size:           4
        .value_kind:     by_value
      - .offset:         56
        .size:           4
        .value_kind:     hidden_block_count_x
      - .offset:         60
        .size:           4
        .value_kind:     hidden_block_count_y
      - .offset:         64
        .size:           4
        .value_kind:     hidden_block_count_z
      - .offset:         68
        .size:           2
        .value_kind:     hidden_group_size_x
      - .offset:         70
        .size:           2
        .value_kind:     hidden_group_size_y
      - .offset:         72
        .size:           2
        .value_kind:     hidden_group_size_z
      - .offset:         74
        .size:           2
        .value_kind:     hidden_remainder_x
      - .offset:         76
        .size:           2
        .value_kind:     hidden_remainder_y
      - .offset:         78
        .size:           2
        .value_kind:     hidden_remainder_z
      - .offset:         96
        .size:           8
        .value_kind:     hidden_global_offset_x
      - .offset:         104
        .size:           8
        .value_kind:     hidden_global_offset_y
      - .offset:         112
        .size:           8
        .value_kind:     hidden_global_offset_z
      - .offset:         120
        .size:           2
        .value_kind:     hidden_grid_dims
      - .offset:         176
        .size:           4
        .value_kind:     hidden_dynamic_lds_size
    .group_segment_fixed_size: 0
    .kernarg_segment_align: 8
    .kernarg_segment_size: 312
    .language:       OpenCL C
    .language_version:
      - 2
      - 0
    .max_flat_workgroup_size: 512
    .name:           _ZN9rocsolver6v33100L23getf2_npvt_small_kernelILi2EfiiPfEEvT1_T3_lS3_lPT2_S3_S3_
    .private_segment_fixed_size: 0
    .sgpr_count:     22
    .sgpr_spill_count: 0
    .symbol:         _ZN9rocsolver6v33100L23getf2_npvt_small_kernelILi2EfiiPfEEvT1_T3_lS3_lPT2_S3_S3_.kd
    .uniform_work_group_size: 1
    .uses_dynamic_stack: false
    .vgpr_count:     17
    .vgpr_spill_count: 0
    .wavefront_size: 64
  - .agpr_count:     0
    .args:
      - .offset:         0
        .size:           4
        .value_kind:     by_value
      - .address_space:  global
        .offset:         8
        .size:           8
        .value_kind:     global_buffer
      - .offset:         16
        .size:           8
        .value_kind:     by_value
      - .offset:         24
        .size:           4
        .value_kind:     by_value
      - .offset:         32
        .size:           8
        .value_kind:     by_value
      - .address_space:  global
        .offset:         40
        .size:           8
        .value_kind:     global_buffer
      - .offset:         48
        .size:           8
        .value_kind:     by_value
      - .offset:         56
        .size:           8
        .value_kind:     by_value
      - .address_space:  global
        .offset:         64
        .size:           8
        .value_kind:     global_buffer
      - .offset:         72
        .size:           4
        .value_kind:     by_value
      - .offset:         76
        .size:           4
        .value_kind:     by_value
      - .address_space:  global
        .offset:         80
        .size:           8
        .value_kind:     global_buffer
      - .offset:         88
        .size:           8
        .value_kind:     by_value
      - .offset:         96
        .size:           4
        .value_kind:     hidden_block_count_x
      - .offset:         100
        .size:           4
        .value_kind:     hidden_block_count_y
      - .offset:         104
        .size:           4
        .value_kind:     hidden_block_count_z
      - .offset:         108
        .size:           2
        .value_kind:     hidden_group_size_x
      - .offset:         110
        .size:           2
        .value_kind:     hidden_group_size_y
      - .offset:         112
        .size:           2
        .value_kind:     hidden_group_size_z
      - .offset:         114
        .size:           2
        .value_kind:     hidden_remainder_x
      - .offset:         116
        .size:           2
        .value_kind:     hidden_remainder_y
      - .offset:         118
        .size:           2
        .value_kind:     hidden_remainder_z
      - .offset:         136
        .size:           8
        .value_kind:     hidden_global_offset_x
      - .offset:         144
        .size:           8
        .value_kind:     hidden_global_offset_y
      - .offset:         152
        .size:           8
        .value_kind:     hidden_global_offset_z
      - .offset:         160
        .size:           2
        .value_kind:     hidden_grid_dims
      - .offset:         216
        .size:           4
        .value_kind:     hidden_dynamic_lds_size
    .group_segment_fixed_size: 0
    .kernarg_segment_align: 8
    .kernarg_segment_size: 352
    .language:       OpenCL C
    .language_version:
      - 2
      - 0
    .max_flat_workgroup_size: 512
    .name:           _ZN9rocsolver6v33100L18getf2_small_kernelILi3EfiiPfEEvT1_T3_lS3_lPS3_llPT2_S3_S3_S5_l
    .private_segment_fixed_size: 0
    .sgpr_count:     32
    .sgpr_spill_count: 0
    .symbol:         _ZN9rocsolver6v33100L18getf2_small_kernelILi3EfiiPfEEvT1_T3_lS3_lPS3_llPT2_S3_S3_S5_l.kd
    .uniform_work_group_size: 1
    .uses_dynamic_stack: false
    .vgpr_count:     19
    .vgpr_spill_count: 0
    .wavefront_size: 64
  - .agpr_count:     0
    .args:
      - .offset:         0
        .size:           4
        .value_kind:     by_value
      - .address_space:  global
        .offset:         8
        .size:           8
        .value_kind:     global_buffer
      - .offset:         16
        .size:           8
        .value_kind:     by_value
      - .offset:         24
        .size:           4
        .value_kind:     by_value
      - .offset:         32
        .size:           8
        .value_kind:     by_value
      - .address_space:  global
        .offset:         40
        .size:           8
        .value_kind:     global_buffer
      - .offset:         48
        .size:           4
        .value_kind:     by_value
      - .offset:         52
        .size:           4
        .value_kind:     by_value
      - .offset:         56
        .size:           4
        .value_kind:     hidden_block_count_x
      - .offset:         60
        .size:           4
        .value_kind:     hidden_block_count_y
      - .offset:         64
        .size:           4
        .value_kind:     hidden_block_count_z
      - .offset:         68
        .size:           2
        .value_kind:     hidden_group_size_x
      - .offset:         70
        .size:           2
        .value_kind:     hidden_group_size_y
      - .offset:         72
        .size:           2
        .value_kind:     hidden_group_size_z
      - .offset:         74
        .size:           2
        .value_kind:     hidden_remainder_x
      - .offset:         76
        .size:           2
        .value_kind:     hidden_remainder_y
      - .offset:         78
        .size:           2
        .value_kind:     hidden_remainder_z
      - .offset:         96
        .size:           8
        .value_kind:     hidden_global_offset_x
      - .offset:         104
        .size:           8
        .value_kind:     hidden_global_offset_y
      - .offset:         112
        .size:           8
        .value_kind:     hidden_global_offset_z
      - .offset:         120
        .size:           2
        .value_kind:     hidden_grid_dims
      - .offset:         176
        .size:           4
        .value_kind:     hidden_dynamic_lds_size
    .group_segment_fixed_size: 0
    .kernarg_segment_align: 8
    .kernarg_segment_size: 312
    .language:       OpenCL C
    .language_version:
      - 2
      - 0
    .max_flat_workgroup_size: 512
    .name:           _ZN9rocsolver6v33100L23getf2_npvt_small_kernelILi3EfiiPfEEvT1_T3_lS3_lPT2_S3_S3_
    .private_segment_fixed_size: 0
    .sgpr_count:     22
    .sgpr_spill_count: 0
    .symbol:         _ZN9rocsolver6v33100L23getf2_npvt_small_kernelILi3EfiiPfEEvT1_T3_lS3_lPT2_S3_S3_.kd
    .uniform_work_group_size: 1
    .uses_dynamic_stack: false
    .vgpr_count:     21
    .vgpr_spill_count: 0
    .wavefront_size: 64
  - .agpr_count:     0
    .args:
      - .offset:         0
        .size:           4
        .value_kind:     by_value
      - .address_space:  global
        .offset:         8
        .size:           8
        .value_kind:     global_buffer
      - .offset:         16
        .size:           8
        .value_kind:     by_value
      - .offset:         24
        .size:           4
        .value_kind:     by_value
      - .offset:         32
        .size:           8
        .value_kind:     by_value
      - .address_space:  global
        .offset:         40
        .size:           8
        .value_kind:     global_buffer
      - .offset:         48
        .size:           8
        .value_kind:     by_value
      - .offset:         56
        .size:           8
        .value_kind:     by_value
      - .address_space:  global
        .offset:         64
        .size:           8
        .value_kind:     global_buffer
      - .offset:         72
        .size:           4
        .value_kind:     by_value
      - .offset:         76
        .size:           4
        .value_kind:     by_value
      - .address_space:  global
        .offset:         80
        .size:           8
        .value_kind:     global_buffer
      - .offset:         88
        .size:           8
        .value_kind:     by_value
      - .offset:         96
        .size:           4
        .value_kind:     hidden_block_count_x
      - .offset:         100
        .size:           4
        .value_kind:     hidden_block_count_y
      - .offset:         104
        .size:           4
        .value_kind:     hidden_block_count_z
      - .offset:         108
        .size:           2
        .value_kind:     hidden_group_size_x
      - .offset:         110
        .size:           2
        .value_kind:     hidden_group_size_y
      - .offset:         112
        .size:           2
        .value_kind:     hidden_group_size_z
      - .offset:         114
        .size:           2
        .value_kind:     hidden_remainder_x
      - .offset:         116
        .size:           2
        .value_kind:     hidden_remainder_y
      - .offset:         118
        .size:           2
        .value_kind:     hidden_remainder_z
      - .offset:         136
        .size:           8
        .value_kind:     hidden_global_offset_x
      - .offset:         144
        .size:           8
        .value_kind:     hidden_global_offset_y
      - .offset:         152
        .size:           8
        .value_kind:     hidden_global_offset_z
      - .offset:         160
        .size:           2
        .value_kind:     hidden_grid_dims
      - .offset:         216
        .size:           4
        .value_kind:     hidden_dynamic_lds_size
    .group_segment_fixed_size: 0
    .kernarg_segment_align: 8
    .kernarg_segment_size: 352
    .language:       OpenCL C
    .language_version:
      - 2
      - 0
    .max_flat_workgroup_size: 512
    .name:           _ZN9rocsolver6v33100L18getf2_small_kernelILi4EfiiPfEEvT1_T3_lS3_lPS3_llPT2_S3_S3_S5_l
    .private_segment_fixed_size: 0
    .sgpr_count:     32
    .sgpr_spill_count: 0
    .symbol:         _ZN9rocsolver6v33100L18getf2_small_kernelILi4EfiiPfEEvT1_T3_lS3_lPS3_llPT2_S3_S3_S5_l.kd
    .uniform_work_group_size: 1
    .uses_dynamic_stack: false
    .vgpr_count:     24
    .vgpr_spill_count: 0
    .wavefront_size: 64
  - .agpr_count:     0
    .args:
      - .offset:         0
        .size:           4
        .value_kind:     by_value
      - .address_space:  global
        .offset:         8
        .size:           8
        .value_kind:     global_buffer
      - .offset:         16
        .size:           8
        .value_kind:     by_value
      - .offset:         24
        .size:           4
        .value_kind:     by_value
      - .offset:         32
        .size:           8
        .value_kind:     by_value
      - .address_space:  global
        .offset:         40
        .size:           8
        .value_kind:     global_buffer
      - .offset:         48
        .size:           4
        .value_kind:     by_value
      - .offset:         52
        .size:           4
        .value_kind:     by_value
      - .offset:         56
        .size:           4
        .value_kind:     hidden_block_count_x
      - .offset:         60
        .size:           4
        .value_kind:     hidden_block_count_y
      - .offset:         64
        .size:           4
        .value_kind:     hidden_block_count_z
      - .offset:         68
        .size:           2
        .value_kind:     hidden_group_size_x
      - .offset:         70
        .size:           2
        .value_kind:     hidden_group_size_y
      - .offset:         72
        .size:           2
        .value_kind:     hidden_group_size_z
      - .offset:         74
        .size:           2
        .value_kind:     hidden_remainder_x
      - .offset:         76
        .size:           2
        .value_kind:     hidden_remainder_y
      - .offset:         78
        .size:           2
        .value_kind:     hidden_remainder_z
      - .offset:         96
        .size:           8
        .value_kind:     hidden_global_offset_x
      - .offset:         104
        .size:           8
        .value_kind:     hidden_global_offset_y
      - .offset:         112
        .size:           8
        .value_kind:     hidden_global_offset_z
      - .offset:         120
        .size:           2
        .value_kind:     hidden_grid_dims
      - .offset:         176
        .size:           4
        .value_kind:     hidden_dynamic_lds_size
    .group_segment_fixed_size: 0
    .kernarg_segment_align: 8
    .kernarg_segment_size: 312
    .language:       OpenCL C
    .language_version:
      - 2
      - 0
    .max_flat_workgroup_size: 512
    .name:           _ZN9rocsolver6v33100L23getf2_npvt_small_kernelILi4EfiiPfEEvT1_T3_lS3_lPT2_S3_S3_
    .private_segment_fixed_size: 0
    .sgpr_count:     22
    .sgpr_spill_count: 0
    .symbol:         _ZN9rocsolver6v33100L23getf2_npvt_small_kernelILi4EfiiPfEEvT1_T3_lS3_lPT2_S3_S3_.kd
    .uniform_work_group_size: 1
    .uses_dynamic_stack: false
    .vgpr_count:     27
    .vgpr_spill_count: 0
    .wavefront_size: 64
  - .agpr_count:     0
    .args:
      - .offset:         0
        .size:           4
        .value_kind:     by_value
      - .address_space:  global
        .offset:         8
        .size:           8
        .value_kind:     global_buffer
      - .offset:         16
        .size:           8
        .value_kind:     by_value
      - .offset:         24
        .size:           4
        .value_kind:     by_value
      - .offset:         32
        .size:           8
        .value_kind:     by_value
      - .address_space:  global
        .offset:         40
        .size:           8
        .value_kind:     global_buffer
      - .offset:         48
        .size:           8
        .value_kind:     by_value
      - .offset:         56
        .size:           8
        .value_kind:     by_value
      - .address_space:  global
        .offset:         64
        .size:           8
        .value_kind:     global_buffer
      - .offset:         72
        .size:           4
        .value_kind:     by_value
      - .offset:         76
        .size:           4
        .value_kind:     by_value
      - .address_space:  global
        .offset:         80
        .size:           8
        .value_kind:     global_buffer
      - .offset:         88
        .size:           8
        .value_kind:     by_value
      - .offset:         96
        .size:           4
        .value_kind:     hidden_block_count_x
      - .offset:         100
        .size:           4
        .value_kind:     hidden_block_count_y
      - .offset:         104
        .size:           4
        .value_kind:     hidden_block_count_z
      - .offset:         108
        .size:           2
        .value_kind:     hidden_group_size_x
      - .offset:         110
        .size:           2
        .value_kind:     hidden_group_size_y
      - .offset:         112
        .size:           2
        .value_kind:     hidden_group_size_z
      - .offset:         114
        .size:           2
        .value_kind:     hidden_remainder_x
      - .offset:         116
        .size:           2
        .value_kind:     hidden_remainder_y
      - .offset:         118
        .size:           2
        .value_kind:     hidden_remainder_z
      - .offset:         136
        .size:           8
        .value_kind:     hidden_global_offset_x
      - .offset:         144
        .size:           8
        .value_kind:     hidden_global_offset_y
      - .offset:         152
        .size:           8
        .value_kind:     hidden_global_offset_z
      - .offset:         160
        .size:           2
        .value_kind:     hidden_grid_dims
      - .offset:         216
        .size:           4
        .value_kind:     hidden_dynamic_lds_size
    .group_segment_fixed_size: 0
    .kernarg_segment_align: 8
    .kernarg_segment_size: 352
    .language:       OpenCL C
    .language_version:
      - 2
      - 0
    .max_flat_workgroup_size: 512
    .name:           _ZN9rocsolver6v33100L18getf2_small_kernelILi5EfiiPfEEvT1_T3_lS3_lPS3_llPT2_S3_S3_S5_l
    .private_segment_fixed_size: 0
    .sgpr_count:     32
    .sgpr_spill_count: 0
    .symbol:         _ZN9rocsolver6v33100L18getf2_small_kernelILi5EfiiPfEEvT1_T3_lS3_lPS3_llPT2_S3_S3_S5_l.kd
    .uniform_work_group_size: 1
    .uses_dynamic_stack: false
    .vgpr_count:     31
    .vgpr_spill_count: 0
    .wavefront_size: 64
  - .agpr_count:     0
    .args:
      - .offset:         0
        .size:           4
        .value_kind:     by_value
      - .address_space:  global
        .offset:         8
        .size:           8
        .value_kind:     global_buffer
      - .offset:         16
        .size:           8
        .value_kind:     by_value
      - .offset:         24
        .size:           4
        .value_kind:     by_value
      - .offset:         32
        .size:           8
        .value_kind:     by_value
      - .address_space:  global
        .offset:         40
        .size:           8
        .value_kind:     global_buffer
      - .offset:         48
        .size:           4
        .value_kind:     by_value
      - .offset:         52
        .size:           4
        .value_kind:     by_value
      - .offset:         56
        .size:           4
        .value_kind:     hidden_block_count_x
      - .offset:         60
        .size:           4
        .value_kind:     hidden_block_count_y
      - .offset:         64
        .size:           4
        .value_kind:     hidden_block_count_z
      - .offset:         68
        .size:           2
        .value_kind:     hidden_group_size_x
      - .offset:         70
        .size:           2
        .value_kind:     hidden_group_size_y
      - .offset:         72
        .size:           2
        .value_kind:     hidden_group_size_z
      - .offset:         74
        .size:           2
        .value_kind:     hidden_remainder_x
      - .offset:         76
        .size:           2
        .value_kind:     hidden_remainder_y
      - .offset:         78
        .size:           2
        .value_kind:     hidden_remainder_z
      - .offset:         96
        .size:           8
        .value_kind:     hidden_global_offset_x
      - .offset:         104
        .size:           8
        .value_kind:     hidden_global_offset_y
      - .offset:         112
        .size:           8
        .value_kind:     hidden_global_offset_z
      - .offset:         120
        .size:           2
        .value_kind:     hidden_grid_dims
      - .offset:         176
        .size:           4
        .value_kind:     hidden_dynamic_lds_size
    .group_segment_fixed_size: 0
    .kernarg_segment_align: 8
    .kernarg_segment_size: 312
    .language:       OpenCL C
    .language_version:
      - 2
      - 0
    .max_flat_workgroup_size: 512
    .name:           _ZN9rocsolver6v33100L23getf2_npvt_small_kernelILi5EfiiPfEEvT1_T3_lS3_lPT2_S3_S3_
    .private_segment_fixed_size: 0
    .sgpr_count:     22
    .sgpr_spill_count: 0
    .symbol:         _ZN9rocsolver6v33100L23getf2_npvt_small_kernelILi5EfiiPfEEvT1_T3_lS3_lPT2_S3_S3_.kd
    .uniform_work_group_size: 1
    .uses_dynamic_stack: false
    .vgpr_count:     36
    .vgpr_spill_count: 0
    .wavefront_size: 64
  - .agpr_count:     0
    .args:
      - .offset:         0
        .size:           4
        .value_kind:     by_value
      - .address_space:  global
        .offset:         8
        .size:           8
        .value_kind:     global_buffer
      - .offset:         16
        .size:           8
        .value_kind:     by_value
      - .offset:         24
        .size:           4
        .value_kind:     by_value
      - .offset:         32
        .size:           8
        .value_kind:     by_value
      - .address_space:  global
        .offset:         40
        .size:           8
        .value_kind:     global_buffer
      - .offset:         48
        .size:           8
        .value_kind:     by_value
      - .offset:         56
        .size:           8
        .value_kind:     by_value
      - .address_space:  global
        .offset:         64
        .size:           8
        .value_kind:     global_buffer
      - .offset:         72
        .size:           4
        .value_kind:     by_value
      - .offset:         76
        .size:           4
        .value_kind:     by_value
      - .address_space:  global
        .offset:         80
        .size:           8
        .value_kind:     global_buffer
      - .offset:         88
        .size:           8
        .value_kind:     by_value
      - .offset:         96
        .size:           4
        .value_kind:     hidden_block_count_x
      - .offset:         100
        .size:           4
        .value_kind:     hidden_block_count_y
      - .offset:         104
        .size:           4
        .value_kind:     hidden_block_count_z
      - .offset:         108
        .size:           2
        .value_kind:     hidden_group_size_x
      - .offset:         110
        .size:           2
        .value_kind:     hidden_group_size_y
      - .offset:         112
        .size:           2
        .value_kind:     hidden_group_size_z
      - .offset:         114
        .size:           2
        .value_kind:     hidden_remainder_x
      - .offset:         116
        .size:           2
        .value_kind:     hidden_remainder_y
      - .offset:         118
        .size:           2
        .value_kind:     hidden_remainder_z
      - .offset:         136
        .size:           8
        .value_kind:     hidden_global_offset_x
      - .offset:         144
        .size:           8
        .value_kind:     hidden_global_offset_y
      - .offset:         152
        .size:           8
        .value_kind:     hidden_global_offset_z
      - .offset:         160
        .size:           2
        .value_kind:     hidden_grid_dims
      - .offset:         216
        .size:           4
        .value_kind:     hidden_dynamic_lds_size
    .group_segment_fixed_size: 0
    .kernarg_segment_align: 8
    .kernarg_segment_size: 352
    .language:       OpenCL C
    .language_version:
      - 2
      - 0
    .max_flat_workgroup_size: 512
    .name:           _ZN9rocsolver6v33100L18getf2_small_kernelILi6EfiiPfEEvT1_T3_lS3_lPS3_llPT2_S3_S3_S5_l
    .private_segment_fixed_size: 0
    .sgpr_count:     32
    .sgpr_spill_count: 0
    .symbol:         _ZN9rocsolver6v33100L18getf2_small_kernelILi6EfiiPfEEvT1_T3_lS3_lPS3_llPT2_S3_S3_S5_l.kd
    .uniform_work_group_size: 1
    .uses_dynamic_stack: false
    .vgpr_count:     38
    .vgpr_spill_count: 0
    .wavefront_size: 64
  - .agpr_count:     0
    .args:
      - .offset:         0
        .size:           4
        .value_kind:     by_value
      - .address_space:  global
        .offset:         8
        .size:           8
        .value_kind:     global_buffer
      - .offset:         16
        .size:           8
        .value_kind:     by_value
      - .offset:         24
        .size:           4
        .value_kind:     by_value
      - .offset:         32
        .size:           8
        .value_kind:     by_value
      - .address_space:  global
        .offset:         40
        .size:           8
        .value_kind:     global_buffer
      - .offset:         48
        .size:           4
        .value_kind:     by_value
      - .offset:         52
        .size:           4
        .value_kind:     by_value
      - .offset:         56
        .size:           4
        .value_kind:     hidden_block_count_x
      - .offset:         60
        .size:           4
        .value_kind:     hidden_block_count_y
      - .offset:         64
        .size:           4
        .value_kind:     hidden_block_count_z
      - .offset:         68
        .size:           2
        .value_kind:     hidden_group_size_x
      - .offset:         70
        .size:           2
        .value_kind:     hidden_group_size_y
      - .offset:         72
        .size:           2
        .value_kind:     hidden_group_size_z
      - .offset:         74
        .size:           2
        .value_kind:     hidden_remainder_x
      - .offset:         76
        .size:           2
        .value_kind:     hidden_remainder_y
      - .offset:         78
        .size:           2
        .value_kind:     hidden_remainder_z
      - .offset:         96
        .size:           8
        .value_kind:     hidden_global_offset_x
      - .offset:         104
        .size:           8
        .value_kind:     hidden_global_offset_y
      - .offset:         112
        .size:           8
        .value_kind:     hidden_global_offset_z
      - .offset:         120
        .size:           2
        .value_kind:     hidden_grid_dims
      - .offset:         176
        .size:           4
        .value_kind:     hidden_dynamic_lds_size
    .group_segment_fixed_size: 0
    .kernarg_segment_align: 8
    .kernarg_segment_size: 312
    .language:       OpenCL C
    .language_version:
      - 2
      - 0
    .max_flat_workgroup_size: 512
    .name:           _ZN9rocsolver6v33100L23getf2_npvt_small_kernelILi6EfiiPfEEvT1_T3_lS3_lPT2_S3_S3_
    .private_segment_fixed_size: 0
    .sgpr_count:     22
    .sgpr_spill_count: 0
    .symbol:         _ZN9rocsolver6v33100L23getf2_npvt_small_kernelILi6EfiiPfEEvT1_T3_lS3_lPT2_S3_S3_.kd
    .uniform_work_group_size: 1
    .uses_dynamic_stack: false
    .vgpr_count:     46
    .vgpr_spill_count: 0
    .wavefront_size: 64
  - .agpr_count:     0
    .args:
      - .offset:         0
        .size:           4
        .value_kind:     by_value
      - .address_space:  global
        .offset:         8
        .size:           8
        .value_kind:     global_buffer
      - .offset:         16
        .size:           8
        .value_kind:     by_value
      - .offset:         24
        .size:           4
        .value_kind:     by_value
      - .offset:         32
        .size:           8
        .value_kind:     by_value
      - .address_space:  global
        .offset:         40
        .size:           8
        .value_kind:     global_buffer
      - .offset:         48
        .size:           8
        .value_kind:     by_value
      - .offset:         56
        .size:           8
        .value_kind:     by_value
      - .address_space:  global
        .offset:         64
        .size:           8
        .value_kind:     global_buffer
      - .offset:         72
        .size:           4
        .value_kind:     by_value
      - .offset:         76
        .size:           4
        .value_kind:     by_value
      - .address_space:  global
        .offset:         80
        .size:           8
        .value_kind:     global_buffer
      - .offset:         88
        .size:           8
        .value_kind:     by_value
      - .offset:         96
        .size:           4
        .value_kind:     hidden_block_count_x
      - .offset:         100
        .size:           4
        .value_kind:     hidden_block_count_y
      - .offset:         104
        .size:           4
        .value_kind:     hidden_block_count_z
      - .offset:         108
        .size:           2
        .value_kind:     hidden_group_size_x
      - .offset:         110
        .size:           2
        .value_kind:     hidden_group_size_y
      - .offset:         112
        .size:           2
        .value_kind:     hidden_group_size_z
      - .offset:         114
        .size:           2
        .value_kind:     hidden_remainder_x
      - .offset:         116
        .size:           2
        .value_kind:     hidden_remainder_y
      - .offset:         118
        .size:           2
        .value_kind:     hidden_remainder_z
      - .offset:         136
        .size:           8
        .value_kind:     hidden_global_offset_x
      - .offset:         144
        .size:           8
        .value_kind:     hidden_global_offset_y
      - .offset:         152
        .size:           8
        .value_kind:     hidden_global_offset_z
      - .offset:         160
        .size:           2
        .value_kind:     hidden_grid_dims
      - .offset:         216
        .size:           4
        .value_kind:     hidden_dynamic_lds_size
    .group_segment_fixed_size: 0
    .kernarg_segment_align: 8
    .kernarg_segment_size: 352
    .language:       OpenCL C
    .language_version:
      - 2
      - 0
    .max_flat_workgroup_size: 512
    .name:           _ZN9rocsolver6v33100L18getf2_small_kernelILi7EfiiPfEEvT1_T3_lS3_lPS3_llPT2_S3_S3_S5_l
    .private_segment_fixed_size: 0
    .sgpr_count:     32
    .sgpr_spill_count: 0
    .symbol:         _ZN9rocsolver6v33100L18getf2_small_kernelILi7EfiiPfEEvT1_T3_lS3_lPS3_llPT2_S3_S3_S5_l.kd
    .uniform_work_group_size: 1
    .uses_dynamic_stack: false
    .vgpr_count:     52
    .vgpr_spill_count: 0
    .wavefront_size: 64
  - .agpr_count:     0
    .args:
      - .offset:         0
        .size:           4
        .value_kind:     by_value
      - .address_space:  global
        .offset:         8
        .size:           8
        .value_kind:     global_buffer
      - .offset:         16
        .size:           8
        .value_kind:     by_value
      - .offset:         24
        .size:           4
        .value_kind:     by_value
      - .offset:         32
        .size:           8
        .value_kind:     by_value
      - .address_space:  global
        .offset:         40
        .size:           8
        .value_kind:     global_buffer
      - .offset:         48
        .size:           4
        .value_kind:     by_value
      - .offset:         52
        .size:           4
        .value_kind:     by_value
      - .offset:         56
        .size:           4
        .value_kind:     hidden_block_count_x
      - .offset:         60
        .size:           4
        .value_kind:     hidden_block_count_y
      - .offset:         64
        .size:           4
        .value_kind:     hidden_block_count_z
      - .offset:         68
        .size:           2
        .value_kind:     hidden_group_size_x
      - .offset:         70
        .size:           2
        .value_kind:     hidden_group_size_y
      - .offset:         72
        .size:           2
        .value_kind:     hidden_group_size_z
      - .offset:         74
        .size:           2
        .value_kind:     hidden_remainder_x
      - .offset:         76
        .size:           2
        .value_kind:     hidden_remainder_y
      - .offset:         78
        .size:           2
        .value_kind:     hidden_remainder_z
      - .offset:         96
        .size:           8
        .value_kind:     hidden_global_offset_x
      - .offset:         104
        .size:           8
        .value_kind:     hidden_global_offset_y
      - .offset:         112
        .size:           8
        .value_kind:     hidden_global_offset_z
      - .offset:         120
        .size:           2
        .value_kind:     hidden_grid_dims
      - .offset:         176
        .size:           4
        .value_kind:     hidden_dynamic_lds_size
    .group_segment_fixed_size: 0
    .kernarg_segment_align: 8
    .kernarg_segment_size: 312
    .language:       OpenCL C
    .language_version:
      - 2
      - 0
    .max_flat_workgroup_size: 512
    .name:           _ZN9rocsolver6v33100L23getf2_npvt_small_kernelILi7EfiiPfEEvT1_T3_lS3_lPT2_S3_S3_
    .private_segment_fixed_size: 0
    .sgpr_count:     22
    .sgpr_spill_count: 0
    .symbol:         _ZN9rocsolver6v33100L23getf2_npvt_small_kernelILi7EfiiPfEEvT1_T3_lS3_lPT2_S3_S3_.kd
    .uniform_work_group_size: 1
    .uses_dynamic_stack: false
    .vgpr_count:     62
    .vgpr_spill_count: 0
    .wavefront_size: 64
  - .agpr_count:     0
    .args:
      - .offset:         0
        .size:           4
        .value_kind:     by_value
      - .address_space:  global
        .offset:         8
        .size:           8
        .value_kind:     global_buffer
      - .offset:         16
        .size:           8
        .value_kind:     by_value
      - .offset:         24
        .size:           4
        .value_kind:     by_value
      - .offset:         32
        .size:           8
        .value_kind:     by_value
      - .address_space:  global
        .offset:         40
        .size:           8
        .value_kind:     global_buffer
      - .offset:         48
        .size:           8
        .value_kind:     by_value
      - .offset:         56
        .size:           8
        .value_kind:     by_value
      - .address_space:  global
        .offset:         64
        .size:           8
        .value_kind:     global_buffer
      - .offset:         72
        .size:           4
        .value_kind:     by_value
      - .offset:         76
        .size:           4
        .value_kind:     by_value
      - .address_space:  global
        .offset:         80
        .size:           8
        .value_kind:     global_buffer
      - .offset:         88
        .size:           8
        .value_kind:     by_value
      - .offset:         96
        .size:           4
        .value_kind:     hidden_block_count_x
      - .offset:         100
        .size:           4
        .value_kind:     hidden_block_count_y
      - .offset:         104
        .size:           4
        .value_kind:     hidden_block_count_z
      - .offset:         108
        .size:           2
        .value_kind:     hidden_group_size_x
      - .offset:         110
        .size:           2
        .value_kind:     hidden_group_size_y
      - .offset:         112
        .size:           2
        .value_kind:     hidden_group_size_z
      - .offset:         114
        .size:           2
        .value_kind:     hidden_remainder_x
      - .offset:         116
        .size:           2
        .value_kind:     hidden_remainder_y
      - .offset:         118
        .size:           2
        .value_kind:     hidden_remainder_z
      - .offset:         136
        .size:           8
        .value_kind:     hidden_global_offset_x
      - .offset:         144
        .size:           8
        .value_kind:     hidden_global_offset_y
      - .offset:         152
        .size:           8
        .value_kind:     hidden_global_offset_z
      - .offset:         160
        .size:           2
        .value_kind:     hidden_grid_dims
      - .offset:         216
        .size:           4
        .value_kind:     hidden_dynamic_lds_size
    .group_segment_fixed_size: 0
    .kernarg_segment_align: 8
    .kernarg_segment_size: 352
    .language:       OpenCL C
    .language_version:
      - 2
      - 0
    .max_flat_workgroup_size: 512
    .name:           _ZN9rocsolver6v33100L18getf2_small_kernelILi8EfiiPfEEvT1_T3_lS3_lPS3_llPT2_S3_S3_S5_l
    .private_segment_fixed_size: 0
    .sgpr_count:     32
    .sgpr_spill_count: 0
    .symbol:         _ZN9rocsolver6v33100L18getf2_small_kernelILi8EfiiPfEEvT1_T3_lS3_lPS3_llPT2_S3_S3_S5_l.kd
    .uniform_work_group_size: 1
    .uses_dynamic_stack: false
    .vgpr_count:     64
    .vgpr_spill_count: 0
    .wavefront_size: 64
  - .agpr_count:     0
    .args:
      - .offset:         0
        .size:           4
        .value_kind:     by_value
      - .address_space:  global
        .offset:         8
        .size:           8
        .value_kind:     global_buffer
      - .offset:         16
        .size:           8
        .value_kind:     by_value
      - .offset:         24
        .size:           4
        .value_kind:     by_value
      - .offset:         32
        .size:           8
        .value_kind:     by_value
      - .address_space:  global
        .offset:         40
        .size:           8
        .value_kind:     global_buffer
      - .offset:         48
        .size:           4
        .value_kind:     by_value
      - .offset:         52
        .size:           4
        .value_kind:     by_value
      - .offset:         56
        .size:           4
        .value_kind:     hidden_block_count_x
      - .offset:         60
        .size:           4
        .value_kind:     hidden_block_count_y
      - .offset:         64
        .size:           4
        .value_kind:     hidden_block_count_z
      - .offset:         68
        .size:           2
        .value_kind:     hidden_group_size_x
      - .offset:         70
        .size:           2
        .value_kind:     hidden_group_size_y
      - .offset:         72
        .size:           2
        .value_kind:     hidden_group_size_z
      - .offset:         74
        .size:           2
        .value_kind:     hidden_remainder_x
      - .offset:         76
        .size:           2
        .value_kind:     hidden_remainder_y
      - .offset:         78
        .size:           2
        .value_kind:     hidden_remainder_z
      - .offset:         96
        .size:           8
        .value_kind:     hidden_global_offset_x
      - .offset:         104
        .size:           8
        .value_kind:     hidden_global_offset_y
      - .offset:         112
        .size:           8
        .value_kind:     hidden_global_offset_z
      - .offset:         120
        .size:           2
        .value_kind:     hidden_grid_dims
      - .offset:         176
        .size:           4
        .value_kind:     hidden_dynamic_lds_size
    .group_segment_fixed_size: 0
    .kernarg_segment_align: 8
    .kernarg_segment_size: 312
    .language:       OpenCL C
    .language_version:
      - 2
      - 0
    .max_flat_workgroup_size: 512
    .name:           _ZN9rocsolver6v33100L23getf2_npvt_small_kernelILi8EfiiPfEEvT1_T3_lS3_lPT2_S3_S3_
    .private_segment_fixed_size: 0
    .sgpr_count:     24
    .sgpr_spill_count: 0
    .symbol:         _ZN9rocsolver6v33100L23getf2_npvt_small_kernelILi8EfiiPfEEvT1_T3_lS3_lPT2_S3_S3_.kd
    .uniform_work_group_size: 1
    .uses_dynamic_stack: false
    .vgpr_count:     76
    .vgpr_spill_count: 0
    .wavefront_size: 64
  - .agpr_count:     0
    .args:
      - .offset:         0
        .size:           4
        .value_kind:     by_value
      - .address_space:  global
        .offset:         8
        .size:           8
        .value_kind:     global_buffer
      - .offset:         16
        .size:           8
        .value_kind:     by_value
      - .offset:         24
        .size:           4
        .value_kind:     by_value
      - .offset:         32
        .size:           8
        .value_kind:     by_value
      - .address_space:  global
        .offset:         40
        .size:           8
        .value_kind:     global_buffer
      - .offset:         48
        .size:           8
        .value_kind:     by_value
      - .offset:         56
        .size:           8
        .value_kind:     by_value
      - .address_space:  global
        .offset:         64
        .size:           8
        .value_kind:     global_buffer
      - .offset:         72
        .size:           4
        .value_kind:     by_value
      - .offset:         76
        .size:           4
        .value_kind:     by_value
      - .address_space:  global
        .offset:         80
        .size:           8
        .value_kind:     global_buffer
      - .offset:         88
        .size:           8
        .value_kind:     by_value
      - .offset:         96
        .size:           4
        .value_kind:     hidden_block_count_x
      - .offset:         100
        .size:           4
        .value_kind:     hidden_block_count_y
      - .offset:         104
        .size:           4
        .value_kind:     hidden_block_count_z
      - .offset:         108
        .size:           2
        .value_kind:     hidden_group_size_x
      - .offset:         110
        .size:           2
        .value_kind:     hidden_group_size_y
      - .offset:         112
        .size:           2
        .value_kind:     hidden_group_size_z
      - .offset:         114
        .size:           2
        .value_kind:     hidden_remainder_x
      - .offset:         116
        .size:           2
        .value_kind:     hidden_remainder_y
      - .offset:         118
        .size:           2
        .value_kind:     hidden_remainder_z
      - .offset:         136
        .size:           8
        .value_kind:     hidden_global_offset_x
      - .offset:         144
        .size:           8
        .value_kind:     hidden_global_offset_y
      - .offset:         152
        .size:           8
        .value_kind:     hidden_global_offset_z
      - .offset:         160
        .size:           2
        .value_kind:     hidden_grid_dims
      - .offset:         216
        .size:           4
        .value_kind:     hidden_dynamic_lds_size
    .group_segment_fixed_size: 0
    .kernarg_segment_align: 8
    .kernarg_segment_size: 352
    .language:       OpenCL C
    .language_version:
      - 2
      - 0
    .max_flat_workgroup_size: 512
    .name:           _ZN9rocsolver6v33100L18getf2_small_kernelILi9EfiiPfEEvT1_T3_lS3_lPS3_llPT2_S3_S3_S5_l
    .private_segment_fixed_size: 0
    .sgpr_count:     32
    .sgpr_spill_count: 0
    .symbol:         _ZN9rocsolver6v33100L18getf2_small_kernelILi9EfiiPfEEvT1_T3_lS3_lPS3_llPT2_S3_S3_S5_l.kd
    .uniform_work_group_size: 1
    .uses_dynamic_stack: false
    .vgpr_count:     80
    .vgpr_spill_count: 0
    .wavefront_size: 64
  - .agpr_count:     0
    .args:
      - .offset:         0
        .size:           4
        .value_kind:     by_value
      - .address_space:  global
        .offset:         8
        .size:           8
        .value_kind:     global_buffer
      - .offset:         16
        .size:           8
        .value_kind:     by_value
      - .offset:         24
        .size:           4
        .value_kind:     by_value
      - .offset:         32
        .size:           8
        .value_kind:     by_value
      - .address_space:  global
        .offset:         40
        .size:           8
        .value_kind:     global_buffer
      - .offset:         48
        .size:           4
        .value_kind:     by_value
      - .offset:         52
        .size:           4
        .value_kind:     by_value
      - .offset:         56
        .size:           4
        .value_kind:     hidden_block_count_x
      - .offset:         60
        .size:           4
        .value_kind:     hidden_block_count_y
      - .offset:         64
        .size:           4
        .value_kind:     hidden_block_count_z
      - .offset:         68
        .size:           2
        .value_kind:     hidden_group_size_x
      - .offset:         70
        .size:           2
        .value_kind:     hidden_group_size_y
      - .offset:         72
        .size:           2
        .value_kind:     hidden_group_size_z
      - .offset:         74
        .size:           2
        .value_kind:     hidden_remainder_x
      - .offset:         76
        .size:           2
        .value_kind:     hidden_remainder_y
      - .offset:         78
        .size:           2
        .value_kind:     hidden_remainder_z
      - .offset:         96
        .size:           8
        .value_kind:     hidden_global_offset_x
      - .offset:         104
        .size:           8
        .value_kind:     hidden_global_offset_y
      - .offset:         112
        .size:           8
        .value_kind:     hidden_global_offset_z
      - .offset:         120
        .size:           2
        .value_kind:     hidden_grid_dims
      - .offset:         176
        .size:           4
        .value_kind:     hidden_dynamic_lds_size
    .group_segment_fixed_size: 0
    .kernarg_segment_align: 8
    .kernarg_segment_size: 312
    .language:       OpenCL C
    .language_version:
      - 2
      - 0
    .max_flat_workgroup_size: 512
    .name:           _ZN9rocsolver6v33100L23getf2_npvt_small_kernelILi9EfiiPfEEvT1_T3_lS3_lPT2_S3_S3_
    .private_segment_fixed_size: 0
    .sgpr_count:     26
    .sgpr_spill_count: 0
    .symbol:         _ZN9rocsolver6v33100L23getf2_npvt_small_kernelILi9EfiiPfEEvT1_T3_lS3_lPT2_S3_S3_.kd
    .uniform_work_group_size: 1
    .uses_dynamic_stack: false
    .vgpr_count:     98
    .vgpr_spill_count: 0
    .wavefront_size: 64
  - .agpr_count:     0
    .args:
      - .offset:         0
        .size:           4
        .value_kind:     by_value
      - .address_space:  global
        .offset:         8
        .size:           8
        .value_kind:     global_buffer
      - .offset:         16
        .size:           8
        .value_kind:     by_value
      - .offset:         24
        .size:           4
        .value_kind:     by_value
      - .offset:         32
        .size:           8
        .value_kind:     by_value
      - .address_space:  global
        .offset:         40
        .size:           8
        .value_kind:     global_buffer
      - .offset:         48
        .size:           8
        .value_kind:     by_value
      - .offset:         56
        .size:           8
        .value_kind:     by_value
      - .address_space:  global
        .offset:         64
        .size:           8
        .value_kind:     global_buffer
      - .offset:         72
        .size:           4
        .value_kind:     by_value
      - .offset:         76
        .size:           4
        .value_kind:     by_value
      - .address_space:  global
        .offset:         80
        .size:           8
        .value_kind:     global_buffer
      - .offset:         88
        .size:           8
        .value_kind:     by_value
      - .offset:         96
        .size:           4
        .value_kind:     hidden_block_count_x
      - .offset:         100
        .size:           4
        .value_kind:     hidden_block_count_y
      - .offset:         104
        .size:           4
        .value_kind:     hidden_block_count_z
      - .offset:         108
        .size:           2
        .value_kind:     hidden_group_size_x
      - .offset:         110
        .size:           2
        .value_kind:     hidden_group_size_y
      - .offset:         112
        .size:           2
        .value_kind:     hidden_group_size_z
      - .offset:         114
        .size:           2
        .value_kind:     hidden_remainder_x
      - .offset:         116
        .size:           2
        .value_kind:     hidden_remainder_y
      - .offset:         118
        .size:           2
        .value_kind:     hidden_remainder_z
      - .offset:         136
        .size:           8
        .value_kind:     hidden_global_offset_x
      - .offset:         144
        .size:           8
        .value_kind:     hidden_global_offset_y
      - .offset:         152
        .size:           8
        .value_kind:     hidden_global_offset_z
      - .offset:         160
        .size:           2
        .value_kind:     hidden_grid_dims
      - .offset:         216
        .size:           4
        .value_kind:     hidden_dynamic_lds_size
    .group_segment_fixed_size: 0
    .kernarg_segment_align: 8
    .kernarg_segment_size: 352
    .language:       OpenCL C
    .language_version:
      - 2
      - 0
    .max_flat_workgroup_size: 512
    .name:           _ZN9rocsolver6v33100L18getf2_small_kernelILi10EfiiPfEEvT1_T3_lS3_lPS3_llPT2_S3_S3_S5_l
    .private_segment_fixed_size: 0
    .sgpr_count:     32
    .sgpr_spill_count: 0
    .symbol:         _ZN9rocsolver6v33100L18getf2_small_kernelILi10EfiiPfEEvT1_T3_lS3_lPS3_llPT2_S3_S3_S5_l.kd
    .uniform_work_group_size: 1
    .uses_dynamic_stack: false
    .vgpr_count:     98
    .vgpr_spill_count: 0
    .wavefront_size: 64
  - .agpr_count:     0
    .args:
      - .offset:         0
        .size:           4
        .value_kind:     by_value
      - .address_space:  global
        .offset:         8
        .size:           8
        .value_kind:     global_buffer
      - .offset:         16
        .size:           8
        .value_kind:     by_value
      - .offset:         24
        .size:           4
        .value_kind:     by_value
      - .offset:         32
        .size:           8
        .value_kind:     by_value
      - .address_space:  global
        .offset:         40
        .size:           8
        .value_kind:     global_buffer
      - .offset:         48
        .size:           4
        .value_kind:     by_value
      - .offset:         52
        .size:           4
        .value_kind:     by_value
      - .offset:         56
        .size:           4
        .value_kind:     hidden_block_count_x
      - .offset:         60
        .size:           4
        .value_kind:     hidden_block_count_y
      - .offset:         64
        .size:           4
        .value_kind:     hidden_block_count_z
      - .offset:         68
        .size:           2
        .value_kind:     hidden_group_size_x
      - .offset:         70
        .size:           2
        .value_kind:     hidden_group_size_y
      - .offset:         72
        .size:           2
        .value_kind:     hidden_group_size_z
      - .offset:         74
        .size:           2
        .value_kind:     hidden_remainder_x
      - .offset:         76
        .size:           2
        .value_kind:     hidden_remainder_y
      - .offset:         78
        .size:           2
        .value_kind:     hidden_remainder_z
      - .offset:         96
        .size:           8
        .value_kind:     hidden_global_offset_x
      - .offset:         104
        .size:           8
        .value_kind:     hidden_global_offset_y
      - .offset:         112
        .size:           8
        .value_kind:     hidden_global_offset_z
      - .offset:         120
        .size:           2
        .value_kind:     hidden_grid_dims
      - .offset:         176
        .size:           4
        .value_kind:     hidden_dynamic_lds_size
    .group_segment_fixed_size: 0
    .kernarg_segment_align: 8
    .kernarg_segment_size: 312
    .language:       OpenCL C
    .language_version:
      - 2
      - 0
    .max_flat_workgroup_size: 512
    .name:           _ZN9rocsolver6v33100L23getf2_npvt_small_kernelILi10EfiiPfEEvT1_T3_lS3_lPT2_S3_S3_
    .private_segment_fixed_size: 0
    .sgpr_count:     28
    .sgpr_spill_count: 0
    .symbol:         _ZN9rocsolver6v33100L23getf2_npvt_small_kernelILi10EfiiPfEEvT1_T3_lS3_lPT2_S3_S3_.kd
    .uniform_work_group_size: 1
    .uses_dynamic_stack: false
    .vgpr_count:     114
    .vgpr_spill_count: 0
    .wavefront_size: 64
  - .agpr_count:     0
    .args:
      - .offset:         0
        .size:           4
        .value_kind:     by_value
      - .address_space:  global
        .offset:         8
        .size:           8
        .value_kind:     global_buffer
      - .offset:         16
        .size:           8
        .value_kind:     by_value
      - .offset:         24
        .size:           4
        .value_kind:     by_value
      - .offset:         32
        .size:           8
        .value_kind:     by_value
      - .address_space:  global
        .offset:         40
        .size:           8
        .value_kind:     global_buffer
      - .offset:         48
        .size:           8
        .value_kind:     by_value
      - .offset:         56
        .size:           8
        .value_kind:     by_value
      - .address_space:  global
        .offset:         64
        .size:           8
        .value_kind:     global_buffer
      - .offset:         72
        .size:           4
        .value_kind:     by_value
      - .offset:         76
        .size:           4
        .value_kind:     by_value
      - .address_space:  global
        .offset:         80
        .size:           8
        .value_kind:     global_buffer
      - .offset:         88
        .size:           8
        .value_kind:     by_value
      - .offset:         96
        .size:           4
        .value_kind:     hidden_block_count_x
      - .offset:         100
        .size:           4
        .value_kind:     hidden_block_count_y
      - .offset:         104
        .size:           4
        .value_kind:     hidden_block_count_z
      - .offset:         108
        .size:           2
        .value_kind:     hidden_group_size_x
      - .offset:         110
        .size:           2
        .value_kind:     hidden_group_size_y
      - .offset:         112
        .size:           2
        .value_kind:     hidden_group_size_z
      - .offset:         114
        .size:           2
        .value_kind:     hidden_remainder_x
      - .offset:         116
        .size:           2
        .value_kind:     hidden_remainder_y
      - .offset:         118
        .size:           2
        .value_kind:     hidden_remainder_z
      - .offset:         136
        .size:           8
        .value_kind:     hidden_global_offset_x
      - .offset:         144
        .size:           8
        .value_kind:     hidden_global_offset_y
      - .offset:         152
        .size:           8
        .value_kind:     hidden_global_offset_z
      - .offset:         160
        .size:           2
        .value_kind:     hidden_grid_dims
      - .offset:         216
        .size:           4
        .value_kind:     hidden_dynamic_lds_size
    .group_segment_fixed_size: 0
    .kernarg_segment_align: 8
    .kernarg_segment_size: 352
    .language:       OpenCL C
    .language_version:
      - 2
      - 0
    .max_flat_workgroup_size: 512
    .name:           _ZN9rocsolver6v33100L18getf2_small_kernelILi11EfiiPfEEvT1_T3_lS3_lPS3_llPT2_S3_S3_S5_l
    .private_segment_fixed_size: 0
    .sgpr_count:     32
    .sgpr_spill_count: 0
    .symbol:         _ZN9rocsolver6v33100L18getf2_small_kernelILi11EfiiPfEEvT1_T3_lS3_lPS3_llPT2_S3_S3_S5_l.kd
    .uniform_work_group_size: 1
    .uses_dynamic_stack: false
    .vgpr_count:     118
    .vgpr_spill_count: 0
    .wavefront_size: 64
  - .agpr_count:     0
    .args:
      - .offset:         0
        .size:           4
        .value_kind:     by_value
      - .address_space:  global
        .offset:         8
        .size:           8
        .value_kind:     global_buffer
      - .offset:         16
        .size:           8
        .value_kind:     by_value
      - .offset:         24
        .size:           4
        .value_kind:     by_value
      - .offset:         32
        .size:           8
        .value_kind:     by_value
      - .address_space:  global
        .offset:         40
        .size:           8
        .value_kind:     global_buffer
      - .offset:         48
        .size:           4
        .value_kind:     by_value
      - .offset:         52
        .size:           4
        .value_kind:     by_value
      - .offset:         56
        .size:           4
        .value_kind:     hidden_block_count_x
      - .offset:         60
        .size:           4
        .value_kind:     hidden_block_count_y
      - .offset:         64
        .size:           4
        .value_kind:     hidden_block_count_z
      - .offset:         68
        .size:           2
        .value_kind:     hidden_group_size_x
      - .offset:         70
        .size:           2
        .value_kind:     hidden_group_size_y
      - .offset:         72
        .size:           2
        .value_kind:     hidden_group_size_z
      - .offset:         74
        .size:           2
        .value_kind:     hidden_remainder_x
      - .offset:         76
        .size:           2
        .value_kind:     hidden_remainder_y
      - .offset:         78
        .size:           2
        .value_kind:     hidden_remainder_z
      - .offset:         96
        .size:           8
        .value_kind:     hidden_global_offset_x
      - .offset:         104
        .size:           8
        .value_kind:     hidden_global_offset_y
      - .offset:         112
        .size:           8
        .value_kind:     hidden_global_offset_z
      - .offset:         120
        .size:           2
        .value_kind:     hidden_grid_dims
      - .offset:         176
        .size:           4
        .value_kind:     hidden_dynamic_lds_size
    .group_segment_fixed_size: 0
    .kernarg_segment_align: 8
    .kernarg_segment_size: 312
    .language:       OpenCL C
    .language_version:
      - 2
      - 0
    .max_flat_workgroup_size: 512
    .name:           _ZN9rocsolver6v33100L23getf2_npvt_small_kernelILi11EfiiPfEEvT1_T3_lS3_lPT2_S3_S3_
    .private_segment_fixed_size: 0
    .sgpr_count:     30
    .sgpr_spill_count: 0
    .symbol:         _ZN9rocsolver6v33100L23getf2_npvt_small_kernelILi11EfiiPfEEvT1_T3_lS3_lPT2_S3_S3_.kd
    .uniform_work_group_size: 1
    .uses_dynamic_stack: false
    .vgpr_count:     146
    .vgpr_spill_count: 0
    .wavefront_size: 64
  - .agpr_count:     0
    .args:
      - .offset:         0
        .size:           4
        .value_kind:     by_value
      - .address_space:  global
        .offset:         8
        .size:           8
        .value_kind:     global_buffer
      - .offset:         16
        .size:           8
        .value_kind:     by_value
      - .offset:         24
        .size:           4
        .value_kind:     by_value
      - .offset:         32
        .size:           8
        .value_kind:     by_value
      - .address_space:  global
        .offset:         40
        .size:           8
        .value_kind:     global_buffer
      - .offset:         48
        .size:           8
        .value_kind:     by_value
      - .offset:         56
        .size:           8
        .value_kind:     by_value
      - .address_space:  global
        .offset:         64
        .size:           8
        .value_kind:     global_buffer
      - .offset:         72
        .size:           4
        .value_kind:     by_value
      - .offset:         76
        .size:           4
        .value_kind:     by_value
      - .address_space:  global
        .offset:         80
        .size:           8
        .value_kind:     global_buffer
      - .offset:         88
        .size:           8
        .value_kind:     by_value
      - .offset:         96
        .size:           4
        .value_kind:     hidden_block_count_x
      - .offset:         100
        .size:           4
        .value_kind:     hidden_block_count_y
      - .offset:         104
        .size:           4
        .value_kind:     hidden_block_count_z
      - .offset:         108
        .size:           2
        .value_kind:     hidden_group_size_x
      - .offset:         110
        .size:           2
        .value_kind:     hidden_group_size_y
      - .offset:         112
        .size:           2
        .value_kind:     hidden_group_size_z
      - .offset:         114
        .size:           2
        .value_kind:     hidden_remainder_x
      - .offset:         116
        .size:           2
        .value_kind:     hidden_remainder_y
      - .offset:         118
        .size:           2
        .value_kind:     hidden_remainder_z
      - .offset:         136
        .size:           8
        .value_kind:     hidden_global_offset_x
      - .offset:         144
        .size:           8
        .value_kind:     hidden_global_offset_y
      - .offset:         152
        .size:           8
        .value_kind:     hidden_global_offset_z
      - .offset:         160
        .size:           2
        .value_kind:     hidden_grid_dims
      - .offset:         216
        .size:           4
        .value_kind:     hidden_dynamic_lds_size
    .group_segment_fixed_size: 0
    .kernarg_segment_align: 8
    .kernarg_segment_size: 352
    .language:       OpenCL C
    .language_version:
      - 2
      - 0
    .max_flat_workgroup_size: 512
    .name:           _ZN9rocsolver6v33100L18getf2_small_kernelILi12EfiiPfEEvT1_T3_lS3_lPS3_llPT2_S3_S3_S5_l
    .private_segment_fixed_size: 0
    .sgpr_count:     32
    .sgpr_spill_count: 0
    .symbol:         _ZN9rocsolver6v33100L18getf2_small_kernelILi12EfiiPfEEvT1_T3_lS3_lPS3_llPT2_S3_S3_S5_l.kd
    .uniform_work_group_size: 1
    .uses_dynamic_stack: false
    .vgpr_count:     138
    .vgpr_spill_count: 0
    .wavefront_size: 64
  - .agpr_count:     0
    .args:
      - .offset:         0
        .size:           4
        .value_kind:     by_value
      - .address_space:  global
        .offset:         8
        .size:           8
        .value_kind:     global_buffer
      - .offset:         16
        .size:           8
        .value_kind:     by_value
      - .offset:         24
        .size:           4
        .value_kind:     by_value
      - .offset:         32
        .size:           8
        .value_kind:     by_value
      - .address_space:  global
        .offset:         40
        .size:           8
        .value_kind:     global_buffer
      - .offset:         48
        .size:           4
        .value_kind:     by_value
      - .offset:         52
        .size:           4
        .value_kind:     by_value
      - .offset:         56
        .size:           4
        .value_kind:     hidden_block_count_x
      - .offset:         60
        .size:           4
        .value_kind:     hidden_block_count_y
      - .offset:         64
        .size:           4
        .value_kind:     hidden_block_count_z
      - .offset:         68
        .size:           2
        .value_kind:     hidden_group_size_x
      - .offset:         70
        .size:           2
        .value_kind:     hidden_group_size_y
      - .offset:         72
        .size:           2
        .value_kind:     hidden_group_size_z
      - .offset:         74
        .size:           2
        .value_kind:     hidden_remainder_x
      - .offset:         76
        .size:           2
        .value_kind:     hidden_remainder_y
      - .offset:         78
        .size:           2
        .value_kind:     hidden_remainder_z
      - .offset:         96
        .size:           8
        .value_kind:     hidden_global_offset_x
      - .offset:         104
        .size:           8
        .value_kind:     hidden_global_offset_y
      - .offset:         112
        .size:           8
        .value_kind:     hidden_global_offset_z
      - .offset:         120
        .size:           2
        .value_kind:     hidden_grid_dims
      - .offset:         176
        .size:           4
        .value_kind:     hidden_dynamic_lds_size
    .group_segment_fixed_size: 0
    .kernarg_segment_align: 8
    .kernarg_segment_size: 312
    .language:       OpenCL C
    .language_version:
      - 2
      - 0
    .max_flat_workgroup_size: 512
    .name:           _ZN9rocsolver6v33100L23getf2_npvt_small_kernelILi12EfiiPfEEvT1_T3_lS3_lPT2_S3_S3_
    .private_segment_fixed_size: 0
    .sgpr_count:     32
    .sgpr_spill_count: 0
    .symbol:         _ZN9rocsolver6v33100L23getf2_npvt_small_kernelILi12EfiiPfEEvT1_T3_lS3_lPT2_S3_S3_.kd
    .uniform_work_group_size: 1
    .uses_dynamic_stack: false
    .vgpr_count:     168
    .vgpr_spill_count: 0
    .wavefront_size: 64
  - .agpr_count:     0
    .args:
      - .offset:         0
        .size:           4
        .value_kind:     by_value
      - .address_space:  global
        .offset:         8
        .size:           8
        .value_kind:     global_buffer
      - .offset:         16
        .size:           8
        .value_kind:     by_value
      - .offset:         24
        .size:           4
        .value_kind:     by_value
      - .offset:         32
        .size:           8
        .value_kind:     by_value
      - .address_space:  global
        .offset:         40
        .size:           8
        .value_kind:     global_buffer
      - .offset:         48
        .size:           8
        .value_kind:     by_value
      - .offset:         56
        .size:           8
        .value_kind:     by_value
      - .address_space:  global
        .offset:         64
        .size:           8
        .value_kind:     global_buffer
      - .offset:         72
        .size:           4
        .value_kind:     by_value
      - .offset:         76
        .size:           4
        .value_kind:     by_value
      - .address_space:  global
        .offset:         80
        .size:           8
        .value_kind:     global_buffer
      - .offset:         88
        .size:           8
        .value_kind:     by_value
      - .offset:         96
        .size:           4
        .value_kind:     hidden_block_count_x
      - .offset:         100
        .size:           4
        .value_kind:     hidden_block_count_y
      - .offset:         104
        .size:           4
        .value_kind:     hidden_block_count_z
      - .offset:         108
        .size:           2
        .value_kind:     hidden_group_size_x
      - .offset:         110
        .size:           2
        .value_kind:     hidden_group_size_y
      - .offset:         112
        .size:           2
        .value_kind:     hidden_group_size_z
      - .offset:         114
        .size:           2
        .value_kind:     hidden_remainder_x
      - .offset:         116
        .size:           2
        .value_kind:     hidden_remainder_y
      - .offset:         118
        .size:           2
        .value_kind:     hidden_remainder_z
      - .offset:         136
        .size:           8
        .value_kind:     hidden_global_offset_x
      - .offset:         144
        .size:           8
        .value_kind:     hidden_global_offset_y
      - .offset:         152
        .size:           8
        .value_kind:     hidden_global_offset_z
      - .offset:         160
        .size:           2
        .value_kind:     hidden_grid_dims
      - .offset:         216
        .size:           4
        .value_kind:     hidden_dynamic_lds_size
    .group_segment_fixed_size: 0
    .kernarg_segment_align: 8
    .kernarg_segment_size: 352
    .language:       OpenCL C
    .language_version:
      - 2
      - 0
    .max_flat_workgroup_size: 512
    .name:           _ZN9rocsolver6v33100L18getf2_small_kernelILi13EfiiPfEEvT1_T3_lS3_lPS3_llPT2_S3_S3_S5_l
    .private_segment_fixed_size: 0
    .sgpr_count:     34
    .sgpr_spill_count: 0
    .symbol:         _ZN9rocsolver6v33100L18getf2_small_kernelILi13EfiiPfEEvT1_T3_lS3_lPS3_llPT2_S3_S3_S5_l.kd
    .uniform_work_group_size: 1
    .uses_dynamic_stack: false
    .vgpr_count:     224
    .vgpr_spill_count: 0
    .wavefront_size: 64
  - .agpr_count:     0
    .args:
      - .offset:         0
        .size:           4
        .value_kind:     by_value
      - .address_space:  global
        .offset:         8
        .size:           8
        .value_kind:     global_buffer
      - .offset:         16
        .size:           8
        .value_kind:     by_value
      - .offset:         24
        .size:           4
        .value_kind:     by_value
      - .offset:         32
        .size:           8
        .value_kind:     by_value
      - .address_space:  global
        .offset:         40
        .size:           8
        .value_kind:     global_buffer
      - .offset:         48
        .size:           4
        .value_kind:     by_value
      - .offset:         52
        .size:           4
        .value_kind:     by_value
      - .offset:         56
        .size:           4
        .value_kind:     hidden_block_count_x
      - .offset:         60
        .size:           4
        .value_kind:     hidden_block_count_y
      - .offset:         64
        .size:           4
        .value_kind:     hidden_block_count_z
      - .offset:         68
        .size:           2
        .value_kind:     hidden_group_size_x
      - .offset:         70
        .size:           2
        .value_kind:     hidden_group_size_y
      - .offset:         72
        .size:           2
        .value_kind:     hidden_group_size_z
      - .offset:         74
        .size:           2
        .value_kind:     hidden_remainder_x
      - .offset:         76
        .size:           2
        .value_kind:     hidden_remainder_y
      - .offset:         78
        .size:           2
        .value_kind:     hidden_remainder_z
      - .offset:         96
        .size:           8
        .value_kind:     hidden_global_offset_x
      - .offset:         104
        .size:           8
        .value_kind:     hidden_global_offset_y
      - .offset:         112
        .size:           8
        .value_kind:     hidden_global_offset_z
      - .offset:         120
        .size:           2
        .value_kind:     hidden_grid_dims
      - .offset:         176
        .size:           4
        .value_kind:     hidden_dynamic_lds_size
    .group_segment_fixed_size: 0
    .kernarg_segment_align: 8
    .kernarg_segment_size: 312
    .language:       OpenCL C
    .language_version:
      - 2
      - 0
    .max_flat_workgroup_size: 512
    .name:           _ZN9rocsolver6v33100L23getf2_npvt_small_kernelILi13EfiiPfEEvT1_T3_lS3_lPT2_S3_S3_
    .private_segment_fixed_size: 0
    .sgpr_count:     34
    .sgpr_spill_count: 0
    .symbol:         _ZN9rocsolver6v33100L23getf2_npvt_small_kernelILi13EfiiPfEEvT1_T3_lS3_lPT2_S3_S3_.kd
    .uniform_work_group_size: 1
    .uses_dynamic_stack: false
    .vgpr_count:     243
    .vgpr_spill_count: 0
    .wavefront_size: 64
  - .agpr_count:     0
    .args:
      - .offset:         0
        .size:           4
        .value_kind:     by_value
      - .address_space:  global
        .offset:         8
        .size:           8
        .value_kind:     global_buffer
      - .offset:         16
        .size:           8
        .value_kind:     by_value
      - .offset:         24
        .size:           4
        .value_kind:     by_value
      - .offset:         32
        .size:           8
        .value_kind:     by_value
      - .address_space:  global
        .offset:         40
        .size:           8
        .value_kind:     global_buffer
      - .offset:         48
        .size:           8
        .value_kind:     by_value
      - .offset:         56
        .size:           8
        .value_kind:     by_value
      - .address_space:  global
        .offset:         64
        .size:           8
        .value_kind:     global_buffer
      - .offset:         72
        .size:           4
        .value_kind:     by_value
      - .offset:         76
        .size:           4
        .value_kind:     by_value
      - .address_space:  global
        .offset:         80
        .size:           8
        .value_kind:     global_buffer
      - .offset:         88
        .size:           8
        .value_kind:     by_value
      - .offset:         96
        .size:           4
        .value_kind:     hidden_block_count_x
      - .offset:         100
        .size:           4
        .value_kind:     hidden_block_count_y
      - .offset:         104
        .size:           4
        .value_kind:     hidden_block_count_z
      - .offset:         108
        .size:           2
        .value_kind:     hidden_group_size_x
      - .offset:         110
        .size:           2
        .value_kind:     hidden_group_size_y
      - .offset:         112
        .size:           2
        .value_kind:     hidden_group_size_z
      - .offset:         114
        .size:           2
        .value_kind:     hidden_remainder_x
      - .offset:         116
        .size:           2
        .value_kind:     hidden_remainder_y
      - .offset:         118
        .size:           2
        .value_kind:     hidden_remainder_z
      - .offset:         136
        .size:           8
        .value_kind:     hidden_global_offset_x
      - .offset:         144
        .size:           8
        .value_kind:     hidden_global_offset_y
      - .offset:         152
        .size:           8
        .value_kind:     hidden_global_offset_z
      - .offset:         160
        .size:           2
        .value_kind:     hidden_grid_dims
      - .offset:         216
        .size:           4
        .value_kind:     hidden_dynamic_lds_size
    .group_segment_fixed_size: 0
    .kernarg_segment_align: 8
    .kernarg_segment_size: 352
    .language:       OpenCL C
    .language_version:
      - 2
      - 0
    .max_flat_workgroup_size: 512
    .name:           _ZN9rocsolver6v33100L18getf2_small_kernelILi14EfiiPfEEvT1_T3_lS3_lPS3_llPT2_S3_S3_S5_l
    .private_segment_fixed_size: 0
    .sgpr_count:     34
    .sgpr_spill_count: 0
    .symbol:         _ZN9rocsolver6v33100L18getf2_small_kernelILi14EfiiPfEEvT1_T3_lS3_lPS3_llPT2_S3_S3_S5_l.kd
    .uniform_work_group_size: 1
    .uses_dynamic_stack: false
    .vgpr_count:     250
    .vgpr_spill_count: 0
    .wavefront_size: 64
  - .agpr_count:     0
    .args:
      - .offset:         0
        .size:           4
        .value_kind:     by_value
      - .address_space:  global
        .offset:         8
        .size:           8
        .value_kind:     global_buffer
      - .offset:         16
        .size:           8
        .value_kind:     by_value
      - .offset:         24
        .size:           4
        .value_kind:     by_value
      - .offset:         32
        .size:           8
        .value_kind:     by_value
      - .address_space:  global
        .offset:         40
        .size:           8
        .value_kind:     global_buffer
      - .offset:         48
        .size:           4
        .value_kind:     by_value
      - .offset:         52
        .size:           4
        .value_kind:     by_value
      - .offset:         56
        .size:           4
        .value_kind:     hidden_block_count_x
      - .offset:         60
        .size:           4
        .value_kind:     hidden_block_count_y
      - .offset:         64
        .size:           4
        .value_kind:     hidden_block_count_z
      - .offset:         68
        .size:           2
        .value_kind:     hidden_group_size_x
      - .offset:         70
        .size:           2
        .value_kind:     hidden_group_size_y
      - .offset:         72
        .size:           2
        .value_kind:     hidden_group_size_z
      - .offset:         74
        .size:           2
        .value_kind:     hidden_remainder_x
      - .offset:         76
        .size:           2
        .value_kind:     hidden_remainder_y
      - .offset:         78
        .size:           2
        .value_kind:     hidden_remainder_z
      - .offset:         96
        .size:           8
        .value_kind:     hidden_global_offset_x
      - .offset:         104
        .size:           8
        .value_kind:     hidden_global_offset_y
      - .offset:         112
        .size:           8
        .value_kind:     hidden_global_offset_z
      - .offset:         120
        .size:           2
        .value_kind:     hidden_grid_dims
      - .offset:         176
        .size:           4
        .value_kind:     hidden_dynamic_lds_size
    .group_segment_fixed_size: 0
    .kernarg_segment_align: 8
    .kernarg_segment_size: 312
    .language:       OpenCL C
    .language_version:
      - 2
      - 0
    .max_flat_workgroup_size: 512
    .name:           _ZN9rocsolver6v33100L23getf2_npvt_small_kernelILi14EfiiPfEEvT1_T3_lS3_lPT2_S3_S3_
    .private_segment_fixed_size: 116
    .sgpr_count:     36
    .sgpr_spill_count: 0
    .symbol:         _ZN9rocsolver6v33100L23getf2_npvt_small_kernelILi14EfiiPfEEvT1_T3_lS3_lPT2_S3_S3_.kd
    .uniform_work_group_size: 1
    .uses_dynamic_stack: false
    .vgpr_count:     256
    .vgpr_spill_count: 28
    .wavefront_size: 64
  - .agpr_count:     0
    .args:
      - .offset:         0
        .size:           4
        .value_kind:     by_value
      - .address_space:  global
        .offset:         8
        .size:           8
        .value_kind:     global_buffer
      - .offset:         16
        .size:           8
        .value_kind:     by_value
      - .offset:         24
        .size:           4
        .value_kind:     by_value
      - .offset:         32
        .size:           8
        .value_kind:     by_value
      - .address_space:  global
        .offset:         40
        .size:           8
        .value_kind:     global_buffer
      - .offset:         48
        .size:           8
        .value_kind:     by_value
      - .offset:         56
        .size:           8
        .value_kind:     by_value
      - .address_space:  global
        .offset:         64
        .size:           8
        .value_kind:     global_buffer
      - .offset:         72
        .size:           4
        .value_kind:     by_value
      - .offset:         76
        .size:           4
        .value_kind:     by_value
      - .address_space:  global
        .offset:         80
        .size:           8
        .value_kind:     global_buffer
      - .offset:         88
        .size:           8
        .value_kind:     by_value
      - .offset:         96
        .size:           4
        .value_kind:     hidden_block_count_x
      - .offset:         100
        .size:           4
        .value_kind:     hidden_block_count_y
      - .offset:         104
        .size:           4
        .value_kind:     hidden_block_count_z
      - .offset:         108
        .size:           2
        .value_kind:     hidden_group_size_x
      - .offset:         110
        .size:           2
        .value_kind:     hidden_group_size_y
      - .offset:         112
        .size:           2
        .value_kind:     hidden_group_size_z
      - .offset:         114
        .size:           2
        .value_kind:     hidden_remainder_x
      - .offset:         116
        .size:           2
        .value_kind:     hidden_remainder_y
      - .offset:         118
        .size:           2
        .value_kind:     hidden_remainder_z
      - .offset:         136
        .size:           8
        .value_kind:     hidden_global_offset_x
      - .offset:         144
        .size:           8
        .value_kind:     hidden_global_offset_y
      - .offset:         152
        .size:           8
        .value_kind:     hidden_global_offset_z
      - .offset:         160
        .size:           2
        .value_kind:     hidden_grid_dims
      - .offset:         216
        .size:           4
        .value_kind:     hidden_dynamic_lds_size
    .group_segment_fixed_size: 0
    .kernarg_segment_align: 8
    .kernarg_segment_size: 352
    .language:       OpenCL C
    .language_version:
      - 2
      - 0
    .max_flat_workgroup_size: 512
    .name:           _ZN9rocsolver6v33100L18getf2_small_kernelILi15EfiiPfEEvT1_T3_lS3_lPS3_llPT2_S3_S3_S5_l
    .private_segment_fixed_size: 68
    .sgpr_count:     34
    .sgpr_spill_count: 0
    .symbol:         _ZN9rocsolver6v33100L18getf2_small_kernelILi15EfiiPfEEvT1_T3_lS3_lPS3_llPT2_S3_S3_S5_l.kd
    .uniform_work_group_size: 1
    .uses_dynamic_stack: false
    .vgpr_count:     256
    .vgpr_spill_count: 48
    .wavefront_size: 64
  - .agpr_count:     0
    .args:
      - .offset:         0
        .size:           4
        .value_kind:     by_value
      - .address_space:  global
        .offset:         8
        .size:           8
        .value_kind:     global_buffer
      - .offset:         16
        .size:           8
        .value_kind:     by_value
      - .offset:         24
        .size:           4
        .value_kind:     by_value
      - .offset:         32
        .size:           8
        .value_kind:     by_value
      - .address_space:  global
        .offset:         40
        .size:           8
        .value_kind:     global_buffer
      - .offset:         48
        .size:           4
        .value_kind:     by_value
      - .offset:         52
        .size:           4
        .value_kind:     by_value
      - .offset:         56
        .size:           4
        .value_kind:     hidden_block_count_x
      - .offset:         60
        .size:           4
        .value_kind:     hidden_block_count_y
      - .offset:         64
        .size:           4
        .value_kind:     hidden_block_count_z
      - .offset:         68
        .size:           2
        .value_kind:     hidden_group_size_x
      - .offset:         70
        .size:           2
        .value_kind:     hidden_group_size_y
      - .offset:         72
        .size:           2
        .value_kind:     hidden_group_size_z
      - .offset:         74
        .size:           2
        .value_kind:     hidden_remainder_x
      - .offset:         76
        .size:           2
        .value_kind:     hidden_remainder_y
      - .offset:         78
        .size:           2
        .value_kind:     hidden_remainder_z
      - .offset:         96
        .size:           8
        .value_kind:     hidden_global_offset_x
      - .offset:         104
        .size:           8
        .value_kind:     hidden_global_offset_y
      - .offset:         112
        .size:           8
        .value_kind:     hidden_global_offset_z
      - .offset:         120
        .size:           2
        .value_kind:     hidden_grid_dims
      - .offset:         176
        .size:           4
        .value_kind:     hidden_dynamic_lds_size
    .group_segment_fixed_size: 0
    .kernarg_segment_align: 8
    .kernarg_segment_size: 312
    .language:       OpenCL C
    .language_version:
      - 2
      - 0
    .max_flat_workgroup_size: 512
    .name:           _ZN9rocsolver6v33100L23getf2_npvt_small_kernelILi15EfiiPfEEvT1_T3_lS3_lPT2_S3_S3_
    .private_segment_fixed_size: 136
    .sgpr_count:     38
    .sgpr_spill_count: 0
    .symbol:         _ZN9rocsolver6v33100L23getf2_npvt_small_kernelILi15EfiiPfEEvT1_T3_lS3_lPT2_S3_S3_.kd
    .uniform_work_group_size: 1
    .uses_dynamic_stack: false
    .vgpr_count:     256
    .vgpr_spill_count: 33
    .wavefront_size: 64
  - .agpr_count:     0
    .args:
      - .offset:         0
        .size:           4
        .value_kind:     by_value
      - .address_space:  global
        .offset:         8
        .size:           8
        .value_kind:     global_buffer
      - .offset:         16
        .size:           8
        .value_kind:     by_value
      - .offset:         24
        .size:           4
        .value_kind:     by_value
      - .offset:         32
        .size:           8
        .value_kind:     by_value
      - .address_space:  global
        .offset:         40
        .size:           8
        .value_kind:     global_buffer
      - .offset:         48
        .size:           8
        .value_kind:     by_value
      - .offset:         56
        .size:           8
        .value_kind:     by_value
      - .address_space:  global
        .offset:         64
        .size:           8
        .value_kind:     global_buffer
      - .offset:         72
        .size:           4
        .value_kind:     by_value
      - .offset:         76
        .size:           4
        .value_kind:     by_value
      - .address_space:  global
        .offset:         80
        .size:           8
        .value_kind:     global_buffer
      - .offset:         88
        .size:           8
        .value_kind:     by_value
      - .offset:         96
        .size:           4
        .value_kind:     hidden_block_count_x
      - .offset:         100
        .size:           4
        .value_kind:     hidden_block_count_y
      - .offset:         104
        .size:           4
        .value_kind:     hidden_block_count_z
      - .offset:         108
        .size:           2
        .value_kind:     hidden_group_size_x
      - .offset:         110
        .size:           2
        .value_kind:     hidden_group_size_y
      - .offset:         112
        .size:           2
        .value_kind:     hidden_group_size_z
      - .offset:         114
        .size:           2
        .value_kind:     hidden_remainder_x
      - .offset:         116
        .size:           2
        .value_kind:     hidden_remainder_y
      - .offset:         118
        .size:           2
        .value_kind:     hidden_remainder_z
      - .offset:         136
        .size:           8
        .value_kind:     hidden_global_offset_x
      - .offset:         144
        .size:           8
        .value_kind:     hidden_global_offset_y
      - .offset:         152
        .size:           8
        .value_kind:     hidden_global_offset_z
      - .offset:         160
        .size:           2
        .value_kind:     hidden_grid_dims
      - .offset:         216
        .size:           4
        .value_kind:     hidden_dynamic_lds_size
    .group_segment_fixed_size: 0
    .kernarg_segment_align: 8
    .kernarg_segment_size: 352
    .language:       OpenCL C
    .language_version:
      - 2
      - 0
    .max_flat_workgroup_size: 512
    .name:           _ZN9rocsolver6v33100L18getf2_small_kernelILi16EfiiPfEEvT1_T3_lS3_lPS3_llPT2_S3_S3_S5_l
    .private_segment_fixed_size: 0
    .sgpr_count:     32
    .sgpr_spill_count: 0
    .symbol:         _ZN9rocsolver6v33100L18getf2_small_kernelILi16EfiiPfEEvT1_T3_lS3_lPS3_llPT2_S3_S3_S5_l.kd
    .uniform_work_group_size: 1
    .uses_dynamic_stack: false
    .vgpr_count:     244
    .vgpr_spill_count: 0
    .wavefront_size: 64
  - .agpr_count:     0
    .args:
      - .offset:         0
        .size:           4
        .value_kind:     by_value
      - .address_space:  global
        .offset:         8
        .size:           8
        .value_kind:     global_buffer
      - .offset:         16
        .size:           8
        .value_kind:     by_value
      - .offset:         24
        .size:           4
        .value_kind:     by_value
      - .offset:         32
        .size:           8
        .value_kind:     by_value
      - .address_space:  global
        .offset:         40
        .size:           8
        .value_kind:     global_buffer
      - .offset:         48
        .size:           4
        .value_kind:     by_value
      - .offset:         52
        .size:           4
        .value_kind:     by_value
      - .offset:         56
        .size:           4
        .value_kind:     hidden_block_count_x
      - .offset:         60
        .size:           4
        .value_kind:     hidden_block_count_y
      - .offset:         64
        .size:           4
        .value_kind:     hidden_block_count_z
      - .offset:         68
        .size:           2
        .value_kind:     hidden_group_size_x
      - .offset:         70
        .size:           2
        .value_kind:     hidden_group_size_y
      - .offset:         72
        .size:           2
        .value_kind:     hidden_group_size_z
      - .offset:         74
        .size:           2
        .value_kind:     hidden_remainder_x
      - .offset:         76
        .size:           2
        .value_kind:     hidden_remainder_y
      - .offset:         78
        .size:           2
        .value_kind:     hidden_remainder_z
      - .offset:         96
        .size:           8
        .value_kind:     hidden_global_offset_x
      - .offset:         104
        .size:           8
        .value_kind:     hidden_global_offset_y
      - .offset:         112
        .size:           8
        .value_kind:     hidden_global_offset_z
      - .offset:         120
        .size:           2
        .value_kind:     hidden_grid_dims
      - .offset:         176
        .size:           4
        .value_kind:     hidden_dynamic_lds_size
    .group_segment_fixed_size: 0
    .kernarg_segment_align: 8
    .kernarg_segment_size: 312
    .language:       OpenCL C
    .language_version:
      - 2
      - 0
    .max_flat_workgroup_size: 512
    .name:           _ZN9rocsolver6v33100L23getf2_npvt_small_kernelILi16EfiiPfEEvT1_T3_lS3_lPT2_S3_S3_
    .private_segment_fixed_size: 120
    .sgpr_count:     42
    .sgpr_spill_count: 0
    .symbol:         _ZN9rocsolver6v33100L23getf2_npvt_small_kernelILi16EfiiPfEEvT1_T3_lS3_lPT2_S3_S3_.kd
    .uniform_work_group_size: 1
    .uses_dynamic_stack: false
    .vgpr_count:     256
    .vgpr_spill_count: 29
    .wavefront_size: 64
  - .agpr_count:     0
    .args:
      - .offset:         0
        .size:           4
        .value_kind:     by_value
      - .address_space:  global
        .offset:         8
        .size:           8
        .value_kind:     global_buffer
      - .offset:         16
        .size:           8
        .value_kind:     by_value
      - .offset:         24
        .size:           4
        .value_kind:     by_value
      - .offset:         32
        .size:           8
        .value_kind:     by_value
      - .address_space:  global
        .offset:         40
        .size:           8
        .value_kind:     global_buffer
      - .offset:         48
        .size:           8
        .value_kind:     by_value
      - .offset:         56
        .size:           8
        .value_kind:     by_value
      - .address_space:  global
        .offset:         64
        .size:           8
        .value_kind:     global_buffer
      - .offset:         72
        .size:           4
        .value_kind:     by_value
      - .offset:         76
        .size:           4
        .value_kind:     by_value
      - .address_space:  global
        .offset:         80
        .size:           8
        .value_kind:     global_buffer
      - .offset:         88
        .size:           8
        .value_kind:     by_value
      - .offset:         96
        .size:           4
        .value_kind:     hidden_block_count_x
      - .offset:         100
        .size:           4
        .value_kind:     hidden_block_count_y
      - .offset:         104
        .size:           4
        .value_kind:     hidden_block_count_z
      - .offset:         108
        .size:           2
        .value_kind:     hidden_group_size_x
      - .offset:         110
        .size:           2
        .value_kind:     hidden_group_size_y
      - .offset:         112
        .size:           2
        .value_kind:     hidden_group_size_z
      - .offset:         114
        .size:           2
        .value_kind:     hidden_remainder_x
      - .offset:         116
        .size:           2
        .value_kind:     hidden_remainder_y
      - .offset:         118
        .size:           2
        .value_kind:     hidden_remainder_z
      - .offset:         136
        .size:           8
        .value_kind:     hidden_global_offset_x
      - .offset:         144
        .size:           8
        .value_kind:     hidden_global_offset_y
      - .offset:         152
        .size:           8
        .value_kind:     hidden_global_offset_z
      - .offset:         160
        .size:           2
        .value_kind:     hidden_grid_dims
      - .offset:         216
        .size:           4
        .value_kind:     hidden_dynamic_lds_size
    .group_segment_fixed_size: 0
    .kernarg_segment_align: 8
    .kernarg_segment_size: 352
    .language:       OpenCL C
    .language_version:
      - 2
      - 0
    .max_flat_workgroup_size: 512
    .name:           _ZN9rocsolver6v33100L18getf2_small_kernelILi17EfiiPfEEvT1_T3_lS3_lPS3_llPT2_S3_S3_S5_l
    .private_segment_fixed_size: 1284
    .sgpr_count:     34
    .sgpr_spill_count: 0
    .symbol:         _ZN9rocsolver6v33100L18getf2_small_kernelILi17EfiiPfEEvT1_T3_lS3_lPS3_llPT2_S3_S3_S5_l.kd
    .uniform_work_group_size: 1
    .uses_dynamic_stack: false
    .vgpr_count:     250
    .vgpr_spill_count: 2144
    .wavefront_size: 64
  - .agpr_count:     0
    .args:
      - .offset:         0
        .size:           4
        .value_kind:     by_value
      - .address_space:  global
        .offset:         8
        .size:           8
        .value_kind:     global_buffer
      - .offset:         16
        .size:           8
        .value_kind:     by_value
      - .offset:         24
        .size:           4
        .value_kind:     by_value
      - .offset:         32
        .size:           8
        .value_kind:     by_value
      - .address_space:  global
        .offset:         40
        .size:           8
        .value_kind:     global_buffer
      - .offset:         48
        .size:           4
        .value_kind:     by_value
      - .offset:         52
        .size:           4
        .value_kind:     by_value
      - .offset:         56
        .size:           4
        .value_kind:     hidden_block_count_x
      - .offset:         60
        .size:           4
        .value_kind:     hidden_block_count_y
      - .offset:         64
        .size:           4
        .value_kind:     hidden_block_count_z
      - .offset:         68
        .size:           2
        .value_kind:     hidden_group_size_x
      - .offset:         70
        .size:           2
        .value_kind:     hidden_group_size_y
      - .offset:         72
        .size:           2
        .value_kind:     hidden_group_size_z
      - .offset:         74
        .size:           2
        .value_kind:     hidden_remainder_x
      - .offset:         76
        .size:           2
        .value_kind:     hidden_remainder_y
      - .offset:         78
        .size:           2
        .value_kind:     hidden_remainder_z
      - .offset:         96
        .size:           8
        .value_kind:     hidden_global_offset_x
      - .offset:         104
        .size:           8
        .value_kind:     hidden_global_offset_y
      - .offset:         112
        .size:           8
        .value_kind:     hidden_global_offset_z
      - .offset:         120
        .size:           2
        .value_kind:     hidden_grid_dims
      - .offset:         176
        .size:           4
        .value_kind:     hidden_dynamic_lds_size
    .group_segment_fixed_size: 0
    .kernarg_segment_align: 8
    .kernarg_segment_size: 312
    .language:       OpenCL C
    .language_version:
      - 2
      - 0
    .max_flat_workgroup_size: 512
    .name:           _ZN9rocsolver6v33100L23getf2_npvt_small_kernelILi17EfiiPfEEvT1_T3_lS3_lPT2_S3_S3_
    .private_segment_fixed_size: 1272
    .sgpr_count:     44
    .sgpr_spill_count: 0
    .symbol:         _ZN9rocsolver6v33100L23getf2_npvt_small_kernelILi17EfiiPfEEvT1_T3_lS3_lPT2_S3_S3_.kd
    .uniform_work_group_size: 1
    .uses_dynamic_stack: false
    .vgpr_count:     256
    .vgpr_spill_count: 1917
    .wavefront_size: 64
  - .agpr_count:     0
    .args:
      - .offset:         0
        .size:           4
        .value_kind:     by_value
      - .address_space:  global
        .offset:         8
        .size:           8
        .value_kind:     global_buffer
      - .offset:         16
        .size:           8
        .value_kind:     by_value
      - .offset:         24
        .size:           4
        .value_kind:     by_value
      - .offset:         32
        .size:           8
        .value_kind:     by_value
      - .address_space:  global
        .offset:         40
        .size:           8
        .value_kind:     global_buffer
      - .offset:         48
        .size:           8
        .value_kind:     by_value
      - .offset:         56
        .size:           8
        .value_kind:     by_value
      - .address_space:  global
        .offset:         64
        .size:           8
        .value_kind:     global_buffer
      - .offset:         72
        .size:           4
        .value_kind:     by_value
      - .offset:         76
        .size:           4
        .value_kind:     by_value
      - .address_space:  global
        .offset:         80
        .size:           8
        .value_kind:     global_buffer
      - .offset:         88
        .size:           8
        .value_kind:     by_value
      - .offset:         96
        .size:           4
        .value_kind:     hidden_block_count_x
      - .offset:         100
        .size:           4
        .value_kind:     hidden_block_count_y
      - .offset:         104
        .size:           4
        .value_kind:     hidden_block_count_z
      - .offset:         108
        .size:           2
        .value_kind:     hidden_group_size_x
      - .offset:         110
        .size:           2
        .value_kind:     hidden_group_size_y
      - .offset:         112
        .size:           2
        .value_kind:     hidden_group_size_z
      - .offset:         114
        .size:           2
        .value_kind:     hidden_remainder_x
      - .offset:         116
        .size:           2
        .value_kind:     hidden_remainder_y
      - .offset:         118
        .size:           2
        .value_kind:     hidden_remainder_z
      - .offset:         136
        .size:           8
        .value_kind:     hidden_global_offset_x
      - .offset:         144
        .size:           8
        .value_kind:     hidden_global_offset_y
      - .offset:         152
        .size:           8
        .value_kind:     hidden_global_offset_z
      - .offset:         160
        .size:           2
        .value_kind:     hidden_grid_dims
      - .offset:         216
        .size:           4
        .value_kind:     hidden_dynamic_lds_size
    .group_segment_fixed_size: 0
    .kernarg_segment_align: 8
    .kernarg_segment_size: 352
    .language:       OpenCL C
    .language_version:
      - 2
      - 0
    .max_flat_workgroup_size: 512
    .name:           _ZN9rocsolver6v33100L18getf2_small_kernelILi18EfiiPfEEvT1_T3_lS3_lPS3_llPT2_S3_S3_S5_l
    .private_segment_fixed_size: 1284
    .sgpr_count:     34
    .sgpr_spill_count: 0
    .symbol:         _ZN9rocsolver6v33100L18getf2_small_kernelILi18EfiiPfEEvT1_T3_lS3_lPS3_llPT2_S3_S3_S5_l.kd
    .uniform_work_group_size: 1
    .uses_dynamic_stack: false
    .vgpr_count:     256
    .vgpr_spill_count: 2144
    .wavefront_size: 64
  - .agpr_count:     0
    .args:
      - .offset:         0
        .size:           4
        .value_kind:     by_value
      - .address_space:  global
        .offset:         8
        .size:           8
        .value_kind:     global_buffer
      - .offset:         16
        .size:           8
        .value_kind:     by_value
      - .offset:         24
        .size:           4
        .value_kind:     by_value
      - .offset:         32
        .size:           8
        .value_kind:     by_value
      - .address_space:  global
        .offset:         40
        .size:           8
        .value_kind:     global_buffer
      - .offset:         48
        .size:           4
        .value_kind:     by_value
      - .offset:         52
        .size:           4
        .value_kind:     by_value
      - .offset:         56
        .size:           4
        .value_kind:     hidden_block_count_x
      - .offset:         60
        .size:           4
        .value_kind:     hidden_block_count_y
      - .offset:         64
        .size:           4
        .value_kind:     hidden_block_count_z
      - .offset:         68
        .size:           2
        .value_kind:     hidden_group_size_x
      - .offset:         70
        .size:           2
        .value_kind:     hidden_group_size_y
      - .offset:         72
        .size:           2
        .value_kind:     hidden_group_size_z
      - .offset:         74
        .size:           2
        .value_kind:     hidden_remainder_x
      - .offset:         76
        .size:           2
        .value_kind:     hidden_remainder_y
      - .offset:         78
        .size:           2
        .value_kind:     hidden_remainder_z
      - .offset:         96
        .size:           8
        .value_kind:     hidden_global_offset_x
      - .offset:         104
        .size:           8
        .value_kind:     hidden_global_offset_y
      - .offset:         112
        .size:           8
        .value_kind:     hidden_global_offset_z
      - .offset:         120
        .size:           2
        .value_kind:     hidden_grid_dims
      - .offset:         176
        .size:           4
        .value_kind:     hidden_dynamic_lds_size
    .group_segment_fixed_size: 0
    .kernarg_segment_align: 8
    .kernarg_segment_size: 312
    .language:       OpenCL C
    .language_version:
      - 2
      - 0
    .max_flat_workgroup_size: 512
    .name:           _ZN9rocsolver6v33100L23getf2_npvt_small_kernelILi18EfiiPfEEvT1_T3_lS3_lPT2_S3_S3_
    .private_segment_fixed_size: 1656
    .sgpr_count:     46
    .sgpr_spill_count: 0
    .symbol:         _ZN9rocsolver6v33100L23getf2_npvt_small_kernelILi18EfiiPfEEvT1_T3_lS3_lPT2_S3_S3_.kd
    .uniform_work_group_size: 1
    .uses_dynamic_stack: false
    .vgpr_count:     256
    .vgpr_spill_count: 2685
    .wavefront_size: 64
  - .agpr_count:     0
    .args:
      - .offset:         0
        .size:           4
        .value_kind:     by_value
      - .address_space:  global
        .offset:         8
        .size:           8
        .value_kind:     global_buffer
      - .offset:         16
        .size:           8
        .value_kind:     by_value
      - .offset:         24
        .size:           4
        .value_kind:     by_value
      - .offset:         32
        .size:           8
        .value_kind:     by_value
      - .address_space:  global
        .offset:         40
        .size:           8
        .value_kind:     global_buffer
      - .offset:         48
        .size:           8
        .value_kind:     by_value
      - .offset:         56
        .size:           8
        .value_kind:     by_value
      - .address_space:  global
        .offset:         64
        .size:           8
        .value_kind:     global_buffer
      - .offset:         72
        .size:           4
        .value_kind:     by_value
      - .offset:         76
        .size:           4
        .value_kind:     by_value
      - .address_space:  global
        .offset:         80
        .size:           8
        .value_kind:     global_buffer
      - .offset:         88
        .size:           8
        .value_kind:     by_value
      - .offset:         96
        .size:           4
        .value_kind:     hidden_block_count_x
      - .offset:         100
        .size:           4
        .value_kind:     hidden_block_count_y
      - .offset:         104
        .size:           4
        .value_kind:     hidden_block_count_z
      - .offset:         108
        .size:           2
        .value_kind:     hidden_group_size_x
      - .offset:         110
        .size:           2
        .value_kind:     hidden_group_size_y
      - .offset:         112
        .size:           2
        .value_kind:     hidden_group_size_z
      - .offset:         114
        .size:           2
        .value_kind:     hidden_remainder_x
      - .offset:         116
        .size:           2
        .value_kind:     hidden_remainder_y
      - .offset:         118
        .size:           2
        .value_kind:     hidden_remainder_z
      - .offset:         136
        .size:           8
        .value_kind:     hidden_global_offset_x
      - .offset:         144
        .size:           8
        .value_kind:     hidden_global_offset_y
      - .offset:         152
        .size:           8
        .value_kind:     hidden_global_offset_z
      - .offset:         160
        .size:           2
        .value_kind:     hidden_grid_dims
      - .offset:         216
        .size:           4
        .value_kind:     hidden_dynamic_lds_size
    .group_segment_fixed_size: 0
    .kernarg_segment_align: 8
    .kernarg_segment_size: 352
    .language:       OpenCL C
    .language_version:
      - 2
      - 0
    .max_flat_workgroup_size: 512
    .name:           _ZN9rocsolver6v33100L18getf2_small_kernelILi19EfiiPfEEvT1_T3_lS3_lPS3_llPT2_S3_S3_S5_l
    .private_segment_fixed_size: 1816
    .sgpr_count:     34
    .sgpr_spill_count: 0
    .symbol:         _ZN9rocsolver6v33100L18getf2_small_kernelILi19EfiiPfEEvT1_T3_lS3_lPS3_llPT2_S3_S3_S5_l.kd
    .uniform_work_group_size: 1
    .uses_dynamic_stack: false
    .vgpr_count:     256
    .vgpr_spill_count: 3866
    .wavefront_size: 64
  - .agpr_count:     0
    .args:
      - .offset:         0
        .size:           4
        .value_kind:     by_value
      - .address_space:  global
        .offset:         8
        .size:           8
        .value_kind:     global_buffer
      - .offset:         16
        .size:           8
        .value_kind:     by_value
      - .offset:         24
        .size:           4
        .value_kind:     by_value
      - .offset:         32
        .size:           8
        .value_kind:     by_value
      - .address_space:  global
        .offset:         40
        .size:           8
        .value_kind:     global_buffer
      - .offset:         48
        .size:           4
        .value_kind:     by_value
      - .offset:         52
        .size:           4
        .value_kind:     by_value
      - .offset:         56
        .size:           4
        .value_kind:     hidden_block_count_x
      - .offset:         60
        .size:           4
        .value_kind:     hidden_block_count_y
      - .offset:         64
        .size:           4
        .value_kind:     hidden_block_count_z
      - .offset:         68
        .size:           2
        .value_kind:     hidden_group_size_x
      - .offset:         70
        .size:           2
        .value_kind:     hidden_group_size_y
      - .offset:         72
        .size:           2
        .value_kind:     hidden_group_size_z
      - .offset:         74
        .size:           2
        .value_kind:     hidden_remainder_x
      - .offset:         76
        .size:           2
        .value_kind:     hidden_remainder_y
      - .offset:         78
        .size:           2
        .value_kind:     hidden_remainder_z
      - .offset:         96
        .size:           8
        .value_kind:     hidden_global_offset_x
      - .offset:         104
        .size:           8
        .value_kind:     hidden_global_offset_y
      - .offset:         112
        .size:           8
        .value_kind:     hidden_global_offset_z
      - .offset:         120
        .size:           2
        .value_kind:     hidden_grid_dims
      - .offset:         176
        .size:           4
        .value_kind:     hidden_dynamic_lds_size
    .group_segment_fixed_size: 0
    .kernarg_segment_align: 8
    .kernarg_segment_size: 312
    .language:       OpenCL C
    .language_version:
      - 2
      - 0
    .max_flat_workgroup_size: 512
    .name:           _ZN9rocsolver6v33100L23getf2_npvt_small_kernelILi19EfiiPfEEvT1_T3_lS3_lPT2_S3_S3_
    .private_segment_fixed_size: 2100
    .sgpr_count:     48
    .sgpr_spill_count: 0
    .symbol:         _ZN9rocsolver6v33100L23getf2_npvt_small_kernelILi19EfiiPfEEvT1_T3_lS3_lPT2_S3_S3_.kd
    .uniform_work_group_size: 1
    .uses_dynamic_stack: false
    .vgpr_count:     256
    .vgpr_spill_count: 3501
    .wavefront_size: 64
  - .agpr_count:     0
    .args:
      - .offset:         0
        .size:           4
        .value_kind:     by_value
      - .address_space:  global
        .offset:         8
        .size:           8
        .value_kind:     global_buffer
      - .offset:         16
        .size:           8
        .value_kind:     by_value
      - .offset:         24
        .size:           4
        .value_kind:     by_value
      - .offset:         32
        .size:           8
        .value_kind:     by_value
      - .address_space:  global
        .offset:         40
        .size:           8
        .value_kind:     global_buffer
      - .offset:         48
        .size:           8
        .value_kind:     by_value
      - .offset:         56
        .size:           8
        .value_kind:     by_value
      - .address_space:  global
        .offset:         64
        .size:           8
        .value_kind:     global_buffer
      - .offset:         72
        .size:           4
        .value_kind:     by_value
      - .offset:         76
        .size:           4
        .value_kind:     by_value
      - .address_space:  global
        .offset:         80
        .size:           8
        .value_kind:     global_buffer
      - .offset:         88
        .size:           8
        .value_kind:     by_value
      - .offset:         96
        .size:           4
        .value_kind:     hidden_block_count_x
      - .offset:         100
        .size:           4
        .value_kind:     hidden_block_count_y
      - .offset:         104
        .size:           4
        .value_kind:     hidden_block_count_z
      - .offset:         108
        .size:           2
        .value_kind:     hidden_group_size_x
      - .offset:         110
        .size:           2
        .value_kind:     hidden_group_size_y
      - .offset:         112
        .size:           2
        .value_kind:     hidden_group_size_z
      - .offset:         114
        .size:           2
        .value_kind:     hidden_remainder_x
      - .offset:         116
        .size:           2
        .value_kind:     hidden_remainder_y
      - .offset:         118
        .size:           2
        .value_kind:     hidden_remainder_z
      - .offset:         136
        .size:           8
        .value_kind:     hidden_global_offset_x
      - .offset:         144
        .size:           8
        .value_kind:     hidden_global_offset_y
      - .offset:         152
        .size:           8
        .value_kind:     hidden_global_offset_z
      - .offset:         160
        .size:           2
        .value_kind:     hidden_grid_dims
      - .offset:         216
        .size:           4
        .value_kind:     hidden_dynamic_lds_size
    .group_segment_fixed_size: 0
    .kernarg_segment_align: 8
    .kernarg_segment_size: 352
    .language:       OpenCL C
    .language_version:
      - 2
      - 0
    .max_flat_workgroup_size: 512
    .name:           _ZN9rocsolver6v33100L18getf2_small_kernelILi20EfiiPfEEvT1_T3_lS3_lPS3_llPT2_S3_S3_S5_l
    .private_segment_fixed_size: 2316
    .sgpr_count:     34
    .sgpr_spill_count: 0
    .symbol:         _ZN9rocsolver6v33100L18getf2_small_kernelILi20EfiiPfEEvT1_T3_lS3_lPS3_llPT2_S3_S3_S5_l.kd
    .uniform_work_group_size: 1
    .uses_dynamic_stack: false
    .vgpr_count:     256
    .vgpr_spill_count: 3972
    .wavefront_size: 64
  - .agpr_count:     0
    .args:
      - .offset:         0
        .size:           4
        .value_kind:     by_value
      - .address_space:  global
        .offset:         8
        .size:           8
        .value_kind:     global_buffer
      - .offset:         16
        .size:           8
        .value_kind:     by_value
      - .offset:         24
        .size:           4
        .value_kind:     by_value
      - .offset:         32
        .size:           8
        .value_kind:     by_value
      - .address_space:  global
        .offset:         40
        .size:           8
        .value_kind:     global_buffer
      - .offset:         48
        .size:           4
        .value_kind:     by_value
      - .offset:         52
        .size:           4
        .value_kind:     by_value
      - .offset:         56
        .size:           4
        .value_kind:     hidden_block_count_x
      - .offset:         60
        .size:           4
        .value_kind:     hidden_block_count_y
      - .offset:         64
        .size:           4
        .value_kind:     hidden_block_count_z
      - .offset:         68
        .size:           2
        .value_kind:     hidden_group_size_x
      - .offset:         70
        .size:           2
        .value_kind:     hidden_group_size_y
      - .offset:         72
        .size:           2
        .value_kind:     hidden_group_size_z
      - .offset:         74
        .size:           2
        .value_kind:     hidden_remainder_x
      - .offset:         76
        .size:           2
        .value_kind:     hidden_remainder_y
      - .offset:         78
        .size:           2
        .value_kind:     hidden_remainder_z
      - .offset:         96
        .size:           8
        .value_kind:     hidden_global_offset_x
      - .offset:         104
        .size:           8
        .value_kind:     hidden_global_offset_y
      - .offset:         112
        .size:           8
        .value_kind:     hidden_global_offset_z
      - .offset:         120
        .size:           2
        .value_kind:     hidden_grid_dims
      - .offset:         176
        .size:           4
        .value_kind:     hidden_dynamic_lds_size
    .group_segment_fixed_size: 0
    .kernarg_segment_align: 8
    .kernarg_segment_size: 312
    .language:       OpenCL C
    .language_version:
      - 2
      - 0
    .max_flat_workgroup_size: 512
    .name:           _ZN9rocsolver6v33100L23getf2_npvt_small_kernelILi20EfiiPfEEvT1_T3_lS3_lPT2_S3_S3_
    .private_segment_fixed_size: 2600
    .sgpr_count:     50
    .sgpr_spill_count: 0
    .symbol:         _ZN9rocsolver6v33100L23getf2_npvt_small_kernelILi20EfiiPfEEvT1_T3_lS3_lPT2_S3_S3_.kd
    .uniform_work_group_size: 1
    .uses_dynamic_stack: false
    .vgpr_count:     256
    .vgpr_spill_count: 3881
    .wavefront_size: 64
  - .agpr_count:     0
    .args:
      - .offset:         0
        .size:           4
        .value_kind:     by_value
      - .address_space:  global
        .offset:         8
        .size:           8
        .value_kind:     global_buffer
      - .offset:         16
        .size:           8
        .value_kind:     by_value
      - .offset:         24
        .size:           4
        .value_kind:     by_value
      - .offset:         32
        .size:           8
        .value_kind:     by_value
      - .address_space:  global
        .offset:         40
        .size:           8
        .value_kind:     global_buffer
      - .offset:         48
        .size:           8
        .value_kind:     by_value
      - .offset:         56
        .size:           8
        .value_kind:     by_value
      - .address_space:  global
        .offset:         64
        .size:           8
        .value_kind:     global_buffer
      - .offset:         72
        .size:           4
        .value_kind:     by_value
      - .offset:         76
        .size:           4
        .value_kind:     by_value
      - .address_space:  global
        .offset:         80
        .size:           8
        .value_kind:     global_buffer
      - .offset:         88
        .size:           8
        .value_kind:     by_value
      - .offset:         96
        .size:           4
        .value_kind:     hidden_block_count_x
      - .offset:         100
        .size:           4
        .value_kind:     hidden_block_count_y
      - .offset:         104
        .size:           4
        .value_kind:     hidden_block_count_z
      - .offset:         108
        .size:           2
        .value_kind:     hidden_group_size_x
      - .offset:         110
        .size:           2
        .value_kind:     hidden_group_size_y
      - .offset:         112
        .size:           2
        .value_kind:     hidden_group_size_z
      - .offset:         114
        .size:           2
        .value_kind:     hidden_remainder_x
      - .offset:         116
        .size:           2
        .value_kind:     hidden_remainder_y
      - .offset:         118
        .size:           2
        .value_kind:     hidden_remainder_z
      - .offset:         136
        .size:           8
        .value_kind:     hidden_global_offset_x
      - .offset:         144
        .size:           8
        .value_kind:     hidden_global_offset_y
      - .offset:         152
        .size:           8
        .value_kind:     hidden_global_offset_z
      - .offset:         160
        .size:           2
        .value_kind:     hidden_grid_dims
      - .offset:         216
        .size:           4
        .value_kind:     hidden_dynamic_lds_size
    .group_segment_fixed_size: 0
    .kernarg_segment_align: 8
    .kernarg_segment_size: 352
    .language:       OpenCL C
    .language_version:
      - 2
      - 0
    .max_flat_workgroup_size: 512
    .name:           _ZN9rocsolver6v33100L18getf2_small_kernelILi21EfiiPfEEvT1_T3_lS3_lPS3_llPT2_S3_S3_S5_l
    .private_segment_fixed_size: 2572
    .sgpr_count:     34
    .sgpr_spill_count: 0
    .symbol:         _ZN9rocsolver6v33100L18getf2_small_kernelILi21EfiiPfEEvT1_T3_lS3_lPS3_llPT2_S3_S3_S5_l.kd
    .uniform_work_group_size: 1
    .uses_dynamic_stack: false
    .vgpr_count:     256
    .vgpr_spill_count: 6628
    .wavefront_size: 64
  - .agpr_count:     0
    .args:
      - .offset:         0
        .size:           4
        .value_kind:     by_value
      - .address_space:  global
        .offset:         8
        .size:           8
        .value_kind:     global_buffer
      - .offset:         16
        .size:           8
        .value_kind:     by_value
      - .offset:         24
        .size:           4
        .value_kind:     by_value
      - .offset:         32
        .size:           8
        .value_kind:     by_value
      - .address_space:  global
        .offset:         40
        .size:           8
        .value_kind:     global_buffer
      - .offset:         48
        .size:           4
        .value_kind:     by_value
      - .offset:         52
        .size:           4
        .value_kind:     by_value
      - .offset:         56
        .size:           4
        .value_kind:     hidden_block_count_x
      - .offset:         60
        .size:           4
        .value_kind:     hidden_block_count_y
      - .offset:         64
        .size:           4
        .value_kind:     hidden_block_count_z
      - .offset:         68
        .size:           2
        .value_kind:     hidden_group_size_x
      - .offset:         70
        .size:           2
        .value_kind:     hidden_group_size_y
      - .offset:         72
        .size:           2
        .value_kind:     hidden_group_size_z
      - .offset:         74
        .size:           2
        .value_kind:     hidden_remainder_x
      - .offset:         76
        .size:           2
        .value_kind:     hidden_remainder_y
      - .offset:         78
        .size:           2
        .value_kind:     hidden_remainder_z
      - .offset:         96
        .size:           8
        .value_kind:     hidden_global_offset_x
      - .offset:         104
        .size:           8
        .value_kind:     hidden_global_offset_y
      - .offset:         112
        .size:           8
        .value_kind:     hidden_global_offset_z
      - .offset:         120
        .size:           2
        .value_kind:     hidden_grid_dims
      - .offset:         176
        .size:           4
        .value_kind:     hidden_dynamic_lds_size
    .group_segment_fixed_size: 0
    .kernarg_segment_align: 8
    .kernarg_segment_size: 312
    .language:       OpenCL C
    .language_version:
      - 2
      - 0
    .max_flat_workgroup_size: 512
    .name:           _ZN9rocsolver6v33100L23getf2_npvt_small_kernelILi21EfiiPfEEvT1_T3_lS3_lPT2_S3_S3_
    .private_segment_fixed_size: 2608
    .sgpr_count:     22
    .sgpr_spill_count: 0
    .symbol:         _ZN9rocsolver6v33100L23getf2_npvt_small_kernelILi21EfiiPfEEvT1_T3_lS3_lPT2_S3_S3_.kd
    .uniform_work_group_size: 1
    .uses_dynamic_stack: false
    .vgpr_count:     256
    .vgpr_spill_count: 4558
    .wavefront_size: 64
  - .agpr_count:     0
    .args:
      - .offset:         0
        .size:           4
        .value_kind:     by_value
      - .address_space:  global
        .offset:         8
        .size:           8
        .value_kind:     global_buffer
      - .offset:         16
        .size:           8
        .value_kind:     by_value
      - .offset:         24
        .size:           4
        .value_kind:     by_value
      - .offset:         32
        .size:           8
        .value_kind:     by_value
      - .address_space:  global
        .offset:         40
        .size:           8
        .value_kind:     global_buffer
      - .offset:         48
        .size:           8
        .value_kind:     by_value
      - .offset:         56
        .size:           8
        .value_kind:     by_value
      - .address_space:  global
        .offset:         64
        .size:           8
        .value_kind:     global_buffer
      - .offset:         72
        .size:           4
        .value_kind:     by_value
      - .offset:         76
        .size:           4
        .value_kind:     by_value
      - .address_space:  global
        .offset:         80
        .size:           8
        .value_kind:     global_buffer
      - .offset:         88
        .size:           8
        .value_kind:     by_value
      - .offset:         96
        .size:           4
        .value_kind:     hidden_block_count_x
      - .offset:         100
        .size:           4
        .value_kind:     hidden_block_count_y
      - .offset:         104
        .size:           4
        .value_kind:     hidden_block_count_z
      - .offset:         108
        .size:           2
        .value_kind:     hidden_group_size_x
      - .offset:         110
        .size:           2
        .value_kind:     hidden_group_size_y
      - .offset:         112
        .size:           2
        .value_kind:     hidden_group_size_z
      - .offset:         114
        .size:           2
        .value_kind:     hidden_remainder_x
      - .offset:         116
        .size:           2
        .value_kind:     hidden_remainder_y
      - .offset:         118
        .size:           2
        .value_kind:     hidden_remainder_z
      - .offset:         136
        .size:           8
        .value_kind:     hidden_global_offset_x
      - .offset:         144
        .size:           8
        .value_kind:     hidden_global_offset_y
      - .offset:         152
        .size:           8
        .value_kind:     hidden_global_offset_z
      - .offset:         160
        .size:           2
        .value_kind:     hidden_grid_dims
      - .offset:         216
        .size:           4
        .value_kind:     hidden_dynamic_lds_size
    .group_segment_fixed_size: 0
    .kernarg_segment_align: 8
    .kernarg_segment_size: 352
    .language:       OpenCL C
    .language_version:
      - 2
      - 0
    .max_flat_workgroup_size: 512
    .name:           _ZN9rocsolver6v33100L18getf2_small_kernelILi22EfiiPfEEvT1_T3_lS3_lPS3_llPT2_S3_S3_S5_l
    .private_segment_fixed_size: 2452
    .sgpr_count:     34
    .sgpr_spill_count: 0
    .symbol:         _ZN9rocsolver6v33100L18getf2_small_kernelILi22EfiiPfEEvT1_T3_lS3_lPS3_llPT2_S3_S3_S5_l.kd
    .uniform_work_group_size: 1
    .uses_dynamic_stack: false
    .vgpr_count:     256
    .vgpr_spill_count: 5148
    .wavefront_size: 64
  - .agpr_count:     0
    .args:
      - .offset:         0
        .size:           4
        .value_kind:     by_value
      - .address_space:  global
        .offset:         8
        .size:           8
        .value_kind:     global_buffer
      - .offset:         16
        .size:           8
        .value_kind:     by_value
      - .offset:         24
        .size:           4
        .value_kind:     by_value
      - .offset:         32
        .size:           8
        .value_kind:     by_value
      - .address_space:  global
        .offset:         40
        .size:           8
        .value_kind:     global_buffer
      - .offset:         48
        .size:           4
        .value_kind:     by_value
      - .offset:         52
        .size:           4
        .value_kind:     by_value
      - .offset:         56
        .size:           4
        .value_kind:     hidden_block_count_x
      - .offset:         60
        .size:           4
        .value_kind:     hidden_block_count_y
      - .offset:         64
        .size:           4
        .value_kind:     hidden_block_count_z
      - .offset:         68
        .size:           2
        .value_kind:     hidden_group_size_x
      - .offset:         70
        .size:           2
        .value_kind:     hidden_group_size_y
      - .offset:         72
        .size:           2
        .value_kind:     hidden_group_size_z
      - .offset:         74
        .size:           2
        .value_kind:     hidden_remainder_x
      - .offset:         76
        .size:           2
        .value_kind:     hidden_remainder_y
      - .offset:         78
        .size:           2
        .value_kind:     hidden_remainder_z
      - .offset:         96
        .size:           8
        .value_kind:     hidden_global_offset_x
      - .offset:         104
        .size:           8
        .value_kind:     hidden_global_offset_y
      - .offset:         112
        .size:           8
        .value_kind:     hidden_global_offset_z
      - .offset:         120
        .size:           2
        .value_kind:     hidden_grid_dims
      - .offset:         176
        .size:           4
        .value_kind:     hidden_dynamic_lds_size
    .group_segment_fixed_size: 0
    .kernarg_segment_align: 8
    .kernarg_segment_size: 312
    .language:       OpenCL C
    .language_version:
      - 2
      - 0
    .max_flat_workgroup_size: 512
    .name:           _ZN9rocsolver6v33100L23getf2_npvt_small_kernelILi22EfiiPfEEvT1_T3_lS3_lPT2_S3_S3_
    .private_segment_fixed_size: 3260
    .sgpr_count:     22
    .sgpr_spill_count: 0
    .symbol:         _ZN9rocsolver6v33100L23getf2_npvt_small_kernelILi22EfiiPfEEvT1_T3_lS3_lPT2_S3_S3_.kd
    .uniform_work_group_size: 1
    .uses_dynamic_stack: false
    .vgpr_count:     256
    .vgpr_spill_count: 6161
    .wavefront_size: 64
  - .agpr_count:     0
    .args:
      - .offset:         0
        .size:           4
        .value_kind:     by_value
      - .address_space:  global
        .offset:         8
        .size:           8
        .value_kind:     global_buffer
      - .offset:         16
        .size:           8
        .value_kind:     by_value
      - .offset:         24
        .size:           4
        .value_kind:     by_value
      - .offset:         32
        .size:           8
        .value_kind:     by_value
      - .address_space:  global
        .offset:         40
        .size:           8
        .value_kind:     global_buffer
      - .offset:         48
        .size:           8
        .value_kind:     by_value
      - .offset:         56
        .size:           8
        .value_kind:     by_value
      - .address_space:  global
        .offset:         64
        .size:           8
        .value_kind:     global_buffer
      - .offset:         72
        .size:           4
        .value_kind:     by_value
      - .offset:         76
        .size:           4
        .value_kind:     by_value
      - .address_space:  global
        .offset:         80
        .size:           8
        .value_kind:     global_buffer
      - .offset:         88
        .size:           8
        .value_kind:     by_value
      - .offset:         96
        .size:           4
        .value_kind:     hidden_block_count_x
      - .offset:         100
        .size:           4
        .value_kind:     hidden_block_count_y
      - .offset:         104
        .size:           4
        .value_kind:     hidden_block_count_z
      - .offset:         108
        .size:           2
        .value_kind:     hidden_group_size_x
      - .offset:         110
        .size:           2
        .value_kind:     hidden_group_size_y
      - .offset:         112
        .size:           2
        .value_kind:     hidden_group_size_z
      - .offset:         114
        .size:           2
        .value_kind:     hidden_remainder_x
      - .offset:         116
        .size:           2
        .value_kind:     hidden_remainder_y
      - .offset:         118
        .size:           2
        .value_kind:     hidden_remainder_z
      - .offset:         136
        .size:           8
        .value_kind:     hidden_global_offset_x
      - .offset:         144
        .size:           8
        .value_kind:     hidden_global_offset_y
      - .offset:         152
        .size:           8
        .value_kind:     hidden_global_offset_z
      - .offset:         160
        .size:           2
        .value_kind:     hidden_grid_dims
      - .offset:         216
        .size:           4
        .value_kind:     hidden_dynamic_lds_size
    .group_segment_fixed_size: 0
    .kernarg_segment_align: 8
    .kernarg_segment_size: 352
    .language:       OpenCL C
    .language_version:
      - 2
      - 0
    .max_flat_workgroup_size: 512
    .name:           _ZN9rocsolver6v33100L18getf2_small_kernelILi23EfiiPfEEvT1_T3_lS3_lPS3_llPT2_S3_S3_S5_l
    .private_segment_fixed_size: 3616
    .sgpr_count:     34
    .sgpr_spill_count: 0
    .symbol:         _ZN9rocsolver6v33100L18getf2_small_kernelILi23EfiiPfEEvT1_T3_lS3_lPS3_llPT2_S3_S3_S5_l.kd
    .uniform_work_group_size: 1
    .uses_dynamic_stack: false
    .vgpr_count:     256
    .vgpr_spill_count: 8393
    .wavefront_size: 64
  - .agpr_count:     0
    .args:
      - .offset:         0
        .size:           4
        .value_kind:     by_value
      - .address_space:  global
        .offset:         8
        .size:           8
        .value_kind:     global_buffer
      - .offset:         16
        .size:           8
        .value_kind:     by_value
      - .offset:         24
        .size:           4
        .value_kind:     by_value
      - .offset:         32
        .size:           8
        .value_kind:     by_value
      - .address_space:  global
        .offset:         40
        .size:           8
        .value_kind:     global_buffer
      - .offset:         48
        .size:           4
        .value_kind:     by_value
      - .offset:         52
        .size:           4
        .value_kind:     by_value
      - .offset:         56
        .size:           4
        .value_kind:     hidden_block_count_x
      - .offset:         60
        .size:           4
        .value_kind:     hidden_block_count_y
      - .offset:         64
        .size:           4
        .value_kind:     hidden_block_count_z
      - .offset:         68
        .size:           2
        .value_kind:     hidden_group_size_x
      - .offset:         70
        .size:           2
        .value_kind:     hidden_group_size_y
      - .offset:         72
        .size:           2
        .value_kind:     hidden_group_size_z
      - .offset:         74
        .size:           2
        .value_kind:     hidden_remainder_x
      - .offset:         76
        .size:           2
        .value_kind:     hidden_remainder_y
      - .offset:         78
        .size:           2
        .value_kind:     hidden_remainder_z
      - .offset:         96
        .size:           8
        .value_kind:     hidden_global_offset_x
      - .offset:         104
        .size:           8
        .value_kind:     hidden_global_offset_y
      - .offset:         112
        .size:           8
        .value_kind:     hidden_global_offset_z
      - .offset:         120
        .size:           2
        .value_kind:     hidden_grid_dims
      - .offset:         176
        .size:           4
        .value_kind:     hidden_dynamic_lds_size
    .group_segment_fixed_size: 0
    .kernarg_segment_align: 8
    .kernarg_segment_size: 312
    .language:       OpenCL C
    .language_version:
      - 2
      - 0
    .max_flat_workgroup_size: 512
    .name:           _ZN9rocsolver6v33100L23getf2_npvt_small_kernelILi23EfiiPfEEvT1_T3_lS3_lPT2_S3_S3_
    .private_segment_fixed_size: 3520
    .sgpr_count:     22
    .sgpr_spill_count: 0
    .symbol:         _ZN9rocsolver6v33100L23getf2_npvt_small_kernelILi23EfiiPfEEvT1_T3_lS3_lPT2_S3_S3_.kd
    .uniform_work_group_size: 1
    .uses_dynamic_stack: false
    .vgpr_count:     256
    .vgpr_spill_count: 6704
    .wavefront_size: 64
  - .agpr_count:     0
    .args:
      - .offset:         0
        .size:           4
        .value_kind:     by_value
      - .address_space:  global
        .offset:         8
        .size:           8
        .value_kind:     global_buffer
      - .offset:         16
        .size:           8
        .value_kind:     by_value
      - .offset:         24
        .size:           4
        .value_kind:     by_value
      - .offset:         32
        .size:           8
        .value_kind:     by_value
      - .address_space:  global
        .offset:         40
        .size:           8
        .value_kind:     global_buffer
      - .offset:         48
        .size:           8
        .value_kind:     by_value
      - .offset:         56
        .size:           8
        .value_kind:     by_value
      - .address_space:  global
        .offset:         64
        .size:           8
        .value_kind:     global_buffer
      - .offset:         72
        .size:           4
        .value_kind:     by_value
      - .offset:         76
        .size:           4
        .value_kind:     by_value
      - .address_space:  global
        .offset:         80
        .size:           8
        .value_kind:     global_buffer
      - .offset:         88
        .size:           8
        .value_kind:     by_value
      - .offset:         96
        .size:           4
        .value_kind:     hidden_block_count_x
      - .offset:         100
        .size:           4
        .value_kind:     hidden_block_count_y
      - .offset:         104
        .size:           4
        .value_kind:     hidden_block_count_z
      - .offset:         108
        .size:           2
        .value_kind:     hidden_group_size_x
      - .offset:         110
        .size:           2
        .value_kind:     hidden_group_size_y
      - .offset:         112
        .size:           2
        .value_kind:     hidden_group_size_z
      - .offset:         114
        .size:           2
        .value_kind:     hidden_remainder_x
      - .offset:         116
        .size:           2
        .value_kind:     hidden_remainder_y
      - .offset:         118
        .size:           2
        .value_kind:     hidden_remainder_z
      - .offset:         136
        .size:           8
        .value_kind:     hidden_global_offset_x
      - .offset:         144
        .size:           8
        .value_kind:     hidden_global_offset_y
      - .offset:         152
        .size:           8
        .value_kind:     hidden_global_offset_z
      - .offset:         160
        .size:           2
        .value_kind:     hidden_grid_dims
      - .offset:         216
        .size:           4
        .value_kind:     hidden_dynamic_lds_size
    .group_segment_fixed_size: 0
    .kernarg_segment_align: 8
    .kernarg_segment_size: 352
    .language:       OpenCL C
    .language_version:
      - 2
      - 0
    .max_flat_workgroup_size: 512
    .name:           _ZN9rocsolver6v33100L18getf2_small_kernelILi24EfiiPfEEvT1_T3_lS3_lPS3_llPT2_S3_S3_S5_l
    .private_segment_fixed_size: 3864
    .sgpr_count:     34
    .sgpr_spill_count: 0
    .symbol:         _ZN9rocsolver6v33100L18getf2_small_kernelILi24EfiiPfEEvT1_T3_lS3_lPS3_llPT2_S3_S3_S5_l.kd
    .uniform_work_group_size: 1
    .uses_dynamic_stack: false
    .vgpr_count:     256
    .vgpr_spill_count: 7615
    .wavefront_size: 64
  - .agpr_count:     0
    .args:
      - .offset:         0
        .size:           4
        .value_kind:     by_value
      - .address_space:  global
        .offset:         8
        .size:           8
        .value_kind:     global_buffer
      - .offset:         16
        .size:           8
        .value_kind:     by_value
      - .offset:         24
        .size:           4
        .value_kind:     by_value
      - .offset:         32
        .size:           8
        .value_kind:     by_value
      - .address_space:  global
        .offset:         40
        .size:           8
        .value_kind:     global_buffer
      - .offset:         48
        .size:           4
        .value_kind:     by_value
      - .offset:         52
        .size:           4
        .value_kind:     by_value
      - .offset:         56
        .size:           4
        .value_kind:     hidden_block_count_x
      - .offset:         60
        .size:           4
        .value_kind:     hidden_block_count_y
      - .offset:         64
        .size:           4
        .value_kind:     hidden_block_count_z
      - .offset:         68
        .size:           2
        .value_kind:     hidden_group_size_x
      - .offset:         70
        .size:           2
        .value_kind:     hidden_group_size_y
      - .offset:         72
        .size:           2
        .value_kind:     hidden_group_size_z
      - .offset:         74
        .size:           2
        .value_kind:     hidden_remainder_x
      - .offset:         76
        .size:           2
        .value_kind:     hidden_remainder_y
      - .offset:         78
        .size:           2
        .value_kind:     hidden_remainder_z
      - .offset:         96
        .size:           8
        .value_kind:     hidden_global_offset_x
      - .offset:         104
        .size:           8
        .value_kind:     hidden_global_offset_y
      - .offset:         112
        .size:           8
        .value_kind:     hidden_global_offset_z
      - .offset:         120
        .size:           2
        .value_kind:     hidden_grid_dims
      - .offset:         176
        .size:           4
        .value_kind:     hidden_dynamic_lds_size
    .group_segment_fixed_size: 0
    .kernarg_segment_align: 8
    .kernarg_segment_size: 312
    .language:       OpenCL C
    .language_version:
      - 2
      - 0
    .max_flat_workgroup_size: 512
    .name:           _ZN9rocsolver6v33100L23getf2_npvt_small_kernelILi24EfiiPfEEvT1_T3_lS3_lPT2_S3_S3_
    .private_segment_fixed_size: 4564
    .sgpr_count:     22
    .sgpr_spill_count: 0
    .symbol:         _ZN9rocsolver6v33100L23getf2_npvt_small_kernelILi24EfiiPfEEvT1_T3_lS3_lPT2_S3_S3_.kd
    .uniform_work_group_size: 1
    .uses_dynamic_stack: false
    .vgpr_count:     256
    .vgpr_spill_count: 8532
    .wavefront_size: 64
  - .agpr_count:     0
    .args:
      - .offset:         0
        .size:           4
        .value_kind:     by_value
      - .address_space:  global
        .offset:         8
        .size:           8
        .value_kind:     global_buffer
      - .offset:         16
        .size:           8
        .value_kind:     by_value
      - .offset:         24
        .size:           4
        .value_kind:     by_value
      - .offset:         32
        .size:           8
        .value_kind:     by_value
      - .address_space:  global
        .offset:         40
        .size:           8
        .value_kind:     global_buffer
      - .offset:         48
        .size:           8
        .value_kind:     by_value
      - .offset:         56
        .size:           8
        .value_kind:     by_value
      - .address_space:  global
        .offset:         64
        .size:           8
        .value_kind:     global_buffer
      - .offset:         72
        .size:           4
        .value_kind:     by_value
      - .offset:         76
        .size:           4
        .value_kind:     by_value
      - .address_space:  global
        .offset:         80
        .size:           8
        .value_kind:     global_buffer
      - .offset:         88
        .size:           8
        .value_kind:     by_value
      - .offset:         96
        .size:           4
        .value_kind:     hidden_block_count_x
      - .offset:         100
        .size:           4
        .value_kind:     hidden_block_count_y
      - .offset:         104
        .size:           4
        .value_kind:     hidden_block_count_z
      - .offset:         108
        .size:           2
        .value_kind:     hidden_group_size_x
      - .offset:         110
        .size:           2
        .value_kind:     hidden_group_size_y
      - .offset:         112
        .size:           2
        .value_kind:     hidden_group_size_z
      - .offset:         114
        .size:           2
        .value_kind:     hidden_remainder_x
      - .offset:         116
        .size:           2
        .value_kind:     hidden_remainder_y
      - .offset:         118
        .size:           2
        .value_kind:     hidden_remainder_z
      - .offset:         136
        .size:           8
        .value_kind:     hidden_global_offset_x
      - .offset:         144
        .size:           8
        .value_kind:     hidden_global_offset_y
      - .offset:         152
        .size:           8
        .value_kind:     hidden_global_offset_z
      - .offset:         160
        .size:           2
        .value_kind:     hidden_grid_dims
      - .offset:         216
        .size:           4
        .value_kind:     hidden_dynamic_lds_size
    .group_segment_fixed_size: 0
    .kernarg_segment_align: 8
    .kernarg_segment_size: 352
    .language:       OpenCL C
    .language_version:
      - 2
      - 0
    .max_flat_workgroup_size: 512
    .name:           _ZN9rocsolver6v33100L18getf2_small_kernelILi25EfiiPfEEvT1_T3_lS3_lPS3_llPT2_S3_S3_S5_l
    .private_segment_fixed_size: 4124
    .sgpr_count:     34
    .sgpr_spill_count: 0
    .symbol:         _ZN9rocsolver6v33100L18getf2_small_kernelILi25EfiiPfEEvT1_T3_lS3_lPS3_llPT2_S3_S3_S5_l.kd
    .uniform_work_group_size: 1
    .uses_dynamic_stack: false
    .vgpr_count:     256
    .vgpr_spill_count: 9313
    .wavefront_size: 64
  - .agpr_count:     0
    .args:
      - .offset:         0
        .size:           4
        .value_kind:     by_value
      - .address_space:  global
        .offset:         8
        .size:           8
        .value_kind:     global_buffer
      - .offset:         16
        .size:           8
        .value_kind:     by_value
      - .offset:         24
        .size:           4
        .value_kind:     by_value
      - .offset:         32
        .size:           8
        .value_kind:     by_value
      - .address_space:  global
        .offset:         40
        .size:           8
        .value_kind:     global_buffer
      - .offset:         48
        .size:           4
        .value_kind:     by_value
      - .offset:         52
        .size:           4
        .value_kind:     by_value
      - .offset:         56
        .size:           4
        .value_kind:     hidden_block_count_x
      - .offset:         60
        .size:           4
        .value_kind:     hidden_block_count_y
      - .offset:         64
        .size:           4
        .value_kind:     hidden_block_count_z
      - .offset:         68
        .size:           2
        .value_kind:     hidden_group_size_x
      - .offset:         70
        .size:           2
        .value_kind:     hidden_group_size_y
      - .offset:         72
        .size:           2
        .value_kind:     hidden_group_size_z
      - .offset:         74
        .size:           2
        .value_kind:     hidden_remainder_x
      - .offset:         76
        .size:           2
        .value_kind:     hidden_remainder_y
      - .offset:         78
        .size:           2
        .value_kind:     hidden_remainder_z
      - .offset:         96
        .size:           8
        .value_kind:     hidden_global_offset_x
      - .offset:         104
        .size:           8
        .value_kind:     hidden_global_offset_y
      - .offset:         112
        .size:           8
        .value_kind:     hidden_global_offset_z
      - .offset:         120
        .size:           2
        .value_kind:     hidden_grid_dims
      - .offset:         176
        .size:           4
        .value_kind:     hidden_dynamic_lds_size
    .group_segment_fixed_size: 0
    .kernarg_segment_align: 8
    .kernarg_segment_size: 312
    .language:       OpenCL C
    .language_version:
      - 2
      - 0
    .max_flat_workgroup_size: 512
    .name:           _ZN9rocsolver6v33100L23getf2_npvt_small_kernelILi25EfiiPfEEvT1_T3_lS3_lPT2_S3_S3_
    .private_segment_fixed_size: 3928
    .sgpr_count:     22
    .sgpr_spill_count: 0
    .symbol:         _ZN9rocsolver6v33100L23getf2_npvt_small_kernelILi25EfiiPfEEvT1_T3_lS3_lPT2_S3_S3_.kd
    .uniform_work_group_size: 1
    .uses_dynamic_stack: false
    .vgpr_count:     256
    .vgpr_spill_count: 7355
    .wavefront_size: 64
  - .agpr_count:     0
    .args:
      - .offset:         0
        .size:           4
        .value_kind:     by_value
      - .address_space:  global
        .offset:         8
        .size:           8
        .value_kind:     global_buffer
      - .offset:         16
        .size:           8
        .value_kind:     by_value
      - .offset:         24
        .size:           4
        .value_kind:     by_value
      - .offset:         32
        .size:           8
        .value_kind:     by_value
      - .address_space:  global
        .offset:         40
        .size:           8
        .value_kind:     global_buffer
      - .offset:         48
        .size:           8
        .value_kind:     by_value
      - .offset:         56
        .size:           8
        .value_kind:     by_value
      - .address_space:  global
        .offset:         64
        .size:           8
        .value_kind:     global_buffer
      - .offset:         72
        .size:           4
        .value_kind:     by_value
      - .offset:         76
        .size:           4
        .value_kind:     by_value
      - .address_space:  global
        .offset:         80
        .size:           8
        .value_kind:     global_buffer
      - .offset:         88
        .size:           8
        .value_kind:     by_value
      - .offset:         96
        .size:           4
        .value_kind:     hidden_block_count_x
      - .offset:         100
        .size:           4
        .value_kind:     hidden_block_count_y
      - .offset:         104
        .size:           4
        .value_kind:     hidden_block_count_z
      - .offset:         108
        .size:           2
        .value_kind:     hidden_group_size_x
      - .offset:         110
        .size:           2
        .value_kind:     hidden_group_size_y
      - .offset:         112
        .size:           2
        .value_kind:     hidden_group_size_z
      - .offset:         114
        .size:           2
        .value_kind:     hidden_remainder_x
      - .offset:         116
        .size:           2
        .value_kind:     hidden_remainder_y
      - .offset:         118
        .size:           2
        .value_kind:     hidden_remainder_z
      - .offset:         136
        .size:           8
        .value_kind:     hidden_global_offset_x
      - .offset:         144
        .size:           8
        .value_kind:     hidden_global_offset_y
      - .offset:         152
        .size:           8
        .value_kind:     hidden_global_offset_z
      - .offset:         160
        .size:           2
        .value_kind:     hidden_grid_dims
      - .offset:         216
        .size:           4
        .value_kind:     hidden_dynamic_lds_size
    .group_segment_fixed_size: 0
    .kernarg_segment_align: 8
    .kernarg_segment_size: 352
    .language:       OpenCL C
    .language_version:
      - 2
      - 0
    .max_flat_workgroup_size: 512
    .name:           _ZN9rocsolver6v33100L18getf2_small_kernelILi26EfiiPfEEvT1_T3_lS3_lPS3_llPT2_S3_S3_S5_l
    .private_segment_fixed_size: 3868
    .sgpr_count:     34
    .sgpr_spill_count: 0
    .symbol:         _ZN9rocsolver6v33100L18getf2_small_kernelILi26EfiiPfEEvT1_T3_lS3_lPS3_llPT2_S3_S3_S5_l.kd
    .uniform_work_group_size: 1
    .uses_dynamic_stack: false
    .vgpr_count:     256
    .vgpr_spill_count: 9506
    .wavefront_size: 64
  - .agpr_count:     0
    .args:
      - .offset:         0
        .size:           4
        .value_kind:     by_value
      - .address_space:  global
        .offset:         8
        .size:           8
        .value_kind:     global_buffer
      - .offset:         16
        .size:           8
        .value_kind:     by_value
      - .offset:         24
        .size:           4
        .value_kind:     by_value
      - .offset:         32
        .size:           8
        .value_kind:     by_value
      - .address_space:  global
        .offset:         40
        .size:           8
        .value_kind:     global_buffer
      - .offset:         48
        .size:           4
        .value_kind:     by_value
      - .offset:         52
        .size:           4
        .value_kind:     by_value
      - .offset:         56
        .size:           4
        .value_kind:     hidden_block_count_x
      - .offset:         60
        .size:           4
        .value_kind:     hidden_block_count_y
      - .offset:         64
        .size:           4
        .value_kind:     hidden_block_count_z
      - .offset:         68
        .size:           2
        .value_kind:     hidden_group_size_x
      - .offset:         70
        .size:           2
        .value_kind:     hidden_group_size_y
      - .offset:         72
        .size:           2
        .value_kind:     hidden_group_size_z
      - .offset:         74
        .size:           2
        .value_kind:     hidden_remainder_x
      - .offset:         76
        .size:           2
        .value_kind:     hidden_remainder_y
      - .offset:         78
        .size:           2
        .value_kind:     hidden_remainder_z
      - .offset:         96
        .size:           8
        .value_kind:     hidden_global_offset_x
      - .offset:         104
        .size:           8
        .value_kind:     hidden_global_offset_y
      - .offset:         112
        .size:           8
        .value_kind:     hidden_global_offset_z
      - .offset:         120
        .size:           2
        .value_kind:     hidden_grid_dims
      - .offset:         176
        .size:           4
        .value_kind:     hidden_dynamic_lds_size
    .group_segment_fixed_size: 0
    .kernarg_segment_align: 8
    .kernarg_segment_size: 312
    .language:       OpenCL C
    .language_version:
      - 2
      - 0
    .max_flat_workgroup_size: 512
    .name:           _ZN9rocsolver6v33100L23getf2_npvt_small_kernelILi26EfiiPfEEvT1_T3_lS3_lPT2_S3_S3_
    .private_segment_fixed_size: 4968
    .sgpr_count:     22
    .sgpr_spill_count: 0
    .symbol:         _ZN9rocsolver6v33100L23getf2_npvt_small_kernelILi26EfiiPfEEvT1_T3_lS3_lPT2_S3_S3_.kd
    .uniform_work_group_size: 1
    .uses_dynamic_stack: false
    .vgpr_count:     256
    .vgpr_spill_count: 10361
    .wavefront_size: 64
  - .agpr_count:     0
    .args:
      - .offset:         0
        .size:           4
        .value_kind:     by_value
      - .address_space:  global
        .offset:         8
        .size:           8
        .value_kind:     global_buffer
      - .offset:         16
        .size:           8
        .value_kind:     by_value
      - .offset:         24
        .size:           4
        .value_kind:     by_value
      - .offset:         32
        .size:           8
        .value_kind:     by_value
      - .address_space:  global
        .offset:         40
        .size:           8
        .value_kind:     global_buffer
      - .offset:         48
        .size:           8
        .value_kind:     by_value
      - .offset:         56
        .size:           8
        .value_kind:     by_value
      - .address_space:  global
        .offset:         64
        .size:           8
        .value_kind:     global_buffer
      - .offset:         72
        .size:           4
        .value_kind:     by_value
      - .offset:         76
        .size:           4
        .value_kind:     by_value
      - .address_space:  global
        .offset:         80
        .size:           8
        .value_kind:     global_buffer
      - .offset:         88
        .size:           8
        .value_kind:     by_value
      - .offset:         96
        .size:           4
        .value_kind:     hidden_block_count_x
      - .offset:         100
        .size:           4
        .value_kind:     hidden_block_count_y
      - .offset:         104
        .size:           4
        .value_kind:     hidden_block_count_z
      - .offset:         108
        .size:           2
        .value_kind:     hidden_group_size_x
      - .offset:         110
        .size:           2
        .value_kind:     hidden_group_size_y
      - .offset:         112
        .size:           2
        .value_kind:     hidden_group_size_z
      - .offset:         114
        .size:           2
        .value_kind:     hidden_remainder_x
      - .offset:         116
        .size:           2
        .value_kind:     hidden_remainder_y
      - .offset:         118
        .size:           2
        .value_kind:     hidden_remainder_z
      - .offset:         136
        .size:           8
        .value_kind:     hidden_global_offset_x
      - .offset:         144
        .size:           8
        .value_kind:     hidden_global_offset_y
      - .offset:         152
        .size:           8
        .value_kind:     hidden_global_offset_z
      - .offset:         160
        .size:           2
        .value_kind:     hidden_grid_dims
      - .offset:         216
        .size:           4
        .value_kind:     hidden_dynamic_lds_size
    .group_segment_fixed_size: 0
    .kernarg_segment_align: 8
    .kernarg_segment_size: 352
    .language:       OpenCL C
    .language_version:
      - 2
      - 0
    .max_flat_workgroup_size: 512
    .name:           _ZN9rocsolver6v33100L18getf2_small_kernelILi27EfiiPfEEvT1_T3_lS3_lPS3_llPT2_S3_S3_S5_l
    .private_segment_fixed_size: 4404
    .sgpr_count:     32
    .sgpr_spill_count: 0
    .symbol:         _ZN9rocsolver6v33100L18getf2_small_kernelILi27EfiiPfEEvT1_T3_lS3_lPS3_llPT2_S3_S3_S5_l.kd
    .uniform_work_group_size: 1
    .uses_dynamic_stack: false
    .vgpr_count:     256
    .vgpr_spill_count: 10263
    .wavefront_size: 64
  - .agpr_count:     0
    .args:
      - .offset:         0
        .size:           4
        .value_kind:     by_value
      - .address_space:  global
        .offset:         8
        .size:           8
        .value_kind:     global_buffer
      - .offset:         16
        .size:           8
        .value_kind:     by_value
      - .offset:         24
        .size:           4
        .value_kind:     by_value
      - .offset:         32
        .size:           8
        .value_kind:     by_value
      - .address_space:  global
        .offset:         40
        .size:           8
        .value_kind:     global_buffer
      - .offset:         48
        .size:           4
        .value_kind:     by_value
      - .offset:         52
        .size:           4
        .value_kind:     by_value
      - .offset:         56
        .size:           4
        .value_kind:     hidden_block_count_x
      - .offset:         60
        .size:           4
        .value_kind:     hidden_block_count_y
      - .offset:         64
        .size:           4
        .value_kind:     hidden_block_count_z
      - .offset:         68
        .size:           2
        .value_kind:     hidden_group_size_x
      - .offset:         70
        .size:           2
        .value_kind:     hidden_group_size_y
      - .offset:         72
        .size:           2
        .value_kind:     hidden_group_size_z
      - .offset:         74
        .size:           2
        .value_kind:     hidden_remainder_x
      - .offset:         76
        .size:           2
        .value_kind:     hidden_remainder_y
      - .offset:         78
        .size:           2
        .value_kind:     hidden_remainder_z
      - .offset:         96
        .size:           8
        .value_kind:     hidden_global_offset_x
      - .offset:         104
        .size:           8
        .value_kind:     hidden_global_offset_y
      - .offset:         112
        .size:           8
        .value_kind:     hidden_global_offset_z
      - .offset:         120
        .size:           2
        .value_kind:     hidden_grid_dims
      - .offset:         176
        .size:           4
        .value_kind:     hidden_dynamic_lds_size
    .group_segment_fixed_size: 0
    .kernarg_segment_align: 8
    .kernarg_segment_size: 312
    .language:       OpenCL C
    .language_version:
      - 2
      - 0
    .max_flat_workgroup_size: 512
    .name:           _ZN9rocsolver6v33100L23getf2_npvt_small_kernelILi27EfiiPfEEvT1_T3_lS3_lPT2_S3_S3_
    .private_segment_fixed_size: 5368
    .sgpr_count:     22
    .sgpr_spill_count: 0
    .symbol:         _ZN9rocsolver6v33100L23getf2_npvt_small_kernelILi27EfiiPfEEvT1_T3_lS3_lPT2_S3_S3_.kd
    .uniform_work_group_size: 1
    .uses_dynamic_stack: false
    .vgpr_count:     255
    .vgpr_spill_count: 11783
    .wavefront_size: 64
  - .agpr_count:     0
    .args:
      - .offset:         0
        .size:           4
        .value_kind:     by_value
      - .address_space:  global
        .offset:         8
        .size:           8
        .value_kind:     global_buffer
      - .offset:         16
        .size:           8
        .value_kind:     by_value
      - .offset:         24
        .size:           4
        .value_kind:     by_value
      - .offset:         32
        .size:           8
        .value_kind:     by_value
      - .address_space:  global
        .offset:         40
        .size:           8
        .value_kind:     global_buffer
      - .offset:         48
        .size:           8
        .value_kind:     by_value
      - .offset:         56
        .size:           8
        .value_kind:     by_value
      - .address_space:  global
        .offset:         64
        .size:           8
        .value_kind:     global_buffer
      - .offset:         72
        .size:           4
        .value_kind:     by_value
      - .offset:         76
        .size:           4
        .value_kind:     by_value
      - .address_space:  global
        .offset:         80
        .size:           8
        .value_kind:     global_buffer
      - .offset:         88
        .size:           8
        .value_kind:     by_value
      - .offset:         96
        .size:           4
        .value_kind:     hidden_block_count_x
      - .offset:         100
        .size:           4
        .value_kind:     hidden_block_count_y
      - .offset:         104
        .size:           4
        .value_kind:     hidden_block_count_z
      - .offset:         108
        .size:           2
        .value_kind:     hidden_group_size_x
      - .offset:         110
        .size:           2
        .value_kind:     hidden_group_size_y
      - .offset:         112
        .size:           2
        .value_kind:     hidden_group_size_z
      - .offset:         114
        .size:           2
        .value_kind:     hidden_remainder_x
      - .offset:         116
        .size:           2
        .value_kind:     hidden_remainder_y
      - .offset:         118
        .size:           2
        .value_kind:     hidden_remainder_z
      - .offset:         136
        .size:           8
        .value_kind:     hidden_global_offset_x
      - .offset:         144
        .size:           8
        .value_kind:     hidden_global_offset_y
      - .offset:         152
        .size:           8
        .value_kind:     hidden_global_offset_z
      - .offset:         160
        .size:           2
        .value_kind:     hidden_grid_dims
      - .offset:         216
        .size:           4
        .value_kind:     hidden_dynamic_lds_size
    .group_segment_fixed_size: 0
    .kernarg_segment_align: 8
    .kernarg_segment_size: 352
    .language:       OpenCL C
    .language_version:
      - 2
      - 0
    .max_flat_workgroup_size: 512
    .name:           _ZN9rocsolver6v33100L18getf2_small_kernelILi28EfiiPfEEvT1_T3_lS3_lPS3_llPT2_S3_S3_S5_l
    .private_segment_fixed_size: 5156
    .sgpr_count:     34
    .sgpr_spill_count: 0
    .symbol:         _ZN9rocsolver6v33100L18getf2_small_kernelILi28EfiiPfEEvT1_T3_lS3_lPS3_llPT2_S3_S3_S5_l.kd
    .uniform_work_group_size: 1
    .uses_dynamic_stack: false
    .vgpr_count:     256
    .vgpr_spill_count: 15265
    .wavefront_size: 64
  - .agpr_count:     0
    .args:
      - .offset:         0
        .size:           4
        .value_kind:     by_value
      - .address_space:  global
        .offset:         8
        .size:           8
        .value_kind:     global_buffer
      - .offset:         16
        .size:           8
        .value_kind:     by_value
      - .offset:         24
        .size:           4
        .value_kind:     by_value
      - .offset:         32
        .size:           8
        .value_kind:     by_value
      - .address_space:  global
        .offset:         40
        .size:           8
        .value_kind:     global_buffer
      - .offset:         48
        .size:           4
        .value_kind:     by_value
      - .offset:         52
        .size:           4
        .value_kind:     by_value
      - .offset:         56
        .size:           4
        .value_kind:     hidden_block_count_x
      - .offset:         60
        .size:           4
        .value_kind:     hidden_block_count_y
      - .offset:         64
        .size:           4
        .value_kind:     hidden_block_count_z
      - .offset:         68
        .size:           2
        .value_kind:     hidden_group_size_x
      - .offset:         70
        .size:           2
        .value_kind:     hidden_group_size_y
      - .offset:         72
        .size:           2
        .value_kind:     hidden_group_size_z
      - .offset:         74
        .size:           2
        .value_kind:     hidden_remainder_x
      - .offset:         76
        .size:           2
        .value_kind:     hidden_remainder_y
      - .offset:         78
        .size:           2
        .value_kind:     hidden_remainder_z
      - .offset:         96
        .size:           8
        .value_kind:     hidden_global_offset_x
      - .offset:         104
        .size:           8
        .value_kind:     hidden_global_offset_y
      - .offset:         112
        .size:           8
        .value_kind:     hidden_global_offset_z
      - .offset:         120
        .size:           2
        .value_kind:     hidden_grid_dims
      - .offset:         176
        .size:           4
        .value_kind:     hidden_dynamic_lds_size
    .group_segment_fixed_size: 0
    .kernarg_segment_align: 8
    .kernarg_segment_size: 312
    .language:       OpenCL C
    .language_version:
      - 2
      - 0
    .max_flat_workgroup_size: 512
    .name:           _ZN9rocsolver6v33100L23getf2_npvt_small_kernelILi28EfiiPfEEvT1_T3_lS3_lPT2_S3_S3_
    .private_segment_fixed_size: 5748
    .sgpr_count:     22
    .sgpr_spill_count: 0
    .symbol:         _ZN9rocsolver6v33100L23getf2_npvt_small_kernelILi28EfiiPfEEvT1_T3_lS3_lPT2_S3_S3_.kd
    .uniform_work_group_size: 1
    .uses_dynamic_stack: false
    .vgpr_count:     256
    .vgpr_spill_count: 15805
    .wavefront_size: 64
  - .agpr_count:     0
    .args:
      - .offset:         0
        .size:           4
        .value_kind:     by_value
      - .address_space:  global
        .offset:         8
        .size:           8
        .value_kind:     global_buffer
      - .offset:         16
        .size:           8
        .value_kind:     by_value
      - .offset:         24
        .size:           4
        .value_kind:     by_value
      - .offset:         32
        .size:           8
        .value_kind:     by_value
      - .address_space:  global
        .offset:         40
        .size:           8
        .value_kind:     global_buffer
      - .offset:         48
        .size:           8
        .value_kind:     by_value
      - .offset:         56
        .size:           8
        .value_kind:     by_value
      - .address_space:  global
        .offset:         64
        .size:           8
        .value_kind:     global_buffer
      - .offset:         72
        .size:           4
        .value_kind:     by_value
      - .offset:         76
        .size:           4
        .value_kind:     by_value
      - .address_space:  global
        .offset:         80
        .size:           8
        .value_kind:     global_buffer
      - .offset:         88
        .size:           8
        .value_kind:     by_value
      - .offset:         96
        .size:           4
        .value_kind:     hidden_block_count_x
      - .offset:         100
        .size:           4
        .value_kind:     hidden_block_count_y
      - .offset:         104
        .size:           4
        .value_kind:     hidden_block_count_z
      - .offset:         108
        .size:           2
        .value_kind:     hidden_group_size_x
      - .offset:         110
        .size:           2
        .value_kind:     hidden_group_size_y
      - .offset:         112
        .size:           2
        .value_kind:     hidden_group_size_z
      - .offset:         114
        .size:           2
        .value_kind:     hidden_remainder_x
      - .offset:         116
        .size:           2
        .value_kind:     hidden_remainder_y
      - .offset:         118
        .size:           2
        .value_kind:     hidden_remainder_z
      - .offset:         136
        .size:           8
        .value_kind:     hidden_global_offset_x
      - .offset:         144
        .size:           8
        .value_kind:     hidden_global_offset_y
      - .offset:         152
        .size:           8
        .value_kind:     hidden_global_offset_z
      - .offset:         160
        .size:           2
        .value_kind:     hidden_grid_dims
      - .offset:         216
        .size:           4
        .value_kind:     hidden_dynamic_lds_size
    .group_segment_fixed_size: 0
    .kernarg_segment_align: 8
    .kernarg_segment_size: 352
    .language:       OpenCL C
    .language_version:
      - 2
      - 0
    .max_flat_workgroup_size: 512
    .name:           _ZN9rocsolver6v33100L18getf2_small_kernelILi29EfiiPfEEvT1_T3_lS3_lPS3_llPT2_S3_S3_S5_l
    .private_segment_fixed_size: 5680
    .sgpr_count:     32
    .sgpr_spill_count: 0
    .symbol:         _ZN9rocsolver6v33100L18getf2_small_kernelILi29EfiiPfEEvT1_T3_lS3_lPS3_llPT2_S3_S3_S5_l.kd
    .uniform_work_group_size: 1
    .uses_dynamic_stack: false
    .vgpr_count:     256
    .vgpr_spill_count: 15508
    .wavefront_size: 64
  - .agpr_count:     0
    .args:
      - .offset:         0
        .size:           4
        .value_kind:     by_value
      - .address_space:  global
        .offset:         8
        .size:           8
        .value_kind:     global_buffer
      - .offset:         16
        .size:           8
        .value_kind:     by_value
      - .offset:         24
        .size:           4
        .value_kind:     by_value
      - .offset:         32
        .size:           8
        .value_kind:     by_value
      - .address_space:  global
        .offset:         40
        .size:           8
        .value_kind:     global_buffer
      - .offset:         48
        .size:           4
        .value_kind:     by_value
      - .offset:         52
        .size:           4
        .value_kind:     by_value
      - .offset:         56
        .size:           4
        .value_kind:     hidden_block_count_x
      - .offset:         60
        .size:           4
        .value_kind:     hidden_block_count_y
      - .offset:         64
        .size:           4
        .value_kind:     hidden_block_count_z
      - .offset:         68
        .size:           2
        .value_kind:     hidden_group_size_x
      - .offset:         70
        .size:           2
        .value_kind:     hidden_group_size_y
      - .offset:         72
        .size:           2
        .value_kind:     hidden_group_size_z
      - .offset:         74
        .size:           2
        .value_kind:     hidden_remainder_x
      - .offset:         76
        .size:           2
        .value_kind:     hidden_remainder_y
      - .offset:         78
        .size:           2
        .value_kind:     hidden_remainder_z
      - .offset:         96
        .size:           8
        .value_kind:     hidden_global_offset_x
      - .offset:         104
        .size:           8
        .value_kind:     hidden_global_offset_y
      - .offset:         112
        .size:           8
        .value_kind:     hidden_global_offset_z
      - .offset:         120
        .size:           2
        .value_kind:     hidden_grid_dims
      - .offset:         176
        .size:           4
        .value_kind:     hidden_dynamic_lds_size
    .group_segment_fixed_size: 0
    .kernarg_segment_align: 8
    .kernarg_segment_size: 312
    .language:       OpenCL C
    .language_version:
      - 2
      - 0
    .max_flat_workgroup_size: 512
    .name:           _ZN9rocsolver6v33100L23getf2_npvt_small_kernelILi29EfiiPfEEvT1_T3_lS3_lPT2_S3_S3_
    .private_segment_fixed_size: 6148
    .sgpr_count:     22
    .sgpr_spill_count: 0
    .symbol:         _ZN9rocsolver6v33100L23getf2_npvt_small_kernelILi29EfiiPfEEvT1_T3_lS3_lPT2_S3_S3_.kd
    .uniform_work_group_size: 1
    .uses_dynamic_stack: false
    .vgpr_count:     256
    .vgpr_spill_count: 18793
    .wavefront_size: 64
  - .agpr_count:     0
    .args:
      - .offset:         0
        .size:           4
        .value_kind:     by_value
      - .address_space:  global
        .offset:         8
        .size:           8
        .value_kind:     global_buffer
      - .offset:         16
        .size:           8
        .value_kind:     by_value
      - .offset:         24
        .size:           4
        .value_kind:     by_value
      - .offset:         32
        .size:           8
        .value_kind:     by_value
      - .address_space:  global
        .offset:         40
        .size:           8
        .value_kind:     global_buffer
      - .offset:         48
        .size:           8
        .value_kind:     by_value
      - .offset:         56
        .size:           8
        .value_kind:     by_value
      - .address_space:  global
        .offset:         64
        .size:           8
        .value_kind:     global_buffer
      - .offset:         72
        .size:           4
        .value_kind:     by_value
      - .offset:         76
        .size:           4
        .value_kind:     by_value
      - .address_space:  global
        .offset:         80
        .size:           8
        .value_kind:     global_buffer
      - .offset:         88
        .size:           8
        .value_kind:     by_value
      - .offset:         96
        .size:           4
        .value_kind:     hidden_block_count_x
      - .offset:         100
        .size:           4
        .value_kind:     hidden_block_count_y
      - .offset:         104
        .size:           4
        .value_kind:     hidden_block_count_z
      - .offset:         108
        .size:           2
        .value_kind:     hidden_group_size_x
      - .offset:         110
        .size:           2
        .value_kind:     hidden_group_size_y
      - .offset:         112
        .size:           2
        .value_kind:     hidden_group_size_z
      - .offset:         114
        .size:           2
        .value_kind:     hidden_remainder_x
      - .offset:         116
        .size:           2
        .value_kind:     hidden_remainder_y
      - .offset:         118
        .size:           2
        .value_kind:     hidden_remainder_z
      - .offset:         136
        .size:           8
        .value_kind:     hidden_global_offset_x
      - .offset:         144
        .size:           8
        .value_kind:     hidden_global_offset_y
      - .offset:         152
        .size:           8
        .value_kind:     hidden_global_offset_z
      - .offset:         160
        .size:           2
        .value_kind:     hidden_grid_dims
      - .offset:         216
        .size:           4
        .value_kind:     hidden_dynamic_lds_size
    .group_segment_fixed_size: 0
    .kernarg_segment_align: 8
    .kernarg_segment_size: 352
    .language:       OpenCL C
    .language_version:
      - 2
      - 0
    .max_flat_workgroup_size: 512
    .name:           _ZN9rocsolver6v33100L18getf2_small_kernelILi30EfiiPfEEvT1_T3_lS3_lPS3_llPT2_S3_S3_S5_l
    .private_segment_fixed_size: 6064
    .sgpr_count:     34
    .sgpr_spill_count: 0
    .symbol:         _ZN9rocsolver6v33100L18getf2_small_kernelILi30EfiiPfEEvT1_T3_lS3_lPS3_llPT2_S3_S3_S5_l.kd
    .uniform_work_group_size: 1
    .uses_dynamic_stack: false
    .vgpr_count:     256
    .vgpr_spill_count: 17149
    .wavefront_size: 64
  - .agpr_count:     0
    .args:
      - .offset:         0
        .size:           4
        .value_kind:     by_value
      - .address_space:  global
        .offset:         8
        .size:           8
        .value_kind:     global_buffer
      - .offset:         16
        .size:           8
        .value_kind:     by_value
      - .offset:         24
        .size:           4
        .value_kind:     by_value
      - .offset:         32
        .size:           8
        .value_kind:     by_value
      - .address_space:  global
        .offset:         40
        .size:           8
        .value_kind:     global_buffer
      - .offset:         48
        .size:           4
        .value_kind:     by_value
      - .offset:         52
        .size:           4
        .value_kind:     by_value
      - .offset:         56
        .size:           4
        .value_kind:     hidden_block_count_x
      - .offset:         60
        .size:           4
        .value_kind:     hidden_block_count_y
      - .offset:         64
        .size:           4
        .value_kind:     hidden_block_count_z
      - .offset:         68
        .size:           2
        .value_kind:     hidden_group_size_x
      - .offset:         70
        .size:           2
        .value_kind:     hidden_group_size_y
      - .offset:         72
        .size:           2
        .value_kind:     hidden_group_size_z
      - .offset:         74
        .size:           2
        .value_kind:     hidden_remainder_x
      - .offset:         76
        .size:           2
        .value_kind:     hidden_remainder_y
      - .offset:         78
        .size:           2
        .value_kind:     hidden_remainder_z
      - .offset:         96
        .size:           8
        .value_kind:     hidden_global_offset_x
      - .offset:         104
        .size:           8
        .value_kind:     hidden_global_offset_y
      - .offset:         112
        .size:           8
        .value_kind:     hidden_global_offset_z
      - .offset:         120
        .size:           2
        .value_kind:     hidden_grid_dims
      - .offset:         176
        .size:           4
        .value_kind:     hidden_dynamic_lds_size
    .group_segment_fixed_size: 0
    .kernarg_segment_align: 8
    .kernarg_segment_size: 312
    .language:       OpenCL C
    .language_version:
      - 2
      - 0
    .max_flat_workgroup_size: 512
    .name:           _ZN9rocsolver6v33100L23getf2_npvt_small_kernelILi30EfiiPfEEvT1_T3_lS3_lPT2_S3_S3_
    .private_segment_fixed_size: 6800
    .sgpr_count:     22
    .sgpr_spill_count: 0
    .symbol:         _ZN9rocsolver6v33100L23getf2_npvt_small_kernelILi30EfiiPfEEvT1_T3_lS3_lPT2_S3_S3_.kd
    .uniform_work_group_size: 1
    .uses_dynamic_stack: false
    .vgpr_count:     256
    .vgpr_spill_count: 25130
    .wavefront_size: 64
  - .agpr_count:     0
    .args:
      - .offset:         0
        .size:           4
        .value_kind:     by_value
      - .address_space:  global
        .offset:         8
        .size:           8
        .value_kind:     global_buffer
      - .offset:         16
        .size:           8
        .value_kind:     by_value
      - .offset:         24
        .size:           4
        .value_kind:     by_value
      - .offset:         32
        .size:           8
        .value_kind:     by_value
      - .address_space:  global
        .offset:         40
        .size:           8
        .value_kind:     global_buffer
      - .offset:         48
        .size:           8
        .value_kind:     by_value
      - .offset:         56
        .size:           8
        .value_kind:     by_value
      - .address_space:  global
        .offset:         64
        .size:           8
        .value_kind:     global_buffer
      - .offset:         72
        .size:           4
        .value_kind:     by_value
      - .offset:         76
        .size:           4
        .value_kind:     by_value
      - .address_space:  global
        .offset:         80
        .size:           8
        .value_kind:     global_buffer
      - .offset:         88
        .size:           8
        .value_kind:     by_value
      - .offset:         96
        .size:           4
        .value_kind:     hidden_block_count_x
      - .offset:         100
        .size:           4
        .value_kind:     hidden_block_count_y
      - .offset:         104
        .size:           4
        .value_kind:     hidden_block_count_z
      - .offset:         108
        .size:           2
        .value_kind:     hidden_group_size_x
      - .offset:         110
        .size:           2
        .value_kind:     hidden_group_size_y
      - .offset:         112
        .size:           2
        .value_kind:     hidden_group_size_z
      - .offset:         114
        .size:           2
        .value_kind:     hidden_remainder_x
      - .offset:         116
        .size:           2
        .value_kind:     hidden_remainder_y
      - .offset:         118
        .size:           2
        .value_kind:     hidden_remainder_z
      - .offset:         136
        .size:           8
        .value_kind:     hidden_global_offset_x
      - .offset:         144
        .size:           8
        .value_kind:     hidden_global_offset_y
      - .offset:         152
        .size:           8
        .value_kind:     hidden_global_offset_z
      - .offset:         160
        .size:           2
        .value_kind:     hidden_grid_dims
      - .offset:         216
        .size:           4
        .value_kind:     hidden_dynamic_lds_size
    .group_segment_fixed_size: 0
    .kernarg_segment_align: 8
    .kernarg_segment_size: 352
    .language:       OpenCL C
    .language_version:
      - 2
      - 0
    .max_flat_workgroup_size: 512
    .name:           _ZN9rocsolver6v33100L18getf2_small_kernelILi31EfiiPfEEvT1_T3_lS3_lPS3_llPT2_S3_S3_S5_l
    .private_segment_fixed_size: 6452
    .sgpr_count:     32
    .sgpr_spill_count: 0
    .symbol:         _ZN9rocsolver6v33100L18getf2_small_kernelILi31EfiiPfEEvT1_T3_lS3_lPS3_llPT2_S3_S3_S5_l.kd
    .uniform_work_group_size: 1
    .uses_dynamic_stack: false
    .vgpr_count:     256
    .vgpr_spill_count: 19168
    .wavefront_size: 64
  - .agpr_count:     0
    .args:
      - .offset:         0
        .size:           4
        .value_kind:     by_value
      - .address_space:  global
        .offset:         8
        .size:           8
        .value_kind:     global_buffer
      - .offset:         16
        .size:           8
        .value_kind:     by_value
      - .offset:         24
        .size:           4
        .value_kind:     by_value
      - .offset:         32
        .size:           8
        .value_kind:     by_value
      - .address_space:  global
        .offset:         40
        .size:           8
        .value_kind:     global_buffer
      - .offset:         48
        .size:           4
        .value_kind:     by_value
      - .offset:         52
        .size:           4
        .value_kind:     by_value
      - .offset:         56
        .size:           4
        .value_kind:     hidden_block_count_x
      - .offset:         60
        .size:           4
        .value_kind:     hidden_block_count_y
      - .offset:         64
        .size:           4
        .value_kind:     hidden_block_count_z
      - .offset:         68
        .size:           2
        .value_kind:     hidden_group_size_x
      - .offset:         70
        .size:           2
        .value_kind:     hidden_group_size_y
      - .offset:         72
        .size:           2
        .value_kind:     hidden_group_size_z
      - .offset:         74
        .size:           2
        .value_kind:     hidden_remainder_x
      - .offset:         76
        .size:           2
        .value_kind:     hidden_remainder_y
      - .offset:         78
        .size:           2
        .value_kind:     hidden_remainder_z
      - .offset:         96
        .size:           8
        .value_kind:     hidden_global_offset_x
      - .offset:         104
        .size:           8
        .value_kind:     hidden_global_offset_y
      - .offset:         112
        .size:           8
        .value_kind:     hidden_global_offset_z
      - .offset:         120
        .size:           2
        .value_kind:     hidden_grid_dims
      - .offset:         176
        .size:           4
        .value_kind:     hidden_dynamic_lds_size
    .group_segment_fixed_size: 0
    .kernarg_segment_align: 8
    .kernarg_segment_size: 312
    .language:       OpenCL C
    .language_version:
      - 2
      - 0
    .max_flat_workgroup_size: 512
    .name:           _ZN9rocsolver6v33100L23getf2_npvt_small_kernelILi31EfiiPfEEvT1_T3_lS3_lPT2_S3_S3_
    .private_segment_fixed_size: 6816
    .sgpr_count:     22
    .sgpr_spill_count: 0
    .symbol:         _ZN9rocsolver6v33100L23getf2_npvt_small_kernelILi31EfiiPfEEvT1_T3_lS3_lPT2_S3_S3_.kd
    .uniform_work_group_size: 1
    .uses_dynamic_stack: false
    .vgpr_count:     256
    .vgpr_spill_count: 16137
    .wavefront_size: 64
  - .agpr_count:     0
    .args:
      - .offset:         0
        .size:           4
        .value_kind:     by_value
      - .address_space:  global
        .offset:         8
        .size:           8
        .value_kind:     global_buffer
      - .offset:         16
        .size:           8
        .value_kind:     by_value
      - .offset:         24
        .size:           4
        .value_kind:     by_value
      - .offset:         32
        .size:           8
        .value_kind:     by_value
      - .address_space:  global
        .offset:         40
        .size:           8
        .value_kind:     global_buffer
      - .offset:         48
        .size:           8
        .value_kind:     by_value
      - .offset:         56
        .size:           8
        .value_kind:     by_value
      - .address_space:  global
        .offset:         64
        .size:           8
        .value_kind:     global_buffer
      - .offset:         72
        .size:           4
        .value_kind:     by_value
      - .offset:         76
        .size:           4
        .value_kind:     by_value
      - .address_space:  global
        .offset:         80
        .size:           8
        .value_kind:     global_buffer
      - .offset:         88
        .size:           8
        .value_kind:     by_value
      - .offset:         96
        .size:           4
        .value_kind:     hidden_block_count_x
      - .offset:         100
        .size:           4
        .value_kind:     hidden_block_count_y
      - .offset:         104
        .size:           4
        .value_kind:     hidden_block_count_z
      - .offset:         108
        .size:           2
        .value_kind:     hidden_group_size_x
      - .offset:         110
        .size:           2
        .value_kind:     hidden_group_size_y
      - .offset:         112
        .size:           2
        .value_kind:     hidden_group_size_z
      - .offset:         114
        .size:           2
        .value_kind:     hidden_remainder_x
      - .offset:         116
        .size:           2
        .value_kind:     hidden_remainder_y
      - .offset:         118
        .size:           2
        .value_kind:     hidden_remainder_z
      - .offset:         136
        .size:           8
        .value_kind:     hidden_global_offset_x
      - .offset:         144
        .size:           8
        .value_kind:     hidden_global_offset_y
      - .offset:         152
        .size:           8
        .value_kind:     hidden_global_offset_z
      - .offset:         160
        .size:           2
        .value_kind:     hidden_grid_dims
      - .offset:         216
        .size:           4
        .value_kind:     hidden_dynamic_lds_size
    .group_segment_fixed_size: 0
    .kernarg_segment_align: 8
    .kernarg_segment_size: 352
    .language:       OpenCL C
    .language_version:
      - 2
      - 0
    .max_flat_workgroup_size: 512
    .name:           _ZN9rocsolver6v33100L18getf2_small_kernelILi32EfiiPfEEvT1_T3_lS3_lPS3_llPT2_S3_S3_S5_l
    .private_segment_fixed_size: 3128
    .sgpr_count:     34
    .sgpr_spill_count: 0
    .symbol:         _ZN9rocsolver6v33100L18getf2_small_kernelILi32EfiiPfEEvT1_T3_lS3_lPS3_llPT2_S3_S3_S5_l.kd
    .uniform_work_group_size: 1
    .uses_dynamic_stack: false
    .vgpr_count:     256
    .vgpr_spill_count: 12027
    .wavefront_size: 64
  - .agpr_count:     0
    .args:
      - .offset:         0
        .size:           4
        .value_kind:     by_value
      - .address_space:  global
        .offset:         8
        .size:           8
        .value_kind:     global_buffer
      - .offset:         16
        .size:           8
        .value_kind:     by_value
      - .offset:         24
        .size:           4
        .value_kind:     by_value
      - .offset:         32
        .size:           8
        .value_kind:     by_value
      - .address_space:  global
        .offset:         40
        .size:           8
        .value_kind:     global_buffer
      - .offset:         48
        .size:           4
        .value_kind:     by_value
      - .offset:         52
        .size:           4
        .value_kind:     by_value
      - .offset:         56
        .size:           4
        .value_kind:     hidden_block_count_x
      - .offset:         60
        .size:           4
        .value_kind:     hidden_block_count_y
      - .offset:         64
        .size:           4
        .value_kind:     hidden_block_count_z
      - .offset:         68
        .size:           2
        .value_kind:     hidden_group_size_x
      - .offset:         70
        .size:           2
        .value_kind:     hidden_group_size_y
      - .offset:         72
        .size:           2
        .value_kind:     hidden_group_size_z
      - .offset:         74
        .size:           2
        .value_kind:     hidden_remainder_x
      - .offset:         76
        .size:           2
        .value_kind:     hidden_remainder_y
      - .offset:         78
        .size:           2
        .value_kind:     hidden_remainder_z
      - .offset:         96
        .size:           8
        .value_kind:     hidden_global_offset_x
      - .offset:         104
        .size:           8
        .value_kind:     hidden_global_offset_y
      - .offset:         112
        .size:           8
        .value_kind:     hidden_global_offset_z
      - .offset:         120
        .size:           2
        .value_kind:     hidden_grid_dims
      - .offset:         176
        .size:           4
        .value_kind:     hidden_dynamic_lds_size
    .group_segment_fixed_size: 0
    .kernarg_segment_align: 8
    .kernarg_segment_size: 312
    .language:       OpenCL C
    .language_version:
      - 2
      - 0
    .max_flat_workgroup_size: 512
    .name:           _ZN9rocsolver6v33100L23getf2_npvt_small_kernelILi32EfiiPfEEvT1_T3_lS3_lPT2_S3_S3_
    .private_segment_fixed_size: 3400
    .sgpr_count:     22
    .sgpr_spill_count: 0
    .symbol:         _ZN9rocsolver6v33100L23getf2_npvt_small_kernelILi32EfiiPfEEvT1_T3_lS3_lPT2_S3_S3_.kd
    .uniform_work_group_size: 1
    .uses_dynamic_stack: false
    .vgpr_count:     256
    .vgpr_spill_count: 11569
    .wavefront_size: 64
  - .agpr_count:     0
    .args:
      - .offset:         0
        .size:           4
        .value_kind:     by_value
      - .address_space:  global
        .offset:         8
        .size:           8
        .value_kind:     global_buffer
      - .offset:         16
        .size:           8
        .value_kind:     by_value
      - .offset:         24
        .size:           4
        .value_kind:     by_value
      - .offset:         32
        .size:           8
        .value_kind:     by_value
      - .address_space:  global
        .offset:         40
        .size:           8
        .value_kind:     global_buffer
      - .offset:         48
        .size:           8
        .value_kind:     by_value
      - .offset:         56
        .size:           8
        .value_kind:     by_value
      - .address_space:  global
        .offset:         64
        .size:           8
        .value_kind:     global_buffer
      - .offset:         72
        .size:           4
        .value_kind:     by_value
      - .offset:         76
        .size:           4
        .value_kind:     by_value
      - .address_space:  global
        .offset:         80
        .size:           8
        .value_kind:     global_buffer
      - .offset:         88
        .size:           8
        .value_kind:     by_value
      - .offset:         96
        .size:           4
        .value_kind:     hidden_block_count_x
      - .offset:         100
        .size:           4
        .value_kind:     hidden_block_count_y
      - .offset:         104
        .size:           4
        .value_kind:     hidden_block_count_z
      - .offset:         108
        .size:           2
        .value_kind:     hidden_group_size_x
      - .offset:         110
        .size:           2
        .value_kind:     hidden_group_size_y
      - .offset:         112
        .size:           2
        .value_kind:     hidden_group_size_z
      - .offset:         114
        .size:           2
        .value_kind:     hidden_remainder_x
      - .offset:         116
        .size:           2
        .value_kind:     hidden_remainder_y
      - .offset:         118
        .size:           2
        .value_kind:     hidden_remainder_z
      - .offset:         136
        .size:           8
        .value_kind:     hidden_global_offset_x
      - .offset:         144
        .size:           8
        .value_kind:     hidden_global_offset_y
      - .offset:         152
        .size:           8
        .value_kind:     hidden_global_offset_z
      - .offset:         160
        .size:           2
        .value_kind:     hidden_grid_dims
      - .offset:         216
        .size:           4
        .value_kind:     hidden_dynamic_lds_size
    .group_segment_fixed_size: 0
    .kernarg_segment_align: 8
    .kernarg_segment_size: 352
    .language:       OpenCL C
    .language_version:
      - 2
      - 0
    .max_flat_workgroup_size: 512
    .name:           _ZN9rocsolver6v33100L18getf2_small_kernelILi33EfiiPfEEvT1_T3_lS3_lPS3_llPT2_S3_S3_S5_l
    .private_segment_fixed_size: 0
    .sgpr_count:     32
    .sgpr_spill_count: 0
    .symbol:         _ZN9rocsolver6v33100L18getf2_small_kernelILi33EfiiPfEEvT1_T3_lS3_lPS3_llPT2_S3_S3_S5_l.kd
    .uniform_work_group_size: 1
    .uses_dynamic_stack: false
    .vgpr_count:     62
    .vgpr_spill_count: 0
    .wavefront_size: 64
  - .agpr_count:     0
    .args:
      - .offset:         0
        .size:           4
        .value_kind:     by_value
      - .address_space:  global
        .offset:         8
        .size:           8
        .value_kind:     global_buffer
      - .offset:         16
        .size:           8
        .value_kind:     by_value
      - .offset:         24
        .size:           4
        .value_kind:     by_value
      - .offset:         32
        .size:           8
        .value_kind:     by_value
      - .address_space:  global
        .offset:         40
        .size:           8
        .value_kind:     global_buffer
      - .offset:         48
        .size:           4
        .value_kind:     by_value
      - .offset:         52
        .size:           4
        .value_kind:     by_value
      - .offset:         56
        .size:           4
        .value_kind:     hidden_block_count_x
      - .offset:         60
        .size:           4
        .value_kind:     hidden_block_count_y
      - .offset:         64
        .size:           4
        .value_kind:     hidden_block_count_z
      - .offset:         68
        .size:           2
        .value_kind:     hidden_group_size_x
      - .offset:         70
        .size:           2
        .value_kind:     hidden_group_size_y
      - .offset:         72
        .size:           2
        .value_kind:     hidden_group_size_z
      - .offset:         74
        .size:           2
        .value_kind:     hidden_remainder_x
      - .offset:         76
        .size:           2
        .value_kind:     hidden_remainder_y
      - .offset:         78
        .size:           2
        .value_kind:     hidden_remainder_z
      - .offset:         96
        .size:           8
        .value_kind:     hidden_global_offset_x
      - .offset:         104
        .size:           8
        .value_kind:     hidden_global_offset_y
      - .offset:         112
        .size:           8
        .value_kind:     hidden_global_offset_z
      - .offset:         120
        .size:           2
        .value_kind:     hidden_grid_dims
      - .offset:         176
        .size:           4
        .value_kind:     hidden_dynamic_lds_size
    .group_segment_fixed_size: 0
    .kernarg_segment_align: 8
    .kernarg_segment_size: 312
    .language:       OpenCL C
    .language_version:
      - 2
      - 0
    .max_flat_workgroup_size: 512
    .name:           _ZN9rocsolver6v33100L23getf2_npvt_small_kernelILi33EfiiPfEEvT1_T3_lS3_lPT2_S3_S3_
    .private_segment_fixed_size: 0
    .sgpr_count:     22
    .sgpr_spill_count: 0
    .symbol:         _ZN9rocsolver6v33100L23getf2_npvt_small_kernelILi33EfiiPfEEvT1_T3_lS3_lPT2_S3_S3_.kd
    .uniform_work_group_size: 1
    .uses_dynamic_stack: false
    .vgpr_count:     141
    .vgpr_spill_count: 0
    .wavefront_size: 64
  - .agpr_count:     0
    .args:
      - .offset:         0
        .size:           4
        .value_kind:     by_value
      - .address_space:  global
        .offset:         8
        .size:           8
        .value_kind:     global_buffer
      - .offset:         16
        .size:           8
        .value_kind:     by_value
      - .offset:         24
        .size:           4
        .value_kind:     by_value
      - .offset:         32
        .size:           8
        .value_kind:     by_value
      - .address_space:  global
        .offset:         40
        .size:           8
        .value_kind:     global_buffer
      - .offset:         48
        .size:           8
        .value_kind:     by_value
      - .offset:         56
        .size:           8
        .value_kind:     by_value
      - .address_space:  global
        .offset:         64
        .size:           8
        .value_kind:     global_buffer
      - .offset:         72
        .size:           4
        .value_kind:     by_value
      - .offset:         76
        .size:           4
        .value_kind:     by_value
      - .address_space:  global
        .offset:         80
        .size:           8
        .value_kind:     global_buffer
      - .offset:         88
        .size:           8
        .value_kind:     by_value
      - .offset:         96
        .size:           4
        .value_kind:     hidden_block_count_x
      - .offset:         100
        .size:           4
        .value_kind:     hidden_block_count_y
      - .offset:         104
        .size:           4
        .value_kind:     hidden_block_count_z
      - .offset:         108
        .size:           2
        .value_kind:     hidden_group_size_x
      - .offset:         110
        .size:           2
        .value_kind:     hidden_group_size_y
      - .offset:         112
        .size:           2
        .value_kind:     hidden_group_size_z
      - .offset:         114
        .size:           2
        .value_kind:     hidden_remainder_x
      - .offset:         116
        .size:           2
        .value_kind:     hidden_remainder_y
      - .offset:         118
        .size:           2
        .value_kind:     hidden_remainder_z
      - .offset:         136
        .size:           8
        .value_kind:     hidden_global_offset_x
      - .offset:         144
        .size:           8
        .value_kind:     hidden_global_offset_y
      - .offset:         152
        .size:           8
        .value_kind:     hidden_global_offset_z
      - .offset:         160
        .size:           2
        .value_kind:     hidden_grid_dims
      - .offset:         216
        .size:           4
        .value_kind:     hidden_dynamic_lds_size
    .group_segment_fixed_size: 0
    .kernarg_segment_align: 8
    .kernarg_segment_size: 352
    .language:       OpenCL C
    .language_version:
      - 2
      - 0
    .max_flat_workgroup_size: 512
    .name:           _ZN9rocsolver6v33100L18getf2_small_kernelILi34EfiiPfEEvT1_T3_lS3_lPS3_llPT2_S3_S3_S5_l
    .private_segment_fixed_size: 0
    .sgpr_count:     32
    .sgpr_spill_count: 0
    .symbol:         _ZN9rocsolver6v33100L18getf2_small_kernelILi34EfiiPfEEvT1_T3_lS3_lPS3_llPT2_S3_S3_S5_l.kd
    .uniform_work_group_size: 1
    .uses_dynamic_stack: false
    .vgpr_count:     60
    .vgpr_spill_count: 0
    .wavefront_size: 64
  - .agpr_count:     0
    .args:
      - .offset:         0
        .size:           4
        .value_kind:     by_value
      - .address_space:  global
        .offset:         8
        .size:           8
        .value_kind:     global_buffer
      - .offset:         16
        .size:           8
        .value_kind:     by_value
      - .offset:         24
        .size:           4
        .value_kind:     by_value
      - .offset:         32
        .size:           8
        .value_kind:     by_value
      - .address_space:  global
        .offset:         40
        .size:           8
        .value_kind:     global_buffer
      - .offset:         48
        .size:           4
        .value_kind:     by_value
      - .offset:         52
        .size:           4
        .value_kind:     by_value
      - .offset:         56
        .size:           4
        .value_kind:     hidden_block_count_x
      - .offset:         60
        .size:           4
        .value_kind:     hidden_block_count_y
      - .offset:         64
        .size:           4
        .value_kind:     hidden_block_count_z
      - .offset:         68
        .size:           2
        .value_kind:     hidden_group_size_x
      - .offset:         70
        .size:           2
        .value_kind:     hidden_group_size_y
      - .offset:         72
        .size:           2
        .value_kind:     hidden_group_size_z
      - .offset:         74
        .size:           2
        .value_kind:     hidden_remainder_x
      - .offset:         76
        .size:           2
        .value_kind:     hidden_remainder_y
      - .offset:         78
        .size:           2
        .value_kind:     hidden_remainder_z
      - .offset:         96
        .size:           8
        .value_kind:     hidden_global_offset_x
      - .offset:         104
        .size:           8
        .value_kind:     hidden_global_offset_y
      - .offset:         112
        .size:           8
        .value_kind:     hidden_global_offset_z
      - .offset:         120
        .size:           2
        .value_kind:     hidden_grid_dims
      - .offset:         176
        .size:           4
        .value_kind:     hidden_dynamic_lds_size
    .group_segment_fixed_size: 0
    .kernarg_segment_align: 8
    .kernarg_segment_size: 312
    .language:       OpenCL C
    .language_version:
      - 2
      - 0
    .max_flat_workgroup_size: 512
    .name:           _ZN9rocsolver6v33100L23getf2_npvt_small_kernelILi34EfiiPfEEvT1_T3_lS3_lPT2_S3_S3_
    .private_segment_fixed_size: 0
    .sgpr_count:     22
    .sgpr_spill_count: 0
    .symbol:         _ZN9rocsolver6v33100L23getf2_npvt_small_kernelILi34EfiiPfEEvT1_T3_lS3_lPT2_S3_S3_.kd
    .uniform_work_group_size: 1
    .uses_dynamic_stack: false
    .vgpr_count:     145
    .vgpr_spill_count: 0
    .wavefront_size: 64
  - .agpr_count:     0
    .args:
      - .offset:         0
        .size:           4
        .value_kind:     by_value
      - .address_space:  global
        .offset:         8
        .size:           8
        .value_kind:     global_buffer
      - .offset:         16
        .size:           8
        .value_kind:     by_value
      - .offset:         24
        .size:           4
        .value_kind:     by_value
      - .offset:         32
        .size:           8
        .value_kind:     by_value
      - .address_space:  global
        .offset:         40
        .size:           8
        .value_kind:     global_buffer
      - .offset:         48
        .size:           8
        .value_kind:     by_value
      - .offset:         56
        .size:           8
        .value_kind:     by_value
      - .address_space:  global
        .offset:         64
        .size:           8
        .value_kind:     global_buffer
      - .offset:         72
        .size:           4
        .value_kind:     by_value
      - .offset:         76
        .size:           4
        .value_kind:     by_value
      - .address_space:  global
        .offset:         80
        .size:           8
        .value_kind:     global_buffer
      - .offset:         88
        .size:           8
        .value_kind:     by_value
      - .offset:         96
        .size:           4
        .value_kind:     hidden_block_count_x
      - .offset:         100
        .size:           4
        .value_kind:     hidden_block_count_y
      - .offset:         104
        .size:           4
        .value_kind:     hidden_block_count_z
      - .offset:         108
        .size:           2
        .value_kind:     hidden_group_size_x
      - .offset:         110
        .size:           2
        .value_kind:     hidden_group_size_y
      - .offset:         112
        .size:           2
        .value_kind:     hidden_group_size_z
      - .offset:         114
        .size:           2
        .value_kind:     hidden_remainder_x
      - .offset:         116
        .size:           2
        .value_kind:     hidden_remainder_y
      - .offset:         118
        .size:           2
        .value_kind:     hidden_remainder_z
      - .offset:         136
        .size:           8
        .value_kind:     hidden_global_offset_x
      - .offset:         144
        .size:           8
        .value_kind:     hidden_global_offset_y
      - .offset:         152
        .size:           8
        .value_kind:     hidden_global_offset_z
      - .offset:         160
        .size:           2
        .value_kind:     hidden_grid_dims
      - .offset:         216
        .size:           4
        .value_kind:     hidden_dynamic_lds_size
    .group_segment_fixed_size: 0
    .kernarg_segment_align: 8
    .kernarg_segment_size: 352
    .language:       OpenCL C
    .language_version:
      - 2
      - 0
    .max_flat_workgroup_size: 512
    .name:           _ZN9rocsolver6v33100L18getf2_small_kernelILi35EfiiPfEEvT1_T3_lS3_lPS3_llPT2_S3_S3_S5_l
    .private_segment_fixed_size: 0
    .sgpr_count:     32
    .sgpr_spill_count: 0
    .symbol:         _ZN9rocsolver6v33100L18getf2_small_kernelILi35EfiiPfEEvT1_T3_lS3_lPS3_llPT2_S3_S3_S5_l.kd
    .uniform_work_group_size: 1
    .uses_dynamic_stack: false
    .vgpr_count:     62
    .vgpr_spill_count: 0
    .wavefront_size: 64
  - .agpr_count:     0
    .args:
      - .offset:         0
        .size:           4
        .value_kind:     by_value
      - .address_space:  global
        .offset:         8
        .size:           8
        .value_kind:     global_buffer
      - .offset:         16
        .size:           8
        .value_kind:     by_value
      - .offset:         24
        .size:           4
        .value_kind:     by_value
      - .offset:         32
        .size:           8
        .value_kind:     by_value
      - .address_space:  global
        .offset:         40
        .size:           8
        .value_kind:     global_buffer
      - .offset:         48
        .size:           4
        .value_kind:     by_value
      - .offset:         52
        .size:           4
        .value_kind:     by_value
      - .offset:         56
        .size:           4
        .value_kind:     hidden_block_count_x
      - .offset:         60
        .size:           4
        .value_kind:     hidden_block_count_y
      - .offset:         64
        .size:           4
        .value_kind:     hidden_block_count_z
      - .offset:         68
        .size:           2
        .value_kind:     hidden_group_size_x
      - .offset:         70
        .size:           2
        .value_kind:     hidden_group_size_y
      - .offset:         72
        .size:           2
        .value_kind:     hidden_group_size_z
      - .offset:         74
        .size:           2
        .value_kind:     hidden_remainder_x
      - .offset:         76
        .size:           2
        .value_kind:     hidden_remainder_y
      - .offset:         78
        .size:           2
        .value_kind:     hidden_remainder_z
      - .offset:         96
        .size:           8
        .value_kind:     hidden_global_offset_x
      - .offset:         104
        .size:           8
        .value_kind:     hidden_global_offset_y
      - .offset:         112
        .size:           8
        .value_kind:     hidden_global_offset_z
      - .offset:         120
        .size:           2
        .value_kind:     hidden_grid_dims
      - .offset:         176
        .size:           4
        .value_kind:     hidden_dynamic_lds_size
    .group_segment_fixed_size: 0
    .kernarg_segment_align: 8
    .kernarg_segment_size: 312
    .language:       OpenCL C
    .language_version:
      - 2
      - 0
    .max_flat_workgroup_size: 512
    .name:           _ZN9rocsolver6v33100L23getf2_npvt_small_kernelILi35EfiiPfEEvT1_T3_lS3_lPT2_S3_S3_
    .private_segment_fixed_size: 0
    .sgpr_count:     22
    .sgpr_spill_count: 0
    .symbol:         _ZN9rocsolver6v33100L23getf2_npvt_small_kernelILi35EfiiPfEEvT1_T3_lS3_lPT2_S3_S3_.kd
    .uniform_work_group_size: 1
    .uses_dynamic_stack: false
    .vgpr_count:     149
    .vgpr_spill_count: 0
    .wavefront_size: 64
  - .agpr_count:     0
    .args:
      - .offset:         0
        .size:           4
        .value_kind:     by_value
      - .address_space:  global
        .offset:         8
        .size:           8
        .value_kind:     global_buffer
      - .offset:         16
        .size:           8
        .value_kind:     by_value
      - .offset:         24
        .size:           4
        .value_kind:     by_value
      - .offset:         32
        .size:           8
        .value_kind:     by_value
      - .address_space:  global
        .offset:         40
        .size:           8
        .value_kind:     global_buffer
      - .offset:         48
        .size:           8
        .value_kind:     by_value
      - .offset:         56
        .size:           8
        .value_kind:     by_value
      - .address_space:  global
        .offset:         64
        .size:           8
        .value_kind:     global_buffer
      - .offset:         72
        .size:           4
        .value_kind:     by_value
      - .offset:         76
        .size:           4
        .value_kind:     by_value
      - .address_space:  global
        .offset:         80
        .size:           8
        .value_kind:     global_buffer
      - .offset:         88
        .size:           8
        .value_kind:     by_value
      - .offset:         96
        .size:           4
        .value_kind:     hidden_block_count_x
      - .offset:         100
        .size:           4
        .value_kind:     hidden_block_count_y
      - .offset:         104
        .size:           4
        .value_kind:     hidden_block_count_z
      - .offset:         108
        .size:           2
        .value_kind:     hidden_group_size_x
      - .offset:         110
        .size:           2
        .value_kind:     hidden_group_size_y
      - .offset:         112
        .size:           2
        .value_kind:     hidden_group_size_z
      - .offset:         114
        .size:           2
        .value_kind:     hidden_remainder_x
      - .offset:         116
        .size:           2
        .value_kind:     hidden_remainder_y
      - .offset:         118
        .size:           2
        .value_kind:     hidden_remainder_z
      - .offset:         136
        .size:           8
        .value_kind:     hidden_global_offset_x
      - .offset:         144
        .size:           8
        .value_kind:     hidden_global_offset_y
      - .offset:         152
        .size:           8
        .value_kind:     hidden_global_offset_z
      - .offset:         160
        .size:           2
        .value_kind:     hidden_grid_dims
      - .offset:         216
        .size:           4
        .value_kind:     hidden_dynamic_lds_size
    .group_segment_fixed_size: 0
    .kernarg_segment_align: 8
    .kernarg_segment_size: 352
    .language:       OpenCL C
    .language_version:
      - 2
      - 0
    .max_flat_workgroup_size: 512
    .name:           _ZN9rocsolver6v33100L18getf2_small_kernelILi36EfiiPfEEvT1_T3_lS3_lPS3_llPT2_S3_S3_S5_l
    .private_segment_fixed_size: 0
    .sgpr_count:     32
    .sgpr_spill_count: 0
    .symbol:         _ZN9rocsolver6v33100L18getf2_small_kernelILi36EfiiPfEEvT1_T3_lS3_lPS3_llPT2_S3_S3_S5_l.kd
    .uniform_work_group_size: 1
    .uses_dynamic_stack: false
    .vgpr_count:     60
    .vgpr_spill_count: 0
    .wavefront_size: 64
  - .agpr_count:     0
    .args:
      - .offset:         0
        .size:           4
        .value_kind:     by_value
      - .address_space:  global
        .offset:         8
        .size:           8
        .value_kind:     global_buffer
      - .offset:         16
        .size:           8
        .value_kind:     by_value
      - .offset:         24
        .size:           4
        .value_kind:     by_value
      - .offset:         32
        .size:           8
        .value_kind:     by_value
      - .address_space:  global
        .offset:         40
        .size:           8
        .value_kind:     global_buffer
      - .offset:         48
        .size:           4
        .value_kind:     by_value
      - .offset:         52
        .size:           4
        .value_kind:     by_value
      - .offset:         56
        .size:           4
        .value_kind:     hidden_block_count_x
      - .offset:         60
        .size:           4
        .value_kind:     hidden_block_count_y
      - .offset:         64
        .size:           4
        .value_kind:     hidden_block_count_z
      - .offset:         68
        .size:           2
        .value_kind:     hidden_group_size_x
      - .offset:         70
        .size:           2
        .value_kind:     hidden_group_size_y
      - .offset:         72
        .size:           2
        .value_kind:     hidden_group_size_z
      - .offset:         74
        .size:           2
        .value_kind:     hidden_remainder_x
      - .offset:         76
        .size:           2
        .value_kind:     hidden_remainder_y
      - .offset:         78
        .size:           2
        .value_kind:     hidden_remainder_z
      - .offset:         96
        .size:           8
        .value_kind:     hidden_global_offset_x
      - .offset:         104
        .size:           8
        .value_kind:     hidden_global_offset_y
      - .offset:         112
        .size:           8
        .value_kind:     hidden_global_offset_z
      - .offset:         120
        .size:           2
        .value_kind:     hidden_grid_dims
      - .offset:         176
        .size:           4
        .value_kind:     hidden_dynamic_lds_size
    .group_segment_fixed_size: 0
    .kernarg_segment_align: 8
    .kernarg_segment_size: 312
    .language:       OpenCL C
    .language_version:
      - 2
      - 0
    .max_flat_workgroup_size: 512
    .name:           _ZN9rocsolver6v33100L23getf2_npvt_small_kernelILi36EfiiPfEEvT1_T3_lS3_lPT2_S3_S3_
    .private_segment_fixed_size: 0
    .sgpr_count:     22
    .sgpr_spill_count: 0
    .symbol:         _ZN9rocsolver6v33100L23getf2_npvt_small_kernelILi36EfiiPfEEvT1_T3_lS3_lPT2_S3_S3_.kd
    .uniform_work_group_size: 1
    .uses_dynamic_stack: false
    .vgpr_count:     153
    .vgpr_spill_count: 0
    .wavefront_size: 64
  - .agpr_count:     0
    .args:
      - .offset:         0
        .size:           4
        .value_kind:     by_value
      - .address_space:  global
        .offset:         8
        .size:           8
        .value_kind:     global_buffer
      - .offset:         16
        .size:           8
        .value_kind:     by_value
      - .offset:         24
        .size:           4
        .value_kind:     by_value
      - .offset:         32
        .size:           8
        .value_kind:     by_value
      - .address_space:  global
        .offset:         40
        .size:           8
        .value_kind:     global_buffer
      - .offset:         48
        .size:           8
        .value_kind:     by_value
      - .offset:         56
        .size:           8
        .value_kind:     by_value
      - .address_space:  global
        .offset:         64
        .size:           8
        .value_kind:     global_buffer
      - .offset:         72
        .size:           4
        .value_kind:     by_value
      - .offset:         76
        .size:           4
        .value_kind:     by_value
      - .address_space:  global
        .offset:         80
        .size:           8
        .value_kind:     global_buffer
      - .offset:         88
        .size:           8
        .value_kind:     by_value
      - .offset:         96
        .size:           4
        .value_kind:     hidden_block_count_x
      - .offset:         100
        .size:           4
        .value_kind:     hidden_block_count_y
      - .offset:         104
        .size:           4
        .value_kind:     hidden_block_count_z
      - .offset:         108
        .size:           2
        .value_kind:     hidden_group_size_x
      - .offset:         110
        .size:           2
        .value_kind:     hidden_group_size_y
      - .offset:         112
        .size:           2
        .value_kind:     hidden_group_size_z
      - .offset:         114
        .size:           2
        .value_kind:     hidden_remainder_x
      - .offset:         116
        .size:           2
        .value_kind:     hidden_remainder_y
      - .offset:         118
        .size:           2
        .value_kind:     hidden_remainder_z
      - .offset:         136
        .size:           8
        .value_kind:     hidden_global_offset_x
      - .offset:         144
        .size:           8
        .value_kind:     hidden_global_offset_y
      - .offset:         152
        .size:           8
        .value_kind:     hidden_global_offset_z
      - .offset:         160
        .size:           2
        .value_kind:     hidden_grid_dims
      - .offset:         216
        .size:           4
        .value_kind:     hidden_dynamic_lds_size
    .group_segment_fixed_size: 0
    .kernarg_segment_align: 8
    .kernarg_segment_size: 352
    .language:       OpenCL C
    .language_version:
      - 2
      - 0
    .max_flat_workgroup_size: 512
    .name:           _ZN9rocsolver6v33100L18getf2_small_kernelILi37EfiiPfEEvT1_T3_lS3_lPS3_llPT2_S3_S3_S5_l
    .private_segment_fixed_size: 0
    .sgpr_count:     32
    .sgpr_spill_count: 0
    .symbol:         _ZN9rocsolver6v33100L18getf2_small_kernelILi37EfiiPfEEvT1_T3_lS3_lPS3_llPT2_S3_S3_S5_l.kd
    .uniform_work_group_size: 1
    .uses_dynamic_stack: false
    .vgpr_count:     62
    .vgpr_spill_count: 0
    .wavefront_size: 64
  - .agpr_count:     0
    .args:
      - .offset:         0
        .size:           4
        .value_kind:     by_value
      - .address_space:  global
        .offset:         8
        .size:           8
        .value_kind:     global_buffer
      - .offset:         16
        .size:           8
        .value_kind:     by_value
      - .offset:         24
        .size:           4
        .value_kind:     by_value
      - .offset:         32
        .size:           8
        .value_kind:     by_value
      - .address_space:  global
        .offset:         40
        .size:           8
        .value_kind:     global_buffer
      - .offset:         48
        .size:           4
        .value_kind:     by_value
      - .offset:         52
        .size:           4
        .value_kind:     by_value
      - .offset:         56
        .size:           4
        .value_kind:     hidden_block_count_x
      - .offset:         60
        .size:           4
        .value_kind:     hidden_block_count_y
      - .offset:         64
        .size:           4
        .value_kind:     hidden_block_count_z
      - .offset:         68
        .size:           2
        .value_kind:     hidden_group_size_x
      - .offset:         70
        .size:           2
        .value_kind:     hidden_group_size_y
      - .offset:         72
        .size:           2
        .value_kind:     hidden_group_size_z
      - .offset:         74
        .size:           2
        .value_kind:     hidden_remainder_x
      - .offset:         76
        .size:           2
        .value_kind:     hidden_remainder_y
      - .offset:         78
        .size:           2
        .value_kind:     hidden_remainder_z
      - .offset:         96
        .size:           8
        .value_kind:     hidden_global_offset_x
      - .offset:         104
        .size:           8
        .value_kind:     hidden_global_offset_y
      - .offset:         112
        .size:           8
        .value_kind:     hidden_global_offset_z
      - .offset:         120
        .size:           2
        .value_kind:     hidden_grid_dims
      - .offset:         176
        .size:           4
        .value_kind:     hidden_dynamic_lds_size
    .group_segment_fixed_size: 0
    .kernarg_segment_align: 8
    .kernarg_segment_size: 312
    .language:       OpenCL C
    .language_version:
      - 2
      - 0
    .max_flat_workgroup_size: 512
    .name:           _ZN9rocsolver6v33100L23getf2_npvt_small_kernelILi37EfiiPfEEvT1_T3_lS3_lPT2_S3_S3_
    .private_segment_fixed_size: 0
    .sgpr_count:     22
    .sgpr_spill_count: 0
    .symbol:         _ZN9rocsolver6v33100L23getf2_npvt_small_kernelILi37EfiiPfEEvT1_T3_lS3_lPT2_S3_S3_.kd
    .uniform_work_group_size: 1
    .uses_dynamic_stack: false
    .vgpr_count:     157
    .vgpr_spill_count: 0
    .wavefront_size: 64
  - .agpr_count:     0
    .args:
      - .offset:         0
        .size:           4
        .value_kind:     by_value
      - .address_space:  global
        .offset:         8
        .size:           8
        .value_kind:     global_buffer
      - .offset:         16
        .size:           8
        .value_kind:     by_value
      - .offset:         24
        .size:           4
        .value_kind:     by_value
      - .offset:         32
        .size:           8
        .value_kind:     by_value
      - .address_space:  global
        .offset:         40
        .size:           8
        .value_kind:     global_buffer
      - .offset:         48
        .size:           8
        .value_kind:     by_value
      - .offset:         56
        .size:           8
        .value_kind:     by_value
      - .address_space:  global
        .offset:         64
        .size:           8
        .value_kind:     global_buffer
      - .offset:         72
        .size:           4
        .value_kind:     by_value
      - .offset:         76
        .size:           4
        .value_kind:     by_value
      - .address_space:  global
        .offset:         80
        .size:           8
        .value_kind:     global_buffer
      - .offset:         88
        .size:           8
        .value_kind:     by_value
      - .offset:         96
        .size:           4
        .value_kind:     hidden_block_count_x
      - .offset:         100
        .size:           4
        .value_kind:     hidden_block_count_y
      - .offset:         104
        .size:           4
        .value_kind:     hidden_block_count_z
      - .offset:         108
        .size:           2
        .value_kind:     hidden_group_size_x
      - .offset:         110
        .size:           2
        .value_kind:     hidden_group_size_y
      - .offset:         112
        .size:           2
        .value_kind:     hidden_group_size_z
      - .offset:         114
        .size:           2
        .value_kind:     hidden_remainder_x
      - .offset:         116
        .size:           2
        .value_kind:     hidden_remainder_y
      - .offset:         118
        .size:           2
        .value_kind:     hidden_remainder_z
      - .offset:         136
        .size:           8
        .value_kind:     hidden_global_offset_x
      - .offset:         144
        .size:           8
        .value_kind:     hidden_global_offset_y
      - .offset:         152
        .size:           8
        .value_kind:     hidden_global_offset_z
      - .offset:         160
        .size:           2
        .value_kind:     hidden_grid_dims
      - .offset:         216
        .size:           4
        .value_kind:     hidden_dynamic_lds_size
    .group_segment_fixed_size: 0
    .kernarg_segment_align: 8
    .kernarg_segment_size: 352
    .language:       OpenCL C
    .language_version:
      - 2
      - 0
    .max_flat_workgroup_size: 512
    .name:           _ZN9rocsolver6v33100L18getf2_small_kernelILi38EfiiPfEEvT1_T3_lS3_lPS3_llPT2_S3_S3_S5_l
    .private_segment_fixed_size: 0
    .sgpr_count:     32
    .sgpr_spill_count: 0
    .symbol:         _ZN9rocsolver6v33100L18getf2_small_kernelILi38EfiiPfEEvT1_T3_lS3_lPS3_llPT2_S3_S3_S5_l.kd
    .uniform_work_group_size: 1
    .uses_dynamic_stack: false
    .vgpr_count:     60
    .vgpr_spill_count: 0
    .wavefront_size: 64
  - .agpr_count:     0
    .args:
      - .offset:         0
        .size:           4
        .value_kind:     by_value
      - .address_space:  global
        .offset:         8
        .size:           8
        .value_kind:     global_buffer
      - .offset:         16
        .size:           8
        .value_kind:     by_value
      - .offset:         24
        .size:           4
        .value_kind:     by_value
      - .offset:         32
        .size:           8
        .value_kind:     by_value
      - .address_space:  global
        .offset:         40
        .size:           8
        .value_kind:     global_buffer
      - .offset:         48
        .size:           4
        .value_kind:     by_value
      - .offset:         52
        .size:           4
        .value_kind:     by_value
      - .offset:         56
        .size:           4
        .value_kind:     hidden_block_count_x
      - .offset:         60
        .size:           4
        .value_kind:     hidden_block_count_y
      - .offset:         64
        .size:           4
        .value_kind:     hidden_block_count_z
      - .offset:         68
        .size:           2
        .value_kind:     hidden_group_size_x
      - .offset:         70
        .size:           2
        .value_kind:     hidden_group_size_y
      - .offset:         72
        .size:           2
        .value_kind:     hidden_group_size_z
      - .offset:         74
        .size:           2
        .value_kind:     hidden_remainder_x
      - .offset:         76
        .size:           2
        .value_kind:     hidden_remainder_y
      - .offset:         78
        .size:           2
        .value_kind:     hidden_remainder_z
      - .offset:         96
        .size:           8
        .value_kind:     hidden_global_offset_x
      - .offset:         104
        .size:           8
        .value_kind:     hidden_global_offset_y
      - .offset:         112
        .size:           8
        .value_kind:     hidden_global_offset_z
      - .offset:         120
        .size:           2
        .value_kind:     hidden_grid_dims
      - .offset:         176
        .size:           4
        .value_kind:     hidden_dynamic_lds_size
    .group_segment_fixed_size: 0
    .kernarg_segment_align: 8
    .kernarg_segment_size: 312
    .language:       OpenCL C
    .language_version:
      - 2
      - 0
    .max_flat_workgroup_size: 512
    .name:           _ZN9rocsolver6v33100L23getf2_npvt_small_kernelILi38EfiiPfEEvT1_T3_lS3_lPT2_S3_S3_
    .private_segment_fixed_size: 0
    .sgpr_count:     22
    .sgpr_spill_count: 0
    .symbol:         _ZN9rocsolver6v33100L23getf2_npvt_small_kernelILi38EfiiPfEEvT1_T3_lS3_lPT2_S3_S3_.kd
    .uniform_work_group_size: 1
    .uses_dynamic_stack: false
    .vgpr_count:     161
    .vgpr_spill_count: 0
    .wavefront_size: 64
  - .agpr_count:     0
    .args:
      - .offset:         0
        .size:           4
        .value_kind:     by_value
      - .address_space:  global
        .offset:         8
        .size:           8
        .value_kind:     global_buffer
      - .offset:         16
        .size:           8
        .value_kind:     by_value
      - .offset:         24
        .size:           4
        .value_kind:     by_value
      - .offset:         32
        .size:           8
        .value_kind:     by_value
      - .address_space:  global
        .offset:         40
        .size:           8
        .value_kind:     global_buffer
      - .offset:         48
        .size:           8
        .value_kind:     by_value
      - .offset:         56
        .size:           8
        .value_kind:     by_value
      - .address_space:  global
        .offset:         64
        .size:           8
        .value_kind:     global_buffer
      - .offset:         72
        .size:           4
        .value_kind:     by_value
      - .offset:         76
        .size:           4
        .value_kind:     by_value
      - .address_space:  global
        .offset:         80
        .size:           8
        .value_kind:     global_buffer
      - .offset:         88
        .size:           8
        .value_kind:     by_value
      - .offset:         96
        .size:           4
        .value_kind:     hidden_block_count_x
      - .offset:         100
        .size:           4
        .value_kind:     hidden_block_count_y
      - .offset:         104
        .size:           4
        .value_kind:     hidden_block_count_z
      - .offset:         108
        .size:           2
        .value_kind:     hidden_group_size_x
      - .offset:         110
        .size:           2
        .value_kind:     hidden_group_size_y
      - .offset:         112
        .size:           2
        .value_kind:     hidden_group_size_z
      - .offset:         114
        .size:           2
        .value_kind:     hidden_remainder_x
      - .offset:         116
        .size:           2
        .value_kind:     hidden_remainder_y
      - .offset:         118
        .size:           2
        .value_kind:     hidden_remainder_z
      - .offset:         136
        .size:           8
        .value_kind:     hidden_global_offset_x
      - .offset:         144
        .size:           8
        .value_kind:     hidden_global_offset_y
      - .offset:         152
        .size:           8
        .value_kind:     hidden_global_offset_z
      - .offset:         160
        .size:           2
        .value_kind:     hidden_grid_dims
      - .offset:         216
        .size:           4
        .value_kind:     hidden_dynamic_lds_size
    .group_segment_fixed_size: 0
    .kernarg_segment_align: 8
    .kernarg_segment_size: 352
    .language:       OpenCL C
    .language_version:
      - 2
      - 0
    .max_flat_workgroup_size: 512
    .name:           _ZN9rocsolver6v33100L18getf2_small_kernelILi39EfiiPfEEvT1_T3_lS3_lPS3_llPT2_S3_S3_S5_l
    .private_segment_fixed_size: 0
    .sgpr_count:     32
    .sgpr_spill_count: 0
    .symbol:         _ZN9rocsolver6v33100L18getf2_small_kernelILi39EfiiPfEEvT1_T3_lS3_lPS3_llPT2_S3_S3_S5_l.kd
    .uniform_work_group_size: 1
    .uses_dynamic_stack: false
    .vgpr_count:     64
    .vgpr_spill_count: 0
    .wavefront_size: 64
  - .agpr_count:     0
    .args:
      - .offset:         0
        .size:           4
        .value_kind:     by_value
      - .address_space:  global
        .offset:         8
        .size:           8
        .value_kind:     global_buffer
      - .offset:         16
        .size:           8
        .value_kind:     by_value
      - .offset:         24
        .size:           4
        .value_kind:     by_value
      - .offset:         32
        .size:           8
        .value_kind:     by_value
      - .address_space:  global
        .offset:         40
        .size:           8
        .value_kind:     global_buffer
      - .offset:         48
        .size:           4
        .value_kind:     by_value
      - .offset:         52
        .size:           4
        .value_kind:     by_value
      - .offset:         56
        .size:           4
        .value_kind:     hidden_block_count_x
      - .offset:         60
        .size:           4
        .value_kind:     hidden_block_count_y
      - .offset:         64
        .size:           4
        .value_kind:     hidden_block_count_z
      - .offset:         68
        .size:           2
        .value_kind:     hidden_group_size_x
      - .offset:         70
        .size:           2
        .value_kind:     hidden_group_size_y
      - .offset:         72
        .size:           2
        .value_kind:     hidden_group_size_z
      - .offset:         74
        .size:           2
        .value_kind:     hidden_remainder_x
      - .offset:         76
        .size:           2
        .value_kind:     hidden_remainder_y
      - .offset:         78
        .size:           2
        .value_kind:     hidden_remainder_z
      - .offset:         96
        .size:           8
        .value_kind:     hidden_global_offset_x
      - .offset:         104
        .size:           8
        .value_kind:     hidden_global_offset_y
      - .offset:         112
        .size:           8
        .value_kind:     hidden_global_offset_z
      - .offset:         120
        .size:           2
        .value_kind:     hidden_grid_dims
      - .offset:         176
        .size:           4
        .value_kind:     hidden_dynamic_lds_size
    .group_segment_fixed_size: 0
    .kernarg_segment_align: 8
    .kernarg_segment_size: 312
    .language:       OpenCL C
    .language_version:
      - 2
      - 0
    .max_flat_workgroup_size: 512
    .name:           _ZN9rocsolver6v33100L23getf2_npvt_small_kernelILi39EfiiPfEEvT1_T3_lS3_lPT2_S3_S3_
    .private_segment_fixed_size: 0
    .sgpr_count:     22
    .sgpr_spill_count: 0
    .symbol:         _ZN9rocsolver6v33100L23getf2_npvt_small_kernelILi39EfiiPfEEvT1_T3_lS3_lPT2_S3_S3_.kd
    .uniform_work_group_size: 1
    .uses_dynamic_stack: false
    .vgpr_count:     165
    .vgpr_spill_count: 0
    .wavefront_size: 64
  - .agpr_count:     0
    .args:
      - .offset:         0
        .size:           4
        .value_kind:     by_value
      - .address_space:  global
        .offset:         8
        .size:           8
        .value_kind:     global_buffer
      - .offset:         16
        .size:           8
        .value_kind:     by_value
      - .offset:         24
        .size:           4
        .value_kind:     by_value
      - .offset:         32
        .size:           8
        .value_kind:     by_value
      - .address_space:  global
        .offset:         40
        .size:           8
        .value_kind:     global_buffer
      - .offset:         48
        .size:           8
        .value_kind:     by_value
      - .offset:         56
        .size:           8
        .value_kind:     by_value
      - .address_space:  global
        .offset:         64
        .size:           8
        .value_kind:     global_buffer
      - .offset:         72
        .size:           4
        .value_kind:     by_value
      - .offset:         76
        .size:           4
        .value_kind:     by_value
      - .address_space:  global
        .offset:         80
        .size:           8
        .value_kind:     global_buffer
      - .offset:         88
        .size:           8
        .value_kind:     by_value
      - .offset:         96
        .size:           4
        .value_kind:     hidden_block_count_x
      - .offset:         100
        .size:           4
        .value_kind:     hidden_block_count_y
      - .offset:         104
        .size:           4
        .value_kind:     hidden_block_count_z
      - .offset:         108
        .size:           2
        .value_kind:     hidden_group_size_x
      - .offset:         110
        .size:           2
        .value_kind:     hidden_group_size_y
      - .offset:         112
        .size:           2
        .value_kind:     hidden_group_size_z
      - .offset:         114
        .size:           2
        .value_kind:     hidden_remainder_x
      - .offset:         116
        .size:           2
        .value_kind:     hidden_remainder_y
      - .offset:         118
        .size:           2
        .value_kind:     hidden_remainder_z
      - .offset:         136
        .size:           8
        .value_kind:     hidden_global_offset_x
      - .offset:         144
        .size:           8
        .value_kind:     hidden_global_offset_y
      - .offset:         152
        .size:           8
        .value_kind:     hidden_global_offset_z
      - .offset:         160
        .size:           2
        .value_kind:     hidden_grid_dims
      - .offset:         216
        .size:           4
        .value_kind:     hidden_dynamic_lds_size
    .group_segment_fixed_size: 0
    .kernarg_segment_align: 8
    .kernarg_segment_size: 352
    .language:       OpenCL C
    .language_version:
      - 2
      - 0
    .max_flat_workgroup_size: 512
    .name:           _ZN9rocsolver6v33100L18getf2_small_kernelILi40EfiiPfEEvT1_T3_lS3_lPS3_llPT2_S3_S3_S5_l
    .private_segment_fixed_size: 0
    .sgpr_count:     32
    .sgpr_spill_count: 0
    .symbol:         _ZN9rocsolver6v33100L18getf2_small_kernelILi40EfiiPfEEvT1_T3_lS3_lPS3_llPT2_S3_S3_S5_l.kd
    .uniform_work_group_size: 1
    .uses_dynamic_stack: false
    .vgpr_count:     64
    .vgpr_spill_count: 0
    .wavefront_size: 64
  - .agpr_count:     0
    .args:
      - .offset:         0
        .size:           4
        .value_kind:     by_value
      - .address_space:  global
        .offset:         8
        .size:           8
        .value_kind:     global_buffer
      - .offset:         16
        .size:           8
        .value_kind:     by_value
      - .offset:         24
        .size:           4
        .value_kind:     by_value
      - .offset:         32
        .size:           8
        .value_kind:     by_value
      - .address_space:  global
        .offset:         40
        .size:           8
        .value_kind:     global_buffer
      - .offset:         48
        .size:           4
        .value_kind:     by_value
      - .offset:         52
        .size:           4
        .value_kind:     by_value
      - .offset:         56
        .size:           4
        .value_kind:     hidden_block_count_x
      - .offset:         60
        .size:           4
        .value_kind:     hidden_block_count_y
      - .offset:         64
        .size:           4
        .value_kind:     hidden_block_count_z
      - .offset:         68
        .size:           2
        .value_kind:     hidden_group_size_x
      - .offset:         70
        .size:           2
        .value_kind:     hidden_group_size_y
      - .offset:         72
        .size:           2
        .value_kind:     hidden_group_size_z
      - .offset:         74
        .size:           2
        .value_kind:     hidden_remainder_x
      - .offset:         76
        .size:           2
        .value_kind:     hidden_remainder_y
      - .offset:         78
        .size:           2
        .value_kind:     hidden_remainder_z
      - .offset:         96
        .size:           8
        .value_kind:     hidden_global_offset_x
      - .offset:         104
        .size:           8
        .value_kind:     hidden_global_offset_y
      - .offset:         112
        .size:           8
        .value_kind:     hidden_global_offset_z
      - .offset:         120
        .size:           2
        .value_kind:     hidden_grid_dims
      - .offset:         176
        .size:           4
        .value_kind:     hidden_dynamic_lds_size
    .group_segment_fixed_size: 0
    .kernarg_segment_align: 8
    .kernarg_segment_size: 312
    .language:       OpenCL C
    .language_version:
      - 2
      - 0
    .max_flat_workgroup_size: 512
    .name:           _ZN9rocsolver6v33100L23getf2_npvt_small_kernelILi40EfiiPfEEvT1_T3_lS3_lPT2_S3_S3_
    .private_segment_fixed_size: 0
    .sgpr_count:     22
    .sgpr_spill_count: 0
    .symbol:         _ZN9rocsolver6v33100L23getf2_npvt_small_kernelILi40EfiiPfEEvT1_T3_lS3_lPT2_S3_S3_.kd
    .uniform_work_group_size: 1
    .uses_dynamic_stack: false
    .vgpr_count:     169
    .vgpr_spill_count: 0
    .wavefront_size: 64
  - .agpr_count:     0
    .args:
      - .offset:         0
        .size:           4
        .value_kind:     by_value
      - .address_space:  global
        .offset:         8
        .size:           8
        .value_kind:     global_buffer
      - .offset:         16
        .size:           8
        .value_kind:     by_value
      - .offset:         24
        .size:           4
        .value_kind:     by_value
      - .offset:         32
        .size:           8
        .value_kind:     by_value
      - .address_space:  global
        .offset:         40
        .size:           8
        .value_kind:     global_buffer
      - .offset:         48
        .size:           8
        .value_kind:     by_value
      - .offset:         56
        .size:           8
        .value_kind:     by_value
      - .address_space:  global
        .offset:         64
        .size:           8
        .value_kind:     global_buffer
      - .offset:         72
        .size:           4
        .value_kind:     by_value
      - .offset:         76
        .size:           4
        .value_kind:     by_value
      - .address_space:  global
        .offset:         80
        .size:           8
        .value_kind:     global_buffer
      - .offset:         88
        .size:           8
        .value_kind:     by_value
      - .offset:         96
        .size:           4
        .value_kind:     hidden_block_count_x
      - .offset:         100
        .size:           4
        .value_kind:     hidden_block_count_y
      - .offset:         104
        .size:           4
        .value_kind:     hidden_block_count_z
      - .offset:         108
        .size:           2
        .value_kind:     hidden_group_size_x
      - .offset:         110
        .size:           2
        .value_kind:     hidden_group_size_y
      - .offset:         112
        .size:           2
        .value_kind:     hidden_group_size_z
      - .offset:         114
        .size:           2
        .value_kind:     hidden_remainder_x
      - .offset:         116
        .size:           2
        .value_kind:     hidden_remainder_y
      - .offset:         118
        .size:           2
        .value_kind:     hidden_remainder_z
      - .offset:         136
        .size:           8
        .value_kind:     hidden_global_offset_x
      - .offset:         144
        .size:           8
        .value_kind:     hidden_global_offset_y
      - .offset:         152
        .size:           8
        .value_kind:     hidden_global_offset_z
      - .offset:         160
        .size:           2
        .value_kind:     hidden_grid_dims
      - .offset:         216
        .size:           4
        .value_kind:     hidden_dynamic_lds_size
    .group_segment_fixed_size: 0
    .kernarg_segment_align: 8
    .kernarg_segment_size: 352
    .language:       OpenCL C
    .language_version:
      - 2
      - 0
    .max_flat_workgroup_size: 512
    .name:           _ZN9rocsolver6v33100L18getf2_small_kernelILi41EfiiPfEEvT1_T3_lS3_lPS3_llPT2_S3_S3_S5_l
    .private_segment_fixed_size: 0
    .sgpr_count:     32
    .sgpr_spill_count: 0
    .symbol:         _ZN9rocsolver6v33100L18getf2_small_kernelILi41EfiiPfEEvT1_T3_lS3_lPS3_llPT2_S3_S3_S5_l.kd
    .uniform_work_group_size: 1
    .uses_dynamic_stack: false
    .vgpr_count:     68
    .vgpr_spill_count: 0
    .wavefront_size: 64
  - .agpr_count:     0
    .args:
      - .offset:         0
        .size:           4
        .value_kind:     by_value
      - .address_space:  global
        .offset:         8
        .size:           8
        .value_kind:     global_buffer
      - .offset:         16
        .size:           8
        .value_kind:     by_value
      - .offset:         24
        .size:           4
        .value_kind:     by_value
      - .offset:         32
        .size:           8
        .value_kind:     by_value
      - .address_space:  global
        .offset:         40
        .size:           8
        .value_kind:     global_buffer
      - .offset:         48
        .size:           4
        .value_kind:     by_value
      - .offset:         52
        .size:           4
        .value_kind:     by_value
      - .offset:         56
        .size:           4
        .value_kind:     hidden_block_count_x
      - .offset:         60
        .size:           4
        .value_kind:     hidden_block_count_y
      - .offset:         64
        .size:           4
        .value_kind:     hidden_block_count_z
      - .offset:         68
        .size:           2
        .value_kind:     hidden_group_size_x
      - .offset:         70
        .size:           2
        .value_kind:     hidden_group_size_y
      - .offset:         72
        .size:           2
        .value_kind:     hidden_group_size_z
      - .offset:         74
        .size:           2
        .value_kind:     hidden_remainder_x
      - .offset:         76
        .size:           2
        .value_kind:     hidden_remainder_y
      - .offset:         78
        .size:           2
        .value_kind:     hidden_remainder_z
      - .offset:         96
        .size:           8
        .value_kind:     hidden_global_offset_x
      - .offset:         104
        .size:           8
        .value_kind:     hidden_global_offset_y
      - .offset:         112
        .size:           8
        .value_kind:     hidden_global_offset_z
      - .offset:         120
        .size:           2
        .value_kind:     hidden_grid_dims
      - .offset:         176
        .size:           4
        .value_kind:     hidden_dynamic_lds_size
    .group_segment_fixed_size: 0
    .kernarg_segment_align: 8
    .kernarg_segment_size: 312
    .language:       OpenCL C
    .language_version:
      - 2
      - 0
    .max_flat_workgroup_size: 512
    .name:           _ZN9rocsolver6v33100L23getf2_npvt_small_kernelILi41EfiiPfEEvT1_T3_lS3_lPT2_S3_S3_
    .private_segment_fixed_size: 0
    .sgpr_count:     22
    .sgpr_spill_count: 0
    .symbol:         _ZN9rocsolver6v33100L23getf2_npvt_small_kernelILi41EfiiPfEEvT1_T3_lS3_lPT2_S3_S3_.kd
    .uniform_work_group_size: 1
    .uses_dynamic_stack: false
    .vgpr_count:     173
    .vgpr_spill_count: 0
    .wavefront_size: 64
  - .agpr_count:     0
    .args:
      - .offset:         0
        .size:           4
        .value_kind:     by_value
      - .address_space:  global
        .offset:         8
        .size:           8
        .value_kind:     global_buffer
      - .offset:         16
        .size:           8
        .value_kind:     by_value
      - .offset:         24
        .size:           4
        .value_kind:     by_value
      - .offset:         32
        .size:           8
        .value_kind:     by_value
      - .address_space:  global
        .offset:         40
        .size:           8
        .value_kind:     global_buffer
      - .offset:         48
        .size:           8
        .value_kind:     by_value
      - .offset:         56
        .size:           8
        .value_kind:     by_value
      - .address_space:  global
        .offset:         64
        .size:           8
        .value_kind:     global_buffer
      - .offset:         72
        .size:           4
        .value_kind:     by_value
      - .offset:         76
        .size:           4
        .value_kind:     by_value
      - .address_space:  global
        .offset:         80
        .size:           8
        .value_kind:     global_buffer
      - .offset:         88
        .size:           8
        .value_kind:     by_value
      - .offset:         96
        .size:           4
        .value_kind:     hidden_block_count_x
      - .offset:         100
        .size:           4
        .value_kind:     hidden_block_count_y
      - .offset:         104
        .size:           4
        .value_kind:     hidden_block_count_z
      - .offset:         108
        .size:           2
        .value_kind:     hidden_group_size_x
      - .offset:         110
        .size:           2
        .value_kind:     hidden_group_size_y
      - .offset:         112
        .size:           2
        .value_kind:     hidden_group_size_z
      - .offset:         114
        .size:           2
        .value_kind:     hidden_remainder_x
      - .offset:         116
        .size:           2
        .value_kind:     hidden_remainder_y
      - .offset:         118
        .size:           2
        .value_kind:     hidden_remainder_z
      - .offset:         136
        .size:           8
        .value_kind:     hidden_global_offset_x
      - .offset:         144
        .size:           8
        .value_kind:     hidden_global_offset_y
      - .offset:         152
        .size:           8
        .value_kind:     hidden_global_offset_z
      - .offset:         160
        .size:           2
        .value_kind:     hidden_grid_dims
      - .offset:         216
        .size:           4
        .value_kind:     hidden_dynamic_lds_size
    .group_segment_fixed_size: 0
    .kernarg_segment_align: 8
    .kernarg_segment_size: 352
    .language:       OpenCL C
    .language_version:
      - 2
      - 0
    .max_flat_workgroup_size: 512
    .name:           _ZN9rocsolver6v33100L18getf2_small_kernelILi42EfiiPfEEvT1_T3_lS3_lPS3_llPT2_S3_S3_S5_l
    .private_segment_fixed_size: 0
    .sgpr_count:     32
    .sgpr_spill_count: 0
    .symbol:         _ZN9rocsolver6v33100L18getf2_small_kernelILi42EfiiPfEEvT1_T3_lS3_lPS3_llPT2_S3_S3_S5_l.kd
    .uniform_work_group_size: 1
    .uses_dynamic_stack: false
    .vgpr_count:     68
    .vgpr_spill_count: 0
    .wavefront_size: 64
  - .agpr_count:     0
    .args:
      - .offset:         0
        .size:           4
        .value_kind:     by_value
      - .address_space:  global
        .offset:         8
        .size:           8
        .value_kind:     global_buffer
      - .offset:         16
        .size:           8
        .value_kind:     by_value
      - .offset:         24
        .size:           4
        .value_kind:     by_value
      - .offset:         32
        .size:           8
        .value_kind:     by_value
      - .address_space:  global
        .offset:         40
        .size:           8
        .value_kind:     global_buffer
      - .offset:         48
        .size:           4
        .value_kind:     by_value
      - .offset:         52
        .size:           4
        .value_kind:     by_value
      - .offset:         56
        .size:           4
        .value_kind:     hidden_block_count_x
      - .offset:         60
        .size:           4
        .value_kind:     hidden_block_count_y
      - .offset:         64
        .size:           4
        .value_kind:     hidden_block_count_z
      - .offset:         68
        .size:           2
        .value_kind:     hidden_group_size_x
      - .offset:         70
        .size:           2
        .value_kind:     hidden_group_size_y
      - .offset:         72
        .size:           2
        .value_kind:     hidden_group_size_z
      - .offset:         74
        .size:           2
        .value_kind:     hidden_remainder_x
      - .offset:         76
        .size:           2
        .value_kind:     hidden_remainder_y
      - .offset:         78
        .size:           2
        .value_kind:     hidden_remainder_z
      - .offset:         96
        .size:           8
        .value_kind:     hidden_global_offset_x
      - .offset:         104
        .size:           8
        .value_kind:     hidden_global_offset_y
      - .offset:         112
        .size:           8
        .value_kind:     hidden_global_offset_z
      - .offset:         120
        .size:           2
        .value_kind:     hidden_grid_dims
      - .offset:         176
        .size:           4
        .value_kind:     hidden_dynamic_lds_size
    .group_segment_fixed_size: 0
    .kernarg_segment_align: 8
    .kernarg_segment_size: 312
    .language:       OpenCL C
    .language_version:
      - 2
      - 0
    .max_flat_workgroup_size: 512
    .name:           _ZN9rocsolver6v33100L23getf2_npvt_small_kernelILi42EfiiPfEEvT1_T3_lS3_lPT2_S3_S3_
    .private_segment_fixed_size: 0
    .sgpr_count:     22
    .sgpr_spill_count: 0
    .symbol:         _ZN9rocsolver6v33100L23getf2_npvt_small_kernelILi42EfiiPfEEvT1_T3_lS3_lPT2_S3_S3_.kd
    .uniform_work_group_size: 1
    .uses_dynamic_stack: false
    .vgpr_count:     177
    .vgpr_spill_count: 0
    .wavefront_size: 64
  - .agpr_count:     0
    .args:
      - .offset:         0
        .size:           4
        .value_kind:     by_value
      - .address_space:  global
        .offset:         8
        .size:           8
        .value_kind:     global_buffer
      - .offset:         16
        .size:           8
        .value_kind:     by_value
      - .offset:         24
        .size:           4
        .value_kind:     by_value
      - .offset:         32
        .size:           8
        .value_kind:     by_value
      - .address_space:  global
        .offset:         40
        .size:           8
        .value_kind:     global_buffer
      - .offset:         48
        .size:           8
        .value_kind:     by_value
      - .offset:         56
        .size:           8
        .value_kind:     by_value
      - .address_space:  global
        .offset:         64
        .size:           8
        .value_kind:     global_buffer
      - .offset:         72
        .size:           4
        .value_kind:     by_value
      - .offset:         76
        .size:           4
        .value_kind:     by_value
      - .address_space:  global
        .offset:         80
        .size:           8
        .value_kind:     global_buffer
      - .offset:         88
        .size:           8
        .value_kind:     by_value
      - .offset:         96
        .size:           4
        .value_kind:     hidden_block_count_x
      - .offset:         100
        .size:           4
        .value_kind:     hidden_block_count_y
      - .offset:         104
        .size:           4
        .value_kind:     hidden_block_count_z
      - .offset:         108
        .size:           2
        .value_kind:     hidden_group_size_x
      - .offset:         110
        .size:           2
        .value_kind:     hidden_group_size_y
      - .offset:         112
        .size:           2
        .value_kind:     hidden_group_size_z
      - .offset:         114
        .size:           2
        .value_kind:     hidden_remainder_x
      - .offset:         116
        .size:           2
        .value_kind:     hidden_remainder_y
      - .offset:         118
        .size:           2
        .value_kind:     hidden_remainder_z
      - .offset:         136
        .size:           8
        .value_kind:     hidden_global_offset_x
      - .offset:         144
        .size:           8
        .value_kind:     hidden_global_offset_y
      - .offset:         152
        .size:           8
        .value_kind:     hidden_global_offset_z
      - .offset:         160
        .size:           2
        .value_kind:     hidden_grid_dims
      - .offset:         216
        .size:           4
        .value_kind:     hidden_dynamic_lds_size
    .group_segment_fixed_size: 0
    .kernarg_segment_align: 8
    .kernarg_segment_size: 352
    .language:       OpenCL C
    .language_version:
      - 2
      - 0
    .max_flat_workgroup_size: 512
    .name:           _ZN9rocsolver6v33100L18getf2_small_kernelILi43EfiiPfEEvT1_T3_lS3_lPS3_llPT2_S3_S3_S5_l
    .private_segment_fixed_size: 0
    .sgpr_count:     32
    .sgpr_spill_count: 0
    .symbol:         _ZN9rocsolver6v33100L18getf2_small_kernelILi43EfiiPfEEvT1_T3_lS3_lPS3_llPT2_S3_S3_S5_l.kd
    .uniform_work_group_size: 1
    .uses_dynamic_stack: false
    .vgpr_count:     68
    .vgpr_spill_count: 0
    .wavefront_size: 64
  - .agpr_count:     0
    .args:
      - .offset:         0
        .size:           4
        .value_kind:     by_value
      - .address_space:  global
        .offset:         8
        .size:           8
        .value_kind:     global_buffer
      - .offset:         16
        .size:           8
        .value_kind:     by_value
      - .offset:         24
        .size:           4
        .value_kind:     by_value
      - .offset:         32
        .size:           8
        .value_kind:     by_value
      - .address_space:  global
        .offset:         40
        .size:           8
        .value_kind:     global_buffer
      - .offset:         48
        .size:           4
        .value_kind:     by_value
      - .offset:         52
        .size:           4
        .value_kind:     by_value
      - .offset:         56
        .size:           4
        .value_kind:     hidden_block_count_x
      - .offset:         60
        .size:           4
        .value_kind:     hidden_block_count_y
      - .offset:         64
        .size:           4
        .value_kind:     hidden_block_count_z
      - .offset:         68
        .size:           2
        .value_kind:     hidden_group_size_x
      - .offset:         70
        .size:           2
        .value_kind:     hidden_group_size_y
      - .offset:         72
        .size:           2
        .value_kind:     hidden_group_size_z
      - .offset:         74
        .size:           2
        .value_kind:     hidden_remainder_x
      - .offset:         76
        .size:           2
        .value_kind:     hidden_remainder_y
      - .offset:         78
        .size:           2
        .value_kind:     hidden_remainder_z
      - .offset:         96
        .size:           8
        .value_kind:     hidden_global_offset_x
      - .offset:         104
        .size:           8
        .value_kind:     hidden_global_offset_y
      - .offset:         112
        .size:           8
        .value_kind:     hidden_global_offset_z
      - .offset:         120
        .size:           2
        .value_kind:     hidden_grid_dims
      - .offset:         176
        .size:           4
        .value_kind:     hidden_dynamic_lds_size
    .group_segment_fixed_size: 0
    .kernarg_segment_align: 8
    .kernarg_segment_size: 312
    .language:       OpenCL C
    .language_version:
      - 2
      - 0
    .max_flat_workgroup_size: 512
    .name:           _ZN9rocsolver6v33100L23getf2_npvt_small_kernelILi43EfiiPfEEvT1_T3_lS3_lPT2_S3_S3_
    .private_segment_fixed_size: 0
    .sgpr_count:     22
    .sgpr_spill_count: 0
    .symbol:         _ZN9rocsolver6v33100L23getf2_npvt_small_kernelILi43EfiiPfEEvT1_T3_lS3_lPT2_S3_S3_.kd
    .uniform_work_group_size: 1
    .uses_dynamic_stack: false
    .vgpr_count:     181
    .vgpr_spill_count: 0
    .wavefront_size: 64
  - .agpr_count:     0
    .args:
      - .offset:         0
        .size:           4
        .value_kind:     by_value
      - .address_space:  global
        .offset:         8
        .size:           8
        .value_kind:     global_buffer
      - .offset:         16
        .size:           8
        .value_kind:     by_value
      - .offset:         24
        .size:           4
        .value_kind:     by_value
      - .offset:         32
        .size:           8
        .value_kind:     by_value
      - .address_space:  global
        .offset:         40
        .size:           8
        .value_kind:     global_buffer
      - .offset:         48
        .size:           8
        .value_kind:     by_value
      - .offset:         56
        .size:           8
        .value_kind:     by_value
      - .address_space:  global
        .offset:         64
        .size:           8
        .value_kind:     global_buffer
      - .offset:         72
        .size:           4
        .value_kind:     by_value
      - .offset:         76
        .size:           4
        .value_kind:     by_value
      - .address_space:  global
        .offset:         80
        .size:           8
        .value_kind:     global_buffer
      - .offset:         88
        .size:           8
        .value_kind:     by_value
      - .offset:         96
        .size:           4
        .value_kind:     hidden_block_count_x
      - .offset:         100
        .size:           4
        .value_kind:     hidden_block_count_y
      - .offset:         104
        .size:           4
        .value_kind:     hidden_block_count_z
      - .offset:         108
        .size:           2
        .value_kind:     hidden_group_size_x
      - .offset:         110
        .size:           2
        .value_kind:     hidden_group_size_y
      - .offset:         112
        .size:           2
        .value_kind:     hidden_group_size_z
      - .offset:         114
        .size:           2
        .value_kind:     hidden_remainder_x
      - .offset:         116
        .size:           2
        .value_kind:     hidden_remainder_y
      - .offset:         118
        .size:           2
        .value_kind:     hidden_remainder_z
      - .offset:         136
        .size:           8
        .value_kind:     hidden_global_offset_x
      - .offset:         144
        .size:           8
        .value_kind:     hidden_global_offset_y
      - .offset:         152
        .size:           8
        .value_kind:     hidden_global_offset_z
      - .offset:         160
        .size:           2
        .value_kind:     hidden_grid_dims
      - .offset:         216
        .size:           4
        .value_kind:     hidden_dynamic_lds_size
    .group_segment_fixed_size: 0
    .kernarg_segment_align: 8
    .kernarg_segment_size: 352
    .language:       OpenCL C
    .language_version:
      - 2
      - 0
    .max_flat_workgroup_size: 512
    .name:           _ZN9rocsolver6v33100L18getf2_small_kernelILi44EfiiPfEEvT1_T3_lS3_lPS3_llPT2_S3_S3_S5_l
    .private_segment_fixed_size: 0
    .sgpr_count:     32
    .sgpr_spill_count: 0
    .symbol:         _ZN9rocsolver6v33100L18getf2_small_kernelILi44EfiiPfEEvT1_T3_lS3_lPS3_llPT2_S3_S3_S5_l.kd
    .uniform_work_group_size: 1
    .uses_dynamic_stack: false
    .vgpr_count:     68
    .vgpr_spill_count: 0
    .wavefront_size: 64
  - .agpr_count:     0
    .args:
      - .offset:         0
        .size:           4
        .value_kind:     by_value
      - .address_space:  global
        .offset:         8
        .size:           8
        .value_kind:     global_buffer
      - .offset:         16
        .size:           8
        .value_kind:     by_value
      - .offset:         24
        .size:           4
        .value_kind:     by_value
      - .offset:         32
        .size:           8
        .value_kind:     by_value
      - .address_space:  global
        .offset:         40
        .size:           8
        .value_kind:     global_buffer
      - .offset:         48
        .size:           4
        .value_kind:     by_value
      - .offset:         52
        .size:           4
        .value_kind:     by_value
      - .offset:         56
        .size:           4
        .value_kind:     hidden_block_count_x
      - .offset:         60
        .size:           4
        .value_kind:     hidden_block_count_y
      - .offset:         64
        .size:           4
        .value_kind:     hidden_block_count_z
      - .offset:         68
        .size:           2
        .value_kind:     hidden_group_size_x
      - .offset:         70
        .size:           2
        .value_kind:     hidden_group_size_y
      - .offset:         72
        .size:           2
        .value_kind:     hidden_group_size_z
      - .offset:         74
        .size:           2
        .value_kind:     hidden_remainder_x
      - .offset:         76
        .size:           2
        .value_kind:     hidden_remainder_y
      - .offset:         78
        .size:           2
        .value_kind:     hidden_remainder_z
      - .offset:         96
        .size:           8
        .value_kind:     hidden_global_offset_x
      - .offset:         104
        .size:           8
        .value_kind:     hidden_global_offset_y
      - .offset:         112
        .size:           8
        .value_kind:     hidden_global_offset_z
      - .offset:         120
        .size:           2
        .value_kind:     hidden_grid_dims
      - .offset:         176
        .size:           4
        .value_kind:     hidden_dynamic_lds_size
    .group_segment_fixed_size: 0
    .kernarg_segment_align: 8
    .kernarg_segment_size: 312
    .language:       OpenCL C
    .language_version:
      - 2
      - 0
    .max_flat_workgroup_size: 512
    .name:           _ZN9rocsolver6v33100L23getf2_npvt_small_kernelILi44EfiiPfEEvT1_T3_lS3_lPT2_S3_S3_
    .private_segment_fixed_size: 0
    .sgpr_count:     22
    .sgpr_spill_count: 0
    .symbol:         _ZN9rocsolver6v33100L23getf2_npvt_small_kernelILi44EfiiPfEEvT1_T3_lS3_lPT2_S3_S3_.kd
    .uniform_work_group_size: 1
    .uses_dynamic_stack: false
    .vgpr_count:     185
    .vgpr_spill_count: 0
    .wavefront_size: 64
  - .agpr_count:     0
    .args:
      - .offset:         0
        .size:           4
        .value_kind:     by_value
      - .address_space:  global
        .offset:         8
        .size:           8
        .value_kind:     global_buffer
      - .offset:         16
        .size:           8
        .value_kind:     by_value
      - .offset:         24
        .size:           4
        .value_kind:     by_value
      - .offset:         32
        .size:           8
        .value_kind:     by_value
      - .address_space:  global
        .offset:         40
        .size:           8
        .value_kind:     global_buffer
      - .offset:         48
        .size:           8
        .value_kind:     by_value
      - .offset:         56
        .size:           8
        .value_kind:     by_value
      - .address_space:  global
        .offset:         64
        .size:           8
        .value_kind:     global_buffer
      - .offset:         72
        .size:           4
        .value_kind:     by_value
      - .offset:         76
        .size:           4
        .value_kind:     by_value
      - .address_space:  global
        .offset:         80
        .size:           8
        .value_kind:     global_buffer
      - .offset:         88
        .size:           8
        .value_kind:     by_value
      - .offset:         96
        .size:           4
        .value_kind:     hidden_block_count_x
      - .offset:         100
        .size:           4
        .value_kind:     hidden_block_count_y
      - .offset:         104
        .size:           4
        .value_kind:     hidden_block_count_z
      - .offset:         108
        .size:           2
        .value_kind:     hidden_group_size_x
      - .offset:         110
        .size:           2
        .value_kind:     hidden_group_size_y
      - .offset:         112
        .size:           2
        .value_kind:     hidden_group_size_z
      - .offset:         114
        .size:           2
        .value_kind:     hidden_remainder_x
      - .offset:         116
        .size:           2
        .value_kind:     hidden_remainder_y
      - .offset:         118
        .size:           2
        .value_kind:     hidden_remainder_z
      - .offset:         136
        .size:           8
        .value_kind:     hidden_global_offset_x
      - .offset:         144
        .size:           8
        .value_kind:     hidden_global_offset_y
      - .offset:         152
        .size:           8
        .value_kind:     hidden_global_offset_z
      - .offset:         160
        .size:           2
        .value_kind:     hidden_grid_dims
      - .offset:         216
        .size:           4
        .value_kind:     hidden_dynamic_lds_size
    .group_segment_fixed_size: 0
    .kernarg_segment_align: 8
    .kernarg_segment_size: 352
    .language:       OpenCL C
    .language_version:
      - 2
      - 0
    .max_flat_workgroup_size: 512
    .name:           _ZN9rocsolver6v33100L18getf2_small_kernelILi45EfiiPfEEvT1_T3_lS3_lPS3_llPT2_S3_S3_S5_l
    .private_segment_fixed_size: 0
    .sgpr_count:     32
    .sgpr_spill_count: 0
    .symbol:         _ZN9rocsolver6v33100L18getf2_small_kernelILi45EfiiPfEEvT1_T3_lS3_lPS3_llPT2_S3_S3_S5_l.kd
    .uniform_work_group_size: 1
    .uses_dynamic_stack: false
    .vgpr_count:     68
    .vgpr_spill_count: 0
    .wavefront_size: 64
  - .agpr_count:     0
    .args:
      - .offset:         0
        .size:           4
        .value_kind:     by_value
      - .address_space:  global
        .offset:         8
        .size:           8
        .value_kind:     global_buffer
      - .offset:         16
        .size:           8
        .value_kind:     by_value
      - .offset:         24
        .size:           4
        .value_kind:     by_value
      - .offset:         32
        .size:           8
        .value_kind:     by_value
      - .address_space:  global
        .offset:         40
        .size:           8
        .value_kind:     global_buffer
      - .offset:         48
        .size:           4
        .value_kind:     by_value
      - .offset:         52
        .size:           4
        .value_kind:     by_value
      - .offset:         56
        .size:           4
        .value_kind:     hidden_block_count_x
      - .offset:         60
        .size:           4
        .value_kind:     hidden_block_count_y
      - .offset:         64
        .size:           4
        .value_kind:     hidden_block_count_z
      - .offset:         68
        .size:           2
        .value_kind:     hidden_group_size_x
      - .offset:         70
        .size:           2
        .value_kind:     hidden_group_size_y
      - .offset:         72
        .size:           2
        .value_kind:     hidden_group_size_z
      - .offset:         74
        .size:           2
        .value_kind:     hidden_remainder_x
      - .offset:         76
        .size:           2
        .value_kind:     hidden_remainder_y
      - .offset:         78
        .size:           2
        .value_kind:     hidden_remainder_z
      - .offset:         96
        .size:           8
        .value_kind:     hidden_global_offset_x
      - .offset:         104
        .size:           8
        .value_kind:     hidden_global_offset_y
      - .offset:         112
        .size:           8
        .value_kind:     hidden_global_offset_z
      - .offset:         120
        .size:           2
        .value_kind:     hidden_grid_dims
      - .offset:         176
        .size:           4
        .value_kind:     hidden_dynamic_lds_size
    .group_segment_fixed_size: 0
    .kernarg_segment_align: 8
    .kernarg_segment_size: 312
    .language:       OpenCL C
    .language_version:
      - 2
      - 0
    .max_flat_workgroup_size: 512
    .name:           _ZN9rocsolver6v33100L23getf2_npvt_small_kernelILi45EfiiPfEEvT1_T3_lS3_lPT2_S3_S3_
    .private_segment_fixed_size: 0
    .sgpr_count:     22
    .sgpr_spill_count: 0
    .symbol:         _ZN9rocsolver6v33100L23getf2_npvt_small_kernelILi45EfiiPfEEvT1_T3_lS3_lPT2_S3_S3_.kd
    .uniform_work_group_size: 1
    .uses_dynamic_stack: false
    .vgpr_count:     189
    .vgpr_spill_count: 0
    .wavefront_size: 64
  - .agpr_count:     0
    .args:
      - .offset:         0
        .size:           4
        .value_kind:     by_value
      - .address_space:  global
        .offset:         8
        .size:           8
        .value_kind:     global_buffer
      - .offset:         16
        .size:           8
        .value_kind:     by_value
      - .offset:         24
        .size:           4
        .value_kind:     by_value
      - .offset:         32
        .size:           8
        .value_kind:     by_value
      - .address_space:  global
        .offset:         40
        .size:           8
        .value_kind:     global_buffer
      - .offset:         48
        .size:           8
        .value_kind:     by_value
      - .offset:         56
        .size:           8
        .value_kind:     by_value
      - .address_space:  global
        .offset:         64
        .size:           8
        .value_kind:     global_buffer
      - .offset:         72
        .size:           4
        .value_kind:     by_value
      - .offset:         76
        .size:           4
        .value_kind:     by_value
      - .address_space:  global
        .offset:         80
        .size:           8
        .value_kind:     global_buffer
      - .offset:         88
        .size:           8
        .value_kind:     by_value
      - .offset:         96
        .size:           4
        .value_kind:     hidden_block_count_x
      - .offset:         100
        .size:           4
        .value_kind:     hidden_block_count_y
      - .offset:         104
        .size:           4
        .value_kind:     hidden_block_count_z
      - .offset:         108
        .size:           2
        .value_kind:     hidden_group_size_x
      - .offset:         110
        .size:           2
        .value_kind:     hidden_group_size_y
      - .offset:         112
        .size:           2
        .value_kind:     hidden_group_size_z
      - .offset:         114
        .size:           2
        .value_kind:     hidden_remainder_x
      - .offset:         116
        .size:           2
        .value_kind:     hidden_remainder_y
      - .offset:         118
        .size:           2
        .value_kind:     hidden_remainder_z
      - .offset:         136
        .size:           8
        .value_kind:     hidden_global_offset_x
      - .offset:         144
        .size:           8
        .value_kind:     hidden_global_offset_y
      - .offset:         152
        .size:           8
        .value_kind:     hidden_global_offset_z
      - .offset:         160
        .size:           2
        .value_kind:     hidden_grid_dims
      - .offset:         216
        .size:           4
        .value_kind:     hidden_dynamic_lds_size
    .group_segment_fixed_size: 0
    .kernarg_segment_align: 8
    .kernarg_segment_size: 352
    .language:       OpenCL C
    .language_version:
      - 2
      - 0
    .max_flat_workgroup_size: 512
    .name:           _ZN9rocsolver6v33100L18getf2_small_kernelILi46EfiiPfEEvT1_T3_lS3_lPS3_llPT2_S3_S3_S5_l
    .private_segment_fixed_size: 0
    .sgpr_count:     32
    .sgpr_spill_count: 0
    .symbol:         _ZN9rocsolver6v33100L18getf2_small_kernelILi46EfiiPfEEvT1_T3_lS3_lPS3_llPT2_S3_S3_S5_l.kd
    .uniform_work_group_size: 1
    .uses_dynamic_stack: false
    .vgpr_count:     68
    .vgpr_spill_count: 0
    .wavefront_size: 64
  - .agpr_count:     0
    .args:
      - .offset:         0
        .size:           4
        .value_kind:     by_value
      - .address_space:  global
        .offset:         8
        .size:           8
        .value_kind:     global_buffer
      - .offset:         16
        .size:           8
        .value_kind:     by_value
      - .offset:         24
        .size:           4
        .value_kind:     by_value
      - .offset:         32
        .size:           8
        .value_kind:     by_value
      - .address_space:  global
        .offset:         40
        .size:           8
        .value_kind:     global_buffer
      - .offset:         48
        .size:           4
        .value_kind:     by_value
      - .offset:         52
        .size:           4
        .value_kind:     by_value
      - .offset:         56
        .size:           4
        .value_kind:     hidden_block_count_x
      - .offset:         60
        .size:           4
        .value_kind:     hidden_block_count_y
      - .offset:         64
        .size:           4
        .value_kind:     hidden_block_count_z
      - .offset:         68
        .size:           2
        .value_kind:     hidden_group_size_x
      - .offset:         70
        .size:           2
        .value_kind:     hidden_group_size_y
      - .offset:         72
        .size:           2
        .value_kind:     hidden_group_size_z
      - .offset:         74
        .size:           2
        .value_kind:     hidden_remainder_x
      - .offset:         76
        .size:           2
        .value_kind:     hidden_remainder_y
      - .offset:         78
        .size:           2
        .value_kind:     hidden_remainder_z
      - .offset:         96
        .size:           8
        .value_kind:     hidden_global_offset_x
      - .offset:         104
        .size:           8
        .value_kind:     hidden_global_offset_y
      - .offset:         112
        .size:           8
        .value_kind:     hidden_global_offset_z
      - .offset:         120
        .size:           2
        .value_kind:     hidden_grid_dims
      - .offset:         176
        .size:           4
        .value_kind:     hidden_dynamic_lds_size
    .group_segment_fixed_size: 0
    .kernarg_segment_align: 8
    .kernarg_segment_size: 312
    .language:       OpenCL C
    .language_version:
      - 2
      - 0
    .max_flat_workgroup_size: 512
    .name:           _ZN9rocsolver6v33100L23getf2_npvt_small_kernelILi46EfiiPfEEvT1_T3_lS3_lPT2_S3_S3_
    .private_segment_fixed_size: 0
    .sgpr_count:     22
    .sgpr_spill_count: 0
    .symbol:         _ZN9rocsolver6v33100L23getf2_npvt_small_kernelILi46EfiiPfEEvT1_T3_lS3_lPT2_S3_S3_.kd
    .uniform_work_group_size: 1
    .uses_dynamic_stack: false
    .vgpr_count:     193
    .vgpr_spill_count: 0
    .wavefront_size: 64
  - .agpr_count:     0
    .args:
      - .offset:         0
        .size:           4
        .value_kind:     by_value
      - .address_space:  global
        .offset:         8
        .size:           8
        .value_kind:     global_buffer
      - .offset:         16
        .size:           8
        .value_kind:     by_value
      - .offset:         24
        .size:           4
        .value_kind:     by_value
      - .offset:         32
        .size:           8
        .value_kind:     by_value
      - .address_space:  global
        .offset:         40
        .size:           8
        .value_kind:     global_buffer
      - .offset:         48
        .size:           8
        .value_kind:     by_value
      - .offset:         56
        .size:           8
        .value_kind:     by_value
      - .address_space:  global
        .offset:         64
        .size:           8
        .value_kind:     global_buffer
      - .offset:         72
        .size:           4
        .value_kind:     by_value
      - .offset:         76
        .size:           4
        .value_kind:     by_value
      - .address_space:  global
        .offset:         80
        .size:           8
        .value_kind:     global_buffer
      - .offset:         88
        .size:           8
        .value_kind:     by_value
      - .offset:         96
        .size:           4
        .value_kind:     hidden_block_count_x
      - .offset:         100
        .size:           4
        .value_kind:     hidden_block_count_y
      - .offset:         104
        .size:           4
        .value_kind:     hidden_block_count_z
      - .offset:         108
        .size:           2
        .value_kind:     hidden_group_size_x
      - .offset:         110
        .size:           2
        .value_kind:     hidden_group_size_y
      - .offset:         112
        .size:           2
        .value_kind:     hidden_group_size_z
      - .offset:         114
        .size:           2
        .value_kind:     hidden_remainder_x
      - .offset:         116
        .size:           2
        .value_kind:     hidden_remainder_y
      - .offset:         118
        .size:           2
        .value_kind:     hidden_remainder_z
      - .offset:         136
        .size:           8
        .value_kind:     hidden_global_offset_x
      - .offset:         144
        .size:           8
        .value_kind:     hidden_global_offset_y
      - .offset:         152
        .size:           8
        .value_kind:     hidden_global_offset_z
      - .offset:         160
        .size:           2
        .value_kind:     hidden_grid_dims
      - .offset:         216
        .size:           4
        .value_kind:     hidden_dynamic_lds_size
    .group_segment_fixed_size: 0
    .kernarg_segment_align: 8
    .kernarg_segment_size: 352
    .language:       OpenCL C
    .language_version:
      - 2
      - 0
    .max_flat_workgroup_size: 512
    .name:           _ZN9rocsolver6v33100L18getf2_small_kernelILi47EfiiPfEEvT1_T3_lS3_lPS3_llPT2_S3_S3_S5_l
    .private_segment_fixed_size: 0
    .sgpr_count:     32
    .sgpr_spill_count: 0
    .symbol:         _ZN9rocsolver6v33100L18getf2_small_kernelILi47EfiiPfEEvT1_T3_lS3_lPS3_llPT2_S3_S3_S5_l.kd
    .uniform_work_group_size: 1
    .uses_dynamic_stack: false
    .vgpr_count:     72
    .vgpr_spill_count: 0
    .wavefront_size: 64
  - .agpr_count:     0
    .args:
      - .offset:         0
        .size:           4
        .value_kind:     by_value
      - .address_space:  global
        .offset:         8
        .size:           8
        .value_kind:     global_buffer
      - .offset:         16
        .size:           8
        .value_kind:     by_value
      - .offset:         24
        .size:           4
        .value_kind:     by_value
      - .offset:         32
        .size:           8
        .value_kind:     by_value
      - .address_space:  global
        .offset:         40
        .size:           8
        .value_kind:     global_buffer
      - .offset:         48
        .size:           4
        .value_kind:     by_value
      - .offset:         52
        .size:           4
        .value_kind:     by_value
      - .offset:         56
        .size:           4
        .value_kind:     hidden_block_count_x
      - .offset:         60
        .size:           4
        .value_kind:     hidden_block_count_y
      - .offset:         64
        .size:           4
        .value_kind:     hidden_block_count_z
      - .offset:         68
        .size:           2
        .value_kind:     hidden_group_size_x
      - .offset:         70
        .size:           2
        .value_kind:     hidden_group_size_y
      - .offset:         72
        .size:           2
        .value_kind:     hidden_group_size_z
      - .offset:         74
        .size:           2
        .value_kind:     hidden_remainder_x
      - .offset:         76
        .size:           2
        .value_kind:     hidden_remainder_y
      - .offset:         78
        .size:           2
        .value_kind:     hidden_remainder_z
      - .offset:         96
        .size:           8
        .value_kind:     hidden_global_offset_x
      - .offset:         104
        .size:           8
        .value_kind:     hidden_global_offset_y
      - .offset:         112
        .size:           8
        .value_kind:     hidden_global_offset_z
      - .offset:         120
        .size:           2
        .value_kind:     hidden_grid_dims
      - .offset:         176
        .size:           4
        .value_kind:     hidden_dynamic_lds_size
    .group_segment_fixed_size: 0
    .kernarg_segment_align: 8
    .kernarg_segment_size: 312
    .language:       OpenCL C
    .language_version:
      - 2
      - 0
    .max_flat_workgroup_size: 512
    .name:           _ZN9rocsolver6v33100L23getf2_npvt_small_kernelILi47EfiiPfEEvT1_T3_lS3_lPT2_S3_S3_
    .private_segment_fixed_size: 0
    .sgpr_count:     22
    .sgpr_spill_count: 0
    .symbol:         _ZN9rocsolver6v33100L23getf2_npvt_small_kernelILi47EfiiPfEEvT1_T3_lS3_lPT2_S3_S3_.kd
    .uniform_work_group_size: 1
    .uses_dynamic_stack: false
    .vgpr_count:     197
    .vgpr_spill_count: 0
    .wavefront_size: 64
  - .agpr_count:     0
    .args:
      - .offset:         0
        .size:           4
        .value_kind:     by_value
      - .address_space:  global
        .offset:         8
        .size:           8
        .value_kind:     global_buffer
      - .offset:         16
        .size:           8
        .value_kind:     by_value
      - .offset:         24
        .size:           4
        .value_kind:     by_value
      - .offset:         32
        .size:           8
        .value_kind:     by_value
      - .address_space:  global
        .offset:         40
        .size:           8
        .value_kind:     global_buffer
      - .offset:         48
        .size:           8
        .value_kind:     by_value
      - .offset:         56
        .size:           8
        .value_kind:     by_value
      - .address_space:  global
        .offset:         64
        .size:           8
        .value_kind:     global_buffer
      - .offset:         72
        .size:           4
        .value_kind:     by_value
      - .offset:         76
        .size:           4
        .value_kind:     by_value
      - .address_space:  global
        .offset:         80
        .size:           8
        .value_kind:     global_buffer
      - .offset:         88
        .size:           8
        .value_kind:     by_value
      - .offset:         96
        .size:           4
        .value_kind:     hidden_block_count_x
      - .offset:         100
        .size:           4
        .value_kind:     hidden_block_count_y
      - .offset:         104
        .size:           4
        .value_kind:     hidden_block_count_z
      - .offset:         108
        .size:           2
        .value_kind:     hidden_group_size_x
      - .offset:         110
        .size:           2
        .value_kind:     hidden_group_size_y
      - .offset:         112
        .size:           2
        .value_kind:     hidden_group_size_z
      - .offset:         114
        .size:           2
        .value_kind:     hidden_remainder_x
      - .offset:         116
        .size:           2
        .value_kind:     hidden_remainder_y
      - .offset:         118
        .size:           2
        .value_kind:     hidden_remainder_z
      - .offset:         136
        .size:           8
        .value_kind:     hidden_global_offset_x
      - .offset:         144
        .size:           8
        .value_kind:     hidden_global_offset_y
      - .offset:         152
        .size:           8
        .value_kind:     hidden_global_offset_z
      - .offset:         160
        .size:           2
        .value_kind:     hidden_grid_dims
      - .offset:         216
        .size:           4
        .value_kind:     hidden_dynamic_lds_size
    .group_segment_fixed_size: 0
    .kernarg_segment_align: 8
    .kernarg_segment_size: 352
    .language:       OpenCL C
    .language_version:
      - 2
      - 0
    .max_flat_workgroup_size: 512
    .name:           _ZN9rocsolver6v33100L18getf2_small_kernelILi48EfiiPfEEvT1_T3_lS3_lPS3_llPT2_S3_S3_S5_l
    .private_segment_fixed_size: 0
    .sgpr_count:     32
    .sgpr_spill_count: 0
    .symbol:         _ZN9rocsolver6v33100L18getf2_small_kernelILi48EfiiPfEEvT1_T3_lS3_lPS3_llPT2_S3_S3_S5_l.kd
    .uniform_work_group_size: 1
    .uses_dynamic_stack: false
    .vgpr_count:     72
    .vgpr_spill_count: 0
    .wavefront_size: 64
  - .agpr_count:     0
    .args:
      - .offset:         0
        .size:           4
        .value_kind:     by_value
      - .address_space:  global
        .offset:         8
        .size:           8
        .value_kind:     global_buffer
      - .offset:         16
        .size:           8
        .value_kind:     by_value
      - .offset:         24
        .size:           4
        .value_kind:     by_value
      - .offset:         32
        .size:           8
        .value_kind:     by_value
      - .address_space:  global
        .offset:         40
        .size:           8
        .value_kind:     global_buffer
      - .offset:         48
        .size:           4
        .value_kind:     by_value
      - .offset:         52
        .size:           4
        .value_kind:     by_value
      - .offset:         56
        .size:           4
        .value_kind:     hidden_block_count_x
      - .offset:         60
        .size:           4
        .value_kind:     hidden_block_count_y
      - .offset:         64
        .size:           4
        .value_kind:     hidden_block_count_z
      - .offset:         68
        .size:           2
        .value_kind:     hidden_group_size_x
      - .offset:         70
        .size:           2
        .value_kind:     hidden_group_size_y
      - .offset:         72
        .size:           2
        .value_kind:     hidden_group_size_z
      - .offset:         74
        .size:           2
        .value_kind:     hidden_remainder_x
      - .offset:         76
        .size:           2
        .value_kind:     hidden_remainder_y
      - .offset:         78
        .size:           2
        .value_kind:     hidden_remainder_z
      - .offset:         96
        .size:           8
        .value_kind:     hidden_global_offset_x
      - .offset:         104
        .size:           8
        .value_kind:     hidden_global_offset_y
      - .offset:         112
        .size:           8
        .value_kind:     hidden_global_offset_z
      - .offset:         120
        .size:           2
        .value_kind:     hidden_grid_dims
      - .offset:         176
        .size:           4
        .value_kind:     hidden_dynamic_lds_size
    .group_segment_fixed_size: 0
    .kernarg_segment_align: 8
    .kernarg_segment_size: 312
    .language:       OpenCL C
    .language_version:
      - 2
      - 0
    .max_flat_workgroup_size: 512
    .name:           _ZN9rocsolver6v33100L23getf2_npvt_small_kernelILi48EfiiPfEEvT1_T3_lS3_lPT2_S3_S3_
    .private_segment_fixed_size: 0
    .sgpr_count:     22
    .sgpr_spill_count: 0
    .symbol:         _ZN9rocsolver6v33100L23getf2_npvt_small_kernelILi48EfiiPfEEvT1_T3_lS3_lPT2_S3_S3_.kd
    .uniform_work_group_size: 1
    .uses_dynamic_stack: false
    .vgpr_count:     201
    .vgpr_spill_count: 0
    .wavefront_size: 64
  - .agpr_count:     0
    .args:
      - .offset:         0
        .size:           4
        .value_kind:     by_value
      - .address_space:  global
        .offset:         8
        .size:           8
        .value_kind:     global_buffer
      - .offset:         16
        .size:           8
        .value_kind:     by_value
      - .offset:         24
        .size:           4
        .value_kind:     by_value
      - .offset:         32
        .size:           8
        .value_kind:     by_value
      - .address_space:  global
        .offset:         40
        .size:           8
        .value_kind:     global_buffer
      - .offset:         48
        .size:           8
        .value_kind:     by_value
      - .offset:         56
        .size:           8
        .value_kind:     by_value
      - .address_space:  global
        .offset:         64
        .size:           8
        .value_kind:     global_buffer
      - .offset:         72
        .size:           4
        .value_kind:     by_value
      - .offset:         76
        .size:           4
        .value_kind:     by_value
      - .address_space:  global
        .offset:         80
        .size:           8
        .value_kind:     global_buffer
      - .offset:         88
        .size:           8
        .value_kind:     by_value
      - .offset:         96
        .size:           4
        .value_kind:     hidden_block_count_x
      - .offset:         100
        .size:           4
        .value_kind:     hidden_block_count_y
      - .offset:         104
        .size:           4
        .value_kind:     hidden_block_count_z
      - .offset:         108
        .size:           2
        .value_kind:     hidden_group_size_x
      - .offset:         110
        .size:           2
        .value_kind:     hidden_group_size_y
      - .offset:         112
        .size:           2
        .value_kind:     hidden_group_size_z
      - .offset:         114
        .size:           2
        .value_kind:     hidden_remainder_x
      - .offset:         116
        .size:           2
        .value_kind:     hidden_remainder_y
      - .offset:         118
        .size:           2
        .value_kind:     hidden_remainder_z
      - .offset:         136
        .size:           8
        .value_kind:     hidden_global_offset_x
      - .offset:         144
        .size:           8
        .value_kind:     hidden_global_offset_y
      - .offset:         152
        .size:           8
        .value_kind:     hidden_global_offset_z
      - .offset:         160
        .size:           2
        .value_kind:     hidden_grid_dims
      - .offset:         216
        .size:           4
        .value_kind:     hidden_dynamic_lds_size
    .group_segment_fixed_size: 0
    .kernarg_segment_align: 8
    .kernarg_segment_size: 352
    .language:       OpenCL C
    .language_version:
      - 2
      - 0
    .max_flat_workgroup_size: 512
    .name:           _ZN9rocsolver6v33100L18getf2_small_kernelILi49EfiiPfEEvT1_T3_lS3_lPS3_llPT2_S3_S3_S5_l
    .private_segment_fixed_size: 0
    .sgpr_count:     32
    .sgpr_spill_count: 0
    .symbol:         _ZN9rocsolver6v33100L18getf2_small_kernelILi49EfiiPfEEvT1_T3_lS3_lPS3_llPT2_S3_S3_S5_l.kd
    .uniform_work_group_size: 1
    .uses_dynamic_stack: false
    .vgpr_count:     76
    .vgpr_spill_count: 0
    .wavefront_size: 64
  - .agpr_count:     0
    .args:
      - .offset:         0
        .size:           4
        .value_kind:     by_value
      - .address_space:  global
        .offset:         8
        .size:           8
        .value_kind:     global_buffer
      - .offset:         16
        .size:           8
        .value_kind:     by_value
      - .offset:         24
        .size:           4
        .value_kind:     by_value
      - .offset:         32
        .size:           8
        .value_kind:     by_value
      - .address_space:  global
        .offset:         40
        .size:           8
        .value_kind:     global_buffer
      - .offset:         48
        .size:           4
        .value_kind:     by_value
      - .offset:         52
        .size:           4
        .value_kind:     by_value
      - .offset:         56
        .size:           4
        .value_kind:     hidden_block_count_x
      - .offset:         60
        .size:           4
        .value_kind:     hidden_block_count_y
      - .offset:         64
        .size:           4
        .value_kind:     hidden_block_count_z
      - .offset:         68
        .size:           2
        .value_kind:     hidden_group_size_x
      - .offset:         70
        .size:           2
        .value_kind:     hidden_group_size_y
      - .offset:         72
        .size:           2
        .value_kind:     hidden_group_size_z
      - .offset:         74
        .size:           2
        .value_kind:     hidden_remainder_x
      - .offset:         76
        .size:           2
        .value_kind:     hidden_remainder_y
      - .offset:         78
        .size:           2
        .value_kind:     hidden_remainder_z
      - .offset:         96
        .size:           8
        .value_kind:     hidden_global_offset_x
      - .offset:         104
        .size:           8
        .value_kind:     hidden_global_offset_y
      - .offset:         112
        .size:           8
        .value_kind:     hidden_global_offset_z
      - .offset:         120
        .size:           2
        .value_kind:     hidden_grid_dims
      - .offset:         176
        .size:           4
        .value_kind:     hidden_dynamic_lds_size
    .group_segment_fixed_size: 0
    .kernarg_segment_align: 8
    .kernarg_segment_size: 312
    .language:       OpenCL C
    .language_version:
      - 2
      - 0
    .max_flat_workgroup_size: 512
    .name:           _ZN9rocsolver6v33100L23getf2_npvt_small_kernelILi49EfiiPfEEvT1_T3_lS3_lPT2_S3_S3_
    .private_segment_fixed_size: 0
    .sgpr_count:     22
    .sgpr_spill_count: 0
    .symbol:         _ZN9rocsolver6v33100L23getf2_npvt_small_kernelILi49EfiiPfEEvT1_T3_lS3_lPT2_S3_S3_.kd
    .uniform_work_group_size: 1
    .uses_dynamic_stack: false
    .vgpr_count:     205
    .vgpr_spill_count: 0
    .wavefront_size: 64
  - .agpr_count:     0
    .args:
      - .offset:         0
        .size:           4
        .value_kind:     by_value
      - .address_space:  global
        .offset:         8
        .size:           8
        .value_kind:     global_buffer
      - .offset:         16
        .size:           8
        .value_kind:     by_value
      - .offset:         24
        .size:           4
        .value_kind:     by_value
      - .offset:         32
        .size:           8
        .value_kind:     by_value
      - .address_space:  global
        .offset:         40
        .size:           8
        .value_kind:     global_buffer
      - .offset:         48
        .size:           8
        .value_kind:     by_value
      - .offset:         56
        .size:           8
        .value_kind:     by_value
      - .address_space:  global
        .offset:         64
        .size:           8
        .value_kind:     global_buffer
      - .offset:         72
        .size:           4
        .value_kind:     by_value
      - .offset:         76
        .size:           4
        .value_kind:     by_value
      - .address_space:  global
        .offset:         80
        .size:           8
        .value_kind:     global_buffer
      - .offset:         88
        .size:           8
        .value_kind:     by_value
      - .offset:         96
        .size:           4
        .value_kind:     hidden_block_count_x
      - .offset:         100
        .size:           4
        .value_kind:     hidden_block_count_y
      - .offset:         104
        .size:           4
        .value_kind:     hidden_block_count_z
      - .offset:         108
        .size:           2
        .value_kind:     hidden_group_size_x
      - .offset:         110
        .size:           2
        .value_kind:     hidden_group_size_y
      - .offset:         112
        .size:           2
        .value_kind:     hidden_group_size_z
      - .offset:         114
        .size:           2
        .value_kind:     hidden_remainder_x
      - .offset:         116
        .size:           2
        .value_kind:     hidden_remainder_y
      - .offset:         118
        .size:           2
        .value_kind:     hidden_remainder_z
      - .offset:         136
        .size:           8
        .value_kind:     hidden_global_offset_x
      - .offset:         144
        .size:           8
        .value_kind:     hidden_global_offset_y
      - .offset:         152
        .size:           8
        .value_kind:     hidden_global_offset_z
      - .offset:         160
        .size:           2
        .value_kind:     hidden_grid_dims
      - .offset:         216
        .size:           4
        .value_kind:     hidden_dynamic_lds_size
    .group_segment_fixed_size: 0
    .kernarg_segment_align: 8
    .kernarg_segment_size: 352
    .language:       OpenCL C
    .language_version:
      - 2
      - 0
    .max_flat_workgroup_size: 512
    .name:           _ZN9rocsolver6v33100L18getf2_small_kernelILi50EfiiPfEEvT1_T3_lS3_lPS3_llPT2_S3_S3_S5_l
    .private_segment_fixed_size: 0
    .sgpr_count:     32
    .sgpr_spill_count: 0
    .symbol:         _ZN9rocsolver6v33100L18getf2_small_kernelILi50EfiiPfEEvT1_T3_lS3_lPS3_llPT2_S3_S3_S5_l.kd
    .uniform_work_group_size: 1
    .uses_dynamic_stack: false
    .vgpr_count:     78
    .vgpr_spill_count: 0
    .wavefront_size: 64
  - .agpr_count:     0
    .args:
      - .offset:         0
        .size:           4
        .value_kind:     by_value
      - .address_space:  global
        .offset:         8
        .size:           8
        .value_kind:     global_buffer
      - .offset:         16
        .size:           8
        .value_kind:     by_value
      - .offset:         24
        .size:           4
        .value_kind:     by_value
      - .offset:         32
        .size:           8
        .value_kind:     by_value
      - .address_space:  global
        .offset:         40
        .size:           8
        .value_kind:     global_buffer
      - .offset:         48
        .size:           4
        .value_kind:     by_value
      - .offset:         52
        .size:           4
        .value_kind:     by_value
      - .offset:         56
        .size:           4
        .value_kind:     hidden_block_count_x
      - .offset:         60
        .size:           4
        .value_kind:     hidden_block_count_y
      - .offset:         64
        .size:           4
        .value_kind:     hidden_block_count_z
      - .offset:         68
        .size:           2
        .value_kind:     hidden_group_size_x
      - .offset:         70
        .size:           2
        .value_kind:     hidden_group_size_y
      - .offset:         72
        .size:           2
        .value_kind:     hidden_group_size_z
      - .offset:         74
        .size:           2
        .value_kind:     hidden_remainder_x
      - .offset:         76
        .size:           2
        .value_kind:     hidden_remainder_y
      - .offset:         78
        .size:           2
        .value_kind:     hidden_remainder_z
      - .offset:         96
        .size:           8
        .value_kind:     hidden_global_offset_x
      - .offset:         104
        .size:           8
        .value_kind:     hidden_global_offset_y
      - .offset:         112
        .size:           8
        .value_kind:     hidden_global_offset_z
      - .offset:         120
        .size:           2
        .value_kind:     hidden_grid_dims
      - .offset:         176
        .size:           4
        .value_kind:     hidden_dynamic_lds_size
    .group_segment_fixed_size: 0
    .kernarg_segment_align: 8
    .kernarg_segment_size: 312
    .language:       OpenCL C
    .language_version:
      - 2
      - 0
    .max_flat_workgroup_size: 512
    .name:           _ZN9rocsolver6v33100L23getf2_npvt_small_kernelILi50EfiiPfEEvT1_T3_lS3_lPT2_S3_S3_
    .private_segment_fixed_size: 0
    .sgpr_count:     22
    .sgpr_spill_count: 0
    .symbol:         _ZN9rocsolver6v33100L23getf2_npvt_small_kernelILi50EfiiPfEEvT1_T3_lS3_lPT2_S3_S3_.kd
    .uniform_work_group_size: 1
    .uses_dynamic_stack: false
    .vgpr_count:     209
    .vgpr_spill_count: 0
    .wavefront_size: 64
  - .agpr_count:     0
    .args:
      - .offset:         0
        .size:           4
        .value_kind:     by_value
      - .address_space:  global
        .offset:         8
        .size:           8
        .value_kind:     global_buffer
      - .offset:         16
        .size:           8
        .value_kind:     by_value
      - .offset:         24
        .size:           4
        .value_kind:     by_value
      - .offset:         32
        .size:           8
        .value_kind:     by_value
      - .address_space:  global
        .offset:         40
        .size:           8
        .value_kind:     global_buffer
      - .offset:         48
        .size:           8
        .value_kind:     by_value
      - .offset:         56
        .size:           8
        .value_kind:     by_value
      - .address_space:  global
        .offset:         64
        .size:           8
        .value_kind:     global_buffer
      - .offset:         72
        .size:           4
        .value_kind:     by_value
      - .offset:         76
        .size:           4
        .value_kind:     by_value
      - .address_space:  global
        .offset:         80
        .size:           8
        .value_kind:     global_buffer
      - .offset:         88
        .size:           8
        .value_kind:     by_value
      - .offset:         96
        .size:           4
        .value_kind:     hidden_block_count_x
      - .offset:         100
        .size:           4
        .value_kind:     hidden_block_count_y
      - .offset:         104
        .size:           4
        .value_kind:     hidden_block_count_z
      - .offset:         108
        .size:           2
        .value_kind:     hidden_group_size_x
      - .offset:         110
        .size:           2
        .value_kind:     hidden_group_size_y
      - .offset:         112
        .size:           2
        .value_kind:     hidden_group_size_z
      - .offset:         114
        .size:           2
        .value_kind:     hidden_remainder_x
      - .offset:         116
        .size:           2
        .value_kind:     hidden_remainder_y
      - .offset:         118
        .size:           2
        .value_kind:     hidden_remainder_z
      - .offset:         136
        .size:           8
        .value_kind:     hidden_global_offset_x
      - .offset:         144
        .size:           8
        .value_kind:     hidden_global_offset_y
      - .offset:         152
        .size:           8
        .value_kind:     hidden_global_offset_z
      - .offset:         160
        .size:           2
        .value_kind:     hidden_grid_dims
      - .offset:         216
        .size:           4
        .value_kind:     hidden_dynamic_lds_size
    .group_segment_fixed_size: 0
    .kernarg_segment_align: 8
    .kernarg_segment_size: 352
    .language:       OpenCL C
    .language_version:
      - 2
      - 0
    .max_flat_workgroup_size: 512
    .name:           _ZN9rocsolver6v33100L18getf2_small_kernelILi51EfiiPfEEvT1_T3_lS3_lPS3_llPT2_S3_S3_S5_l
    .private_segment_fixed_size: 0
    .sgpr_count:     32
    .sgpr_spill_count: 0
    .symbol:         _ZN9rocsolver6v33100L18getf2_small_kernelILi51EfiiPfEEvT1_T3_lS3_lPS3_llPT2_S3_S3_S5_l.kd
    .uniform_work_group_size: 1
    .uses_dynamic_stack: false
    .vgpr_count:     80
    .vgpr_spill_count: 0
    .wavefront_size: 64
  - .agpr_count:     0
    .args:
      - .offset:         0
        .size:           4
        .value_kind:     by_value
      - .address_space:  global
        .offset:         8
        .size:           8
        .value_kind:     global_buffer
      - .offset:         16
        .size:           8
        .value_kind:     by_value
      - .offset:         24
        .size:           4
        .value_kind:     by_value
      - .offset:         32
        .size:           8
        .value_kind:     by_value
      - .address_space:  global
        .offset:         40
        .size:           8
        .value_kind:     global_buffer
      - .offset:         48
        .size:           4
        .value_kind:     by_value
      - .offset:         52
        .size:           4
        .value_kind:     by_value
      - .offset:         56
        .size:           4
        .value_kind:     hidden_block_count_x
      - .offset:         60
        .size:           4
        .value_kind:     hidden_block_count_y
      - .offset:         64
        .size:           4
        .value_kind:     hidden_block_count_z
      - .offset:         68
        .size:           2
        .value_kind:     hidden_group_size_x
      - .offset:         70
        .size:           2
        .value_kind:     hidden_group_size_y
      - .offset:         72
        .size:           2
        .value_kind:     hidden_group_size_z
      - .offset:         74
        .size:           2
        .value_kind:     hidden_remainder_x
      - .offset:         76
        .size:           2
        .value_kind:     hidden_remainder_y
      - .offset:         78
        .size:           2
        .value_kind:     hidden_remainder_z
      - .offset:         96
        .size:           8
        .value_kind:     hidden_global_offset_x
      - .offset:         104
        .size:           8
        .value_kind:     hidden_global_offset_y
      - .offset:         112
        .size:           8
        .value_kind:     hidden_global_offset_z
      - .offset:         120
        .size:           2
        .value_kind:     hidden_grid_dims
      - .offset:         176
        .size:           4
        .value_kind:     hidden_dynamic_lds_size
    .group_segment_fixed_size: 0
    .kernarg_segment_align: 8
    .kernarg_segment_size: 312
    .language:       OpenCL C
    .language_version:
      - 2
      - 0
    .max_flat_workgroup_size: 512
    .name:           _ZN9rocsolver6v33100L23getf2_npvt_small_kernelILi51EfiiPfEEvT1_T3_lS3_lPT2_S3_S3_
    .private_segment_fixed_size: 0
    .sgpr_count:     22
    .sgpr_spill_count: 0
    .symbol:         _ZN9rocsolver6v33100L23getf2_npvt_small_kernelILi51EfiiPfEEvT1_T3_lS3_lPT2_S3_S3_.kd
    .uniform_work_group_size: 1
    .uses_dynamic_stack: false
    .vgpr_count:     213
    .vgpr_spill_count: 0
    .wavefront_size: 64
  - .agpr_count:     0
    .args:
      - .offset:         0
        .size:           4
        .value_kind:     by_value
      - .address_space:  global
        .offset:         8
        .size:           8
        .value_kind:     global_buffer
      - .offset:         16
        .size:           8
        .value_kind:     by_value
      - .offset:         24
        .size:           4
        .value_kind:     by_value
      - .offset:         32
        .size:           8
        .value_kind:     by_value
      - .address_space:  global
        .offset:         40
        .size:           8
        .value_kind:     global_buffer
      - .offset:         48
        .size:           8
        .value_kind:     by_value
      - .offset:         56
        .size:           8
        .value_kind:     by_value
      - .address_space:  global
        .offset:         64
        .size:           8
        .value_kind:     global_buffer
      - .offset:         72
        .size:           4
        .value_kind:     by_value
      - .offset:         76
        .size:           4
        .value_kind:     by_value
      - .address_space:  global
        .offset:         80
        .size:           8
        .value_kind:     global_buffer
      - .offset:         88
        .size:           8
        .value_kind:     by_value
      - .offset:         96
        .size:           4
        .value_kind:     hidden_block_count_x
      - .offset:         100
        .size:           4
        .value_kind:     hidden_block_count_y
      - .offset:         104
        .size:           4
        .value_kind:     hidden_block_count_z
      - .offset:         108
        .size:           2
        .value_kind:     hidden_group_size_x
      - .offset:         110
        .size:           2
        .value_kind:     hidden_group_size_y
      - .offset:         112
        .size:           2
        .value_kind:     hidden_group_size_z
      - .offset:         114
        .size:           2
        .value_kind:     hidden_remainder_x
      - .offset:         116
        .size:           2
        .value_kind:     hidden_remainder_y
      - .offset:         118
        .size:           2
        .value_kind:     hidden_remainder_z
      - .offset:         136
        .size:           8
        .value_kind:     hidden_global_offset_x
      - .offset:         144
        .size:           8
        .value_kind:     hidden_global_offset_y
      - .offset:         152
        .size:           8
        .value_kind:     hidden_global_offset_z
      - .offset:         160
        .size:           2
        .value_kind:     hidden_grid_dims
      - .offset:         216
        .size:           4
        .value_kind:     hidden_dynamic_lds_size
    .group_segment_fixed_size: 0
    .kernarg_segment_align: 8
    .kernarg_segment_size: 352
    .language:       OpenCL C
    .language_version:
      - 2
      - 0
    .max_flat_workgroup_size: 512
    .name:           _ZN9rocsolver6v33100L18getf2_small_kernelILi52EfiiPfEEvT1_T3_lS3_lPS3_llPT2_S3_S3_S5_l
    .private_segment_fixed_size: 0
    .sgpr_count:     32
    .sgpr_spill_count: 0
    .symbol:         _ZN9rocsolver6v33100L18getf2_small_kernelILi52EfiiPfEEvT1_T3_lS3_lPS3_llPT2_S3_S3_S5_l.kd
    .uniform_work_group_size: 1
    .uses_dynamic_stack: false
    .vgpr_count:     78
    .vgpr_spill_count: 0
    .wavefront_size: 64
  - .agpr_count:     0
    .args:
      - .offset:         0
        .size:           4
        .value_kind:     by_value
      - .address_space:  global
        .offset:         8
        .size:           8
        .value_kind:     global_buffer
      - .offset:         16
        .size:           8
        .value_kind:     by_value
      - .offset:         24
        .size:           4
        .value_kind:     by_value
      - .offset:         32
        .size:           8
        .value_kind:     by_value
      - .address_space:  global
        .offset:         40
        .size:           8
        .value_kind:     global_buffer
      - .offset:         48
        .size:           4
        .value_kind:     by_value
      - .offset:         52
        .size:           4
        .value_kind:     by_value
      - .offset:         56
        .size:           4
        .value_kind:     hidden_block_count_x
      - .offset:         60
        .size:           4
        .value_kind:     hidden_block_count_y
      - .offset:         64
        .size:           4
        .value_kind:     hidden_block_count_z
      - .offset:         68
        .size:           2
        .value_kind:     hidden_group_size_x
      - .offset:         70
        .size:           2
        .value_kind:     hidden_group_size_y
      - .offset:         72
        .size:           2
        .value_kind:     hidden_group_size_z
      - .offset:         74
        .size:           2
        .value_kind:     hidden_remainder_x
      - .offset:         76
        .size:           2
        .value_kind:     hidden_remainder_y
      - .offset:         78
        .size:           2
        .value_kind:     hidden_remainder_z
      - .offset:         96
        .size:           8
        .value_kind:     hidden_global_offset_x
      - .offset:         104
        .size:           8
        .value_kind:     hidden_global_offset_y
      - .offset:         112
        .size:           8
        .value_kind:     hidden_global_offset_z
      - .offset:         120
        .size:           2
        .value_kind:     hidden_grid_dims
      - .offset:         176
        .size:           4
        .value_kind:     hidden_dynamic_lds_size
    .group_segment_fixed_size: 0
    .kernarg_segment_align: 8
    .kernarg_segment_size: 312
    .language:       OpenCL C
    .language_version:
      - 2
      - 0
    .max_flat_workgroup_size: 512
    .name:           _ZN9rocsolver6v33100L23getf2_npvt_small_kernelILi52EfiiPfEEvT1_T3_lS3_lPT2_S3_S3_
    .private_segment_fixed_size: 0
    .sgpr_count:     22
    .sgpr_spill_count: 0
    .symbol:         _ZN9rocsolver6v33100L23getf2_npvt_small_kernelILi52EfiiPfEEvT1_T3_lS3_lPT2_S3_S3_.kd
    .uniform_work_group_size: 1
    .uses_dynamic_stack: false
    .vgpr_count:     217
    .vgpr_spill_count: 0
    .wavefront_size: 64
  - .agpr_count:     0
    .args:
      - .offset:         0
        .size:           4
        .value_kind:     by_value
      - .address_space:  global
        .offset:         8
        .size:           8
        .value_kind:     global_buffer
      - .offset:         16
        .size:           8
        .value_kind:     by_value
      - .offset:         24
        .size:           4
        .value_kind:     by_value
      - .offset:         32
        .size:           8
        .value_kind:     by_value
      - .address_space:  global
        .offset:         40
        .size:           8
        .value_kind:     global_buffer
      - .offset:         48
        .size:           8
        .value_kind:     by_value
      - .offset:         56
        .size:           8
        .value_kind:     by_value
      - .address_space:  global
        .offset:         64
        .size:           8
        .value_kind:     global_buffer
      - .offset:         72
        .size:           4
        .value_kind:     by_value
      - .offset:         76
        .size:           4
        .value_kind:     by_value
      - .address_space:  global
        .offset:         80
        .size:           8
        .value_kind:     global_buffer
      - .offset:         88
        .size:           8
        .value_kind:     by_value
      - .offset:         96
        .size:           4
        .value_kind:     hidden_block_count_x
      - .offset:         100
        .size:           4
        .value_kind:     hidden_block_count_y
      - .offset:         104
        .size:           4
        .value_kind:     hidden_block_count_z
      - .offset:         108
        .size:           2
        .value_kind:     hidden_group_size_x
      - .offset:         110
        .size:           2
        .value_kind:     hidden_group_size_y
      - .offset:         112
        .size:           2
        .value_kind:     hidden_group_size_z
      - .offset:         114
        .size:           2
        .value_kind:     hidden_remainder_x
      - .offset:         116
        .size:           2
        .value_kind:     hidden_remainder_y
      - .offset:         118
        .size:           2
        .value_kind:     hidden_remainder_z
      - .offset:         136
        .size:           8
        .value_kind:     hidden_global_offset_x
      - .offset:         144
        .size:           8
        .value_kind:     hidden_global_offset_y
      - .offset:         152
        .size:           8
        .value_kind:     hidden_global_offset_z
      - .offset:         160
        .size:           2
        .value_kind:     hidden_grid_dims
      - .offset:         216
        .size:           4
        .value_kind:     hidden_dynamic_lds_size
    .group_segment_fixed_size: 0
    .kernarg_segment_align: 8
    .kernarg_segment_size: 352
    .language:       OpenCL C
    .language_version:
      - 2
      - 0
    .max_flat_workgroup_size: 512
    .name:           _ZN9rocsolver6v33100L18getf2_small_kernelILi53EfiiPfEEvT1_T3_lS3_lPS3_llPT2_S3_S3_S5_l
    .private_segment_fixed_size: 0
    .sgpr_count:     32
    .sgpr_spill_count: 0
    .symbol:         _ZN9rocsolver6v33100L18getf2_small_kernelILi53EfiiPfEEvT1_T3_lS3_lPS3_llPT2_S3_S3_S5_l.kd
    .uniform_work_group_size: 1
    .uses_dynamic_stack: false
    .vgpr_count:     78
    .vgpr_spill_count: 0
    .wavefront_size: 64
  - .agpr_count:     0
    .args:
      - .offset:         0
        .size:           4
        .value_kind:     by_value
      - .address_space:  global
        .offset:         8
        .size:           8
        .value_kind:     global_buffer
      - .offset:         16
        .size:           8
        .value_kind:     by_value
      - .offset:         24
        .size:           4
        .value_kind:     by_value
      - .offset:         32
        .size:           8
        .value_kind:     by_value
      - .address_space:  global
        .offset:         40
        .size:           8
        .value_kind:     global_buffer
      - .offset:         48
        .size:           4
        .value_kind:     by_value
      - .offset:         52
        .size:           4
        .value_kind:     by_value
      - .offset:         56
        .size:           4
        .value_kind:     hidden_block_count_x
      - .offset:         60
        .size:           4
        .value_kind:     hidden_block_count_y
      - .offset:         64
        .size:           4
        .value_kind:     hidden_block_count_z
      - .offset:         68
        .size:           2
        .value_kind:     hidden_group_size_x
      - .offset:         70
        .size:           2
        .value_kind:     hidden_group_size_y
      - .offset:         72
        .size:           2
        .value_kind:     hidden_group_size_z
      - .offset:         74
        .size:           2
        .value_kind:     hidden_remainder_x
      - .offset:         76
        .size:           2
        .value_kind:     hidden_remainder_y
      - .offset:         78
        .size:           2
        .value_kind:     hidden_remainder_z
      - .offset:         96
        .size:           8
        .value_kind:     hidden_global_offset_x
      - .offset:         104
        .size:           8
        .value_kind:     hidden_global_offset_y
      - .offset:         112
        .size:           8
        .value_kind:     hidden_global_offset_z
      - .offset:         120
        .size:           2
        .value_kind:     hidden_grid_dims
      - .offset:         176
        .size:           4
        .value_kind:     hidden_dynamic_lds_size
    .group_segment_fixed_size: 0
    .kernarg_segment_align: 8
    .kernarg_segment_size: 312
    .language:       OpenCL C
    .language_version:
      - 2
      - 0
    .max_flat_workgroup_size: 512
    .name:           _ZN9rocsolver6v33100L23getf2_npvt_small_kernelILi53EfiiPfEEvT1_T3_lS3_lPT2_S3_S3_
    .private_segment_fixed_size: 0
    .sgpr_count:     22
    .sgpr_spill_count: 0
    .symbol:         _ZN9rocsolver6v33100L23getf2_npvt_small_kernelILi53EfiiPfEEvT1_T3_lS3_lPT2_S3_S3_.kd
    .uniform_work_group_size: 1
    .uses_dynamic_stack: false
    .vgpr_count:     221
    .vgpr_spill_count: 0
    .wavefront_size: 64
  - .agpr_count:     0
    .args:
      - .offset:         0
        .size:           4
        .value_kind:     by_value
      - .address_space:  global
        .offset:         8
        .size:           8
        .value_kind:     global_buffer
      - .offset:         16
        .size:           8
        .value_kind:     by_value
      - .offset:         24
        .size:           4
        .value_kind:     by_value
      - .offset:         32
        .size:           8
        .value_kind:     by_value
      - .address_space:  global
        .offset:         40
        .size:           8
        .value_kind:     global_buffer
      - .offset:         48
        .size:           8
        .value_kind:     by_value
      - .offset:         56
        .size:           8
        .value_kind:     by_value
      - .address_space:  global
        .offset:         64
        .size:           8
        .value_kind:     global_buffer
      - .offset:         72
        .size:           4
        .value_kind:     by_value
      - .offset:         76
        .size:           4
        .value_kind:     by_value
      - .address_space:  global
        .offset:         80
        .size:           8
        .value_kind:     global_buffer
      - .offset:         88
        .size:           8
        .value_kind:     by_value
      - .offset:         96
        .size:           4
        .value_kind:     hidden_block_count_x
      - .offset:         100
        .size:           4
        .value_kind:     hidden_block_count_y
      - .offset:         104
        .size:           4
        .value_kind:     hidden_block_count_z
      - .offset:         108
        .size:           2
        .value_kind:     hidden_group_size_x
      - .offset:         110
        .size:           2
        .value_kind:     hidden_group_size_y
      - .offset:         112
        .size:           2
        .value_kind:     hidden_group_size_z
      - .offset:         114
        .size:           2
        .value_kind:     hidden_remainder_x
      - .offset:         116
        .size:           2
        .value_kind:     hidden_remainder_y
      - .offset:         118
        .size:           2
        .value_kind:     hidden_remainder_z
      - .offset:         136
        .size:           8
        .value_kind:     hidden_global_offset_x
      - .offset:         144
        .size:           8
        .value_kind:     hidden_global_offset_y
      - .offset:         152
        .size:           8
        .value_kind:     hidden_global_offset_z
      - .offset:         160
        .size:           2
        .value_kind:     hidden_grid_dims
      - .offset:         216
        .size:           4
        .value_kind:     hidden_dynamic_lds_size
    .group_segment_fixed_size: 0
    .kernarg_segment_align: 8
    .kernarg_segment_size: 352
    .language:       OpenCL C
    .language_version:
      - 2
      - 0
    .max_flat_workgroup_size: 512
    .name:           _ZN9rocsolver6v33100L18getf2_small_kernelILi54EfiiPfEEvT1_T3_lS3_lPS3_llPT2_S3_S3_S5_l
    .private_segment_fixed_size: 0
    .sgpr_count:     32
    .sgpr_spill_count: 0
    .symbol:         _ZN9rocsolver6v33100L18getf2_small_kernelILi54EfiiPfEEvT1_T3_lS3_lPS3_llPT2_S3_S3_S5_l.kd
    .uniform_work_group_size: 1
    .uses_dynamic_stack: false
    .vgpr_count:     76
    .vgpr_spill_count: 0
    .wavefront_size: 64
  - .agpr_count:     0
    .args:
      - .offset:         0
        .size:           4
        .value_kind:     by_value
      - .address_space:  global
        .offset:         8
        .size:           8
        .value_kind:     global_buffer
      - .offset:         16
        .size:           8
        .value_kind:     by_value
      - .offset:         24
        .size:           4
        .value_kind:     by_value
      - .offset:         32
        .size:           8
        .value_kind:     by_value
      - .address_space:  global
        .offset:         40
        .size:           8
        .value_kind:     global_buffer
      - .offset:         48
        .size:           4
        .value_kind:     by_value
      - .offset:         52
        .size:           4
        .value_kind:     by_value
      - .offset:         56
        .size:           4
        .value_kind:     hidden_block_count_x
      - .offset:         60
        .size:           4
        .value_kind:     hidden_block_count_y
      - .offset:         64
        .size:           4
        .value_kind:     hidden_block_count_z
      - .offset:         68
        .size:           2
        .value_kind:     hidden_group_size_x
      - .offset:         70
        .size:           2
        .value_kind:     hidden_group_size_y
      - .offset:         72
        .size:           2
        .value_kind:     hidden_group_size_z
      - .offset:         74
        .size:           2
        .value_kind:     hidden_remainder_x
      - .offset:         76
        .size:           2
        .value_kind:     hidden_remainder_y
      - .offset:         78
        .size:           2
        .value_kind:     hidden_remainder_z
      - .offset:         96
        .size:           8
        .value_kind:     hidden_global_offset_x
      - .offset:         104
        .size:           8
        .value_kind:     hidden_global_offset_y
      - .offset:         112
        .size:           8
        .value_kind:     hidden_global_offset_z
      - .offset:         120
        .size:           2
        .value_kind:     hidden_grid_dims
      - .offset:         176
        .size:           4
        .value_kind:     hidden_dynamic_lds_size
    .group_segment_fixed_size: 0
    .kernarg_segment_align: 8
    .kernarg_segment_size: 312
    .language:       OpenCL C
    .language_version:
      - 2
      - 0
    .max_flat_workgroup_size: 512
    .name:           _ZN9rocsolver6v33100L23getf2_npvt_small_kernelILi54EfiiPfEEvT1_T3_lS3_lPT2_S3_S3_
    .private_segment_fixed_size: 0
    .sgpr_count:     22
    .sgpr_spill_count: 0
    .symbol:         _ZN9rocsolver6v33100L23getf2_npvt_small_kernelILi54EfiiPfEEvT1_T3_lS3_lPT2_S3_S3_.kd
    .uniform_work_group_size: 1
    .uses_dynamic_stack: false
    .vgpr_count:     225
    .vgpr_spill_count: 0
    .wavefront_size: 64
  - .agpr_count:     0
    .args:
      - .offset:         0
        .size:           4
        .value_kind:     by_value
      - .address_space:  global
        .offset:         8
        .size:           8
        .value_kind:     global_buffer
      - .offset:         16
        .size:           8
        .value_kind:     by_value
      - .offset:         24
        .size:           4
        .value_kind:     by_value
      - .offset:         32
        .size:           8
        .value_kind:     by_value
      - .address_space:  global
        .offset:         40
        .size:           8
        .value_kind:     global_buffer
      - .offset:         48
        .size:           8
        .value_kind:     by_value
      - .offset:         56
        .size:           8
        .value_kind:     by_value
      - .address_space:  global
        .offset:         64
        .size:           8
        .value_kind:     global_buffer
      - .offset:         72
        .size:           4
        .value_kind:     by_value
      - .offset:         76
        .size:           4
        .value_kind:     by_value
      - .address_space:  global
        .offset:         80
        .size:           8
        .value_kind:     global_buffer
      - .offset:         88
        .size:           8
        .value_kind:     by_value
      - .offset:         96
        .size:           4
        .value_kind:     hidden_block_count_x
      - .offset:         100
        .size:           4
        .value_kind:     hidden_block_count_y
      - .offset:         104
        .size:           4
        .value_kind:     hidden_block_count_z
      - .offset:         108
        .size:           2
        .value_kind:     hidden_group_size_x
      - .offset:         110
        .size:           2
        .value_kind:     hidden_group_size_y
      - .offset:         112
        .size:           2
        .value_kind:     hidden_group_size_z
      - .offset:         114
        .size:           2
        .value_kind:     hidden_remainder_x
      - .offset:         116
        .size:           2
        .value_kind:     hidden_remainder_y
      - .offset:         118
        .size:           2
        .value_kind:     hidden_remainder_z
      - .offset:         136
        .size:           8
        .value_kind:     hidden_global_offset_x
      - .offset:         144
        .size:           8
        .value_kind:     hidden_global_offset_y
      - .offset:         152
        .size:           8
        .value_kind:     hidden_global_offset_z
      - .offset:         160
        .size:           2
        .value_kind:     hidden_grid_dims
      - .offset:         216
        .size:           4
        .value_kind:     hidden_dynamic_lds_size
    .group_segment_fixed_size: 0
    .kernarg_segment_align: 8
    .kernarg_segment_size: 352
    .language:       OpenCL C
    .language_version:
      - 2
      - 0
    .max_flat_workgroup_size: 512
    .name:           _ZN9rocsolver6v33100L18getf2_small_kernelILi55EfiiPfEEvT1_T3_lS3_lPS3_llPT2_S3_S3_S5_l
    .private_segment_fixed_size: 0
    .sgpr_count:     32
    .sgpr_spill_count: 0
    .symbol:         _ZN9rocsolver6v33100L18getf2_small_kernelILi55EfiiPfEEvT1_T3_lS3_lPS3_llPT2_S3_S3_S5_l.kd
    .uniform_work_group_size: 1
    .uses_dynamic_stack: false
    .vgpr_count:     86
    .vgpr_spill_count: 0
    .wavefront_size: 64
  - .agpr_count:     0
    .args:
      - .offset:         0
        .size:           4
        .value_kind:     by_value
      - .address_space:  global
        .offset:         8
        .size:           8
        .value_kind:     global_buffer
      - .offset:         16
        .size:           8
        .value_kind:     by_value
      - .offset:         24
        .size:           4
        .value_kind:     by_value
      - .offset:         32
        .size:           8
        .value_kind:     by_value
      - .address_space:  global
        .offset:         40
        .size:           8
        .value_kind:     global_buffer
      - .offset:         48
        .size:           4
        .value_kind:     by_value
      - .offset:         52
        .size:           4
        .value_kind:     by_value
      - .offset:         56
        .size:           4
        .value_kind:     hidden_block_count_x
      - .offset:         60
        .size:           4
        .value_kind:     hidden_block_count_y
      - .offset:         64
        .size:           4
        .value_kind:     hidden_block_count_z
      - .offset:         68
        .size:           2
        .value_kind:     hidden_group_size_x
      - .offset:         70
        .size:           2
        .value_kind:     hidden_group_size_y
      - .offset:         72
        .size:           2
        .value_kind:     hidden_group_size_z
      - .offset:         74
        .size:           2
        .value_kind:     hidden_remainder_x
      - .offset:         76
        .size:           2
        .value_kind:     hidden_remainder_y
      - .offset:         78
        .size:           2
        .value_kind:     hidden_remainder_z
      - .offset:         96
        .size:           8
        .value_kind:     hidden_global_offset_x
      - .offset:         104
        .size:           8
        .value_kind:     hidden_global_offset_y
      - .offset:         112
        .size:           8
        .value_kind:     hidden_global_offset_z
      - .offset:         120
        .size:           2
        .value_kind:     hidden_grid_dims
      - .offset:         176
        .size:           4
        .value_kind:     hidden_dynamic_lds_size
    .group_segment_fixed_size: 0
    .kernarg_segment_align: 8
    .kernarg_segment_size: 312
    .language:       OpenCL C
    .language_version:
      - 2
      - 0
    .max_flat_workgroup_size: 512
    .name:           _ZN9rocsolver6v33100L23getf2_npvt_small_kernelILi55EfiiPfEEvT1_T3_lS3_lPT2_S3_S3_
    .private_segment_fixed_size: 0
    .sgpr_count:     22
    .sgpr_spill_count: 0
    .symbol:         _ZN9rocsolver6v33100L23getf2_npvt_small_kernelILi55EfiiPfEEvT1_T3_lS3_lPT2_S3_S3_.kd
    .uniform_work_group_size: 1
    .uses_dynamic_stack: false
    .vgpr_count:     229
    .vgpr_spill_count: 0
    .wavefront_size: 64
  - .agpr_count:     0
    .args:
      - .offset:         0
        .size:           4
        .value_kind:     by_value
      - .address_space:  global
        .offset:         8
        .size:           8
        .value_kind:     global_buffer
      - .offset:         16
        .size:           8
        .value_kind:     by_value
      - .offset:         24
        .size:           4
        .value_kind:     by_value
      - .offset:         32
        .size:           8
        .value_kind:     by_value
      - .address_space:  global
        .offset:         40
        .size:           8
        .value_kind:     global_buffer
      - .offset:         48
        .size:           8
        .value_kind:     by_value
      - .offset:         56
        .size:           8
        .value_kind:     by_value
      - .address_space:  global
        .offset:         64
        .size:           8
        .value_kind:     global_buffer
      - .offset:         72
        .size:           4
        .value_kind:     by_value
      - .offset:         76
        .size:           4
        .value_kind:     by_value
      - .address_space:  global
        .offset:         80
        .size:           8
        .value_kind:     global_buffer
      - .offset:         88
        .size:           8
        .value_kind:     by_value
      - .offset:         96
        .size:           4
        .value_kind:     hidden_block_count_x
      - .offset:         100
        .size:           4
        .value_kind:     hidden_block_count_y
      - .offset:         104
        .size:           4
        .value_kind:     hidden_block_count_z
      - .offset:         108
        .size:           2
        .value_kind:     hidden_group_size_x
      - .offset:         110
        .size:           2
        .value_kind:     hidden_group_size_y
      - .offset:         112
        .size:           2
        .value_kind:     hidden_group_size_z
      - .offset:         114
        .size:           2
        .value_kind:     hidden_remainder_x
      - .offset:         116
        .size:           2
        .value_kind:     hidden_remainder_y
      - .offset:         118
        .size:           2
        .value_kind:     hidden_remainder_z
      - .offset:         136
        .size:           8
        .value_kind:     hidden_global_offset_x
      - .offset:         144
        .size:           8
        .value_kind:     hidden_global_offset_y
      - .offset:         152
        .size:           8
        .value_kind:     hidden_global_offset_z
      - .offset:         160
        .size:           2
        .value_kind:     hidden_grid_dims
      - .offset:         216
        .size:           4
        .value_kind:     hidden_dynamic_lds_size
    .group_segment_fixed_size: 0
    .kernarg_segment_align: 8
    .kernarg_segment_size: 352
    .language:       OpenCL C
    .language_version:
      - 2
      - 0
    .max_flat_workgroup_size: 512
    .name:           _ZN9rocsolver6v33100L18getf2_small_kernelILi56EfiiPfEEvT1_T3_lS3_lPS3_llPT2_S3_S3_S5_l
    .private_segment_fixed_size: 0
    .sgpr_count:     32
    .sgpr_spill_count: 0
    .symbol:         _ZN9rocsolver6v33100L18getf2_small_kernelILi56EfiiPfEEvT1_T3_lS3_lPS3_llPT2_S3_S3_S5_l.kd
    .uniform_work_group_size: 1
    .uses_dynamic_stack: false
    .vgpr_count:     82
    .vgpr_spill_count: 0
    .wavefront_size: 64
  - .agpr_count:     0
    .args:
      - .offset:         0
        .size:           4
        .value_kind:     by_value
      - .address_space:  global
        .offset:         8
        .size:           8
        .value_kind:     global_buffer
      - .offset:         16
        .size:           8
        .value_kind:     by_value
      - .offset:         24
        .size:           4
        .value_kind:     by_value
      - .offset:         32
        .size:           8
        .value_kind:     by_value
      - .address_space:  global
        .offset:         40
        .size:           8
        .value_kind:     global_buffer
      - .offset:         48
        .size:           4
        .value_kind:     by_value
      - .offset:         52
        .size:           4
        .value_kind:     by_value
      - .offset:         56
        .size:           4
        .value_kind:     hidden_block_count_x
      - .offset:         60
        .size:           4
        .value_kind:     hidden_block_count_y
      - .offset:         64
        .size:           4
        .value_kind:     hidden_block_count_z
      - .offset:         68
        .size:           2
        .value_kind:     hidden_group_size_x
      - .offset:         70
        .size:           2
        .value_kind:     hidden_group_size_y
      - .offset:         72
        .size:           2
        .value_kind:     hidden_group_size_z
      - .offset:         74
        .size:           2
        .value_kind:     hidden_remainder_x
      - .offset:         76
        .size:           2
        .value_kind:     hidden_remainder_y
      - .offset:         78
        .size:           2
        .value_kind:     hidden_remainder_z
      - .offset:         96
        .size:           8
        .value_kind:     hidden_global_offset_x
      - .offset:         104
        .size:           8
        .value_kind:     hidden_global_offset_y
      - .offset:         112
        .size:           8
        .value_kind:     hidden_global_offset_z
      - .offset:         120
        .size:           2
        .value_kind:     hidden_grid_dims
      - .offset:         176
        .size:           4
        .value_kind:     hidden_dynamic_lds_size
    .group_segment_fixed_size: 0
    .kernarg_segment_align: 8
    .kernarg_segment_size: 312
    .language:       OpenCL C
    .language_version:
      - 2
      - 0
    .max_flat_workgroup_size: 512
    .name:           _ZN9rocsolver6v33100L23getf2_npvt_small_kernelILi56EfiiPfEEvT1_T3_lS3_lPT2_S3_S3_
    .private_segment_fixed_size: 0
    .sgpr_count:     22
    .sgpr_spill_count: 0
    .symbol:         _ZN9rocsolver6v33100L23getf2_npvt_small_kernelILi56EfiiPfEEvT1_T3_lS3_lPT2_S3_S3_.kd
    .uniform_work_group_size: 1
    .uses_dynamic_stack: false
    .vgpr_count:     233
    .vgpr_spill_count: 0
    .wavefront_size: 64
  - .agpr_count:     0
    .args:
      - .offset:         0
        .size:           4
        .value_kind:     by_value
      - .address_space:  global
        .offset:         8
        .size:           8
        .value_kind:     global_buffer
      - .offset:         16
        .size:           8
        .value_kind:     by_value
      - .offset:         24
        .size:           4
        .value_kind:     by_value
      - .offset:         32
        .size:           8
        .value_kind:     by_value
      - .address_space:  global
        .offset:         40
        .size:           8
        .value_kind:     global_buffer
      - .offset:         48
        .size:           8
        .value_kind:     by_value
      - .offset:         56
        .size:           8
        .value_kind:     by_value
      - .address_space:  global
        .offset:         64
        .size:           8
        .value_kind:     global_buffer
      - .offset:         72
        .size:           4
        .value_kind:     by_value
      - .offset:         76
        .size:           4
        .value_kind:     by_value
      - .address_space:  global
        .offset:         80
        .size:           8
        .value_kind:     global_buffer
      - .offset:         88
        .size:           8
        .value_kind:     by_value
      - .offset:         96
        .size:           4
        .value_kind:     hidden_block_count_x
      - .offset:         100
        .size:           4
        .value_kind:     hidden_block_count_y
      - .offset:         104
        .size:           4
        .value_kind:     hidden_block_count_z
      - .offset:         108
        .size:           2
        .value_kind:     hidden_group_size_x
      - .offset:         110
        .size:           2
        .value_kind:     hidden_group_size_y
      - .offset:         112
        .size:           2
        .value_kind:     hidden_group_size_z
      - .offset:         114
        .size:           2
        .value_kind:     hidden_remainder_x
      - .offset:         116
        .size:           2
        .value_kind:     hidden_remainder_y
      - .offset:         118
        .size:           2
        .value_kind:     hidden_remainder_z
      - .offset:         136
        .size:           8
        .value_kind:     hidden_global_offset_x
      - .offset:         144
        .size:           8
        .value_kind:     hidden_global_offset_y
      - .offset:         152
        .size:           8
        .value_kind:     hidden_global_offset_z
      - .offset:         160
        .size:           2
        .value_kind:     hidden_grid_dims
      - .offset:         216
        .size:           4
        .value_kind:     hidden_dynamic_lds_size
    .group_segment_fixed_size: 0
    .kernarg_segment_align: 8
    .kernarg_segment_size: 352
    .language:       OpenCL C
    .language_version:
      - 2
      - 0
    .max_flat_workgroup_size: 512
    .name:           _ZN9rocsolver6v33100L18getf2_small_kernelILi57EfiiPfEEvT1_T3_lS3_lPS3_llPT2_S3_S3_S5_l
    .private_segment_fixed_size: 0
    .sgpr_count:     32
    .sgpr_spill_count: 0
    .symbol:         _ZN9rocsolver6v33100L18getf2_small_kernelILi57EfiiPfEEvT1_T3_lS3_lPS3_llPT2_S3_S3_S5_l.kd
    .uniform_work_group_size: 1
    .uses_dynamic_stack: false
    .vgpr_count:     88
    .vgpr_spill_count: 0
    .wavefront_size: 64
  - .agpr_count:     0
    .args:
      - .offset:         0
        .size:           4
        .value_kind:     by_value
      - .address_space:  global
        .offset:         8
        .size:           8
        .value_kind:     global_buffer
      - .offset:         16
        .size:           8
        .value_kind:     by_value
      - .offset:         24
        .size:           4
        .value_kind:     by_value
      - .offset:         32
        .size:           8
        .value_kind:     by_value
      - .address_space:  global
        .offset:         40
        .size:           8
        .value_kind:     global_buffer
      - .offset:         48
        .size:           4
        .value_kind:     by_value
      - .offset:         52
        .size:           4
        .value_kind:     by_value
      - .offset:         56
        .size:           4
        .value_kind:     hidden_block_count_x
      - .offset:         60
        .size:           4
        .value_kind:     hidden_block_count_y
      - .offset:         64
        .size:           4
        .value_kind:     hidden_block_count_z
      - .offset:         68
        .size:           2
        .value_kind:     hidden_group_size_x
      - .offset:         70
        .size:           2
        .value_kind:     hidden_group_size_y
      - .offset:         72
        .size:           2
        .value_kind:     hidden_group_size_z
      - .offset:         74
        .size:           2
        .value_kind:     hidden_remainder_x
      - .offset:         76
        .size:           2
        .value_kind:     hidden_remainder_y
      - .offset:         78
        .size:           2
        .value_kind:     hidden_remainder_z
      - .offset:         96
        .size:           8
        .value_kind:     hidden_global_offset_x
      - .offset:         104
        .size:           8
        .value_kind:     hidden_global_offset_y
      - .offset:         112
        .size:           8
        .value_kind:     hidden_global_offset_z
      - .offset:         120
        .size:           2
        .value_kind:     hidden_grid_dims
      - .offset:         176
        .size:           4
        .value_kind:     hidden_dynamic_lds_size
    .group_segment_fixed_size: 0
    .kernarg_segment_align: 8
    .kernarg_segment_size: 312
    .language:       OpenCL C
    .language_version:
      - 2
      - 0
    .max_flat_workgroup_size: 512
    .name:           _ZN9rocsolver6v33100L23getf2_npvt_small_kernelILi57EfiiPfEEvT1_T3_lS3_lPT2_S3_S3_
    .private_segment_fixed_size: 0
    .sgpr_count:     22
    .sgpr_spill_count: 0
    .symbol:         _ZN9rocsolver6v33100L23getf2_npvt_small_kernelILi57EfiiPfEEvT1_T3_lS3_lPT2_S3_S3_.kd
    .uniform_work_group_size: 1
    .uses_dynamic_stack: false
    .vgpr_count:     237
    .vgpr_spill_count: 0
    .wavefront_size: 64
  - .agpr_count:     0
    .args:
      - .offset:         0
        .size:           4
        .value_kind:     by_value
      - .address_space:  global
        .offset:         8
        .size:           8
        .value_kind:     global_buffer
      - .offset:         16
        .size:           8
        .value_kind:     by_value
      - .offset:         24
        .size:           4
        .value_kind:     by_value
      - .offset:         32
        .size:           8
        .value_kind:     by_value
      - .address_space:  global
        .offset:         40
        .size:           8
        .value_kind:     global_buffer
      - .offset:         48
        .size:           8
        .value_kind:     by_value
      - .offset:         56
        .size:           8
        .value_kind:     by_value
      - .address_space:  global
        .offset:         64
        .size:           8
        .value_kind:     global_buffer
      - .offset:         72
        .size:           4
        .value_kind:     by_value
      - .offset:         76
        .size:           4
        .value_kind:     by_value
      - .address_space:  global
        .offset:         80
        .size:           8
        .value_kind:     global_buffer
      - .offset:         88
        .size:           8
        .value_kind:     by_value
      - .offset:         96
        .size:           4
        .value_kind:     hidden_block_count_x
      - .offset:         100
        .size:           4
        .value_kind:     hidden_block_count_y
      - .offset:         104
        .size:           4
        .value_kind:     hidden_block_count_z
      - .offset:         108
        .size:           2
        .value_kind:     hidden_group_size_x
      - .offset:         110
        .size:           2
        .value_kind:     hidden_group_size_y
      - .offset:         112
        .size:           2
        .value_kind:     hidden_group_size_z
      - .offset:         114
        .size:           2
        .value_kind:     hidden_remainder_x
      - .offset:         116
        .size:           2
        .value_kind:     hidden_remainder_y
      - .offset:         118
        .size:           2
        .value_kind:     hidden_remainder_z
      - .offset:         136
        .size:           8
        .value_kind:     hidden_global_offset_x
      - .offset:         144
        .size:           8
        .value_kind:     hidden_global_offset_y
      - .offset:         152
        .size:           8
        .value_kind:     hidden_global_offset_z
      - .offset:         160
        .size:           2
        .value_kind:     hidden_grid_dims
      - .offset:         216
        .size:           4
        .value_kind:     hidden_dynamic_lds_size
    .group_segment_fixed_size: 0
    .kernarg_segment_align: 8
    .kernarg_segment_size: 352
    .language:       OpenCL C
    .language_version:
      - 2
      - 0
    .max_flat_workgroup_size: 512
    .name:           _ZN9rocsolver6v33100L18getf2_small_kernelILi58EfiiPfEEvT1_T3_lS3_lPS3_llPT2_S3_S3_S5_l
    .private_segment_fixed_size: 0
    .sgpr_count:     32
    .sgpr_spill_count: 0
    .symbol:         _ZN9rocsolver6v33100L18getf2_small_kernelILi58EfiiPfEEvT1_T3_lS3_lPS3_llPT2_S3_S3_S5_l.kd
    .uniform_work_group_size: 1
    .uses_dynamic_stack: false
    .vgpr_count:     86
    .vgpr_spill_count: 0
    .wavefront_size: 64
  - .agpr_count:     0
    .args:
      - .offset:         0
        .size:           4
        .value_kind:     by_value
      - .address_space:  global
        .offset:         8
        .size:           8
        .value_kind:     global_buffer
      - .offset:         16
        .size:           8
        .value_kind:     by_value
      - .offset:         24
        .size:           4
        .value_kind:     by_value
      - .offset:         32
        .size:           8
        .value_kind:     by_value
      - .address_space:  global
        .offset:         40
        .size:           8
        .value_kind:     global_buffer
      - .offset:         48
        .size:           4
        .value_kind:     by_value
      - .offset:         52
        .size:           4
        .value_kind:     by_value
      - .offset:         56
        .size:           4
        .value_kind:     hidden_block_count_x
      - .offset:         60
        .size:           4
        .value_kind:     hidden_block_count_y
      - .offset:         64
        .size:           4
        .value_kind:     hidden_block_count_z
      - .offset:         68
        .size:           2
        .value_kind:     hidden_group_size_x
      - .offset:         70
        .size:           2
        .value_kind:     hidden_group_size_y
      - .offset:         72
        .size:           2
        .value_kind:     hidden_group_size_z
      - .offset:         74
        .size:           2
        .value_kind:     hidden_remainder_x
      - .offset:         76
        .size:           2
        .value_kind:     hidden_remainder_y
      - .offset:         78
        .size:           2
        .value_kind:     hidden_remainder_z
      - .offset:         96
        .size:           8
        .value_kind:     hidden_global_offset_x
      - .offset:         104
        .size:           8
        .value_kind:     hidden_global_offset_y
      - .offset:         112
        .size:           8
        .value_kind:     hidden_global_offset_z
      - .offset:         120
        .size:           2
        .value_kind:     hidden_grid_dims
      - .offset:         176
        .size:           4
        .value_kind:     hidden_dynamic_lds_size
    .group_segment_fixed_size: 0
    .kernarg_segment_align: 8
    .kernarg_segment_size: 312
    .language:       OpenCL C
    .language_version:
      - 2
      - 0
    .max_flat_workgroup_size: 512
    .name:           _ZN9rocsolver6v33100L23getf2_npvt_small_kernelILi58EfiiPfEEvT1_T3_lS3_lPT2_S3_S3_
    .private_segment_fixed_size: 0
    .sgpr_count:     22
    .sgpr_spill_count: 0
    .symbol:         _ZN9rocsolver6v33100L23getf2_npvt_small_kernelILi58EfiiPfEEvT1_T3_lS3_lPT2_S3_S3_.kd
    .uniform_work_group_size: 1
    .uses_dynamic_stack: false
    .vgpr_count:     241
    .vgpr_spill_count: 0
    .wavefront_size: 64
  - .agpr_count:     0
    .args:
      - .offset:         0
        .size:           4
        .value_kind:     by_value
      - .address_space:  global
        .offset:         8
        .size:           8
        .value_kind:     global_buffer
      - .offset:         16
        .size:           8
        .value_kind:     by_value
      - .offset:         24
        .size:           4
        .value_kind:     by_value
      - .offset:         32
        .size:           8
        .value_kind:     by_value
      - .address_space:  global
        .offset:         40
        .size:           8
        .value_kind:     global_buffer
      - .offset:         48
        .size:           8
        .value_kind:     by_value
      - .offset:         56
        .size:           8
        .value_kind:     by_value
      - .address_space:  global
        .offset:         64
        .size:           8
        .value_kind:     global_buffer
      - .offset:         72
        .size:           4
        .value_kind:     by_value
      - .offset:         76
        .size:           4
        .value_kind:     by_value
      - .address_space:  global
        .offset:         80
        .size:           8
        .value_kind:     global_buffer
      - .offset:         88
        .size:           8
        .value_kind:     by_value
      - .offset:         96
        .size:           4
        .value_kind:     hidden_block_count_x
      - .offset:         100
        .size:           4
        .value_kind:     hidden_block_count_y
      - .offset:         104
        .size:           4
        .value_kind:     hidden_block_count_z
      - .offset:         108
        .size:           2
        .value_kind:     hidden_group_size_x
      - .offset:         110
        .size:           2
        .value_kind:     hidden_group_size_y
      - .offset:         112
        .size:           2
        .value_kind:     hidden_group_size_z
      - .offset:         114
        .size:           2
        .value_kind:     hidden_remainder_x
      - .offset:         116
        .size:           2
        .value_kind:     hidden_remainder_y
      - .offset:         118
        .size:           2
        .value_kind:     hidden_remainder_z
      - .offset:         136
        .size:           8
        .value_kind:     hidden_global_offset_x
      - .offset:         144
        .size:           8
        .value_kind:     hidden_global_offset_y
      - .offset:         152
        .size:           8
        .value_kind:     hidden_global_offset_z
      - .offset:         160
        .size:           2
        .value_kind:     hidden_grid_dims
      - .offset:         216
        .size:           4
        .value_kind:     hidden_dynamic_lds_size
    .group_segment_fixed_size: 0
    .kernarg_segment_align: 8
    .kernarg_segment_size: 352
    .language:       OpenCL C
    .language_version:
      - 2
      - 0
    .max_flat_workgroup_size: 512
    .name:           _ZN9rocsolver6v33100L18getf2_small_kernelILi59EfiiPfEEvT1_T3_lS3_lPS3_llPT2_S3_S3_S5_l
    .private_segment_fixed_size: 0
    .sgpr_count:     32
    .sgpr_spill_count: 0
    .symbol:         _ZN9rocsolver6v33100L18getf2_small_kernelILi59EfiiPfEEvT1_T3_lS3_lPS3_llPT2_S3_S3_S5_l.kd
    .uniform_work_group_size: 1
    .uses_dynamic_stack: false
    .vgpr_count:     88
    .vgpr_spill_count: 0
    .wavefront_size: 64
  - .agpr_count:     0
    .args:
      - .offset:         0
        .size:           4
        .value_kind:     by_value
      - .address_space:  global
        .offset:         8
        .size:           8
        .value_kind:     global_buffer
      - .offset:         16
        .size:           8
        .value_kind:     by_value
      - .offset:         24
        .size:           4
        .value_kind:     by_value
      - .offset:         32
        .size:           8
        .value_kind:     by_value
      - .address_space:  global
        .offset:         40
        .size:           8
        .value_kind:     global_buffer
      - .offset:         48
        .size:           4
        .value_kind:     by_value
      - .offset:         52
        .size:           4
        .value_kind:     by_value
      - .offset:         56
        .size:           4
        .value_kind:     hidden_block_count_x
      - .offset:         60
        .size:           4
        .value_kind:     hidden_block_count_y
      - .offset:         64
        .size:           4
        .value_kind:     hidden_block_count_z
      - .offset:         68
        .size:           2
        .value_kind:     hidden_group_size_x
      - .offset:         70
        .size:           2
        .value_kind:     hidden_group_size_y
      - .offset:         72
        .size:           2
        .value_kind:     hidden_group_size_z
      - .offset:         74
        .size:           2
        .value_kind:     hidden_remainder_x
      - .offset:         76
        .size:           2
        .value_kind:     hidden_remainder_y
      - .offset:         78
        .size:           2
        .value_kind:     hidden_remainder_z
      - .offset:         96
        .size:           8
        .value_kind:     hidden_global_offset_x
      - .offset:         104
        .size:           8
        .value_kind:     hidden_global_offset_y
      - .offset:         112
        .size:           8
        .value_kind:     hidden_global_offset_z
      - .offset:         120
        .size:           2
        .value_kind:     hidden_grid_dims
      - .offset:         176
        .size:           4
        .value_kind:     hidden_dynamic_lds_size
    .group_segment_fixed_size: 0
    .kernarg_segment_align: 8
    .kernarg_segment_size: 312
    .language:       OpenCL C
    .language_version:
      - 2
      - 0
    .max_flat_workgroup_size: 512
    .name:           _ZN9rocsolver6v33100L23getf2_npvt_small_kernelILi59EfiiPfEEvT1_T3_lS3_lPT2_S3_S3_
    .private_segment_fixed_size: 0
    .sgpr_count:     22
    .sgpr_spill_count: 0
    .symbol:         _ZN9rocsolver6v33100L23getf2_npvt_small_kernelILi59EfiiPfEEvT1_T3_lS3_lPT2_S3_S3_.kd
    .uniform_work_group_size: 1
    .uses_dynamic_stack: false
    .vgpr_count:     245
    .vgpr_spill_count: 0
    .wavefront_size: 64
  - .agpr_count:     0
    .args:
      - .offset:         0
        .size:           4
        .value_kind:     by_value
      - .address_space:  global
        .offset:         8
        .size:           8
        .value_kind:     global_buffer
      - .offset:         16
        .size:           8
        .value_kind:     by_value
      - .offset:         24
        .size:           4
        .value_kind:     by_value
      - .offset:         32
        .size:           8
        .value_kind:     by_value
      - .address_space:  global
        .offset:         40
        .size:           8
        .value_kind:     global_buffer
      - .offset:         48
        .size:           8
        .value_kind:     by_value
      - .offset:         56
        .size:           8
        .value_kind:     by_value
      - .address_space:  global
        .offset:         64
        .size:           8
        .value_kind:     global_buffer
      - .offset:         72
        .size:           4
        .value_kind:     by_value
      - .offset:         76
        .size:           4
        .value_kind:     by_value
      - .address_space:  global
        .offset:         80
        .size:           8
        .value_kind:     global_buffer
      - .offset:         88
        .size:           8
        .value_kind:     by_value
      - .offset:         96
        .size:           4
        .value_kind:     hidden_block_count_x
      - .offset:         100
        .size:           4
        .value_kind:     hidden_block_count_y
      - .offset:         104
        .size:           4
        .value_kind:     hidden_block_count_z
      - .offset:         108
        .size:           2
        .value_kind:     hidden_group_size_x
      - .offset:         110
        .size:           2
        .value_kind:     hidden_group_size_y
      - .offset:         112
        .size:           2
        .value_kind:     hidden_group_size_z
      - .offset:         114
        .size:           2
        .value_kind:     hidden_remainder_x
      - .offset:         116
        .size:           2
        .value_kind:     hidden_remainder_y
      - .offset:         118
        .size:           2
        .value_kind:     hidden_remainder_z
      - .offset:         136
        .size:           8
        .value_kind:     hidden_global_offset_x
      - .offset:         144
        .size:           8
        .value_kind:     hidden_global_offset_y
      - .offset:         152
        .size:           8
        .value_kind:     hidden_global_offset_z
      - .offset:         160
        .size:           2
        .value_kind:     hidden_grid_dims
      - .offset:         216
        .size:           4
        .value_kind:     hidden_dynamic_lds_size
    .group_segment_fixed_size: 0
    .kernarg_segment_align: 8
    .kernarg_segment_size: 352
    .language:       OpenCL C
    .language_version:
      - 2
      - 0
    .max_flat_workgroup_size: 512
    .name:           _ZN9rocsolver6v33100L18getf2_small_kernelILi60EfiiPfEEvT1_T3_lS3_lPS3_llPT2_S3_S3_S5_l
    .private_segment_fixed_size: 0
    .sgpr_count:     32
    .sgpr_spill_count: 0
    .symbol:         _ZN9rocsolver6v33100L18getf2_small_kernelILi60EfiiPfEEvT1_T3_lS3_lPS3_llPT2_S3_S3_S5_l.kd
    .uniform_work_group_size: 1
    .uses_dynamic_stack: false
    .vgpr_count:     86
    .vgpr_spill_count: 0
    .wavefront_size: 64
  - .agpr_count:     0
    .args:
      - .offset:         0
        .size:           4
        .value_kind:     by_value
      - .address_space:  global
        .offset:         8
        .size:           8
        .value_kind:     global_buffer
      - .offset:         16
        .size:           8
        .value_kind:     by_value
      - .offset:         24
        .size:           4
        .value_kind:     by_value
      - .offset:         32
        .size:           8
        .value_kind:     by_value
      - .address_space:  global
        .offset:         40
        .size:           8
        .value_kind:     global_buffer
      - .offset:         48
        .size:           4
        .value_kind:     by_value
      - .offset:         52
        .size:           4
        .value_kind:     by_value
      - .offset:         56
        .size:           4
        .value_kind:     hidden_block_count_x
      - .offset:         60
        .size:           4
        .value_kind:     hidden_block_count_y
      - .offset:         64
        .size:           4
        .value_kind:     hidden_block_count_z
      - .offset:         68
        .size:           2
        .value_kind:     hidden_group_size_x
      - .offset:         70
        .size:           2
        .value_kind:     hidden_group_size_y
      - .offset:         72
        .size:           2
        .value_kind:     hidden_group_size_z
      - .offset:         74
        .size:           2
        .value_kind:     hidden_remainder_x
      - .offset:         76
        .size:           2
        .value_kind:     hidden_remainder_y
      - .offset:         78
        .size:           2
        .value_kind:     hidden_remainder_z
      - .offset:         96
        .size:           8
        .value_kind:     hidden_global_offset_x
      - .offset:         104
        .size:           8
        .value_kind:     hidden_global_offset_y
      - .offset:         112
        .size:           8
        .value_kind:     hidden_global_offset_z
      - .offset:         120
        .size:           2
        .value_kind:     hidden_grid_dims
      - .offset:         176
        .size:           4
        .value_kind:     hidden_dynamic_lds_size
    .group_segment_fixed_size: 0
    .kernarg_segment_align: 8
    .kernarg_segment_size: 312
    .language:       OpenCL C
    .language_version:
      - 2
      - 0
    .max_flat_workgroup_size: 512
    .name:           _ZN9rocsolver6v33100L23getf2_npvt_small_kernelILi60EfiiPfEEvT1_T3_lS3_lPT2_S3_S3_
    .private_segment_fixed_size: 0
    .sgpr_count:     22
    .sgpr_spill_count: 0
    .symbol:         _ZN9rocsolver6v33100L23getf2_npvt_small_kernelILi60EfiiPfEEvT1_T3_lS3_lPT2_S3_S3_.kd
    .uniform_work_group_size: 1
    .uses_dynamic_stack: false
    .vgpr_count:     249
    .vgpr_spill_count: 0
    .wavefront_size: 64
  - .agpr_count:     0
    .args:
      - .offset:         0
        .size:           4
        .value_kind:     by_value
      - .address_space:  global
        .offset:         8
        .size:           8
        .value_kind:     global_buffer
      - .offset:         16
        .size:           8
        .value_kind:     by_value
      - .offset:         24
        .size:           4
        .value_kind:     by_value
      - .offset:         32
        .size:           8
        .value_kind:     by_value
      - .address_space:  global
        .offset:         40
        .size:           8
        .value_kind:     global_buffer
      - .offset:         48
        .size:           8
        .value_kind:     by_value
      - .offset:         56
        .size:           8
        .value_kind:     by_value
      - .address_space:  global
        .offset:         64
        .size:           8
        .value_kind:     global_buffer
      - .offset:         72
        .size:           4
        .value_kind:     by_value
      - .offset:         76
        .size:           4
        .value_kind:     by_value
      - .address_space:  global
        .offset:         80
        .size:           8
        .value_kind:     global_buffer
      - .offset:         88
        .size:           8
        .value_kind:     by_value
      - .offset:         96
        .size:           4
        .value_kind:     hidden_block_count_x
      - .offset:         100
        .size:           4
        .value_kind:     hidden_block_count_y
      - .offset:         104
        .size:           4
        .value_kind:     hidden_block_count_z
      - .offset:         108
        .size:           2
        .value_kind:     hidden_group_size_x
      - .offset:         110
        .size:           2
        .value_kind:     hidden_group_size_y
      - .offset:         112
        .size:           2
        .value_kind:     hidden_group_size_z
      - .offset:         114
        .size:           2
        .value_kind:     hidden_remainder_x
      - .offset:         116
        .size:           2
        .value_kind:     hidden_remainder_y
      - .offset:         118
        .size:           2
        .value_kind:     hidden_remainder_z
      - .offset:         136
        .size:           8
        .value_kind:     hidden_global_offset_x
      - .offset:         144
        .size:           8
        .value_kind:     hidden_global_offset_y
      - .offset:         152
        .size:           8
        .value_kind:     hidden_global_offset_z
      - .offset:         160
        .size:           2
        .value_kind:     hidden_grid_dims
      - .offset:         216
        .size:           4
        .value_kind:     hidden_dynamic_lds_size
    .group_segment_fixed_size: 0
    .kernarg_segment_align: 8
    .kernarg_segment_size: 352
    .language:       OpenCL C
    .language_version:
      - 2
      - 0
    .max_flat_workgroup_size: 512
    .name:           _ZN9rocsolver6v33100L18getf2_small_kernelILi61EfiiPfEEvT1_T3_lS3_lPS3_llPT2_S3_S3_S5_l
    .private_segment_fixed_size: 0
    .sgpr_count:     32
    .sgpr_spill_count: 0
    .symbol:         _ZN9rocsolver6v33100L18getf2_small_kernelILi61EfiiPfEEvT1_T3_lS3_lPS3_llPT2_S3_S3_S5_l.kd
    .uniform_work_group_size: 1
    .uses_dynamic_stack: false
    .vgpr_count:     86
    .vgpr_spill_count: 0
    .wavefront_size: 64
  - .agpr_count:     0
    .args:
      - .offset:         0
        .size:           4
        .value_kind:     by_value
      - .address_space:  global
        .offset:         8
        .size:           8
        .value_kind:     global_buffer
      - .offset:         16
        .size:           8
        .value_kind:     by_value
      - .offset:         24
        .size:           4
        .value_kind:     by_value
      - .offset:         32
        .size:           8
        .value_kind:     by_value
      - .address_space:  global
        .offset:         40
        .size:           8
        .value_kind:     global_buffer
      - .offset:         48
        .size:           4
        .value_kind:     by_value
      - .offset:         52
        .size:           4
        .value_kind:     by_value
      - .offset:         56
        .size:           4
        .value_kind:     hidden_block_count_x
      - .offset:         60
        .size:           4
        .value_kind:     hidden_block_count_y
      - .offset:         64
        .size:           4
        .value_kind:     hidden_block_count_z
      - .offset:         68
        .size:           2
        .value_kind:     hidden_group_size_x
      - .offset:         70
        .size:           2
        .value_kind:     hidden_group_size_y
      - .offset:         72
        .size:           2
        .value_kind:     hidden_group_size_z
      - .offset:         74
        .size:           2
        .value_kind:     hidden_remainder_x
      - .offset:         76
        .size:           2
        .value_kind:     hidden_remainder_y
      - .offset:         78
        .size:           2
        .value_kind:     hidden_remainder_z
      - .offset:         96
        .size:           8
        .value_kind:     hidden_global_offset_x
      - .offset:         104
        .size:           8
        .value_kind:     hidden_global_offset_y
      - .offset:         112
        .size:           8
        .value_kind:     hidden_global_offset_z
      - .offset:         120
        .size:           2
        .value_kind:     hidden_grid_dims
      - .offset:         176
        .size:           4
        .value_kind:     hidden_dynamic_lds_size
    .group_segment_fixed_size: 0
    .kernarg_segment_align: 8
    .kernarg_segment_size: 312
    .language:       OpenCL C
    .language_version:
      - 2
      - 0
    .max_flat_workgroup_size: 512
    .name:           _ZN9rocsolver6v33100L23getf2_npvt_small_kernelILi61EfiiPfEEvT1_T3_lS3_lPT2_S3_S3_
    .private_segment_fixed_size: 0
    .sgpr_count:     22
    .sgpr_spill_count: 0
    .symbol:         _ZN9rocsolver6v33100L23getf2_npvt_small_kernelILi61EfiiPfEEvT1_T3_lS3_lPT2_S3_S3_.kd
    .uniform_work_group_size: 1
    .uses_dynamic_stack: false
    .vgpr_count:     253
    .vgpr_spill_count: 0
    .wavefront_size: 64
  - .agpr_count:     0
    .args:
      - .offset:         0
        .size:           4
        .value_kind:     by_value
      - .address_space:  global
        .offset:         8
        .size:           8
        .value_kind:     global_buffer
      - .offset:         16
        .size:           8
        .value_kind:     by_value
      - .offset:         24
        .size:           4
        .value_kind:     by_value
      - .offset:         32
        .size:           8
        .value_kind:     by_value
      - .address_space:  global
        .offset:         40
        .size:           8
        .value_kind:     global_buffer
      - .offset:         48
        .size:           8
        .value_kind:     by_value
      - .offset:         56
        .size:           8
        .value_kind:     by_value
      - .address_space:  global
        .offset:         64
        .size:           8
        .value_kind:     global_buffer
      - .offset:         72
        .size:           4
        .value_kind:     by_value
      - .offset:         76
        .size:           4
        .value_kind:     by_value
      - .address_space:  global
        .offset:         80
        .size:           8
        .value_kind:     global_buffer
      - .offset:         88
        .size:           8
        .value_kind:     by_value
      - .offset:         96
        .size:           4
        .value_kind:     hidden_block_count_x
      - .offset:         100
        .size:           4
        .value_kind:     hidden_block_count_y
      - .offset:         104
        .size:           4
        .value_kind:     hidden_block_count_z
      - .offset:         108
        .size:           2
        .value_kind:     hidden_group_size_x
      - .offset:         110
        .size:           2
        .value_kind:     hidden_group_size_y
      - .offset:         112
        .size:           2
        .value_kind:     hidden_group_size_z
      - .offset:         114
        .size:           2
        .value_kind:     hidden_remainder_x
      - .offset:         116
        .size:           2
        .value_kind:     hidden_remainder_y
      - .offset:         118
        .size:           2
        .value_kind:     hidden_remainder_z
      - .offset:         136
        .size:           8
        .value_kind:     hidden_global_offset_x
      - .offset:         144
        .size:           8
        .value_kind:     hidden_global_offset_y
      - .offset:         152
        .size:           8
        .value_kind:     hidden_global_offset_z
      - .offset:         160
        .size:           2
        .value_kind:     hidden_grid_dims
      - .offset:         216
        .size:           4
        .value_kind:     hidden_dynamic_lds_size
    .group_segment_fixed_size: 0
    .kernarg_segment_align: 8
    .kernarg_segment_size: 352
    .language:       OpenCL C
    .language_version:
      - 2
      - 0
    .max_flat_workgroup_size: 512
    .name:           _ZN9rocsolver6v33100L18getf2_small_kernelILi62EfiiPfEEvT1_T3_lS3_lPS3_llPT2_S3_S3_S5_l
    .private_segment_fixed_size: 0
    .sgpr_count:     32
    .sgpr_spill_count: 0
    .symbol:         _ZN9rocsolver6v33100L18getf2_small_kernelILi62EfiiPfEEvT1_T3_lS3_lPS3_llPT2_S3_S3_S5_l.kd
    .uniform_work_group_size: 1
    .uses_dynamic_stack: false
    .vgpr_count:     86
    .vgpr_spill_count: 0
    .wavefront_size: 64
  - .agpr_count:     0
    .args:
      - .offset:         0
        .size:           4
        .value_kind:     by_value
      - .address_space:  global
        .offset:         8
        .size:           8
        .value_kind:     global_buffer
      - .offset:         16
        .size:           8
        .value_kind:     by_value
      - .offset:         24
        .size:           4
        .value_kind:     by_value
      - .offset:         32
        .size:           8
        .value_kind:     by_value
      - .address_space:  global
        .offset:         40
        .size:           8
        .value_kind:     global_buffer
      - .offset:         48
        .size:           4
        .value_kind:     by_value
      - .offset:         52
        .size:           4
        .value_kind:     by_value
      - .offset:         56
        .size:           4
        .value_kind:     hidden_block_count_x
      - .offset:         60
        .size:           4
        .value_kind:     hidden_block_count_y
      - .offset:         64
        .size:           4
        .value_kind:     hidden_block_count_z
      - .offset:         68
        .size:           2
        .value_kind:     hidden_group_size_x
      - .offset:         70
        .size:           2
        .value_kind:     hidden_group_size_y
      - .offset:         72
        .size:           2
        .value_kind:     hidden_group_size_z
      - .offset:         74
        .size:           2
        .value_kind:     hidden_remainder_x
      - .offset:         76
        .size:           2
        .value_kind:     hidden_remainder_y
      - .offset:         78
        .size:           2
        .value_kind:     hidden_remainder_z
      - .offset:         96
        .size:           8
        .value_kind:     hidden_global_offset_x
      - .offset:         104
        .size:           8
        .value_kind:     hidden_global_offset_y
      - .offset:         112
        .size:           8
        .value_kind:     hidden_global_offset_z
      - .offset:         120
        .size:           2
        .value_kind:     hidden_grid_dims
      - .offset:         176
        .size:           4
        .value_kind:     hidden_dynamic_lds_size
    .group_segment_fixed_size: 0
    .kernarg_segment_align: 8
    .kernarg_segment_size: 312
    .language:       OpenCL C
    .language_version:
      - 2
      - 0
    .max_flat_workgroup_size: 512
    .name:           _ZN9rocsolver6v33100L23getf2_npvt_small_kernelILi62EfiiPfEEvT1_T3_lS3_lPT2_S3_S3_
    .private_segment_fixed_size: 8
    .sgpr_count:     22
    .sgpr_spill_count: 0
    .symbol:         _ZN9rocsolver6v33100L23getf2_npvt_small_kernelILi62EfiiPfEEvT1_T3_lS3_lPT2_S3_S3_.kd
    .uniform_work_group_size: 1
    .uses_dynamic_stack: false
    .vgpr_count:     256
    .vgpr_spill_count: 1
    .wavefront_size: 64
  - .agpr_count:     0
    .args:
      - .offset:         0
        .size:           4
        .value_kind:     by_value
      - .address_space:  global
        .offset:         8
        .size:           8
        .value_kind:     global_buffer
      - .offset:         16
        .size:           8
        .value_kind:     by_value
      - .offset:         24
        .size:           4
        .value_kind:     by_value
      - .offset:         32
        .size:           8
        .value_kind:     by_value
      - .address_space:  global
        .offset:         40
        .size:           8
        .value_kind:     global_buffer
      - .offset:         48
        .size:           8
        .value_kind:     by_value
      - .offset:         56
        .size:           8
        .value_kind:     by_value
      - .address_space:  global
        .offset:         64
        .size:           8
        .value_kind:     global_buffer
      - .offset:         72
        .size:           4
        .value_kind:     by_value
      - .offset:         76
        .size:           4
        .value_kind:     by_value
      - .address_space:  global
        .offset:         80
        .size:           8
        .value_kind:     global_buffer
      - .offset:         88
        .size:           8
        .value_kind:     by_value
      - .offset:         96
        .size:           4
        .value_kind:     hidden_block_count_x
      - .offset:         100
        .size:           4
        .value_kind:     hidden_block_count_y
      - .offset:         104
        .size:           4
        .value_kind:     hidden_block_count_z
      - .offset:         108
        .size:           2
        .value_kind:     hidden_group_size_x
      - .offset:         110
        .size:           2
        .value_kind:     hidden_group_size_y
      - .offset:         112
        .size:           2
        .value_kind:     hidden_group_size_z
      - .offset:         114
        .size:           2
        .value_kind:     hidden_remainder_x
      - .offset:         116
        .size:           2
        .value_kind:     hidden_remainder_y
      - .offset:         118
        .size:           2
        .value_kind:     hidden_remainder_z
      - .offset:         136
        .size:           8
        .value_kind:     hidden_global_offset_x
      - .offset:         144
        .size:           8
        .value_kind:     hidden_global_offset_y
      - .offset:         152
        .size:           8
        .value_kind:     hidden_global_offset_z
      - .offset:         160
        .size:           2
        .value_kind:     hidden_grid_dims
      - .offset:         216
        .size:           4
        .value_kind:     hidden_dynamic_lds_size
    .group_segment_fixed_size: 0
    .kernarg_segment_align: 8
    .kernarg_segment_size: 352
    .language:       OpenCL C
    .language_version:
      - 2
      - 0
    .max_flat_workgroup_size: 512
    .name:           _ZN9rocsolver6v33100L18getf2_small_kernelILi63EfiiPfEEvT1_T3_lS3_lPS3_llPT2_S3_S3_S5_l
    .private_segment_fixed_size: 0
    .sgpr_count:     32
    .sgpr_spill_count: 0
    .symbol:         _ZN9rocsolver6v33100L18getf2_small_kernelILi63EfiiPfEEvT1_T3_lS3_lPS3_llPT2_S3_S3_S5_l.kd
    .uniform_work_group_size: 1
    .uses_dynamic_stack: false
    .vgpr_count:     102
    .vgpr_spill_count: 0
    .wavefront_size: 64
  - .agpr_count:     0
    .args:
      - .offset:         0
        .size:           4
        .value_kind:     by_value
      - .address_space:  global
        .offset:         8
        .size:           8
        .value_kind:     global_buffer
      - .offset:         16
        .size:           8
        .value_kind:     by_value
      - .offset:         24
        .size:           4
        .value_kind:     by_value
      - .offset:         32
        .size:           8
        .value_kind:     by_value
      - .address_space:  global
        .offset:         40
        .size:           8
        .value_kind:     global_buffer
      - .offset:         48
        .size:           4
        .value_kind:     by_value
      - .offset:         52
        .size:           4
        .value_kind:     by_value
      - .offset:         56
        .size:           4
        .value_kind:     hidden_block_count_x
      - .offset:         60
        .size:           4
        .value_kind:     hidden_block_count_y
      - .offset:         64
        .size:           4
        .value_kind:     hidden_block_count_z
      - .offset:         68
        .size:           2
        .value_kind:     hidden_group_size_x
      - .offset:         70
        .size:           2
        .value_kind:     hidden_group_size_y
      - .offset:         72
        .size:           2
        .value_kind:     hidden_group_size_z
      - .offset:         74
        .size:           2
        .value_kind:     hidden_remainder_x
      - .offset:         76
        .size:           2
        .value_kind:     hidden_remainder_y
      - .offset:         78
        .size:           2
        .value_kind:     hidden_remainder_z
      - .offset:         96
        .size:           8
        .value_kind:     hidden_global_offset_x
      - .offset:         104
        .size:           8
        .value_kind:     hidden_global_offset_y
      - .offset:         112
        .size:           8
        .value_kind:     hidden_global_offset_z
      - .offset:         120
        .size:           2
        .value_kind:     hidden_grid_dims
      - .offset:         176
        .size:           4
        .value_kind:     hidden_dynamic_lds_size
    .group_segment_fixed_size: 0
    .kernarg_segment_align: 8
    .kernarg_segment_size: 312
    .language:       OpenCL C
    .language_version:
      - 2
      - 0
    .max_flat_workgroup_size: 512
    .name:           _ZN9rocsolver6v33100L23getf2_npvt_small_kernelILi63EfiiPfEEvT1_T3_lS3_lPT2_S3_S3_
    .private_segment_fixed_size: 32
    .sgpr_count:     22
    .sgpr_spill_count: 0
    .symbol:         _ZN9rocsolver6v33100L23getf2_npvt_small_kernelILi63EfiiPfEEvT1_T3_lS3_lPT2_S3_S3_.kd
    .uniform_work_group_size: 1
    .uses_dynamic_stack: false
    .vgpr_count:     256
    .vgpr_spill_count: 7
    .wavefront_size: 64
  - .agpr_count:     0
    .args:
      - .offset:         0
        .size:           4
        .value_kind:     by_value
      - .address_space:  global
        .offset:         8
        .size:           8
        .value_kind:     global_buffer
      - .offset:         16
        .size:           8
        .value_kind:     by_value
      - .offset:         24
        .size:           4
        .value_kind:     by_value
      - .offset:         32
        .size:           8
        .value_kind:     by_value
      - .address_space:  global
        .offset:         40
        .size:           8
        .value_kind:     global_buffer
      - .offset:         48
        .size:           8
        .value_kind:     by_value
      - .offset:         56
        .size:           8
        .value_kind:     by_value
      - .address_space:  global
        .offset:         64
        .size:           8
        .value_kind:     global_buffer
      - .offset:         72
        .size:           4
        .value_kind:     by_value
      - .offset:         76
        .size:           4
        .value_kind:     by_value
      - .address_space:  global
        .offset:         80
        .size:           8
        .value_kind:     global_buffer
      - .offset:         88
        .size:           8
        .value_kind:     by_value
      - .offset:         96
        .size:           4
        .value_kind:     hidden_block_count_x
      - .offset:         100
        .size:           4
        .value_kind:     hidden_block_count_y
      - .offset:         104
        .size:           4
        .value_kind:     hidden_block_count_z
      - .offset:         108
        .size:           2
        .value_kind:     hidden_group_size_x
      - .offset:         110
        .size:           2
        .value_kind:     hidden_group_size_y
      - .offset:         112
        .size:           2
        .value_kind:     hidden_group_size_z
      - .offset:         114
        .size:           2
        .value_kind:     hidden_remainder_x
      - .offset:         116
        .size:           2
        .value_kind:     hidden_remainder_y
      - .offset:         118
        .size:           2
        .value_kind:     hidden_remainder_z
      - .offset:         136
        .size:           8
        .value_kind:     hidden_global_offset_x
      - .offset:         144
        .size:           8
        .value_kind:     hidden_global_offset_y
      - .offset:         152
        .size:           8
        .value_kind:     hidden_global_offset_z
      - .offset:         160
        .size:           2
        .value_kind:     hidden_grid_dims
      - .offset:         216
        .size:           4
        .value_kind:     hidden_dynamic_lds_size
    .group_segment_fixed_size: 0
    .kernarg_segment_align: 8
    .kernarg_segment_size: 352
    .language:       OpenCL C
    .language_version:
      - 2
      - 0
    .max_flat_workgroup_size: 512
    .name:           _ZN9rocsolver6v33100L18getf2_small_kernelILi64EfiiPfEEvT1_T3_lS3_lPS3_llPT2_S3_S3_S5_l
    .private_segment_fixed_size: 0
    .sgpr_count:     32
    .sgpr_spill_count: 0
    .symbol:         _ZN9rocsolver6v33100L18getf2_small_kernelILi64EfiiPfEEvT1_T3_lS3_lPS3_llPT2_S3_S3_S5_l.kd
    .uniform_work_group_size: 1
    .uses_dynamic_stack: false
    .vgpr_count:     98
    .vgpr_spill_count: 0
    .wavefront_size: 64
  - .agpr_count:     0
    .args:
      - .offset:         0
        .size:           4
        .value_kind:     by_value
      - .address_space:  global
        .offset:         8
        .size:           8
        .value_kind:     global_buffer
      - .offset:         16
        .size:           8
        .value_kind:     by_value
      - .offset:         24
        .size:           4
        .value_kind:     by_value
      - .offset:         32
        .size:           8
        .value_kind:     by_value
      - .address_space:  global
        .offset:         40
        .size:           8
        .value_kind:     global_buffer
      - .offset:         48
        .size:           4
        .value_kind:     by_value
      - .offset:         52
        .size:           4
        .value_kind:     by_value
      - .offset:         56
        .size:           4
        .value_kind:     hidden_block_count_x
      - .offset:         60
        .size:           4
        .value_kind:     hidden_block_count_y
      - .offset:         64
        .size:           4
        .value_kind:     hidden_block_count_z
      - .offset:         68
        .size:           2
        .value_kind:     hidden_group_size_x
      - .offset:         70
        .size:           2
        .value_kind:     hidden_group_size_y
      - .offset:         72
        .size:           2
        .value_kind:     hidden_group_size_z
      - .offset:         74
        .size:           2
        .value_kind:     hidden_remainder_x
      - .offset:         76
        .size:           2
        .value_kind:     hidden_remainder_y
      - .offset:         78
        .size:           2
        .value_kind:     hidden_remainder_z
      - .offset:         96
        .size:           8
        .value_kind:     hidden_global_offset_x
      - .offset:         104
        .size:           8
        .value_kind:     hidden_global_offset_y
      - .offset:         112
        .size:           8
        .value_kind:     hidden_global_offset_z
      - .offset:         120
        .size:           2
        .value_kind:     hidden_grid_dims
      - .offset:         176
        .size:           4
        .value_kind:     hidden_dynamic_lds_size
    .group_segment_fixed_size: 0
    .kernarg_segment_align: 8
    .kernarg_segment_size: 312
    .language:       OpenCL C
    .language_version:
      - 2
      - 0
    .max_flat_workgroup_size: 512
    .name:           _ZN9rocsolver6v33100L23getf2_npvt_small_kernelILi64EfiiPfEEvT1_T3_lS3_lPT2_S3_S3_
    .private_segment_fixed_size: 48
    .sgpr_count:     22
    .sgpr_spill_count: 0
    .symbol:         _ZN9rocsolver6v33100L23getf2_npvt_small_kernelILi64EfiiPfEEvT1_T3_lS3_lPT2_S3_S3_.kd
    .uniform_work_group_size: 1
    .uses_dynamic_stack: false
    .vgpr_count:     256
    .vgpr_spill_count: 11
    .wavefront_size: 64
amdhsa.target:   amdgcn-amd-amdhsa--gfx950
amdhsa.version:
  - 1
  - 2
...

	.end_amdgpu_metadata
